;; amdgpu-corpus repo=ROCm/rocSOLVER kind=compiled arch=gfx90a opt=O3
	.text
	.amdgcn_target "amdgcn-amd-amdhsa--gfx90a"
	.amdhsa_code_object_version 6
	.section	.text._ZN9rocsolver6v33100L18getri_kernel_smallILi1EdPdEEvT1_iilPiilS4_bb,"axG",@progbits,_ZN9rocsolver6v33100L18getri_kernel_smallILi1EdPdEEvT1_iilPiilS4_bb,comdat
	.globl	_ZN9rocsolver6v33100L18getri_kernel_smallILi1EdPdEEvT1_iilPiilS4_bb ; -- Begin function _ZN9rocsolver6v33100L18getri_kernel_smallILi1EdPdEEvT1_iilPiilS4_bb
	.p2align	8
	.type	_ZN9rocsolver6v33100L18getri_kernel_smallILi1EdPdEEvT1_iilPiilS4_bb,@function
_ZN9rocsolver6v33100L18getri_kernel_smallILi1EdPdEEvT1_iilPiilS4_bb: ; @_ZN9rocsolver6v33100L18getri_kernel_smallILi1EdPdEEvT1_iilPiilS4_bb
; %bb.0:
	v_cmp_eq_u32_e32 vcc, 0, v0
	s_and_saveexec_b64 s[0:1], vcc
	s_cbranch_execz .LBB0_12
; %bb.1:
	s_load_dword s0, s[4:5], 0x8
	s_load_dword s7, s[4:5], 0x38
	s_load_dwordx2 s[2:3], s[4:5], 0x0
	s_load_dwordx2 s[10:11], s[4:5], 0x10
	;; [unrolled: 1-line block ×3, first 2 shown]
	s_waitcnt lgkmcnt(0)
	s_ashr_i32 s1, s0, 31
	s_bitcmp1_b32 s7, 0
	s_cselect_b64 s[12:13], -1, 0
	s_ashr_i32 s7, s6, 31
	s_mul_i32 s4, s6, s11
	s_mul_hi_u32 s5, s6, s10
	s_add_i32 s4, s5, s4
	s_mul_i32 s5, s7, s10
	s_add_i32 s5, s4, s5
	s_mul_i32 s4, s6, s10
	s_lshl_b64 s[4:5], s[4:5], 3
	s_add_u32 s2, s2, s4
	s_addc_u32 s3, s3, s5
	s_lshl_b64 s[0:1], s[0:1], 3
	s_add_u32 s2, s2, s0
	s_addc_u32 s3, s3, s1
	s_load_dwordx2 s[4:5], s[2:3], 0x0
	s_and_b64 vcc, exec, s[12:13]
	s_cbranch_vccnz .LBB0_4
; %bb.2:
	s_lshl_b64 s[0:1], s[6:7], 2
	s_add_u32 s0, s8, s0
	s_addc_u32 s1, s9, s1
	s_load_dword s0, s[0:1], 0x0
	s_mov_b64 s[10:11], -1
	s_waitcnt lgkmcnt(0)
	s_cmp_eq_u32 s0, 0
	s_cselect_b64 s[0:1], -1, 0
	s_cbranch_execz .LBB0_5
; %bb.3:
	s_waitcnt lgkmcnt(0)
	v_pk_mov_b32 v[0:1], s[4:5], s[4:5] op_sel:[0,1]
	s_and_b64 vcc, exec, s[10:11]
	s_cbranch_vccz .LBB0_12
	s_branch .LBB0_14
.LBB0_4:
	s_mov_b64 s[10:11], 0
                                        ; implicit-def: $sgpr0_sgpr1
.LBB0_5:
	s_waitcnt lgkmcnt(0)
	v_cmp_neq_f64_e64 s[0:1], s[4:5], 0
	v_mov_b32_e32 v0, 0
	s_and_b64 vcc, exec, s[0:1]
	ds_write_b32 v0, v0
	s_waitcnt lgkmcnt(0)
	; wave barrier
	s_waitcnt lgkmcnt(0)
	s_cbranch_vccnz .LBB0_10
; %bb.6:
	ds_read_b32 v1, v0
	s_waitcnt lgkmcnt(0)
	v_readfirstlane_b32 s12, v1
	s_cmp_lg_u32 s12, 0
	s_cselect_b64 s[0:1], -1, 0
	s_cmp_lt_i32 s12, 2
	s_cselect_b64 s[12:13], -1, 0
	s_and_b64 s[0:1], s[0:1], s[12:13]
	s_and_b64 vcc, exec, s[0:1]
	s_cbranch_vccnz .LBB0_10
; %bb.7:
	s_mov_b64 s[12:13], 0
	v_mov_b32_e32 v2, 1
	v_mov_b32_e32 v3, 0
.LBB0_8:                                ; =>This Inner Loop Header: Depth=1
	ds_cmpst_rtn_b32 v1, v3, v1, v2
	s_waitcnt lgkmcnt(0)
	v_cmp_ne_u32_e32 vcc, 0, v1
	v_cmp_gt_i32_e64 s[0:1], 2, v1
	s_and_b64 s[0:1], vcc, s[0:1]
	s_and_b64 s[0:1], exec, s[0:1]
	s_or_b64 s[12:13], s[0:1], s[12:13]
	s_andn2_b64 exec, exec, s[12:13]
	s_cbranch_execnz .LBB0_8
; %bb.9:
	s_or_b64 exec, exec, s[12:13]
.LBB0_10:
	s_waitcnt lgkmcnt(0)
	; wave barrier
	ds_read_b32 v1, v0
	s_lshl_b64 s[0:1], s[6:7], 2
	s_add_u32 s0, s8, s0
	s_addc_u32 s1, s9, s1
	s_waitcnt lgkmcnt(0)
	v_cmp_ne_u32_e32 vcc, 0, v1
	global_store_dword v0, v1, s[0:1]
	s_cbranch_vccz .LBB0_13
; %bb.11:
                                        ; implicit-def: $vgpr0_vgpr1
                                        ; implicit-def: $sgpr0_sgpr1
	s_and_b64 vcc, exec, s[10:11]
	s_cbranch_vccnz .LBB0_14
.LBB0_12:
	s_endpgm
.LBB0_13:
	v_div_scale_f64 v[0:1], s[0:1], s[4:5], s[4:5], 1.0
	v_rcp_f64_e32 v[2:3], v[0:1]
	v_div_scale_f64 v[4:5], vcc, 1.0, s[4:5], 1.0
	s_mov_b64 s[0:1], -1
	v_fma_f64 v[6:7], -v[0:1], v[2:3], 1.0
	v_fmac_f64_e32 v[2:3], v[2:3], v[6:7]
	v_fma_f64 v[6:7], -v[0:1], v[2:3], 1.0
	v_fmac_f64_e32 v[2:3], v[2:3], v[6:7]
	v_mul_f64 v[6:7], v[4:5], v[2:3]
	v_fma_f64 v[0:1], -v[0:1], v[6:7], v[4:5]
	v_div_fmas_f64 v[0:1], v[0:1], v[2:3], v[6:7]
	v_div_fixup_f64 v[0:1], v[0:1], s[4:5], 1.0
	s_cbranch_execz .LBB0_12
.LBB0_14:
	s_andn2_b64 vcc, exec, s[0:1]
	s_cbranch_vccnz .LBB0_12
; %bb.15:
	v_mov_b32_e32 v2, 0
	global_store_dwordx2 v2, v[0:1], s[2:3]
	s_endpgm
	.section	.rodata,"a",@progbits
	.p2align	6, 0x0
	.amdhsa_kernel _ZN9rocsolver6v33100L18getri_kernel_smallILi1EdPdEEvT1_iilPiilS4_bb
		.amdhsa_group_segment_fixed_size 4
		.amdhsa_private_segment_fixed_size 0
		.amdhsa_kernarg_size 60
		.amdhsa_user_sgpr_count 6
		.amdhsa_user_sgpr_private_segment_buffer 1
		.amdhsa_user_sgpr_dispatch_ptr 0
		.amdhsa_user_sgpr_queue_ptr 0
		.amdhsa_user_sgpr_kernarg_segment_ptr 1
		.amdhsa_user_sgpr_dispatch_id 0
		.amdhsa_user_sgpr_flat_scratch_init 0
		.amdhsa_user_sgpr_kernarg_preload_length 0
		.amdhsa_user_sgpr_kernarg_preload_offset 0
		.amdhsa_user_sgpr_private_segment_size 0
		.amdhsa_uses_dynamic_stack 0
		.amdhsa_system_sgpr_private_segment_wavefront_offset 0
		.amdhsa_system_sgpr_workgroup_id_x 1
		.amdhsa_system_sgpr_workgroup_id_y 0
		.amdhsa_system_sgpr_workgroup_id_z 0
		.amdhsa_system_sgpr_workgroup_info 0
		.amdhsa_system_vgpr_workitem_id 0
		.amdhsa_next_free_vgpr 8
		.amdhsa_next_free_sgpr 14
		.amdhsa_accum_offset 8
		.amdhsa_reserve_vcc 1
		.amdhsa_reserve_flat_scratch 0
		.amdhsa_float_round_mode_32 0
		.amdhsa_float_round_mode_16_64 0
		.amdhsa_float_denorm_mode_32 3
		.amdhsa_float_denorm_mode_16_64 3
		.amdhsa_dx10_clamp 1
		.amdhsa_ieee_mode 1
		.amdhsa_fp16_overflow 0
		.amdhsa_tg_split 0
		.amdhsa_exception_fp_ieee_invalid_op 0
		.amdhsa_exception_fp_denorm_src 0
		.amdhsa_exception_fp_ieee_div_zero 0
		.amdhsa_exception_fp_ieee_overflow 0
		.amdhsa_exception_fp_ieee_underflow 0
		.amdhsa_exception_fp_ieee_inexact 0
		.amdhsa_exception_int_div_zero 0
	.end_amdhsa_kernel
	.section	.text._ZN9rocsolver6v33100L18getri_kernel_smallILi1EdPdEEvT1_iilPiilS4_bb,"axG",@progbits,_ZN9rocsolver6v33100L18getri_kernel_smallILi1EdPdEEvT1_iilPiilS4_bb,comdat
.Lfunc_end0:
	.size	_ZN9rocsolver6v33100L18getri_kernel_smallILi1EdPdEEvT1_iilPiilS4_bb, .Lfunc_end0-_ZN9rocsolver6v33100L18getri_kernel_smallILi1EdPdEEvT1_iilPiilS4_bb
                                        ; -- End function
	.section	.AMDGPU.csdata,"",@progbits
; Kernel info:
; codeLenInByte = 512
; NumSgprs: 18
; NumVgprs: 8
; NumAgprs: 0
; TotalNumVgprs: 8
; ScratchSize: 0
; MemoryBound: 0
; FloatMode: 240
; IeeeMode: 1
; LDSByteSize: 4 bytes/workgroup (compile time only)
; SGPRBlocks: 2
; VGPRBlocks: 0
; NumSGPRsForWavesPerEU: 18
; NumVGPRsForWavesPerEU: 8
; AccumOffset: 8
; Occupancy: 8
; WaveLimiterHint : 0
; COMPUTE_PGM_RSRC2:SCRATCH_EN: 0
; COMPUTE_PGM_RSRC2:USER_SGPR: 6
; COMPUTE_PGM_RSRC2:TRAP_HANDLER: 0
; COMPUTE_PGM_RSRC2:TGID_X_EN: 1
; COMPUTE_PGM_RSRC2:TGID_Y_EN: 0
; COMPUTE_PGM_RSRC2:TGID_Z_EN: 0
; COMPUTE_PGM_RSRC2:TIDIG_COMP_CNT: 0
; COMPUTE_PGM_RSRC3_GFX90A:ACCUM_OFFSET: 1
; COMPUTE_PGM_RSRC3_GFX90A:TG_SPLIT: 0
	.section	.text._ZN9rocsolver6v33100L18getri_kernel_smallILi2EdPdEEvT1_iilPiilS4_bb,"axG",@progbits,_ZN9rocsolver6v33100L18getri_kernel_smallILi2EdPdEEvT1_iilPiilS4_bb,comdat
	.globl	_ZN9rocsolver6v33100L18getri_kernel_smallILi2EdPdEEvT1_iilPiilS4_bb ; -- Begin function _ZN9rocsolver6v33100L18getri_kernel_smallILi2EdPdEEvT1_iilPiilS4_bb
	.p2align	8
	.type	_ZN9rocsolver6v33100L18getri_kernel_smallILi2EdPdEEvT1_iilPiilS4_bb,@function
_ZN9rocsolver6v33100L18getri_kernel_smallILi2EdPdEEvT1_iilPiilS4_bb: ; @_ZN9rocsolver6v33100L18getri_kernel_smallILi2EdPdEEvT1_iilPiilS4_bb
; %bb.0:
	v_cmp_gt_u32_e32 vcc, 2, v0
	s_and_saveexec_b64 s[0:1], vcc
	s_cbranch_execz .LBB1_16
; %bb.1:
	s_load_dword s16, s[4:5], 0x38
	s_load_dwordx4 s[0:3], s[4:5], 0x10
	s_load_dwordx4 s[8:11], s[4:5], 0x28
	s_waitcnt lgkmcnt(0)
	s_bitcmp1_b32 s16, 8
	s_cselect_b64 s[12:13], -1, 0
	s_ashr_i32 s7, s6, 31
	s_bfe_u32 s14, s16, 0x10008
	s_cmp_eq_u32 s14, 0
                                        ; implicit-def: $sgpr14_sgpr15
	s_cbranch_scc1 .LBB1_3
; %bb.2:
	s_load_dword s14, s[4:5], 0x20
	s_mul_i32 s9, s6, s9
	s_mul_hi_u32 s15, s6, s8
	s_mul_i32 s17, s7, s8
	s_add_i32 s9, s15, s9
	s_add_i32 s9, s9, s17
	s_mul_i32 s8, s6, s8
	s_waitcnt lgkmcnt(0)
	s_ashr_i32 s15, s14, 31
	s_lshl_b64 s[8:9], s[8:9], 2
	s_add_u32 s8, s2, s8
	s_addc_u32 s9, s3, s9
	s_lshl_b64 s[2:3], s[14:15], 2
	s_add_u32 s14, s8, s2
	s_addc_u32 s15, s9, s3
.LBB1_3:
	s_load_dwordx4 s[20:23], s[4:5], 0x0
	s_mul_i32 s1, s6, s1
	s_mul_hi_u32 s2, s6, s0
	s_add_i32 s1, s2, s1
	s_mul_i32 s4, s7, s0
	s_add_i32 s1, s1, s4
	s_mul_i32 s0, s6, s0
	s_waitcnt lgkmcnt(0)
	s_ashr_i32 s3, s22, 31
	s_lshl_b64 s[0:1], s[0:1], 3
	s_mov_b32 s2, s22
	s_add_u32 s4, s20, s0
	s_addc_u32 s5, s21, s1
	s_lshl_b64 s[0:1], s[2:3], 3
	s_add_u32 s0, s4, s0
	s_addc_u32 s1, s5, s1
	v_lshlrev_b32_e32 v1, 3, v0
	v_mov_b32_e32 v2, s1
	v_add_co_u32_e32 v6, vcc, s0, v1
	s_ashr_i32 s3, s23, 31
	s_mov_b32 s2, s23
	v_addc_co_u32_e32 v7, vcc, 0, v2, vcc
	s_lshl_b64 s[2:3], s[2:3], 3
	v_mov_b32_e32 v2, s3
	v_add_co_u32_e32 v8, vcc, s2, v6
	v_addc_co_u32_e32 v9, vcc, v7, v2, vcc
	global_load_dwordx2 v[2:3], v1, s[0:1]
	global_load_dwordx2 v[4:5], v[8:9], off
	s_bitcmp0_b32 s16, 0
	s_mov_b64 s[0:1], -1
	s_cbranch_scc1 .LBB1_14
; %bb.4:
	v_cmp_eq_u32_e64 s[0:1], 0, v0
	s_and_saveexec_b64 s[2:3], s[0:1]
	s_cbranch_execz .LBB1_6
; %bb.5:
	v_mov_b32_e32 v10, 0
	ds_write_b32 v10, v10 offset:32
.LBB1_6:
	s_or_b64 exec, exec, s[2:3]
	v_cmp_eq_u32_e32 vcc, 1, v0
	s_waitcnt vmcnt(0)
	v_cndmask_b32_e32 v11, v3, v5, vcc
	v_cndmask_b32_e32 v10, v2, v4, vcc
	v_cmp_eq_f64_e32 vcc, 0, v[10:11]
	s_waitcnt lgkmcnt(0)
	; wave barrier
	s_waitcnt lgkmcnt(0)
	s_and_saveexec_b64 s[4:5], vcc
	s_cbranch_execz .LBB1_10
; %bb.7:
	v_mov_b32_e32 v12, 0
	ds_read_b32 v14, v12 offset:32
	v_add_u32_e32 v13, 1, v0
	s_waitcnt lgkmcnt(0)
	v_readfirstlane_b32 s2, v14
	s_cmp_eq_u32 s2, 0
	s_cselect_b64 s[8:9], -1, 0
	v_cmp_gt_i32_e32 vcc, s2, v13
	s_or_b64 s[8:9], s[8:9], vcc
	s_and_b64 exec, exec, s[8:9]
	s_cbranch_execz .LBB1_10
; %bb.8:
	s_mov_b64 s[8:9], 0
	v_mov_b32_e32 v14, s2
.LBB1_9:                                ; =>This Inner Loop Header: Depth=1
	ds_cmpst_rtn_b32 v14, v12, v14, v13 offset:32
	s_waitcnt lgkmcnt(0)
	v_cmp_ne_u32_e32 vcc, 0, v14
	v_cmp_le_i32_e64 s[2:3], v14, v13
	s_and_b64 s[2:3], vcc, s[2:3]
	s_and_b64 s[2:3], exec, s[2:3]
	s_or_b64 s[8:9], s[2:3], s[8:9]
	s_andn2_b64 exec, exec, s[8:9]
	s_cbranch_execnz .LBB1_9
.LBB1_10:
	s_or_b64 exec, exec, s[4:5]
	v_mov_b32_e32 v13, 0
	s_waitcnt lgkmcnt(0)
	; wave barrier
	ds_read_b32 v12, v13 offset:32
	s_and_saveexec_b64 s[2:3], s[0:1]
	s_cbranch_execz .LBB1_12
; %bb.11:
	s_lshl_b64 s[4:5], s[6:7], 2
	s_add_u32 s4, s10, s4
	s_addc_u32 s5, s11, s5
	s_waitcnt lgkmcnt(0)
	global_store_dword v13, v12, s[4:5]
.LBB1_12:
	s_or_b64 exec, exec, s[2:3]
	s_waitcnt lgkmcnt(0)
	v_cmp_ne_u32_e32 vcc, 0, v12
	s_cbranch_vccz .LBB1_17
; %bb.13:
	s_mov_b64 s[0:1], 0
                                        ; implicit-def: $vgpr2_vgpr3_vgpr4_vgpr5
.LBB1_14:
	s_and_b64 vcc, exec, s[0:1]
	s_cbranch_vccz .LBB1_16
.LBB1_15:
	s_lshl_b64 s[0:1], s[6:7], 2
	s_add_u32 s0, s10, s0
	s_addc_u32 s1, s11, s1
	v_mov_b32_e32 v1, 0
	global_load_dword v1, v1, s[0:1]
	s_waitcnt vmcnt(0)
	v_cmp_ne_u32_e32 vcc, 0, v1
	s_cbranch_vccz .LBB1_18
.LBB1_16:
	s_endpgm
.LBB1_17:
	v_div_scale_f64 v[12:13], s[2:3], v[10:11], v[10:11], 1.0
	v_rcp_f64_e32 v[14:15], v[12:13]
	v_div_scale_f64 v[16:17], vcc, 1.0, v[10:11], 1.0
	v_cmp_eq_u32_e64 s[2:3], 1, v0
	v_fma_f64 v[18:19], -v[12:13], v[14:15], 1.0
	v_fmac_f64_e32 v[14:15], v[14:15], v[18:19]
	v_fma_f64 v[18:19], -v[12:13], v[14:15], 1.0
	v_fmac_f64_e32 v[14:15], v[14:15], v[18:19]
	v_mul_f64 v[18:19], v[16:17], v[14:15]
	v_fma_f64 v[12:13], -v[12:13], v[18:19], v[16:17]
	v_div_fmas_f64 v[12:13], v[12:13], v[14:15], v[18:19]
	v_div_fixup_f64 v[14:15], v[12:13], v[10:11], 1.0
	v_cmp_eq_u32_e32 vcc, 0, v0
	v_cndmask_b32_e32 v3, v3, v15, vcc
	v_cndmask_b32_e64 v5, v5, v15, s[2:3]
	v_cndmask_b32_e64 v4, v4, v14, s[2:3]
	v_xor_b32_e32 v15, 0x80000000, v15
	ds_write2_b64 v1, v[14:15], v[4:5] offset1:2
	v_mov_b32_e32 v1, 0
	s_waitcnt lgkmcnt(0)
	; wave barrier
	s_waitcnt lgkmcnt(0)
	ds_read2_b64 v[10:13], v1 offset0:1 offset1:2
	v_cndmask_b32_e32 v2, v2, v14, vcc
	s_waitcnt lgkmcnt(0)
	; wave barrier
	s_waitcnt lgkmcnt(0)
	v_fma_f64 v[12:13], v[2:3], v[12:13], 0
	v_mul_f64 v[10:11], v[12:13], v[10:11]
	v_cndmask_b32_e64 v5, v5, v11, s[0:1]
	v_cndmask_b32_e64 v4, v4, v10, s[0:1]
	s_cbranch_execnz .LBB1_15
	s_branch .LBB1_16
.LBB1_18:
	v_cmp_eq_u32_e32 vcc, 1, v0
	s_and_saveexec_b64 s[0:1], vcc
	s_cbranch_execz .LBB1_20
; %bb.19:
	v_pk_mov_b32 v[12:13], v[4:5], v[4:5] op_sel:[0,1]
	s_mov_b32 s2, 0
	v_pk_mov_b32 v[10:11], v[2:3], v[2:3] op_sel:[0,1]
	v_mov_b32_e32 v10, s2
	v_mov_b32_e32 v11, s2
	;; [unrolled: 1-line block ×3, first 2 shown]
	ds_write_b64 v0, v[2:3] offset:24
	v_pk_mov_b32 v[2:3], v[10:11], v[10:11] op_sel:[0,1]
	v_pk_mov_b32 v[4:5], v[12:13], v[12:13] op_sel:[0,1]
.LBB1_20:
	s_or_b64 exec, exec, s[0:1]
	v_mov_b32_e32 v0, 0
	s_waitcnt lgkmcnt(0)
	; wave barrier
	s_waitcnt lgkmcnt(0)
	ds_read_b64 v[0:1], v0 offset:24
	s_andn2_b64 vcc, exec, s[12:13]
	s_waitcnt lgkmcnt(0)
	v_fma_f64 v[0:1], v[4:5], v[0:1], 0
	v_add_f64 v[2:3], v[2:3], -v[0:1]
	s_cbranch_vccnz .LBB1_22
; %bb.21:
	v_pk_mov_b32 v[0:1], s[14:15], s[14:15] op_sel:[0,1]
	flat_load_dword v0, v[0:1]
	s_waitcnt vmcnt(0) lgkmcnt(0)
	v_add_u32_e32 v0, -1, v0
	v_cmp_eq_u32_e32 vcc, 1, v0
	v_cndmask_b32_e32 v1, v3, v5, vcc
	v_cndmask_b32_e32 v10, v2, v4, vcc
	;; [unrolled: 1-line block ×4, first 2 shown]
	v_cmp_eq_u32_e32 vcc, 0, v0
	v_cndmask_b32_e32 v0, v10, v2, vcc
	v_cndmask_b32_e32 v1, v1, v3, vcc
	;; [unrolled: 1-line block ×6, first 2 shown]
.LBB1_22:
	global_store_dwordx2 v[6:7], v[2:3], off
	global_store_dwordx2 v[8:9], v[4:5], off
	s_endpgm
	.section	.rodata,"a",@progbits
	.p2align	6, 0x0
	.amdhsa_kernel _ZN9rocsolver6v33100L18getri_kernel_smallILi2EdPdEEvT1_iilPiilS4_bb
		.amdhsa_group_segment_fixed_size 40
		.amdhsa_private_segment_fixed_size 0
		.amdhsa_kernarg_size 60
		.amdhsa_user_sgpr_count 6
		.amdhsa_user_sgpr_private_segment_buffer 1
		.amdhsa_user_sgpr_dispatch_ptr 0
		.amdhsa_user_sgpr_queue_ptr 0
		.amdhsa_user_sgpr_kernarg_segment_ptr 1
		.amdhsa_user_sgpr_dispatch_id 0
		.amdhsa_user_sgpr_flat_scratch_init 0
		.amdhsa_user_sgpr_kernarg_preload_length 0
		.amdhsa_user_sgpr_kernarg_preload_offset 0
		.amdhsa_user_sgpr_private_segment_size 0
		.amdhsa_uses_dynamic_stack 0
		.amdhsa_system_sgpr_private_segment_wavefront_offset 0
		.amdhsa_system_sgpr_workgroup_id_x 1
		.amdhsa_system_sgpr_workgroup_id_y 0
		.amdhsa_system_sgpr_workgroup_id_z 0
		.amdhsa_system_sgpr_workgroup_info 0
		.amdhsa_system_vgpr_workitem_id 0
		.amdhsa_next_free_vgpr 20
		.amdhsa_next_free_sgpr 24
		.amdhsa_accum_offset 20
		.amdhsa_reserve_vcc 1
		.amdhsa_reserve_flat_scratch 0
		.amdhsa_float_round_mode_32 0
		.amdhsa_float_round_mode_16_64 0
		.amdhsa_float_denorm_mode_32 3
		.amdhsa_float_denorm_mode_16_64 3
		.amdhsa_dx10_clamp 1
		.amdhsa_ieee_mode 1
		.amdhsa_fp16_overflow 0
		.amdhsa_tg_split 0
		.amdhsa_exception_fp_ieee_invalid_op 0
		.amdhsa_exception_fp_denorm_src 0
		.amdhsa_exception_fp_ieee_div_zero 0
		.amdhsa_exception_fp_ieee_overflow 0
		.amdhsa_exception_fp_ieee_underflow 0
		.amdhsa_exception_fp_ieee_inexact 0
		.amdhsa_exception_int_div_zero 0
	.end_amdhsa_kernel
	.section	.text._ZN9rocsolver6v33100L18getri_kernel_smallILi2EdPdEEvT1_iilPiilS4_bb,"axG",@progbits,_ZN9rocsolver6v33100L18getri_kernel_smallILi2EdPdEEvT1_iilPiilS4_bb,comdat
.Lfunc_end1:
	.size	_ZN9rocsolver6v33100L18getri_kernel_smallILi2EdPdEEvT1_iilPiilS4_bb, .Lfunc_end1-_ZN9rocsolver6v33100L18getri_kernel_smallILi2EdPdEEvT1_iilPiilS4_bb
                                        ; -- End function
	.section	.AMDGPU.csdata,"",@progbits
; Kernel info:
; codeLenInByte = 964
; NumSgprs: 28
; NumVgprs: 20
; NumAgprs: 0
; TotalNumVgprs: 20
; ScratchSize: 0
; MemoryBound: 0
; FloatMode: 240
; IeeeMode: 1
; LDSByteSize: 40 bytes/workgroup (compile time only)
; SGPRBlocks: 3
; VGPRBlocks: 2
; NumSGPRsForWavesPerEU: 28
; NumVGPRsForWavesPerEU: 20
; AccumOffset: 20
; Occupancy: 8
; WaveLimiterHint : 0
; COMPUTE_PGM_RSRC2:SCRATCH_EN: 0
; COMPUTE_PGM_RSRC2:USER_SGPR: 6
; COMPUTE_PGM_RSRC2:TRAP_HANDLER: 0
; COMPUTE_PGM_RSRC2:TGID_X_EN: 1
; COMPUTE_PGM_RSRC2:TGID_Y_EN: 0
; COMPUTE_PGM_RSRC2:TGID_Z_EN: 0
; COMPUTE_PGM_RSRC2:TIDIG_COMP_CNT: 0
; COMPUTE_PGM_RSRC3_GFX90A:ACCUM_OFFSET: 4
; COMPUTE_PGM_RSRC3_GFX90A:TG_SPLIT: 0
	.section	.text._ZN9rocsolver6v33100L18getri_kernel_smallILi3EdPdEEvT1_iilPiilS4_bb,"axG",@progbits,_ZN9rocsolver6v33100L18getri_kernel_smallILi3EdPdEEvT1_iilPiilS4_bb,comdat
	.globl	_ZN9rocsolver6v33100L18getri_kernel_smallILi3EdPdEEvT1_iilPiilS4_bb ; -- Begin function _ZN9rocsolver6v33100L18getri_kernel_smallILi3EdPdEEvT1_iilPiilS4_bb
	.p2align	8
	.type	_ZN9rocsolver6v33100L18getri_kernel_smallILi3EdPdEEvT1_iilPiilS4_bb,@function
_ZN9rocsolver6v33100L18getri_kernel_smallILi3EdPdEEvT1_iilPiilS4_bb: ; @_ZN9rocsolver6v33100L18getri_kernel_smallILi3EdPdEEvT1_iilPiilS4_bb
; %bb.0:
	v_cmp_gt_u32_e32 vcc, 3, v0
	s_and_saveexec_b64 s[0:1], vcc
	s_cbranch_execz .LBB2_16
; %bb.1:
	s_load_dword s20, s[4:5], 0x38
	s_load_dwordx4 s[0:3], s[4:5], 0x10
	s_load_dwordx4 s[8:11], s[4:5], 0x28
                                        ; implicit-def: $sgpr16_sgpr17
	s_waitcnt lgkmcnt(0)
	s_bitcmp1_b32 s20, 8
	s_cselect_b64 s[18:19], -1, 0
	s_ashr_i32 s7, s6, 31
	s_bfe_u32 s12, s20, 0x10008
	s_cmp_eq_u32 s12, 0
	s_cbranch_scc1 .LBB2_3
; %bb.2:
	s_load_dword s12, s[4:5], 0x20
	s_mul_i32 s9, s6, s9
	s_mul_hi_u32 s13, s6, s8
	s_mul_i32 s14, s7, s8
	s_add_i32 s9, s13, s9
	s_add_i32 s9, s9, s14
	s_mul_i32 s8, s6, s8
	s_waitcnt lgkmcnt(0)
	s_ashr_i32 s13, s12, 31
	s_lshl_b64 s[8:9], s[8:9], 2
	s_add_u32 s8, s2, s8
	s_addc_u32 s9, s3, s9
	s_lshl_b64 s[2:3], s[12:13], 2
	s_add_u32 s16, s8, s2
	s_addc_u32 s17, s9, s3
.LBB2_3:
	s_load_dwordx4 s[12:15], s[4:5], 0x0
	s_mul_i32 s1, s6, s1
	s_mul_hi_u32 s2, s6, s0
	s_add_i32 s1, s2, s1
	s_mul_i32 s4, s7, s0
	s_add_i32 s1, s1, s4
	s_mul_i32 s0, s6, s0
	s_waitcnt lgkmcnt(0)
	s_ashr_i32 s3, s14, 31
	s_lshl_b64 s[0:1], s[0:1], 3
	s_mov_b32 s2, s14
	s_add_u32 s4, s12, s0
	s_addc_u32 s5, s13, s1
	s_lshl_b64 s[0:1], s[2:3], 3
	s_add_u32 s0, s4, s0
	s_addc_u32 s1, s5, s1
	v_lshlrev_b32_e32 v1, 3, v0
	v_mov_b32_e32 v2, s1
	v_add_co_u32_e32 v8, vcc, s0, v1
	s_ashr_i32 s3, s15, 31
	s_mov_b32 s2, s15
	v_addc_co_u32_e32 v9, vcc, 0, v2, vcc
	s_lshl_b64 s[2:3], s[2:3], 3
	v_mov_b32_e32 v2, s3
	v_add_co_u32_e32 v10, vcc, s2, v8
	s_add_i32 s2, s15, s15
	v_addc_co_u32_e32 v11, vcc, v9, v2, vcc
	v_add_u32_e32 v2, s2, v0
	v_ashrrev_i32_e32 v3, 31, v2
	v_lshlrev_b64 v[2:3], 3, v[2:3]
	v_mov_b32_e32 v6, s1
	v_add_co_u32_e32 v12, vcc, s0, v2
	global_load_dwordx2 v[4:5], v[10:11], off
	v_addc_co_u32_e32 v13, vcc, v6, v3, vcc
	global_load_dwordx2 v[2:3], v1, s[0:1]
	global_load_dwordx2 v[6:7], v[12:13], off
	s_bitcmp0_b32 s20, 0
	s_mov_b64 s[0:1], -1
	s_cbranch_scc1 .LBB2_14
; %bb.4:
	v_cmp_eq_u32_e64 s[0:1], 0, v0
	s_and_saveexec_b64 s[2:3], s[0:1]
	s_cbranch_execz .LBB2_6
; %bb.5:
	v_mov_b32_e32 v14, 0
	ds_write_b32 v14, v14 offset:24
.LBB2_6:
	s_or_b64 exec, exec, s[2:3]
	v_cmp_eq_u32_e32 vcc, 1, v0
	s_waitcnt vmcnt(1)
	v_cndmask_b32_e32 v14, v3, v5, vcc
	v_cmp_eq_u32_e64 s[2:3], 2, v0
	s_waitcnt vmcnt(0)
	v_cndmask_b32_e64 v15, v14, v7, s[2:3]
	v_cndmask_b32_e32 v14, v2, v4, vcc
	v_cndmask_b32_e64 v14, v14, v6, s[2:3]
	v_cmp_eq_f64_e32 vcc, 0, v[14:15]
	s_waitcnt lgkmcnt(0)
	; wave barrier
	s_waitcnt lgkmcnt(0)
	s_and_saveexec_b64 s[4:5], vcc
	s_cbranch_execz .LBB2_10
; %bb.7:
	v_mov_b32_e32 v16, 0
	ds_read_b32 v18, v16 offset:24
	v_add_u32_e32 v17, 1, v0
	s_waitcnt lgkmcnt(0)
	v_readfirstlane_b32 s2, v18
	s_cmp_eq_u32 s2, 0
	s_cselect_b64 s[8:9], -1, 0
	v_cmp_gt_i32_e32 vcc, s2, v17
	s_or_b64 s[8:9], s[8:9], vcc
	s_and_b64 exec, exec, s[8:9]
	s_cbranch_execz .LBB2_10
; %bb.8:
	s_mov_b64 s[8:9], 0
	v_mov_b32_e32 v18, s2
.LBB2_9:                                ; =>This Inner Loop Header: Depth=1
	ds_cmpst_rtn_b32 v18, v16, v18, v17 offset:24
	s_waitcnt lgkmcnt(0)
	v_cmp_ne_u32_e32 vcc, 0, v18
	v_cmp_le_i32_e64 s[2:3], v18, v17
	s_and_b64 s[2:3], vcc, s[2:3]
	s_and_b64 s[2:3], exec, s[2:3]
	s_or_b64 s[8:9], s[2:3], s[8:9]
	s_andn2_b64 exec, exec, s[8:9]
	s_cbranch_execnz .LBB2_9
.LBB2_10:
	s_or_b64 exec, exec, s[4:5]
	v_mov_b32_e32 v17, 0
	s_waitcnt lgkmcnt(0)
	; wave barrier
	ds_read_b32 v16, v17 offset:24
	s_and_saveexec_b64 s[2:3], s[0:1]
	s_cbranch_execz .LBB2_12
; %bb.11:
	s_lshl_b64 s[4:5], s[6:7], 2
	s_add_u32 s4, s10, s4
	s_addc_u32 s5, s11, s5
	s_waitcnt lgkmcnt(0)
	global_store_dword v17, v16, s[4:5]
.LBB2_12:
	s_or_b64 exec, exec, s[2:3]
	s_waitcnt lgkmcnt(0)
	v_cmp_ne_u32_e32 vcc, 0, v16
	s_cbranch_vccz .LBB2_17
; %bb.13:
	s_mov_b64 s[0:1], 0
                                        ; implicit-def: $vgpr2_vgpr3_vgpr4_vgpr5_vgpr6_vgpr7
.LBB2_14:
	s_and_b64 vcc, exec, s[0:1]
	s_cbranch_vccz .LBB2_16
.LBB2_15:
	s_lshl_b64 s[0:1], s[6:7], 2
	s_add_u32 s0, s10, s0
	s_addc_u32 s1, s11, s1
	v_mov_b32_e32 v1, 0
	global_load_dword v1, v1, s[0:1]
	s_waitcnt vmcnt(0)
	v_cmp_ne_u32_e32 vcc, 0, v1
	s_cbranch_vccz .LBB2_22
.LBB2_16:
	s_endpgm
.LBB2_17:
	v_div_scale_f64 v[16:17], s[2:3], v[14:15], v[14:15], 1.0
	v_rcp_f64_e32 v[18:19], v[16:17]
	v_div_scale_f64 v[20:21], vcc, 1.0, v[14:15], 1.0
	v_fma_f64 v[22:23], -v[16:17], v[18:19], 1.0
	v_fmac_f64_e32 v[18:19], v[18:19], v[22:23]
	v_fma_f64 v[22:23], -v[16:17], v[18:19], 1.0
	v_fmac_f64_e32 v[18:19], v[18:19], v[22:23]
	v_mul_f64 v[22:23], v[20:21], v[18:19]
	v_fma_f64 v[16:17], -v[16:17], v[22:23], v[20:21]
	v_div_fmas_f64 v[16:17], v[16:17], v[18:19], v[22:23]
	v_div_fixup_f64 v[14:15], v[16:17], v[14:15], 1.0
	v_cmp_eq_u32_e32 vcc, 2, v0
	v_cndmask_b32_e32 v7, v7, v15, vcc
	v_cndmask_b32_e32 v6, v6, v14, vcc
	v_cmp_eq_u32_e32 vcc, 1, v0
	v_cndmask_b32_e32 v5, v5, v15, vcc
	v_cndmask_b32_e32 v4, v4, v14, vcc
	;; [unrolled: 3-line block ×3, first 2 shown]
	v_xor_b32_e32 v19, 0x80000000, v15
	v_mov_b32_e32 v18, v14
	v_add_u32_e32 v16, 32, v1
	ds_write2_b64 v1, v[18:19], v[4:5] offset1:4
	s_waitcnt lgkmcnt(0)
	; wave barrier
	s_waitcnt lgkmcnt(0)
	s_and_saveexec_b64 s[2:3], s[0:1]
	s_cbranch_execz .LBB2_19
; %bb.18:
	v_mov_b32_e32 v1, 0
	ds_read_b64 v[4:5], v16
	ds_read_b64 v[18:19], v1 offset:8
	s_waitcnt lgkmcnt(1)
	v_fma_f64 v[4:5], v[14:15], v[4:5], 0
	s_waitcnt lgkmcnt(0)
	v_mul_f64 v[4:5], v[4:5], v[18:19]
.LBB2_19:
	s_or_b64 exec, exec, s[2:3]
	v_cmp_ne_u32_e32 vcc, 2, v0
	s_waitcnt lgkmcnt(0)
	; wave barrier
	ds_write_b64 v16, v[6:7]
	s_waitcnt lgkmcnt(0)
	; wave barrier
	s_waitcnt lgkmcnt(0)
	s_and_saveexec_b64 s[4:5], vcc
	s_cbranch_execz .LBB2_21
; %bb.20:
	ds_read_b64 v[18:19], v16
	v_mov_b32_e32 v14, 0
	v_cmp_eq_u32_e32 vcc, 1, v0
	ds_read2_b64 v[14:17], v14 offset0:2 offset1:5
	v_cndmask_b32_e32 v1, v3, v5, vcc
	v_cmp_eq_u32_e64 s[2:3], 2, v0
	v_cndmask_b32_e64 v7, v1, v7, s[2:3]
	v_cndmask_b32_e32 v1, v2, v4, vcc
	v_cndmask_b32_e64 v6, v1, v6, s[2:3]
	s_waitcnt lgkmcnt(1)
	v_fma_f64 v[6:7], v[6:7], v[18:19], 0
	s_waitcnt lgkmcnt(0)
	v_fma_f64 v[16:17], v[4:5], v[16:17], v[6:7]
	v_cndmask_b32_e64 v7, v7, v17, s[0:1]
	v_cndmask_b32_e64 v6, v6, v16, s[0:1]
	v_mul_f64 v[6:7], v[6:7], v[14:15]
.LBB2_21:
	s_or_b64 exec, exec, s[4:5]
	s_waitcnt lgkmcnt(0)
	; wave barrier
	s_cbranch_execnz .LBB2_15
	s_branch .LBB2_16
.LBB2_22:
	v_lshl_add_u32 v1, v0, 3, 32
	v_cmp_eq_u32_e32 vcc, 2, v0
	s_and_saveexec_b64 s[0:1], vcc
	s_cbranch_execz .LBB2_24
; %bb.23:
	v_pk_mov_b32 v[18:19], v[6:7], v[6:7] op_sel:[0,1]
	s_mov_b32 s2, 0
	v_pk_mov_b32 v[16:17], v[4:5], v[4:5] op_sel:[0,1]
	v_pk_mov_b32 v[14:15], v[2:3], v[2:3] op_sel:[0,1]
	v_mov_b32_e32 v16, s2
	v_mov_b32_e32 v17, s2
	ds_write_b64 v1, v[4:5]
	v_pk_mov_b32 v[2:3], v[14:15], v[14:15] op_sel:[0,1]
	v_pk_mov_b32 v[4:5], v[16:17], v[16:17] op_sel:[0,1]
	v_pk_mov_b32 v[6:7], v[18:19], v[18:19] op_sel:[0,1]
.LBB2_24:
	s_or_b64 exec, exec, s[0:1]
	v_mov_b32_e32 v14, 0
	s_waitcnt lgkmcnt(0)
	; wave barrier
	s_waitcnt lgkmcnt(0)
	ds_read_b64 v[16:17], v14 offset:48
	s_mov_b32 s2, 0
	v_cmp_ne_u32_e32 vcc, 0, v0
	s_waitcnt lgkmcnt(0)
	v_fma_f64 v[16:17], v[6:7], v[16:17], 0
	v_add_f64 v[4:5], v[4:5], -v[16:17]
	s_and_saveexec_b64 s[0:1], vcc
	s_cbranch_execz .LBB2_26
; %bb.25:
	v_pk_mov_b32 v[20:21], v[6:7], v[6:7] op_sel:[0,1]
	v_pk_mov_b32 v[16:17], v[2:3], v[2:3] op_sel:[0,1]
	v_mov_b32_e32 v16, s2
	v_mov_b32_e32 v17, s2
	v_pk_mov_b32 v[18:19], v[4:5], v[4:5] op_sel:[0,1]
	ds_write_b64 v1, v[2:3]
	v_pk_mov_b32 v[2:3], v[16:17], v[16:17] op_sel:[0,1]
	v_pk_mov_b32 v[4:5], v[18:19], v[18:19] op_sel:[0,1]
	;; [unrolled: 1-line block ×3, first 2 shown]
.LBB2_26:
	s_or_b64 exec, exec, s[0:1]
	s_waitcnt lgkmcnt(0)
	; wave barrier
	s_waitcnt lgkmcnt(0)
	ds_read2_b64 v[14:17], v14 offset0:5 offset1:6
	s_and_b64 vcc, exec, s[18:19]
	s_waitcnt lgkmcnt(0)
	v_fma_f64 v[0:1], v[4:5], v[14:15], 0
	v_fmac_f64_e32 v[0:1], v[6:7], v[16:17]
	v_add_f64 v[2:3], v[2:3], -v[0:1]
	s_cbranch_vccz .LBB2_32
; %bb.27:
	v_pk_mov_b32 v[0:1], s[16:17], s[16:17] op_sel:[0,1]
	flat_load_dword v0, v[0:1] offset:4
	s_waitcnt vmcnt(0) lgkmcnt(0)
	v_add_u32_e32 v0, -1, v0
	v_cmp_ne_u32_e32 vcc, 1, v0
	s_and_saveexec_b64 s[2:3], vcc
	s_cbranch_execz .LBB2_29
; %bb.28:
	v_cmp_eq_u32_e32 vcc, 1, v0
	v_cndmask_b32_e32 v1, v2, v4, vcc
	v_cmp_eq_u32_e64 s[0:1], 2, v0
	v_cndmask_b32_e32 v14, v3, v5, vcc
	v_cndmask_b32_e64 v1, v1, v6, s[0:1]
	v_cndmask_b32_e64 v14, v14, v7, s[0:1]
	v_cndmask_b32_e32 v17, v14, v5, vcc
	v_cndmask_b32_e32 v16, v1, v4, vcc
	v_cmp_eq_u32_e32 vcc, 0, v0
	v_cndmask_b32_e32 v15, v3, v5, vcc
	v_cndmask_b32_e32 v14, v2, v4, vcc
	v_cndmask_b32_e64 v19, v7, v5, s[0:1]
	v_cndmask_b32_e64 v18, v6, v4, s[0:1]
	v_pk_mov_b32 v[2:3], v[14:15], v[14:15] op_sel:[0,1]
	v_pk_mov_b32 v[4:5], v[16:17], v[16:17] op_sel:[0,1]
	;; [unrolled: 1-line block ×3, first 2 shown]
.LBB2_29:
	s_or_b64 exec, exec, s[2:3]
	v_pk_mov_b32 v[0:1], s[16:17], s[16:17] op_sel:[0,1]
	flat_load_dword v0, v[0:1]
	s_waitcnt vmcnt(0) lgkmcnt(0)
	v_add_u32_e32 v0, -1, v0
	v_cmp_ne_u32_e32 vcc, 0, v0
	s_and_saveexec_b64 s[4:5], vcc
	s_cbranch_execz .LBB2_31
; %bb.30:
	v_cmp_eq_u32_e32 vcc, 1, v0
	v_cndmask_b32_e32 v1, v2, v4, vcc
	v_cmp_eq_u32_e64 s[0:1], 2, v0
	v_cndmask_b32_e32 v14, v3, v5, vcc
	v_cndmask_b32_e64 v1, v1, v6, s[0:1]
	v_cndmask_b32_e64 v14, v14, v7, s[0:1]
	v_cmp_eq_u32_e64 s[2:3], 0, v0
	v_cndmask_b32_e64 v15, v14, v3, s[2:3]
	v_cndmask_b32_e64 v14, v1, v2, s[2:3]
	;; [unrolled: 1-line block ×4, first 2 shown]
	v_cndmask_b32_e32 v17, v5, v3, vcc
	v_cndmask_b32_e32 v16, v4, v2, vcc
	v_pk_mov_b32 v[2:3], v[14:15], v[14:15] op_sel:[0,1]
	v_pk_mov_b32 v[4:5], v[16:17], v[16:17] op_sel:[0,1]
	;; [unrolled: 1-line block ×3, first 2 shown]
.LBB2_31:
	s_or_b64 exec, exec, s[4:5]
.LBB2_32:
	global_store_dwordx2 v[8:9], v[2:3], off
	global_store_dwordx2 v[10:11], v[4:5], off
	;; [unrolled: 1-line block ×3, first 2 shown]
	s_endpgm
	.section	.rodata,"a",@progbits
	.p2align	6, 0x0
	.amdhsa_kernel _ZN9rocsolver6v33100L18getri_kernel_smallILi3EdPdEEvT1_iilPiilS4_bb
		.amdhsa_group_segment_fixed_size 56
		.amdhsa_private_segment_fixed_size 0
		.amdhsa_kernarg_size 60
		.amdhsa_user_sgpr_count 6
		.amdhsa_user_sgpr_private_segment_buffer 1
		.amdhsa_user_sgpr_dispatch_ptr 0
		.amdhsa_user_sgpr_queue_ptr 0
		.amdhsa_user_sgpr_kernarg_segment_ptr 1
		.amdhsa_user_sgpr_dispatch_id 0
		.amdhsa_user_sgpr_flat_scratch_init 0
		.amdhsa_user_sgpr_kernarg_preload_length 0
		.amdhsa_user_sgpr_kernarg_preload_offset 0
		.amdhsa_user_sgpr_private_segment_size 0
		.amdhsa_uses_dynamic_stack 0
		.amdhsa_system_sgpr_private_segment_wavefront_offset 0
		.amdhsa_system_sgpr_workgroup_id_x 1
		.amdhsa_system_sgpr_workgroup_id_y 0
		.amdhsa_system_sgpr_workgroup_id_z 0
		.amdhsa_system_sgpr_workgroup_info 0
		.amdhsa_system_vgpr_workitem_id 0
		.amdhsa_next_free_vgpr 24
		.amdhsa_next_free_sgpr 21
		.amdhsa_accum_offset 24
		.amdhsa_reserve_vcc 1
		.amdhsa_reserve_flat_scratch 0
		.amdhsa_float_round_mode_32 0
		.amdhsa_float_round_mode_16_64 0
		.amdhsa_float_denorm_mode_32 3
		.amdhsa_float_denorm_mode_16_64 3
		.amdhsa_dx10_clamp 1
		.amdhsa_ieee_mode 1
		.amdhsa_fp16_overflow 0
		.amdhsa_tg_split 0
		.amdhsa_exception_fp_ieee_invalid_op 0
		.amdhsa_exception_fp_denorm_src 0
		.amdhsa_exception_fp_ieee_div_zero 0
		.amdhsa_exception_fp_ieee_overflow 0
		.amdhsa_exception_fp_ieee_underflow 0
		.amdhsa_exception_fp_ieee_inexact 0
		.amdhsa_exception_int_div_zero 0
	.end_amdhsa_kernel
	.section	.text._ZN9rocsolver6v33100L18getri_kernel_smallILi3EdPdEEvT1_iilPiilS4_bb,"axG",@progbits,_ZN9rocsolver6v33100L18getri_kernel_smallILi3EdPdEEvT1_iilPiilS4_bb,comdat
.Lfunc_end2:
	.size	_ZN9rocsolver6v33100L18getri_kernel_smallILi3EdPdEEvT1_iilPiilS4_bb, .Lfunc_end2-_ZN9rocsolver6v33100L18getri_kernel_smallILi3EdPdEEvT1_iilPiilS4_bb
                                        ; -- End function
	.section	.AMDGPU.csdata,"",@progbits
; Kernel info:
; codeLenInByte = 1552
; NumSgprs: 25
; NumVgprs: 24
; NumAgprs: 0
; TotalNumVgprs: 24
; ScratchSize: 0
; MemoryBound: 0
; FloatMode: 240
; IeeeMode: 1
; LDSByteSize: 56 bytes/workgroup (compile time only)
; SGPRBlocks: 3
; VGPRBlocks: 2
; NumSGPRsForWavesPerEU: 25
; NumVGPRsForWavesPerEU: 24
; AccumOffset: 24
; Occupancy: 8
; WaveLimiterHint : 0
; COMPUTE_PGM_RSRC2:SCRATCH_EN: 0
; COMPUTE_PGM_RSRC2:USER_SGPR: 6
; COMPUTE_PGM_RSRC2:TRAP_HANDLER: 0
; COMPUTE_PGM_RSRC2:TGID_X_EN: 1
; COMPUTE_PGM_RSRC2:TGID_Y_EN: 0
; COMPUTE_PGM_RSRC2:TGID_Z_EN: 0
; COMPUTE_PGM_RSRC2:TIDIG_COMP_CNT: 0
; COMPUTE_PGM_RSRC3_GFX90A:ACCUM_OFFSET: 5
; COMPUTE_PGM_RSRC3_GFX90A:TG_SPLIT: 0
	.section	.text._ZN9rocsolver6v33100L18getri_kernel_smallILi4EdPdEEvT1_iilPiilS4_bb,"axG",@progbits,_ZN9rocsolver6v33100L18getri_kernel_smallILi4EdPdEEvT1_iilPiilS4_bb,comdat
	.globl	_ZN9rocsolver6v33100L18getri_kernel_smallILi4EdPdEEvT1_iilPiilS4_bb ; -- Begin function _ZN9rocsolver6v33100L18getri_kernel_smallILi4EdPdEEvT1_iilPiilS4_bb
	.p2align	8
	.type	_ZN9rocsolver6v33100L18getri_kernel_smallILi4EdPdEEvT1_iilPiilS4_bb,@function
_ZN9rocsolver6v33100L18getri_kernel_smallILi4EdPdEEvT1_iilPiilS4_bb: ; @_ZN9rocsolver6v33100L18getri_kernel_smallILi4EdPdEEvT1_iilPiilS4_bb
; %bb.0:
	v_cmp_gt_u32_e32 vcc, 4, v0
	s_and_saveexec_b64 s[0:1], vcc
	s_cbranch_execz .LBB3_16
; %bb.1:
	s_load_dword s20, s[4:5], 0x38
	s_load_dwordx4 s[12:15], s[4:5], 0x10
	s_load_dwordx4 s[8:11], s[4:5], 0x28
                                        ; implicit-def: $sgpr16_sgpr17
	s_waitcnt lgkmcnt(0)
	s_bitcmp1_b32 s20, 8
	s_cselect_b64 s[18:19], -1, 0
	s_ashr_i32 s7, s6, 31
	s_bfe_u32 s0, s20, 0x10008
	s_cmp_eq_u32 s0, 0
	s_cbranch_scc1 .LBB3_3
; %bb.2:
	s_load_dword s0, s[4:5], 0x20
	s_mul_i32 s1, s6, s9
	s_mul_hi_u32 s2, s6, s8
	s_mul_i32 s3, s7, s8
	s_add_i32 s2, s2, s1
	s_add_i32 s3, s2, s3
	s_mul_i32 s2, s6, s8
	s_waitcnt lgkmcnt(0)
	s_ashr_i32 s1, s0, 31
	s_lshl_b64 s[2:3], s[2:3], 2
	s_add_u32 s2, s14, s2
	s_addc_u32 s3, s15, s3
	s_lshl_b64 s[0:1], s[0:1], 2
	s_add_u32 s16, s2, s0
	s_addc_u32 s17, s3, s1
.LBB3_3:
	s_load_dwordx4 s[0:3], s[4:5], 0x0
	s_mul_i32 s4, s6, s13
	s_mul_hi_u32 s5, s6, s12
	s_add_i32 s8, s5, s4
	v_lshlrev_b32_e32 v20, 3, v0
	s_waitcnt lgkmcnt(0)
	s_ashr_i32 s5, s2, 31
	s_mov_b32 s4, s2
	s_mul_i32 s2, s7, s12
	s_add_i32 s9, s8, s2
	s_mul_i32 s8, s6, s12
	s_lshl_b64 s[8:9], s[8:9], 3
	s_add_u32 s2, s0, s8
	s_addc_u32 s8, s1, s9
	s_lshl_b64 s[0:1], s[4:5], 3
	s_add_u32 s0, s2, s0
	s_addc_u32 s1, s8, s1
	v_mov_b32_e32 v1, s1
	v_add_co_u32_e32 v10, vcc, s0, v20
	s_ashr_i32 s5, s3, 31
	s_mov_b32 s4, s3
	s_add_i32 s2, s3, s3
	v_addc_co_u32_e32 v11, vcc, 0, v1, vcc
	s_lshl_b64 s[4:5], s[4:5], 3
	v_add_u32_e32 v2, s2, v0
	v_mov_b32_e32 v1, s5
	v_add_co_u32_e32 v12, vcc, s4, v10
	v_ashrrev_i32_e32 v3, 31, v2
	v_addc_co_u32_e32 v13, vcc, v11, v1, vcc
	v_lshlrev_b64 v[4:5], 3, v[2:3]
	v_add_u32_e32 v2, s3, v2
	v_mov_b32_e32 v1, s1
	v_add_co_u32_e32 v14, vcc, s0, v4
	v_ashrrev_i32_e32 v3, 31, v2
	v_addc_co_u32_e32 v15, vcc, v1, v5, vcc
	v_lshlrev_b64 v[2:3], 3, v[2:3]
	v_add_co_u32_e32 v16, vcc, s0, v2
	global_load_dwordx2 v[4:5], v[12:13], off
	global_load_dwordx2 v[6:7], v[14:15], off
	v_addc_co_u32_e32 v17, vcc, v1, v3, vcc
	global_load_dwordx2 v[2:3], v20, s[0:1]
	global_load_dwordx2 v[8:9], v[16:17], off
	v_mov_b32_e32 v1, 0
	s_bitcmp0_b32 s20, 0
	s_mov_b64 s[0:1], -1
	s_cbranch_scc1 .LBB3_14
; %bb.4:
	v_cmp_eq_u32_e64 s[0:1], 0, v0
	s_and_saveexec_b64 s[2:3], s[0:1]
	s_cbranch_execz .LBB3_6
; %bb.5:
	v_mov_b32_e32 v18, 0
	ds_write_b32 v18, v18 offset:64
.LBB3_6:
	s_or_b64 exec, exec, s[2:3]
	v_cmp_eq_u32_e32 vcc, 1, v0
	s_waitcnt vmcnt(1)
	v_cndmask_b32_e32 v18, v3, v5, vcc
	v_cmp_eq_u32_e64 s[2:3], 2, v0
	v_cndmask_b32_e64 v18, v18, v7, s[2:3]
	v_cmp_eq_u32_e64 s[4:5], 3, v0
	s_waitcnt vmcnt(0)
	v_cndmask_b32_e64 v19, v18, v9, s[4:5]
	v_cndmask_b32_e32 v18, v2, v4, vcc
	v_cndmask_b32_e64 v18, v18, v6, s[2:3]
	v_cndmask_b32_e64 v18, v18, v8, s[4:5]
	v_cmp_eq_f64_e32 vcc, 0, v[18:19]
	s_waitcnt lgkmcnt(0)
	; wave barrier
	s_waitcnt lgkmcnt(0)
	s_and_saveexec_b64 s[4:5], vcc
	s_cbranch_execz .LBB3_10
; %bb.7:
	v_mov_b32_e32 v21, 0
	ds_read_b32 v23, v21 offset:64
	v_add_u32_e32 v22, 1, v0
	s_waitcnt lgkmcnt(0)
	v_readfirstlane_b32 s2, v23
	s_cmp_eq_u32 s2, 0
	s_cselect_b64 s[8:9], -1, 0
	v_cmp_gt_i32_e32 vcc, s2, v22
	s_or_b64 s[8:9], s[8:9], vcc
	s_and_b64 exec, exec, s[8:9]
	s_cbranch_execz .LBB3_10
; %bb.8:
	s_mov_b64 s[8:9], 0
	v_mov_b32_e32 v23, s2
.LBB3_9:                                ; =>This Inner Loop Header: Depth=1
	ds_cmpst_rtn_b32 v23, v21, v23, v22 offset:64
	s_waitcnt lgkmcnt(0)
	v_cmp_ne_u32_e32 vcc, 0, v23
	v_cmp_le_i32_e64 s[2:3], v23, v22
	s_and_b64 s[2:3], vcc, s[2:3]
	s_and_b64 s[2:3], exec, s[2:3]
	s_or_b64 s[8:9], s[2:3], s[8:9]
	s_andn2_b64 exec, exec, s[8:9]
	s_cbranch_execnz .LBB3_9
.LBB3_10:
	s_or_b64 exec, exec, s[4:5]
	v_mov_b32_e32 v22, 0
	s_waitcnt lgkmcnt(0)
	; wave barrier
	ds_read_b32 v21, v22 offset:64
	s_and_saveexec_b64 s[2:3], s[0:1]
	s_cbranch_execz .LBB3_12
; %bb.11:
	s_lshl_b64 s[4:5], s[6:7], 2
	s_add_u32 s4, s10, s4
	s_addc_u32 s5, s11, s5
	s_waitcnt lgkmcnt(0)
	global_store_dword v22, v21, s[4:5]
.LBB3_12:
	s_or_b64 exec, exec, s[2:3]
	s_waitcnt lgkmcnt(0)
	v_cmp_ne_u32_e32 vcc, 0, v21
	s_cbranch_vccz .LBB3_17
; %bb.13:
	s_mov_b64 s[0:1], 0
                                        ; implicit-def: $vgpr2_vgpr3_vgpr4_vgpr5_vgpr6_vgpr7_vgpr8_vgpr9
.LBB3_14:
	s_and_b64 vcc, exec, s[0:1]
	s_cbranch_vccz .LBB3_16
.LBB3_15:
	s_lshl_b64 s[0:1], s[6:7], 2
	s_add_u32 s0, s10, s0
	s_addc_u32 s1, s11, s1
	v_mov_b32_e32 v1, 0
	global_load_dword v1, v1, s[0:1]
	s_waitcnt vmcnt(0)
	v_cmp_ne_u32_e32 vcc, 0, v1
	s_cbranch_vccz .LBB3_26
.LBB3_16:
	s_endpgm
.LBB3_17:
	v_div_scale_f64 v[22:23], s[2:3], v[18:19], v[18:19], 1.0
	v_rcp_f64_e32 v[24:25], v[22:23]
	v_div_scale_f64 v[26:27], vcc, 1.0, v[18:19], 1.0
	v_add_u32_e32 v21, 32, v20
	v_fma_f64 v[28:29], -v[22:23], v[24:25], 1.0
	v_fmac_f64_e32 v[24:25], v[24:25], v[28:29]
	v_fma_f64 v[28:29], -v[22:23], v[24:25], 1.0
	v_fmac_f64_e32 v[24:25], v[24:25], v[28:29]
	v_mul_f64 v[28:29], v[26:27], v[24:25]
	v_fma_f64 v[22:23], -v[22:23], v[28:29], v[26:27]
	v_div_fmas_f64 v[22:23], v[22:23], v[24:25], v[28:29]
	v_div_fixup_f64 v[18:19], v[22:23], v[18:19], 1.0
	v_cmp_eq_u32_e32 vcc, 3, v0
	v_cndmask_b32_e32 v9, v9, v19, vcc
	v_cndmask_b32_e32 v8, v8, v18, vcc
	v_cmp_eq_u32_e32 vcc, 2, v0
	v_cndmask_b32_e32 v7, v7, v19, vcc
	v_cndmask_b32_e32 v6, v6, v18, vcc
	;; [unrolled: 3-line block ×4, first 2 shown]
	v_xor_b32_e32 v23, 0x80000000, v19
	v_mov_b32_e32 v22, v18
	ds_write2_b64 v20, v[22:23], v[4:5] offset1:4
	s_waitcnt lgkmcnt(0)
	; wave barrier
	s_waitcnt lgkmcnt(0)
	s_and_saveexec_b64 s[2:3], s[0:1]
	s_cbranch_execz .LBB3_19
; %bb.18:
	v_mov_b32_e32 v20, 0
	ds_read_b64 v[4:5], v21
	ds_read_b64 v[22:23], v20 offset:8
	s_waitcnt lgkmcnt(1)
	v_fma_f64 v[4:5], v[18:19], v[4:5], 0
	s_waitcnt lgkmcnt(0)
	v_mul_f64 v[4:5], v[4:5], v[22:23]
.LBB3_19:
	s_or_b64 exec, exec, s[2:3]
	v_cmp_gt_u32_e32 vcc, 2, v0
	s_waitcnt lgkmcnt(0)
	; wave barrier
	ds_write_b64 v21, v[6:7]
	s_waitcnt lgkmcnt(0)
	; wave barrier
	s_waitcnt lgkmcnt(0)
	s_and_saveexec_b64 s[8:9], vcc
	s_cbranch_execz .LBB3_21
; %bb.20:
	v_cmp_eq_u32_e32 vcc, 1, v0
	v_cndmask_b32_e32 v18, v3, v5, vcc
	v_cmp_eq_u32_e64 s[2:3], 2, v0
	v_cndmask_b32_e64 v7, v18, v7, s[2:3]
	ds_read_b64 v[18:19], v21
	v_mov_b32_e32 v20, 0
	ds_read2_b64 v[22:25], v20 offset0:2 offset1:5
	v_cndmask_b32_e32 v20, v2, v4, vcc
	v_cmp_eq_u32_e64 s[4:5], 3, v0
	v_cndmask_b32_e64 v6, v20, v6, s[2:3]
	v_cndmask_b32_e64 v7, v7, v9, s[4:5]
	;; [unrolled: 1-line block ×3, first 2 shown]
	s_waitcnt lgkmcnt(1)
	v_fma_f64 v[6:7], v[6:7], v[18:19], 0
	s_waitcnt lgkmcnt(0)
	v_fma_f64 v[18:19], v[4:5], v[24:25], v[6:7]
	v_cndmask_b32_e64 v7, v7, v19, s[0:1]
	v_cndmask_b32_e64 v6, v6, v18, s[0:1]
	v_mul_f64 v[6:7], v[6:7], v[22:23]
.LBB3_21:
	s_or_b64 exec, exec, s[8:9]
	v_cmp_ne_u32_e32 vcc, 3, v0
	s_waitcnt lgkmcnt(0)
	; wave barrier
	ds_write_b64 v21, v[8:9]
	s_waitcnt lgkmcnt(0)
	; wave barrier
	s_waitcnt lgkmcnt(0)
	s_and_saveexec_b64 s[4:5], vcc
	s_cbranch_execz .LBB3_25
; %bb.22:
	v_lshl_add_u32 v22, v0, 3, 32
	s_mov_b64 s[8:9], 0
	v_pk_mov_b32 v[18:19], 0, 0
	v_pk_mov_b32 v[20:21], v[0:1], v[0:1] op_sel:[0,1]
.LBB3_23:                               ; =>This Inner Loop Header: Depth=1
	v_cmp_eq_u32_e32 vcc, 1, v20
	ds_read_b64 v[24:25], v22
	v_cndmask_b32_e32 v1, v3, v5, vcc
	v_cmp_eq_u32_e64 s[0:1], 2, v20
	v_cndmask_b32_e64 v1, v1, v7, s[0:1]
	v_cmp_eq_u32_e64 s[2:3], 3, v20
	v_cndmask_b32_e32 v23, v2, v4, vcc
	v_add_co_u32_e32 v20, vcc, 1, v20
	v_addc_co_u32_e32 v21, vcc, 0, v21, vcc
	v_cndmask_b32_e64 v27, v1, v9, s[2:3]
	v_cndmask_b32_e64 v1, v23, v6, s[0:1]
	v_add_u32_e32 v23, -1, v20
	v_cndmask_b32_e64 v26, v1, v8, s[2:3]
	v_cmp_lt_u32_e32 vcc, 1, v23
	v_add_u32_e32 v22, 8, v22
	s_or_b64 s[8:9], vcc, s[8:9]
	s_waitcnt lgkmcnt(0)
	v_fmac_f64_e32 v[18:19], v[26:27], v[24:25]
	s_andn2_b64 exec, exec, s[8:9]
	s_cbranch_execnz .LBB3_23
; %bb.24:
	s_or_b64 exec, exec, s[8:9]
	v_mov_b32_e32 v1, 0
	ds_read_b64 v[8:9], v1 offset:24
	s_waitcnt lgkmcnt(0)
	v_mul_f64 v[8:9], v[18:19], v[8:9]
.LBB3_25:
	s_or_b64 exec, exec, s[4:5]
	s_waitcnt lgkmcnt(0)
	; wave barrier
	s_cbranch_execnz .LBB3_15
	s_branch .LBB3_16
.LBB3_26:
	v_lshl_add_u32 v1, v0, 3, 32
	v_cmp_eq_u32_e32 vcc, 3, v0
	s_and_saveexec_b64 s[0:1], vcc
	s_cbranch_execz .LBB3_28
; %bb.27:
	v_pk_mov_b32 v[24:25], v[8:9], v[8:9] op_sel:[0,1]
	s_mov_b32 s2, 0
	v_pk_mov_b32 v[22:23], v[6:7], v[6:7] op_sel:[0,1]
	v_pk_mov_b32 v[18:19], v[2:3], v[2:3] op_sel:[0,1]
	;; [unrolled: 1-line block ×3, first 2 shown]
	v_mov_b32_e32 v22, s2
	v_mov_b32_e32 v23, s2
	ds_write_b64 v1, v[6:7]
	v_pk_mov_b32 v[2:3], v[18:19], v[18:19] op_sel:[0,1]
	v_pk_mov_b32 v[4:5], v[20:21], v[20:21] op_sel:[0,1]
	;; [unrolled: 1-line block ×4, first 2 shown]
.LBB3_28:
	s_or_b64 exec, exec, s[0:1]
	v_mov_b32_e32 v18, 0
	s_waitcnt lgkmcnt(0)
	; wave barrier
	s_waitcnt lgkmcnt(0)
	ds_read_b64 v[20:21], v18 offset:56
	v_cmp_lt_u32_e32 vcc, 1, v0
	s_waitcnt lgkmcnt(0)
	v_fma_f64 v[20:21], v[8:9], v[20:21], 0
	v_add_f64 v[6:7], v[6:7], -v[20:21]
	s_and_saveexec_b64 s[0:1], vcc
	s_cbranch_execz .LBB3_30
; %bb.29:
	v_pk_mov_b32 v[26:27], v[8:9], v[8:9] op_sel:[0,1]
	s_mov_b32 s2, 0
	v_pk_mov_b32 v[22:23], v[4:5], v[4:5] op_sel:[0,1]
	v_pk_mov_b32 v[20:21], v[2:3], v[2:3] op_sel:[0,1]
	;; [unrolled: 1-line block ×3, first 2 shown]
	v_mov_b32_e32 v22, s2
	v_mov_b32_e32 v23, s2
	ds_write_b64 v1, v[4:5]
	v_pk_mov_b32 v[2:3], v[20:21], v[20:21] op_sel:[0,1]
	v_pk_mov_b32 v[4:5], v[22:23], v[22:23] op_sel:[0,1]
	;; [unrolled: 1-line block ×4, first 2 shown]
.LBB3_30:
	s_or_b64 exec, exec, s[0:1]
	s_waitcnt lgkmcnt(0)
	; wave barrier
	s_waitcnt lgkmcnt(0)
	ds_read_b128 v[18:21], v18 offset:48
	s_mov_b32 s2, 0
	v_cmp_ne_u32_e32 vcc, 0, v0
	s_waitcnt lgkmcnt(0)
	v_fma_f64 v[18:19], v[6:7], v[18:19], 0
	v_fmac_f64_e32 v[18:19], v[8:9], v[20:21]
	v_add_f64 v[4:5], v[4:5], -v[18:19]
	s_and_saveexec_b64 s[0:1], vcc
	s_cbranch_execz .LBB3_32
; %bb.31:
	v_pk_mov_b32 v[24:25], v[8:9], v[8:9] op_sel:[0,1]
	v_pk_mov_b32 v[18:19], v[2:3], v[2:3] op_sel:[0,1]
	v_mov_b32_e32 v18, s2
	v_mov_b32_e32 v19, s2
	v_pk_mov_b32 v[22:23], v[6:7], v[6:7] op_sel:[0,1]
	v_pk_mov_b32 v[20:21], v[4:5], v[4:5] op_sel:[0,1]
	ds_write_b64 v1, v[2:3]
	v_pk_mov_b32 v[2:3], v[18:19], v[18:19] op_sel:[0,1]
	v_pk_mov_b32 v[4:5], v[20:21], v[20:21] op_sel:[0,1]
	;; [unrolled: 1-line block ×4, first 2 shown]
.LBB3_32:
	s_or_b64 exec, exec, s[0:1]
	v_mov_b32_e32 v0, 0
	s_waitcnt lgkmcnt(0)
	; wave barrier
	s_waitcnt lgkmcnt(0)
	ds_read2_b64 v[18:21], v0 offset0:5 offset1:6
	ds_read_b64 v[0:1], v0 offset:56
	s_and_b64 vcc, exec, s[18:19]
	s_waitcnt lgkmcnt(1)
	v_fma_f64 v[18:19], v[4:5], v[18:19], 0
	v_fmac_f64_e32 v[18:19], v[6:7], v[20:21]
	s_waitcnt lgkmcnt(0)
	v_fmac_f64_e32 v[18:19], v[8:9], v[0:1]
	v_add_f64 v[2:3], v[2:3], -v[18:19]
	s_cbranch_vccz .LBB3_40
; %bb.33:
	v_pk_mov_b32 v[0:1], s[16:17], s[16:17] op_sel:[0,1]
	flat_load_dword v0, v[0:1] offset:8
	s_waitcnt vmcnt(0) lgkmcnt(0)
	v_add_u32_e32 v0, -1, v0
	v_cmp_ne_u32_e32 vcc, 2, v0
	s_and_saveexec_b64 s[4:5], vcc
	s_cbranch_execz .LBB3_35
; %bb.34:
	v_cmp_eq_u32_e32 vcc, 1, v0
	v_cmp_eq_u32_e64 s[0:1], 2, v0
	v_cndmask_b32_e32 v18, v3, v5, vcc
	v_cndmask_b32_e32 v1, v2, v4, vcc
	v_cmp_eq_u32_e64 s[2:3], 3, v0
	v_cndmask_b32_e64 v18, v18, v7, s[0:1]
	v_cndmask_b32_e64 v1, v1, v6, s[0:1]
	;; [unrolled: 1-line block ×3, first 2 shown]
	v_cndmask_b32_e32 v21, v5, v7, vcc
	v_cndmask_b32_e32 v20, v4, v6, vcc
	v_cmp_eq_u32_e32 vcc, 0, v0
	v_cndmask_b32_e64 v1, v1, v8, s[2:3]
	v_cndmask_b32_e64 v23, v18, v7, s[0:1]
	v_cndmask_b32_e32 v19, v3, v7, vcc
	v_cndmask_b32_e32 v18, v2, v6, vcc
	v_cndmask_b32_e64 v22, v1, v6, s[0:1]
	v_cndmask_b32_e64 v25, v9, v7, s[2:3]
	;; [unrolled: 1-line block ×3, first 2 shown]
	v_pk_mov_b32 v[2:3], v[18:19], v[18:19] op_sel:[0,1]
	v_pk_mov_b32 v[4:5], v[20:21], v[20:21] op_sel:[0,1]
	;; [unrolled: 1-line block ×4, first 2 shown]
.LBB3_35:
	s_or_b64 exec, exec, s[4:5]
	v_pk_mov_b32 v[0:1], s[16:17], s[16:17] op_sel:[0,1]
	flat_load_dword v0, v[0:1] offset:4
	s_waitcnt vmcnt(0) lgkmcnt(0)
	v_add_u32_e32 v0, -1, v0
	v_cmp_ne_u32_e32 vcc, 1, v0
	s_and_saveexec_b64 s[4:5], vcc
	s_cbranch_execz .LBB3_37
; %bb.36:
	v_cmp_eq_u32_e32 vcc, 1, v0
	v_cndmask_b32_e32 v1, v2, v4, vcc
	v_cmp_eq_u32_e64 s[0:1], 2, v0
	v_cndmask_b32_e32 v18, v3, v5, vcc
	v_cndmask_b32_e64 v1, v1, v6, s[0:1]
	v_cmp_eq_u32_e64 s[2:3], 3, v0
	v_cndmask_b32_e64 v18, v18, v7, s[0:1]
	v_cndmask_b32_e64 v1, v1, v8, s[2:3]
	;; [unrolled: 1-line block ×3, first 2 shown]
	v_cndmask_b32_e32 v21, v18, v5, vcc
	v_cndmask_b32_e32 v20, v1, v4, vcc
	v_cmp_eq_u32_e32 vcc, 0, v0
	v_cndmask_b32_e32 v19, v3, v5, vcc
	v_cndmask_b32_e32 v18, v2, v4, vcc
	v_cndmask_b32_e64 v25, v9, v5, s[2:3]
	v_cndmask_b32_e64 v24, v8, v4, s[2:3]
	;; [unrolled: 1-line block ×4, first 2 shown]
	v_pk_mov_b32 v[2:3], v[18:19], v[18:19] op_sel:[0,1]
	v_pk_mov_b32 v[4:5], v[20:21], v[20:21] op_sel:[0,1]
	;; [unrolled: 1-line block ×4, first 2 shown]
.LBB3_37:
	s_or_b64 exec, exec, s[4:5]
	v_pk_mov_b32 v[0:1], s[16:17], s[16:17] op_sel:[0,1]
	flat_load_dword v0, v[0:1]
	s_waitcnt vmcnt(0) lgkmcnt(0)
	v_add_u32_e32 v0, -1, v0
	v_cmp_ne_u32_e32 vcc, 0, v0
	s_and_saveexec_b64 s[6:7], vcc
	s_cbranch_execz .LBB3_39
; %bb.38:
	v_cmp_eq_u32_e32 vcc, 1, v0
	v_cndmask_b32_e32 v1, v2, v4, vcc
	v_cmp_eq_u32_e64 s[0:1], 2, v0
	v_cndmask_b32_e32 v18, v3, v5, vcc
	v_cndmask_b32_e64 v1, v1, v6, s[0:1]
	v_cmp_eq_u32_e64 s[2:3], 3, v0
	v_cndmask_b32_e64 v18, v18, v7, s[0:1]
	v_cndmask_b32_e64 v1, v1, v8, s[2:3]
	;; [unrolled: 1-line block ×3, first 2 shown]
	v_cmp_eq_u32_e64 s[4:5], 0, v0
	v_cndmask_b32_e64 v19, v18, v3, s[4:5]
	v_cndmask_b32_e64 v18, v1, v2, s[4:5]
	v_cndmask_b32_e64 v25, v9, v3, s[2:3]
	v_cndmask_b32_e64 v24, v8, v2, s[2:3]
	v_cndmask_b32_e64 v23, v7, v3, s[0:1]
	v_cndmask_b32_e64 v22, v6, v2, s[0:1]
	v_cndmask_b32_e32 v21, v5, v3, vcc
	v_cndmask_b32_e32 v20, v4, v2, vcc
	v_pk_mov_b32 v[2:3], v[18:19], v[18:19] op_sel:[0,1]
	v_pk_mov_b32 v[4:5], v[20:21], v[20:21] op_sel:[0,1]
	;; [unrolled: 1-line block ×4, first 2 shown]
.LBB3_39:
	s_or_b64 exec, exec, s[6:7]
.LBB3_40:
	global_store_dwordx2 v[10:11], v[2:3], off
	global_store_dwordx2 v[12:13], v[4:5], off
	;; [unrolled: 1-line block ×4, first 2 shown]
	s_endpgm
	.section	.rodata,"a",@progbits
	.p2align	6, 0x0
	.amdhsa_kernel _ZN9rocsolver6v33100L18getri_kernel_smallILi4EdPdEEvT1_iilPiilS4_bb
		.amdhsa_group_segment_fixed_size 72
		.amdhsa_private_segment_fixed_size 0
		.amdhsa_kernarg_size 60
		.amdhsa_user_sgpr_count 6
		.amdhsa_user_sgpr_private_segment_buffer 1
		.amdhsa_user_sgpr_dispatch_ptr 0
		.amdhsa_user_sgpr_queue_ptr 0
		.amdhsa_user_sgpr_kernarg_segment_ptr 1
		.amdhsa_user_sgpr_dispatch_id 0
		.amdhsa_user_sgpr_flat_scratch_init 0
		.amdhsa_user_sgpr_kernarg_preload_length 0
		.amdhsa_user_sgpr_kernarg_preload_offset 0
		.amdhsa_user_sgpr_private_segment_size 0
		.amdhsa_uses_dynamic_stack 0
		.amdhsa_system_sgpr_private_segment_wavefront_offset 0
		.amdhsa_system_sgpr_workgroup_id_x 1
		.amdhsa_system_sgpr_workgroup_id_y 0
		.amdhsa_system_sgpr_workgroup_id_z 0
		.amdhsa_system_sgpr_workgroup_info 0
		.amdhsa_system_vgpr_workitem_id 0
		.amdhsa_next_free_vgpr 30
		.amdhsa_next_free_sgpr 21
		.amdhsa_accum_offset 32
		.amdhsa_reserve_vcc 1
		.amdhsa_reserve_flat_scratch 0
		.amdhsa_float_round_mode_32 0
		.amdhsa_float_round_mode_16_64 0
		.amdhsa_float_denorm_mode_32 3
		.amdhsa_float_denorm_mode_16_64 3
		.amdhsa_dx10_clamp 1
		.amdhsa_ieee_mode 1
		.amdhsa_fp16_overflow 0
		.amdhsa_tg_split 0
		.amdhsa_exception_fp_ieee_invalid_op 0
		.amdhsa_exception_fp_denorm_src 0
		.amdhsa_exception_fp_ieee_div_zero 0
		.amdhsa_exception_fp_ieee_overflow 0
		.amdhsa_exception_fp_ieee_underflow 0
		.amdhsa_exception_fp_ieee_inexact 0
		.amdhsa_exception_int_div_zero 0
	.end_amdhsa_kernel
	.section	.text._ZN9rocsolver6v33100L18getri_kernel_smallILi4EdPdEEvT1_iilPiilS4_bb,"axG",@progbits,_ZN9rocsolver6v33100L18getri_kernel_smallILi4EdPdEEvT1_iilPiilS4_bb,comdat
.Lfunc_end3:
	.size	_ZN9rocsolver6v33100L18getri_kernel_smallILi4EdPdEEvT1_iilPiilS4_bb, .Lfunc_end3-_ZN9rocsolver6v33100L18getri_kernel_smallILi4EdPdEEvT1_iilPiilS4_bb
                                        ; -- End function
	.section	.AMDGPU.csdata,"",@progbits
; Kernel info:
; codeLenInByte = 2328
; NumSgprs: 25
; NumVgprs: 30
; NumAgprs: 0
; TotalNumVgprs: 30
; ScratchSize: 0
; MemoryBound: 0
; FloatMode: 240
; IeeeMode: 1
; LDSByteSize: 72 bytes/workgroup (compile time only)
; SGPRBlocks: 3
; VGPRBlocks: 3
; NumSGPRsForWavesPerEU: 25
; NumVGPRsForWavesPerEU: 30
; AccumOffset: 32
; Occupancy: 8
; WaveLimiterHint : 0
; COMPUTE_PGM_RSRC2:SCRATCH_EN: 0
; COMPUTE_PGM_RSRC2:USER_SGPR: 6
; COMPUTE_PGM_RSRC2:TRAP_HANDLER: 0
; COMPUTE_PGM_RSRC2:TGID_X_EN: 1
; COMPUTE_PGM_RSRC2:TGID_Y_EN: 0
; COMPUTE_PGM_RSRC2:TGID_Z_EN: 0
; COMPUTE_PGM_RSRC2:TIDIG_COMP_CNT: 0
; COMPUTE_PGM_RSRC3_GFX90A:ACCUM_OFFSET: 7
; COMPUTE_PGM_RSRC3_GFX90A:TG_SPLIT: 0
	.section	.text._ZN9rocsolver6v33100L18getri_kernel_smallILi5EdPdEEvT1_iilPiilS4_bb,"axG",@progbits,_ZN9rocsolver6v33100L18getri_kernel_smallILi5EdPdEEvT1_iilPiilS4_bb,comdat
	.globl	_ZN9rocsolver6v33100L18getri_kernel_smallILi5EdPdEEvT1_iilPiilS4_bb ; -- Begin function _ZN9rocsolver6v33100L18getri_kernel_smallILi5EdPdEEvT1_iilPiilS4_bb
	.p2align	8
	.type	_ZN9rocsolver6v33100L18getri_kernel_smallILi5EdPdEEvT1_iilPiilS4_bb,@function
_ZN9rocsolver6v33100L18getri_kernel_smallILi5EdPdEEvT1_iilPiilS4_bb: ; @_ZN9rocsolver6v33100L18getri_kernel_smallILi5EdPdEEvT1_iilPiilS4_bb
; %bb.0:
	v_cmp_gt_u32_e32 vcc, 5, v0
	s_and_saveexec_b64 s[0:1], vcc
	s_cbranch_execz .LBB4_16
; %bb.1:
	s_load_dword s20, s[4:5], 0x38
	s_load_dwordx4 s[12:15], s[4:5], 0x10
	s_load_dwordx4 s[8:11], s[4:5], 0x28
                                        ; implicit-def: $sgpr16_sgpr17
	s_waitcnt lgkmcnt(0)
	s_bitcmp1_b32 s20, 8
	s_cselect_b64 s[18:19], -1, 0
	s_ashr_i32 s7, s6, 31
	s_bfe_u32 s0, s20, 0x10008
	s_cmp_eq_u32 s0, 0
	s_cbranch_scc1 .LBB4_3
; %bb.2:
	s_load_dword s0, s[4:5], 0x20
	s_mul_i32 s1, s6, s9
	s_mul_hi_u32 s2, s6, s8
	s_mul_i32 s3, s7, s8
	s_add_i32 s2, s2, s1
	s_add_i32 s3, s2, s3
	s_mul_i32 s2, s6, s8
	s_waitcnt lgkmcnt(0)
	s_ashr_i32 s1, s0, 31
	s_lshl_b64 s[2:3], s[2:3], 2
	s_add_u32 s2, s14, s2
	s_addc_u32 s3, s15, s3
	s_lshl_b64 s[0:1], s[0:1], 2
	s_add_u32 s16, s2, s0
	s_addc_u32 s17, s3, s1
.LBB4_3:
	s_load_dwordx4 s[0:3], s[4:5], 0x0
	s_mul_i32 s4, s6, s13
	s_mul_hi_u32 s5, s6, s12
	s_add_i32 s8, s5, s4
	v_lshlrev_b32_e32 v14, 3, v0
	s_waitcnt lgkmcnt(0)
	s_ashr_i32 s5, s2, 31
	s_mov_b32 s4, s2
	s_mul_i32 s2, s7, s12
	s_add_i32 s9, s8, s2
	s_mul_i32 s8, s6, s12
	s_lshl_b64 s[8:9], s[8:9], 3
	s_add_u32 s2, s0, s8
	s_addc_u32 s8, s1, s9
	s_lshl_b64 s[0:1], s[4:5], 3
	s_add_u32 s0, s2, s0
	s_addc_u32 s1, s8, s1
	v_mov_b32_e32 v1, s1
	v_add_co_u32_e32 v28, vcc, s0, v14
	s_ashr_i32 s5, s3, 31
	s_mov_b32 s4, s3
	s_add_i32 s2, s3, s3
	v_addc_co_u32_e32 v29, vcc, 0, v1, vcc
	s_lshl_b64 s[4:5], s[4:5], 3
	v_add_u32_e32 v4, s2, v0
	v_mov_b32_e32 v1, s5
	v_add_co_u32_e32 v30, vcc, s4, v28
	v_ashrrev_i32_e32 v5, 31, v4
	v_addc_co_u32_e32 v31, vcc, v29, v1, vcc
	v_lshlrev_b64 v[6:7], 3, v[4:5]
	v_add_u32_e32 v4, s3, v4
	v_mov_b32_e32 v1, s1
	v_add_co_u32_e32 v32, vcc, s0, v6
	v_ashrrev_i32_e32 v5, 31, v4
	v_addc_co_u32_e32 v33, vcc, v1, v7, vcc
	v_lshlrev_b64 v[6:7], 3, v[4:5]
	v_add_u32_e32 v4, s3, v4
	v_add_co_u32_e32 v34, vcc, s0, v6
	v_ashrrev_i32_e32 v5, 31, v4
	v_addc_co_u32_e32 v35, vcc, v1, v7, vcc
	v_lshlrev_b64 v[4:5], 3, v[4:5]
	v_add_co_u32_e32 v36, vcc, s0, v4
	global_load_dwordx2 v[2:3], v14, s[0:1]
	v_addc_co_u32_e32 v37, vcc, v1, v5, vcc
	global_load_dwordx2 v[4:5], v[30:31], off
	global_load_dwordx2 v[6:7], v[32:33], off
	;; [unrolled: 1-line block ×4, first 2 shown]
	v_mov_b32_e32 v1, 0
	s_bitcmp0_b32 s20, 0
	s_mov_b64 s[0:1], -1
	s_cbranch_scc1 .LBB4_14
; %bb.4:
	v_cmp_eq_u32_e64 s[0:1], 0, v0
	s_and_saveexec_b64 s[2:3], s[0:1]
	s_cbranch_execz .LBB4_6
; %bb.5:
	v_mov_b32_e32 v12, 0
	ds_write_b32 v12, v12 offset:40
.LBB4_6:
	s_or_b64 exec, exec, s[2:3]
	v_cmp_eq_u32_e32 vcc, 1, v0
	s_waitcnt vmcnt(3)
	v_cndmask_b32_e32 v12, v3, v5, vcc
	v_cmp_eq_u32_e64 s[2:3], 2, v0
	s_waitcnt vmcnt(2)
	v_cndmask_b32_e64 v12, v12, v7, s[2:3]
	v_cmp_eq_u32_e64 s[4:5], 3, v0
	s_waitcnt vmcnt(1)
	v_cndmask_b32_e64 v12, v12, v9, s[4:5]
	;; [unrolled: 3-line block ×3, first 2 shown]
	v_cndmask_b32_e32 v12, v2, v4, vcc
	v_cndmask_b32_e64 v12, v12, v6, s[2:3]
	v_cndmask_b32_e64 v12, v12, v8, s[4:5]
	;; [unrolled: 1-line block ×3, first 2 shown]
	v_cmp_eq_f64_e32 vcc, 0, v[12:13]
	s_waitcnt lgkmcnt(0)
	; wave barrier
	s_waitcnt lgkmcnt(0)
	s_and_saveexec_b64 s[4:5], vcc
	s_cbranch_execz .LBB4_10
; %bb.7:
	v_mov_b32_e32 v15, 0
	ds_read_b32 v17, v15 offset:40
	v_add_u32_e32 v16, 1, v0
	s_waitcnt lgkmcnt(0)
	v_readfirstlane_b32 s2, v17
	s_cmp_eq_u32 s2, 0
	s_cselect_b64 s[8:9], -1, 0
	v_cmp_gt_i32_e32 vcc, s2, v16
	s_or_b64 s[8:9], s[8:9], vcc
	s_and_b64 exec, exec, s[8:9]
	s_cbranch_execz .LBB4_10
; %bb.8:
	s_mov_b64 s[8:9], 0
	v_mov_b32_e32 v17, s2
.LBB4_9:                                ; =>This Inner Loop Header: Depth=1
	ds_cmpst_rtn_b32 v17, v15, v17, v16 offset:40
	s_waitcnt lgkmcnt(0)
	v_cmp_ne_u32_e32 vcc, 0, v17
	v_cmp_le_i32_e64 s[2:3], v17, v16
	s_and_b64 s[2:3], vcc, s[2:3]
	s_and_b64 s[2:3], exec, s[2:3]
	s_or_b64 s[8:9], s[2:3], s[8:9]
	s_andn2_b64 exec, exec, s[8:9]
	s_cbranch_execnz .LBB4_9
.LBB4_10:
	s_or_b64 exec, exec, s[4:5]
	v_mov_b32_e32 v16, 0
	s_waitcnt lgkmcnt(0)
	; wave barrier
	ds_read_b32 v15, v16 offset:40
	s_and_saveexec_b64 s[2:3], s[0:1]
	s_cbranch_execz .LBB4_12
; %bb.11:
	s_lshl_b64 s[4:5], s[6:7], 2
	s_add_u32 s4, s10, s4
	s_addc_u32 s5, s11, s5
	s_waitcnt lgkmcnt(0)
	global_store_dword v16, v15, s[4:5]
.LBB4_12:
	s_or_b64 exec, exec, s[2:3]
	s_waitcnt lgkmcnt(0)
	v_cmp_ne_u32_e32 vcc, 0, v15
	s_cbranch_vccz .LBB4_17
; %bb.13:
	s_mov_b64 s[0:1], 0
                                        ; implicit-def: $vgpr2_vgpr3_vgpr4_vgpr5_vgpr6_vgpr7_vgpr8_vgpr9_vgpr10_vgpr11_vgpr12_vgpr13_vgpr14_vgpr15_vgpr16_vgpr17
.LBB4_14:
	s_and_b64 vcc, exec, s[0:1]
	s_cbranch_vccz .LBB4_16
.LBB4_15:
	s_lshl_b64 s[0:1], s[6:7], 2
	s_add_u32 s0, s10, s0
	s_addc_u32 s1, s11, s1
	v_mov_b32_e32 v1, 0
	global_load_dword v1, v1, s[0:1]
	s_waitcnt vmcnt(0)
	v_cmp_ne_u32_e32 vcc, 0, v1
	s_cbranch_vccz .LBB4_30
.LBB4_16:
	s_endpgm
.LBB4_17:
	v_div_scale_f64 v[16:17], s[2:3], v[12:13], v[12:13], 1.0
	v_rcp_f64_e32 v[18:19], v[16:17]
	v_div_scale_f64 v[20:21], vcc, 1.0, v[12:13], 1.0
	v_fma_f64 v[22:23], -v[16:17], v[18:19], 1.0
	v_fmac_f64_e32 v[18:19], v[18:19], v[22:23]
	v_fma_f64 v[22:23], -v[16:17], v[18:19], 1.0
	v_fmac_f64_e32 v[18:19], v[18:19], v[22:23]
	v_mul_f64 v[22:23], v[20:21], v[18:19]
	v_fma_f64 v[16:17], -v[16:17], v[22:23], v[20:21]
	v_div_fmas_f64 v[16:17], v[16:17], v[18:19], v[22:23]
	v_div_fixup_f64 v[12:13], v[16:17], v[12:13], 1.0
	v_cmp_eq_u32_e32 vcc, 4, v0
	v_cndmask_b32_e32 v11, v11, v13, vcc
	v_cndmask_b32_e32 v10, v10, v12, vcc
	v_cmp_eq_u32_e32 vcc, 3, v0
	v_cndmask_b32_e32 v9, v9, v13, vcc
	v_cndmask_b32_e32 v8, v8, v12, vcc
	;; [unrolled: 3-line block ×5, first 2 shown]
	v_xor_b32_e32 v19, 0x80000000, v13
	v_mov_b32_e32 v18, v12
	v_add_u32_e32 v16, 48, v14
	ds_write2_b64 v14, v[18:19], v[4:5] offset1:6
	s_waitcnt lgkmcnt(0)
	; wave barrier
	s_waitcnt lgkmcnt(0)
	s_and_saveexec_b64 s[2:3], s[0:1]
	s_cbranch_execz .LBB4_19
; %bb.18:
	v_mov_b32_e32 v14, 0
	ds_read_b64 v[4:5], v16
	ds_read_b64 v[14:15], v14 offset:8
	s_waitcnt lgkmcnt(1)
	v_fma_f64 v[4:5], v[12:13], v[4:5], 0
	s_waitcnt lgkmcnt(0)
	v_mul_f64 v[4:5], v[4:5], v[14:15]
.LBB4_19:
	s_or_b64 exec, exec, s[2:3]
	v_cmp_gt_u32_e32 vcc, 2, v0
	s_waitcnt lgkmcnt(0)
	; wave barrier
	ds_write_b64 v16, v[6:7]
	s_waitcnt lgkmcnt(0)
	; wave barrier
	s_waitcnt lgkmcnt(0)
	s_and_saveexec_b64 s[12:13], vcc
	s_cbranch_execz .LBB4_21
; %bb.20:
	v_cmp_eq_u32_e32 vcc, 1, v0
	v_cndmask_b32_e32 v12, v3, v5, vcc
	v_cmp_eq_u32_e64 s[2:3], 2, v0
	v_cndmask_b32_e64 v7, v12, v7, s[2:3]
	ds_read_b64 v[18:19], v16
	v_mov_b32_e32 v12, 0
	v_cndmask_b32_e32 v17, v2, v4, vcc
	ds_read2_b64 v[12:15], v12 offset0:2 offset1:7
	v_cmp_eq_u32_e64 s[4:5], 3, v0
	v_cndmask_b32_e64 v6, v17, v6, s[2:3]
	v_cndmask_b32_e64 v7, v7, v9, s[4:5]
	v_cmp_eq_u32_e64 s[8:9], 4, v0
	v_cndmask_b32_e64 v6, v6, v8, s[4:5]
	v_cndmask_b32_e64 v7, v7, v11, s[8:9]
	;; [unrolled: 1-line block ×3, first 2 shown]
	s_waitcnt lgkmcnt(1)
	v_fma_f64 v[6:7], v[6:7], v[18:19], 0
	s_waitcnt lgkmcnt(0)
	v_fma_f64 v[14:15], v[4:5], v[14:15], v[6:7]
	v_cndmask_b32_e64 v7, v7, v15, s[0:1]
	v_cndmask_b32_e64 v6, v6, v14, s[0:1]
	v_mul_f64 v[6:7], v[6:7], v[12:13]
.LBB4_21:
	s_or_b64 exec, exec, s[12:13]
	v_cmp_gt_u32_e32 vcc, 3, v0
	s_waitcnt lgkmcnt(0)
	; wave barrier
	ds_write_b64 v16, v[8:9]
	s_waitcnt lgkmcnt(0)
	; wave barrier
	s_waitcnt lgkmcnt(0)
	s_and_saveexec_b64 s[4:5], vcc
	s_cbranch_execz .LBB4_25
; %bb.22:
	v_lshl_add_u32 v17, v0, 3, 48
	s_mov_b64 s[8:9], 0
	v_pk_mov_b32 v[12:13], 0, 0
	v_pk_mov_b32 v[14:15], v[0:1], v[0:1] op_sel:[0,1]
.LBB4_23:                               ; =>This Inner Loop Header: Depth=1
	v_cmp_eq_u32_e32 vcc, 1, v14
	v_cndmask_b32_e32 v20, v3, v5, vcc
	ds_read_b64 v[18:19], v17
	v_cmp_eq_u32_e64 s[0:1], 2, v14
	v_cndmask_b32_e64 v20, v20, v7, s[0:1]
	v_cndmask_b32_e32 v21, v2, v4, vcc
	v_cmp_eq_u32_e32 vcc, 3, v14
	v_cndmask_b32_e32 v20, v20, v9, vcc
	v_cmp_eq_u32_e64 s[2:3], 4, v14
	v_cndmask_b32_e64 v22, v21, v6, s[0:1]
	v_add_co_u32_e64 v14, s[0:1], 1, v14
	v_cndmask_b32_e64 v21, v20, v11, s[2:3]
	v_cndmask_b32_e32 v20, v22, v8, vcc
	v_add_u32_e32 v22, -1, v14
	v_cndmask_b32_e64 v20, v20, v10, s[2:3]
	v_cmp_lt_u32_e32 vcc, 1, v22
	v_add_u32_e32 v17, 8, v17
	v_addc_co_u32_e64 v15, s[0:1], 0, v15, s[0:1]
	s_or_b64 s[8:9], vcc, s[8:9]
	s_waitcnt lgkmcnt(0)
	v_fmac_f64_e32 v[12:13], v[20:21], v[18:19]
	s_andn2_b64 exec, exec, s[8:9]
	s_cbranch_execnz .LBB4_23
; %bb.24:
	s_or_b64 exec, exec, s[8:9]
	v_mov_b32_e32 v8, 0
	ds_read_b64 v[8:9], v8 offset:24
	s_waitcnt lgkmcnt(0)
	v_mul_f64 v[8:9], v[12:13], v[8:9]
.LBB4_25:
	s_or_b64 exec, exec, s[4:5]
	v_cmp_ne_u32_e32 vcc, 4, v0
	s_waitcnt lgkmcnt(0)
	; wave barrier
	ds_write_b64 v16, v[10:11]
	s_waitcnt lgkmcnt(0)
	; wave barrier
	s_waitcnt lgkmcnt(0)
	s_and_saveexec_b64 s[4:5], vcc
	s_cbranch_execz .LBB4_29
; %bb.26:
	v_lshl_add_u32 v16, v0, 3, 48
	s_mov_b64 s[8:9], 0
	v_pk_mov_b32 v[12:13], 0, 0
	v_pk_mov_b32 v[14:15], v[0:1], v[0:1] op_sel:[0,1]
.LBB4_27:                               ; =>This Inner Loop Header: Depth=1
	v_cmp_eq_u32_e32 vcc, 1, v14
	v_cndmask_b32_e32 v1, v3, v5, vcc
	ds_read_b64 v[18:19], v16
	v_cmp_eq_u32_e64 s[0:1], 2, v14
	v_cndmask_b32_e64 v1, v1, v7, s[0:1]
	v_cndmask_b32_e32 v17, v2, v4, vcc
	v_cmp_eq_u32_e32 vcc, 3, v14
	v_cndmask_b32_e32 v1, v1, v9, vcc
	v_cmp_eq_u32_e64 s[2:3], 4, v14
	v_cndmask_b32_e64 v17, v17, v6, s[0:1]
	v_add_co_u32_e64 v14, s[0:1], 1, v14
	v_cndmask_b32_e64 v21, v1, v11, s[2:3]
	v_cndmask_b32_e32 v1, v17, v8, vcc
	v_add_u32_e32 v17, -1, v14
	v_cndmask_b32_e64 v20, v1, v10, s[2:3]
	v_cmp_lt_u32_e32 vcc, 2, v17
	v_add_u32_e32 v16, 8, v16
	v_addc_co_u32_e64 v15, s[0:1], 0, v15, s[0:1]
	s_or_b64 s[8:9], vcc, s[8:9]
	s_waitcnt lgkmcnt(0)
	v_fmac_f64_e32 v[12:13], v[20:21], v[18:19]
	s_andn2_b64 exec, exec, s[8:9]
	s_cbranch_execnz .LBB4_27
; %bb.28:
	s_or_b64 exec, exec, s[8:9]
	v_mov_b32_e32 v1, 0
	ds_read_b64 v[10:11], v1 offset:32
	s_waitcnt lgkmcnt(0)
	v_mul_f64 v[10:11], v[12:13], v[10:11]
.LBB4_29:
	s_or_b64 exec, exec, s[4:5]
	s_waitcnt lgkmcnt(0)
	; wave barrier
	s_cbranch_execnz .LBB4_15
	s_branch .LBB4_16
.LBB4_30:
	v_lshl_add_u32 v1, v0, 3, 48
	v_cmp_eq_u32_e32 vcc, 4, v0
	s_and_saveexec_b64 s[0:1], vcc
	s_cbranch_execz .LBB4_32
; %bb.31:
	v_mov_b32_e32 v18, 0
	v_mov_b32_e32 v12, v2
	;; [unrolled: 1-line block ×10, first 2 shown]
	ds_write_b64 v1, v[8:9]
	v_pk_mov_b32 v[2:3], v[12:13], v[12:13] op_sel:[0,1]
	v_pk_mov_b32 v[4:5], v[14:15], v[14:15] op_sel:[0,1]
	;; [unrolled: 1-line block ×8, first 2 shown]
.LBB4_32:
	s_or_b64 exec, exec, s[0:1]
	v_mov_b32_e32 v18, 0
	s_waitcnt lgkmcnt(0)
	; wave barrier
	s_waitcnt lgkmcnt(0)
	ds_read_b64 v[12:13], v18 offset:80
	v_cmp_lt_u32_e32 vcc, 2, v0
	s_waitcnt lgkmcnt(0)
	v_fma_f64 v[12:13], v[10:11], v[12:13], 0
	v_add_f64 v[8:9], v[8:9], -v[12:13]
	s_and_saveexec_b64 s[0:1], vcc
	s_cbranch_execz .LBB4_34
; %bb.33:
	v_mov_b32_e32 v14, v2
	v_mov_b32_e32 v15, v3
	;; [unrolled: 1-line block ×9, first 2 shown]
	ds_write_b64 v1, v[6:7]
	v_pk_mov_b32 v[2:3], v[14:15], v[14:15] op_sel:[0,1]
	v_pk_mov_b32 v[4:5], v[16:17], v[16:17] op_sel:[0,1]
	;; [unrolled: 1-line block ×8, first 2 shown]
.LBB4_34:
	s_or_b64 exec, exec, s[0:1]
	s_waitcnt lgkmcnt(0)
	; wave barrier
	s_waitcnt lgkmcnt(0)
	ds_read2_b64 v[12:15], v18 offset0:9 offset1:10
	v_cmp_lt_u32_e32 vcc, 1, v0
	s_waitcnt lgkmcnt(0)
	v_fma_f64 v[12:13], v[8:9], v[12:13], 0
	v_fmac_f64_e32 v[12:13], v[10:11], v[14:15]
	v_add_f64 v[6:7], v[6:7], -v[12:13]
	s_and_saveexec_b64 s[0:1], vcc
	s_cbranch_execz .LBB4_36
; %bb.35:
	v_mov_b32_e32 v14, 0
	v_mov_b32_e32 v12, v2
	;; [unrolled: 1-line block ×10, first 2 shown]
	ds_write_b64 v1, v[4:5]
	v_pk_mov_b32 v[2:3], v[12:13], v[12:13] op_sel:[0,1]
	v_pk_mov_b32 v[4:5], v[14:15], v[14:15] op_sel:[0,1]
	;; [unrolled: 1-line block ×8, first 2 shown]
.LBB4_36:
	s_or_b64 exec, exec, s[0:1]
	v_mov_b32_e32 v18, 0
	s_waitcnt lgkmcnt(0)
	; wave barrier
	s_waitcnt lgkmcnt(0)
	ds_read_b128 v[12:15], v18 offset:64
	ds_read_b64 v[16:17], v18 offset:80
	v_cmp_ne_u32_e32 vcc, 0, v0
	s_waitcnt lgkmcnt(1)
	v_fma_f64 v[12:13], v[6:7], v[12:13], 0
	v_fmac_f64_e32 v[12:13], v[8:9], v[14:15]
	s_waitcnt lgkmcnt(0)
	v_fmac_f64_e32 v[12:13], v[10:11], v[16:17]
	v_add_f64 v[4:5], v[4:5], -v[12:13]
	s_and_saveexec_b64 s[0:1], vcc
	s_cbranch_execz .LBB4_38
; %bb.37:
	v_mov_b32_e32 v19, v18
	v_mov_b32_e32 v20, v4
	;; [unrolled: 1-line block ×9, first 2 shown]
	ds_write_b64 v1, v[2:3]
	v_pk_mov_b32 v[2:3], v[18:19], v[18:19] op_sel:[0,1]
	v_pk_mov_b32 v[4:5], v[20:21], v[20:21] op_sel:[0,1]
	;; [unrolled: 1-line block ×8, first 2 shown]
.LBB4_38:
	s_or_b64 exec, exec, s[0:1]
	s_waitcnt lgkmcnt(0)
	; wave barrier
	s_waitcnt lgkmcnt(0)
	ds_read2_b64 v[12:15], v18 offset0:7 offset1:8
	ds_read2_b64 v[16:19], v18 offset0:9 offset1:10
	s_and_b64 vcc, exec, s[18:19]
	s_waitcnt lgkmcnt(1)
	v_fma_f64 v[0:1], v[4:5], v[12:13], 0
	v_fmac_f64_e32 v[0:1], v[6:7], v[14:15]
	s_waitcnt lgkmcnt(0)
	v_fmac_f64_e32 v[0:1], v[8:9], v[16:17]
	v_fmac_f64_e32 v[0:1], v[10:11], v[18:19]
	v_add_f64 v[2:3], v[2:3], -v[0:1]
	s_cbranch_vccz .LBB4_48
; %bb.39:
	v_pk_mov_b32 v[0:1], s[16:17], s[16:17] op_sel:[0,1]
	flat_load_dword v0, v[0:1] offset:12
	s_waitcnt vmcnt(0) lgkmcnt(0)
	v_add_u32_e32 v0, -1, v0
	v_cmp_ne_u32_e32 vcc, 3, v0
	s_and_saveexec_b64 s[6:7], vcc
	s_cbranch_execz .LBB4_41
; %bb.40:
	v_cmp_eq_u32_e32 vcc, 1, v0
	v_cndmask_b32_e32 v1, v2, v4, vcc
	v_cmp_eq_u32_e64 s[0:1], 2, v0
	v_cndmask_b32_e32 v12, v3, v5, vcc
	v_cndmask_b32_e64 v1, v1, v6, s[0:1]
	v_cmp_eq_u32_e64 s[2:3], 3, v0
	v_cndmask_b32_e64 v12, v12, v7, s[0:1]
	v_cndmask_b32_e64 v1, v1, v8, s[2:3]
	v_cmp_eq_u32_e64 s[4:5], 4, v0
	v_cndmask_b32_e64 v12, v12, v9, s[2:3]
	v_cndmask_b32_e64 v1, v1, v10, s[4:5]
	;; [unrolled: 1-line block ×5, first 2 shown]
	v_cndmask_b32_e32 v11, v5, v9, vcc
	v_cndmask_b32_e32 v10, v4, v8, vcc
	v_cmp_eq_u32_e32 vcc, 0, v0
	v_cndmask_b32_e64 v15, v12, v9, s[2:3]
	v_cndmask_b32_e64 v14, v1, v8, s[2:3]
	;; [unrolled: 1-line block ×4, first 2 shown]
	v_cndmask_b32_e32 v9, v3, v9, vcc
	v_cndmask_b32_e32 v8, v2, v8, vcc
	v_pk_mov_b32 v[2:3], v[8:9], v[8:9] op_sel:[0,1]
	v_pk_mov_b32 v[4:5], v[10:11], v[10:11] op_sel:[0,1]
	;; [unrolled: 1-line block ×8, first 2 shown]
.LBB4_41:
	s_or_b64 exec, exec, s[6:7]
	v_pk_mov_b32 v[0:1], s[16:17], s[16:17] op_sel:[0,1]
	flat_load_dword v0, v[0:1] offset:8
	s_waitcnt vmcnt(0) lgkmcnt(0)
	v_add_u32_e32 v0, -1, v0
	v_cmp_ne_u32_e32 vcc, 2, v0
	s_and_saveexec_b64 s[6:7], vcc
	s_cbranch_execz .LBB4_43
; %bb.42:
	v_cmp_eq_u32_e32 vcc, 1, v0
	v_cndmask_b32_e32 v1, v2, v4, vcc
	v_cmp_eq_u32_e64 s[0:1], 2, v0
	v_cndmask_b32_e32 v12, v3, v5, vcc
	v_cndmask_b32_e64 v1, v1, v6, s[0:1]
	v_cmp_eq_u32_e64 s[2:3], 3, v0
	v_cndmask_b32_e64 v12, v12, v7, s[0:1]
	v_cndmask_b32_e64 v1, v1, v8, s[2:3]
	v_cmp_eq_u32_e64 s[4:5], 4, v0
	v_cndmask_b32_e64 v12, v12, v9, s[2:3]
	v_cndmask_b32_e64 v1, v1, v10, s[4:5]
	v_cndmask_b32_e64 v12, v12, v11, s[4:5]
	v_cndmask_b32_e64 v17, v11, v7, s[4:5]
	v_cndmask_b32_e64 v16, v10, v6, s[4:5]
	v_cndmask_b32_e32 v11, v5, v7, vcc
	v_cndmask_b32_e32 v10, v4, v6, vcc
	v_cmp_eq_u32_e32 vcc, 0, v0
	v_cndmask_b32_e64 v13, v12, v7, s[0:1]
	v_cndmask_b32_e64 v12, v1, v6, s[0:1]
	;; [unrolled: 1-line block ×4, first 2 shown]
	v_cndmask_b32_e32 v9, v3, v7, vcc
	v_cndmask_b32_e32 v8, v2, v6, vcc
	v_pk_mov_b32 v[2:3], v[8:9], v[8:9] op_sel:[0,1]
	v_pk_mov_b32 v[4:5], v[10:11], v[10:11] op_sel:[0,1]
	;; [unrolled: 1-line block ×8, first 2 shown]
.LBB4_43:
	s_or_b64 exec, exec, s[6:7]
	v_pk_mov_b32 v[0:1], s[16:17], s[16:17] op_sel:[0,1]
	flat_load_dword v0, v[0:1] offset:4
	s_waitcnt vmcnt(0) lgkmcnt(0)
	v_add_u32_e32 v0, -1, v0
	v_cmp_ne_u32_e32 vcc, 1, v0
	s_and_saveexec_b64 s[6:7], vcc
	s_cbranch_execz .LBB4_45
; %bb.44:
	v_cmp_eq_u32_e32 vcc, 1, v0
	v_cndmask_b32_e32 v1, v2, v4, vcc
	v_cmp_eq_u32_e64 s[0:1], 2, v0
	v_cndmask_b32_e32 v12, v3, v5, vcc
	v_cndmask_b32_e64 v1, v1, v6, s[0:1]
	v_cmp_eq_u32_e64 s[2:3], 3, v0
	v_cndmask_b32_e64 v12, v12, v7, s[0:1]
	v_cndmask_b32_e64 v1, v1, v8, s[2:3]
	v_cmp_eq_u32_e64 s[4:5], 4, v0
	v_cndmask_b32_e64 v12, v12, v9, s[2:3]
	v_cndmask_b32_e64 v1, v1, v10, s[4:5]
	;; [unrolled: 1-line block ×3, first 2 shown]
	v_cndmask_b32_e32 v13, v12, v5, vcc
	v_cndmask_b32_e32 v12, v1, v4, vcc
	v_cmp_eq_u32_e32 vcc, 0, v0
	v_cndmask_b32_e64 v19, v11, v5, s[4:5]
	v_cndmask_b32_e64 v18, v10, v4, s[4:5]
	;; [unrolled: 1-line block ×6, first 2 shown]
	v_cndmask_b32_e32 v11, v3, v5, vcc
	v_cndmask_b32_e32 v10, v2, v4, vcc
	v_pk_mov_b32 v[2:3], v[10:11], v[10:11] op_sel:[0,1]
	v_pk_mov_b32 v[4:5], v[12:13], v[12:13] op_sel:[0,1]
	;; [unrolled: 1-line block ×8, first 2 shown]
.LBB4_45:
	s_or_b64 exec, exec, s[6:7]
	v_pk_mov_b32 v[0:1], s[16:17], s[16:17] op_sel:[0,1]
	flat_load_dword v0, v[0:1]
	s_waitcnt vmcnt(0) lgkmcnt(0)
	v_add_u32_e32 v0, -1, v0
	v_cmp_ne_u32_e32 vcc, 0, v0
	s_and_saveexec_b64 s[8:9], vcc
	s_cbranch_execz .LBB4_47
; %bb.46:
	v_cmp_eq_u32_e32 vcc, 1, v0
	v_cndmask_b32_e32 v1, v2, v4, vcc
	v_cmp_eq_u32_e64 s[0:1], 2, v0
	v_cndmask_b32_e32 v12, v3, v5, vcc
	v_cndmask_b32_e64 v1, v1, v6, s[0:1]
	v_cmp_eq_u32_e64 s[2:3], 3, v0
	v_cndmask_b32_e64 v12, v12, v7, s[0:1]
	v_cndmask_b32_e64 v1, v1, v8, s[2:3]
	v_cmp_eq_u32_e64 s[4:5], 4, v0
	v_cndmask_b32_e64 v12, v12, v9, s[2:3]
	v_cndmask_b32_e64 v1, v1, v10, s[4:5]
	;; [unrolled: 1-line block ×3, first 2 shown]
	v_cmp_eq_u32_e64 s[6:7], 0, v0
	v_cndmask_b32_e64 v13, v12, v3, s[6:7]
	v_cndmask_b32_e64 v12, v1, v2, s[6:7]
	;; [unrolled: 1-line block ×4, first 2 shown]
	v_cndmask_b32_e32 v15, v5, v3, vcc
	v_cndmask_b32_e32 v14, v4, v2, vcc
	v_cndmask_b32_e64 v21, v11, v3, s[4:5]
	v_cndmask_b32_e64 v20, v10, v2, s[4:5]
	;; [unrolled: 1-line block ×4, first 2 shown]
	v_pk_mov_b32 v[2:3], v[12:13], v[12:13] op_sel:[0,1]
	v_pk_mov_b32 v[4:5], v[14:15], v[14:15] op_sel:[0,1]
	v_pk_mov_b32 v[6:7], v[16:17], v[16:17] op_sel:[0,1]
	v_pk_mov_b32 v[8:9], v[18:19], v[18:19] op_sel:[0,1]
	v_pk_mov_b32 v[10:11], v[20:21], v[20:21] op_sel:[0,1]
	v_pk_mov_b32 v[12:13], v[22:23], v[22:23] op_sel:[0,1]
	v_pk_mov_b32 v[14:15], v[24:25], v[24:25] op_sel:[0,1]
	v_pk_mov_b32 v[16:17], v[26:27], v[26:27] op_sel:[0,1]
.LBB4_47:
	s_or_b64 exec, exec, s[8:9]
.LBB4_48:
	global_store_dwordx2 v[28:29], v[2:3], off
	global_store_dwordx2 v[30:31], v[4:5], off
	;; [unrolled: 1-line block ×5, first 2 shown]
	s_endpgm
	.section	.rodata,"a",@progbits
	.p2align	6, 0x0
	.amdhsa_kernel _ZN9rocsolver6v33100L18getri_kernel_smallILi5EdPdEEvT1_iilPiilS4_bb
		.amdhsa_group_segment_fixed_size 88
		.amdhsa_private_segment_fixed_size 0
		.amdhsa_kernarg_size 60
		.amdhsa_user_sgpr_count 6
		.amdhsa_user_sgpr_private_segment_buffer 1
		.amdhsa_user_sgpr_dispatch_ptr 0
		.amdhsa_user_sgpr_queue_ptr 0
		.amdhsa_user_sgpr_kernarg_segment_ptr 1
		.amdhsa_user_sgpr_dispatch_id 0
		.amdhsa_user_sgpr_flat_scratch_init 0
		.amdhsa_user_sgpr_kernarg_preload_length 0
		.amdhsa_user_sgpr_kernarg_preload_offset 0
		.amdhsa_user_sgpr_private_segment_size 0
		.amdhsa_uses_dynamic_stack 0
		.amdhsa_system_sgpr_private_segment_wavefront_offset 0
		.amdhsa_system_sgpr_workgroup_id_x 1
		.amdhsa_system_sgpr_workgroup_id_y 0
		.amdhsa_system_sgpr_workgroup_id_z 0
		.amdhsa_system_sgpr_workgroup_info 0
		.amdhsa_system_vgpr_workitem_id 0
		.amdhsa_next_free_vgpr 38
		.amdhsa_next_free_sgpr 21
		.amdhsa_accum_offset 40
		.amdhsa_reserve_vcc 1
		.amdhsa_reserve_flat_scratch 0
		.amdhsa_float_round_mode_32 0
		.amdhsa_float_round_mode_16_64 0
		.amdhsa_float_denorm_mode_32 3
		.amdhsa_float_denorm_mode_16_64 3
		.amdhsa_dx10_clamp 1
		.amdhsa_ieee_mode 1
		.amdhsa_fp16_overflow 0
		.amdhsa_tg_split 0
		.amdhsa_exception_fp_ieee_invalid_op 0
		.amdhsa_exception_fp_denorm_src 0
		.amdhsa_exception_fp_ieee_div_zero 0
		.amdhsa_exception_fp_ieee_overflow 0
		.amdhsa_exception_fp_ieee_underflow 0
		.amdhsa_exception_fp_ieee_inexact 0
		.amdhsa_exception_int_div_zero 0
	.end_amdhsa_kernel
	.section	.text._ZN9rocsolver6v33100L18getri_kernel_smallILi5EdPdEEvT1_iilPiilS4_bb,"axG",@progbits,_ZN9rocsolver6v33100L18getri_kernel_smallILi5EdPdEEvT1_iilPiilS4_bb,comdat
.Lfunc_end4:
	.size	_ZN9rocsolver6v33100L18getri_kernel_smallILi5EdPdEEvT1_iilPiilS4_bb, .Lfunc_end4-_ZN9rocsolver6v33100L18getri_kernel_smallILi5EdPdEEvT1_iilPiilS4_bb
                                        ; -- End function
	.section	.AMDGPU.csdata,"",@progbits
; Kernel info:
; codeLenInByte = 3412
; NumSgprs: 25
; NumVgprs: 38
; NumAgprs: 0
; TotalNumVgprs: 38
; ScratchSize: 0
; MemoryBound: 0
; FloatMode: 240
; IeeeMode: 1
; LDSByteSize: 88 bytes/workgroup (compile time only)
; SGPRBlocks: 3
; VGPRBlocks: 4
; NumSGPRsForWavesPerEU: 25
; NumVGPRsForWavesPerEU: 38
; AccumOffset: 40
; Occupancy: 8
; WaveLimiterHint : 0
; COMPUTE_PGM_RSRC2:SCRATCH_EN: 0
; COMPUTE_PGM_RSRC2:USER_SGPR: 6
; COMPUTE_PGM_RSRC2:TRAP_HANDLER: 0
; COMPUTE_PGM_RSRC2:TGID_X_EN: 1
; COMPUTE_PGM_RSRC2:TGID_Y_EN: 0
; COMPUTE_PGM_RSRC2:TGID_Z_EN: 0
; COMPUTE_PGM_RSRC2:TIDIG_COMP_CNT: 0
; COMPUTE_PGM_RSRC3_GFX90A:ACCUM_OFFSET: 9
; COMPUTE_PGM_RSRC3_GFX90A:TG_SPLIT: 0
	.section	.text._ZN9rocsolver6v33100L18getri_kernel_smallILi6EdPdEEvT1_iilPiilS4_bb,"axG",@progbits,_ZN9rocsolver6v33100L18getri_kernel_smallILi6EdPdEEvT1_iilPiilS4_bb,comdat
	.globl	_ZN9rocsolver6v33100L18getri_kernel_smallILi6EdPdEEvT1_iilPiilS4_bb ; -- Begin function _ZN9rocsolver6v33100L18getri_kernel_smallILi6EdPdEEvT1_iilPiilS4_bb
	.p2align	8
	.type	_ZN9rocsolver6v33100L18getri_kernel_smallILi6EdPdEEvT1_iilPiilS4_bb,@function
_ZN9rocsolver6v33100L18getri_kernel_smallILi6EdPdEEvT1_iilPiilS4_bb: ; @_ZN9rocsolver6v33100L18getri_kernel_smallILi6EdPdEEvT1_iilPiilS4_bb
; %bb.0:
	v_cmp_gt_u32_e32 vcc, 6, v0
	s_and_saveexec_b64 s[0:1], vcc
	s_cbranch_execz .LBB5_16
; %bb.1:
	s_load_dword s20, s[4:5], 0x38
	s_load_dwordx4 s[8:11], s[4:5], 0x10
	s_load_dwordx4 s[12:15], s[4:5], 0x28
                                        ; implicit-def: $sgpr16_sgpr17
	s_waitcnt lgkmcnt(0)
	s_bitcmp1_b32 s20, 8
	s_cselect_b64 s[18:19], -1, 0
	s_ashr_i32 s7, s6, 31
	s_bfe_u32 s0, s20, 0x10008
	s_cmp_eq_u32 s0, 0
	s_cbranch_scc1 .LBB5_3
; %bb.2:
	s_load_dword s0, s[4:5], 0x20
	s_mul_i32 s1, s6, s13
	s_mul_hi_u32 s2, s6, s12
	s_mul_i32 s3, s7, s12
	s_add_i32 s2, s2, s1
	s_add_i32 s3, s2, s3
	s_mul_i32 s2, s6, s12
	s_waitcnt lgkmcnt(0)
	s_ashr_i32 s1, s0, 31
	s_lshl_b64 s[2:3], s[2:3], 2
	s_add_u32 s2, s10, s2
	s_addc_u32 s3, s11, s3
	s_lshl_b64 s[0:1], s[0:1], 2
	s_add_u32 s16, s2, s0
	s_addc_u32 s17, s3, s1
.LBB5_3:
	s_load_dwordx4 s[0:3], s[4:5], 0x0
	s_mul_i32 s4, s6, s9
	s_mul_hi_u32 s5, s6, s8
	s_add_i32 s9, s5, s4
	v_lshlrev_b32_e32 v16, 3, v0
	s_waitcnt lgkmcnt(0)
	s_ashr_i32 s5, s2, 31
	s_mov_b32 s4, s2
	s_mul_i32 s2, s7, s8
	s_add_i32 s9, s9, s2
	s_mul_i32 s8, s6, s8
	s_lshl_b64 s[8:9], s[8:9], 3
	s_add_u32 s2, s0, s8
	s_addc_u32 s8, s1, s9
	s_lshl_b64 s[0:1], s[4:5], 3
	s_add_u32 s0, s2, s0
	s_addc_u32 s1, s8, s1
	v_mov_b32_e32 v1, s1
	v_add_co_u32_e32 v28, vcc, s0, v16
	s_ashr_i32 s5, s3, 31
	s_mov_b32 s4, s3
	s_add_i32 s2, s3, s3
	v_addc_co_u32_e32 v29, vcc, 0, v1, vcc
	s_lshl_b64 s[4:5], s[4:5], 3
	v_add_u32_e32 v2, s2, v0
	v_mov_b32_e32 v1, s5
	v_add_co_u32_e32 v30, vcc, s4, v28
	v_ashrrev_i32_e32 v3, 31, v2
	v_addc_co_u32_e32 v31, vcc, v29, v1, vcc
	v_lshlrev_b64 v[4:5], 3, v[2:3]
	v_add_u32_e32 v2, s3, v2
	v_mov_b32_e32 v1, s1
	v_add_co_u32_e32 v32, vcc, s0, v4
	v_ashrrev_i32_e32 v3, 31, v2
	v_addc_co_u32_e32 v33, vcc, v1, v5, vcc
	v_lshlrev_b64 v[4:5], 3, v[2:3]
	v_add_u32_e32 v2, s3, v2
	v_add_co_u32_e32 v34, vcc, s0, v4
	v_ashrrev_i32_e32 v3, 31, v2
	v_addc_co_u32_e32 v35, vcc, v1, v5, vcc
	v_lshlrev_b64 v[4:5], 3, v[2:3]
	v_add_u32_e32 v2, s3, v2
	v_add_co_u32_e32 v36, vcc, s0, v4
	v_ashrrev_i32_e32 v3, 31, v2
	v_addc_co_u32_e32 v37, vcc, v1, v5, vcc
	global_load_dwordx2 v[4:5], v[30:31], off
	global_load_dwordx2 v[6:7], v[32:33], off
	;; [unrolled: 1-line block ×4, first 2 shown]
	v_lshlrev_b64 v[2:3], 3, v[2:3]
	v_add_co_u32_e32 v38, vcc, s0, v2
	v_addc_co_u32_e32 v39, vcc, v1, v3, vcc
	global_load_dwordx2 v[2:3], v16, s[0:1]
	global_load_dwordx2 v[12:13], v[38:39], off
	v_mov_b32_e32 v1, 0
	s_bitcmp0_b32 s20, 0
	s_mov_b64 s[0:1], -1
	s_cbranch_scc1 .LBB5_14
; %bb.4:
	v_cmp_eq_u32_e64 s[0:1], 0, v0
	s_and_saveexec_b64 s[2:3], s[0:1]
	s_cbranch_execz .LBB5_6
; %bb.5:
	v_mov_b32_e32 v14, 0
	ds_write_b32 v14, v14 offset:96
.LBB5_6:
	s_or_b64 exec, exec, s[2:3]
	v_cmp_eq_u32_e32 vcc, 1, v0
	s_waitcnt vmcnt(1)
	v_cndmask_b32_e32 v14, v3, v5, vcc
	v_cmp_eq_u32_e64 s[2:3], 2, v0
	v_cndmask_b32_e64 v14, v14, v7, s[2:3]
	v_cmp_eq_u32_e64 s[4:5], 3, v0
	v_cndmask_b32_e64 v14, v14, v9, s[4:5]
	;; [unrolled: 2-line block ×3, first 2 shown]
	v_cmp_eq_u32_e64 s[10:11], 5, v0
	s_waitcnt vmcnt(0)
	v_cndmask_b32_e64 v15, v14, v13, s[10:11]
	v_cndmask_b32_e32 v14, v2, v4, vcc
	v_cndmask_b32_e64 v14, v14, v6, s[2:3]
	v_cndmask_b32_e64 v14, v14, v8, s[4:5]
	v_cndmask_b32_e64 v14, v14, v10, s[8:9]
	v_cndmask_b32_e64 v14, v14, v12, s[10:11]
	v_cmp_eq_f64_e32 vcc, 0, v[14:15]
	s_waitcnt lgkmcnt(0)
	; wave barrier
	s_waitcnt lgkmcnt(0)
	s_and_saveexec_b64 s[4:5], vcc
	s_cbranch_execz .LBB5_10
; %bb.7:
	v_mov_b32_e32 v17, 0
	ds_read_b32 v19, v17 offset:96
	v_add_u32_e32 v18, 1, v0
	s_waitcnt lgkmcnt(0)
	v_readfirstlane_b32 s2, v19
	s_cmp_eq_u32 s2, 0
	s_cselect_b64 s[8:9], -1, 0
	v_cmp_gt_i32_e32 vcc, s2, v18
	s_or_b64 s[8:9], s[8:9], vcc
	s_and_b64 exec, exec, s[8:9]
	s_cbranch_execz .LBB5_10
; %bb.8:
	s_mov_b64 s[8:9], 0
	v_mov_b32_e32 v19, s2
.LBB5_9:                                ; =>This Inner Loop Header: Depth=1
	ds_cmpst_rtn_b32 v19, v17, v19, v18 offset:96
	s_waitcnt lgkmcnt(0)
	v_cmp_ne_u32_e32 vcc, 0, v19
	v_cmp_le_i32_e64 s[2:3], v19, v18
	s_and_b64 s[2:3], vcc, s[2:3]
	s_and_b64 s[2:3], exec, s[2:3]
	s_or_b64 s[8:9], s[2:3], s[8:9]
	s_andn2_b64 exec, exec, s[8:9]
	s_cbranch_execnz .LBB5_9
.LBB5_10:
	s_or_b64 exec, exec, s[4:5]
	v_mov_b32_e32 v18, 0
	s_waitcnt lgkmcnt(0)
	; wave barrier
	ds_read_b32 v17, v18 offset:96
	s_and_saveexec_b64 s[2:3], s[0:1]
	s_cbranch_execz .LBB5_12
; %bb.11:
	s_lshl_b64 s[4:5], s[6:7], 2
	s_add_u32 s4, s14, s4
	s_addc_u32 s5, s15, s5
	s_waitcnt lgkmcnt(0)
	global_store_dword v18, v17, s[4:5]
.LBB5_12:
	s_or_b64 exec, exec, s[2:3]
	s_waitcnt lgkmcnt(0)
	v_cmp_ne_u32_e32 vcc, 0, v17
	s_cbranch_vccz .LBB5_17
; %bb.13:
	s_mov_b64 s[0:1], 0
                                        ; implicit-def: $vgpr2_vgpr3_vgpr4_vgpr5_vgpr6_vgpr7_vgpr8_vgpr9_vgpr10_vgpr11_vgpr12_vgpr13_vgpr14_vgpr15_vgpr16_vgpr17
.LBB5_14:
	s_and_b64 vcc, exec, s[0:1]
	s_cbranch_vccz .LBB5_16
.LBB5_15:
	s_lshl_b64 s[0:1], s[6:7], 2
	s_add_u32 s0, s14, s0
	s_addc_u32 s1, s15, s1
	v_mov_b32_e32 v1, 0
	global_load_dword v1, v1, s[0:1]
	s_waitcnt vmcnt(0)
	v_cmp_ne_u32_e32 vcc, 0, v1
	s_cbranch_vccz .LBB5_34
.LBB5_16:
	s_endpgm
.LBB5_17:
	v_div_scale_f64 v[18:19], s[2:3], v[14:15], v[14:15], 1.0
	v_rcp_f64_e32 v[20:21], v[18:19]
	v_div_scale_f64 v[22:23], vcc, 1.0, v[14:15], 1.0
	v_fma_f64 v[24:25], -v[18:19], v[20:21], 1.0
	v_fmac_f64_e32 v[20:21], v[20:21], v[24:25]
	v_fma_f64 v[24:25], -v[18:19], v[20:21], 1.0
	v_fmac_f64_e32 v[20:21], v[20:21], v[24:25]
	v_mul_f64 v[24:25], v[22:23], v[20:21]
	v_fma_f64 v[18:19], -v[18:19], v[24:25], v[22:23]
	v_div_fmas_f64 v[18:19], v[18:19], v[20:21], v[24:25]
	v_div_fixup_f64 v[14:15], v[18:19], v[14:15], 1.0
	v_cmp_eq_u32_e32 vcc, 5, v0
	v_cndmask_b32_e32 v13, v13, v15, vcc
	v_cndmask_b32_e32 v12, v12, v14, vcc
	v_cmp_eq_u32_e32 vcc, 4, v0
	v_cndmask_b32_e32 v11, v11, v15, vcc
	v_cndmask_b32_e32 v10, v10, v14, vcc
	;; [unrolled: 3-line block ×6, first 2 shown]
	v_xor_b32_e32 v21, 0x80000000, v15
	v_mov_b32_e32 v20, v14
	v_add_u32_e32 v18, 48, v16
	ds_write2_b64 v16, v[20:21], v[4:5] offset1:6
	s_waitcnt lgkmcnt(0)
	; wave barrier
	s_waitcnt lgkmcnt(0)
	s_and_saveexec_b64 s[2:3], s[0:1]
	s_cbranch_execz .LBB5_19
; %bb.18:
	v_mov_b32_e32 v16, 0
	ds_read_b64 v[4:5], v18
	ds_read_b64 v[16:17], v16 offset:8
	s_waitcnt lgkmcnt(1)
	v_fma_f64 v[4:5], v[14:15], v[4:5], 0
	s_waitcnt lgkmcnt(0)
	v_mul_f64 v[4:5], v[4:5], v[16:17]
.LBB5_19:
	s_or_b64 exec, exec, s[2:3]
	v_cmp_gt_u32_e32 vcc, 2, v0
	s_waitcnt lgkmcnt(0)
	; wave barrier
	ds_write_b64 v18, v[6:7]
	s_waitcnt lgkmcnt(0)
	; wave barrier
	s_waitcnt lgkmcnt(0)
	s_and_saveexec_b64 s[12:13], vcc
	s_cbranch_execz .LBB5_21
; %bb.20:
	v_cmp_eq_u32_e32 vcc, 1, v0
	v_cndmask_b32_e32 v14, v3, v5, vcc
	v_cmp_eq_u32_e64 s[2:3], 2, v0
	v_cndmask_b32_e64 v7, v14, v7, s[2:3]
	v_cndmask_b32_e32 v14, v2, v4, vcc
	v_cndmask_b32_e64 v6, v14, v6, s[2:3]
	ds_read_b64 v[20:21], v18
	v_mov_b32_e32 v14, 0
	v_cmp_eq_u32_e64 s[4:5], 3, v0
	ds_read2_b64 v[14:17], v14 offset0:2 offset1:7
	v_cndmask_b32_e64 v7, v7, v9, s[4:5]
	v_cmp_eq_u32_e64 s[8:9], 4, v0
	v_cndmask_b32_e64 v6, v6, v8, s[4:5]
	v_cndmask_b32_e64 v7, v7, v11, s[8:9]
	v_cmp_eq_u32_e64 s[10:11], 5, v0
	v_cndmask_b32_e64 v6, v6, v10, s[8:9]
	v_cndmask_b32_e64 v7, v7, v13, s[10:11]
	;; [unrolled: 1-line block ×3, first 2 shown]
	s_waitcnt lgkmcnt(1)
	v_fma_f64 v[6:7], v[6:7], v[20:21], 0
	s_waitcnt lgkmcnt(0)
	v_fma_f64 v[16:17], v[4:5], v[16:17], v[6:7]
	v_cndmask_b32_e64 v7, v7, v17, s[0:1]
	v_cndmask_b32_e64 v6, v6, v16, s[0:1]
	v_mul_f64 v[6:7], v[6:7], v[14:15]
.LBB5_21:
	s_or_b64 exec, exec, s[12:13]
	v_cmp_gt_u32_e32 vcc, 3, v0
	s_waitcnt lgkmcnt(0)
	; wave barrier
	ds_write_b64 v18, v[8:9]
	s_waitcnt lgkmcnt(0)
	; wave barrier
	s_waitcnt lgkmcnt(0)
	s_and_saveexec_b64 s[4:5], vcc
	s_cbranch_execz .LBB5_25
; %bb.22:
	v_lshl_add_u32 v19, v0, 3, 48
	s_mov_b64 s[8:9], 0
	v_pk_mov_b32 v[14:15], 0, 0
	v_pk_mov_b32 v[16:17], v[0:1], v[0:1] op_sel:[0,1]
.LBB5_23:                               ; =>This Inner Loop Header: Depth=1
	v_cmp_eq_u32_e32 vcc, 1, v16
	v_cndmask_b32_e32 v22, v3, v5, vcc
	v_cmp_eq_u32_e64 s[0:1], 2, v16
	ds_read_b64 v[20:21], v19
	v_cndmask_b32_e64 v22, v22, v7, s[0:1]
	v_cndmask_b32_e32 v23, v2, v4, vcc
	v_cmp_eq_u32_e32 vcc, 3, v16
	v_cndmask_b32_e32 v22, v22, v9, vcc
	v_cndmask_b32_e64 v23, v23, v6, s[0:1]
	v_cmp_eq_u32_e64 s[0:1], 4, v16
	v_cndmask_b32_e64 v22, v22, v11, s[0:1]
	v_cmp_eq_u32_e64 s[2:3], 5, v16
	v_cndmask_b32_e32 v24, v23, v8, vcc
	v_add_co_u32_e32 v16, vcc, 1, v16
	v_addc_co_u32_e32 v17, vcc, 0, v17, vcc
	v_cndmask_b32_e64 v23, v22, v13, s[2:3]
	v_cndmask_b32_e64 v22, v24, v10, s[0:1]
	v_add_u32_e32 v24, -1, v16
	v_cndmask_b32_e64 v22, v22, v12, s[2:3]
	v_cmp_lt_u32_e32 vcc, 1, v24
	v_add_u32_e32 v19, 8, v19
	s_or_b64 s[8:9], vcc, s[8:9]
	s_waitcnt lgkmcnt(0)
	v_fmac_f64_e32 v[14:15], v[22:23], v[20:21]
	s_andn2_b64 exec, exec, s[8:9]
	s_cbranch_execnz .LBB5_23
; %bb.24:
	s_or_b64 exec, exec, s[8:9]
	v_mov_b32_e32 v8, 0
	ds_read_b64 v[8:9], v8 offset:24
	s_waitcnt lgkmcnt(0)
	v_mul_f64 v[8:9], v[14:15], v[8:9]
.LBB5_25:
	s_or_b64 exec, exec, s[4:5]
	v_cmp_gt_u32_e32 vcc, 4, v0
	s_waitcnt lgkmcnt(0)
	; wave barrier
	ds_write_b64 v18, v[10:11]
	s_waitcnt lgkmcnt(0)
	; wave barrier
	s_waitcnt lgkmcnt(0)
	s_and_saveexec_b64 s[4:5], vcc
	s_cbranch_execz .LBB5_29
; %bb.26:
	v_lshl_add_u32 v19, v0, 3, 48
	s_mov_b64 s[8:9], 0
	v_pk_mov_b32 v[14:15], 0, 0
	v_pk_mov_b32 v[16:17], v[0:1], v[0:1] op_sel:[0,1]
.LBB5_27:                               ; =>This Inner Loop Header: Depth=1
	v_cmp_eq_u32_e32 vcc, 1, v16
	v_cndmask_b32_e32 v22, v3, v5, vcc
	v_cmp_eq_u32_e64 s[0:1], 2, v16
	ds_read_b64 v[20:21], v19
	v_cndmask_b32_e64 v22, v22, v7, s[0:1]
	v_cndmask_b32_e32 v23, v2, v4, vcc
	v_cmp_eq_u32_e32 vcc, 3, v16
	v_cndmask_b32_e32 v22, v22, v9, vcc
	v_cndmask_b32_e64 v23, v23, v6, s[0:1]
	v_cmp_eq_u32_e64 s[0:1], 4, v16
	v_cndmask_b32_e64 v22, v22, v11, s[0:1]
	v_cmp_eq_u32_e64 s[2:3], 5, v16
	v_cndmask_b32_e32 v24, v23, v8, vcc
	v_add_co_u32_e32 v16, vcc, 1, v16
	v_addc_co_u32_e32 v17, vcc, 0, v17, vcc
	v_cndmask_b32_e64 v23, v22, v13, s[2:3]
	v_cndmask_b32_e64 v22, v24, v10, s[0:1]
	v_add_u32_e32 v24, -1, v16
	v_cndmask_b32_e64 v22, v22, v12, s[2:3]
	v_cmp_lt_u32_e32 vcc, 2, v24
	v_add_u32_e32 v19, 8, v19
	s_or_b64 s[8:9], vcc, s[8:9]
	s_waitcnt lgkmcnt(0)
	v_fmac_f64_e32 v[14:15], v[22:23], v[20:21]
	s_andn2_b64 exec, exec, s[8:9]
	s_cbranch_execnz .LBB5_27
; %bb.28:
	s_or_b64 exec, exec, s[8:9]
	v_mov_b32_e32 v10, 0
	ds_read_b64 v[10:11], v10 offset:32
	s_waitcnt lgkmcnt(0)
	v_mul_f64 v[10:11], v[14:15], v[10:11]
.LBB5_29:
	s_or_b64 exec, exec, s[4:5]
	v_cmp_ne_u32_e32 vcc, 5, v0
	s_waitcnt lgkmcnt(0)
	; wave barrier
	ds_write_b64 v18, v[12:13]
	s_waitcnt lgkmcnt(0)
	; wave barrier
	s_waitcnt lgkmcnt(0)
	s_and_saveexec_b64 s[4:5], vcc
	s_cbranch_execz .LBB5_33
; %bb.30:
	v_lshl_add_u32 v18, v0, 3, 48
	s_mov_b64 s[8:9], 0
	v_pk_mov_b32 v[14:15], 0, 0
	v_pk_mov_b32 v[16:17], v[0:1], v[0:1] op_sel:[0,1]
.LBB5_31:                               ; =>This Inner Loop Header: Depth=1
	v_cmp_eq_u32_e32 vcc, 1, v16
	v_cndmask_b32_e32 v1, v3, v5, vcc
	v_cmp_eq_u32_e64 s[0:1], 2, v16
	ds_read_b64 v[20:21], v18
	v_cndmask_b32_e64 v1, v1, v7, s[0:1]
	v_cndmask_b32_e32 v19, v2, v4, vcc
	v_cmp_eq_u32_e32 vcc, 3, v16
	v_cndmask_b32_e32 v1, v1, v9, vcc
	v_cndmask_b32_e64 v19, v19, v6, s[0:1]
	v_cmp_eq_u32_e64 s[0:1], 4, v16
	v_cndmask_b32_e64 v1, v1, v11, s[0:1]
	v_cmp_eq_u32_e64 s[2:3], 5, v16
	v_cndmask_b32_e32 v19, v19, v8, vcc
	v_add_co_u32_e32 v16, vcc, 1, v16
	v_addc_co_u32_e32 v17, vcc, 0, v17, vcc
	v_cndmask_b32_e64 v23, v1, v13, s[2:3]
	v_cndmask_b32_e64 v1, v19, v10, s[0:1]
	v_add_u32_e32 v19, -1, v16
	v_cndmask_b32_e64 v22, v1, v12, s[2:3]
	v_cmp_lt_u32_e32 vcc, 3, v19
	v_add_u32_e32 v18, 8, v18
	s_or_b64 s[8:9], vcc, s[8:9]
	s_waitcnt lgkmcnt(0)
	v_fmac_f64_e32 v[14:15], v[22:23], v[20:21]
	s_andn2_b64 exec, exec, s[8:9]
	s_cbranch_execnz .LBB5_31
; %bb.32:
	s_or_b64 exec, exec, s[8:9]
	v_mov_b32_e32 v1, 0
	ds_read_b64 v[12:13], v1 offset:40
	s_waitcnt lgkmcnt(0)
	v_mul_f64 v[12:13], v[14:15], v[12:13]
.LBB5_33:
	s_or_b64 exec, exec, s[4:5]
	s_waitcnt lgkmcnt(0)
	; wave barrier
	s_cbranch_execnz .LBB5_15
	s_branch .LBB5_16
.LBB5_34:
	v_lshl_add_u32 v1, v0, 3, 48
	v_cmp_eq_u32_e32 vcc, 5, v0
	s_and_saveexec_b64 s[0:1], vcc
	s_cbranch_execz .LBB5_36
; %bb.35:
	v_mov_b32_e32 v22, 0
	v_mov_b32_e32 v14, v2
	;; [unrolled: 1-line block ×12, first 2 shown]
	ds_write_b64 v1, v[10:11]
	v_pk_mov_b32 v[2:3], v[14:15], v[14:15] op_sel:[0,1]
	v_pk_mov_b32 v[4:5], v[16:17], v[16:17] op_sel:[0,1]
	;; [unrolled: 1-line block ×8, first 2 shown]
.LBB5_36:
	s_or_b64 exec, exec, s[0:1]
	v_mov_b32_e32 v20, 0
	s_waitcnt lgkmcnt(0)
	; wave barrier
	s_waitcnt lgkmcnt(0)
	ds_read_b64 v[14:15], v20 offset:88
	v_cmp_lt_u32_e32 vcc, 3, v0
	s_waitcnt lgkmcnt(0)
	v_fma_f64 v[14:15], v[12:13], v[14:15], 0
	v_add_f64 v[10:11], v[10:11], -v[14:15]
	s_and_saveexec_b64 s[0:1], vcc
	s_cbranch_execz .LBB5_38
; %bb.37:
	v_mov_b32_e32 v14, v2
	v_mov_b32_e32 v15, v3
	;; [unrolled: 1-line block ×11, first 2 shown]
	ds_write_b64 v1, v[8:9]
	v_pk_mov_b32 v[2:3], v[14:15], v[14:15] op_sel:[0,1]
	v_pk_mov_b32 v[4:5], v[16:17], v[16:17] op_sel:[0,1]
	;; [unrolled: 1-line block ×8, first 2 shown]
.LBB5_38:
	s_or_b64 exec, exec, s[0:1]
	s_waitcnt lgkmcnt(0)
	; wave barrier
	s_waitcnt lgkmcnt(0)
	ds_read_b128 v[14:17], v20 offset:80
	v_cmp_lt_u32_e32 vcc, 2, v0
	s_waitcnt lgkmcnt(0)
	v_fma_f64 v[14:15], v[10:11], v[14:15], 0
	v_fmac_f64_e32 v[14:15], v[12:13], v[16:17]
	v_add_f64 v[8:9], v[8:9], -v[14:15]
	s_and_saveexec_b64 s[0:1], vcc
	s_cbranch_execz .LBB5_40
; %bb.39:
	v_mov_b32_e32 v18, 0
	v_mov_b32_e32 v14, v2
	;; [unrolled: 1-line block ×12, first 2 shown]
	ds_write_b64 v1, v[6:7]
	v_pk_mov_b32 v[2:3], v[14:15], v[14:15] op_sel:[0,1]
	v_pk_mov_b32 v[4:5], v[16:17], v[16:17] op_sel:[0,1]
	;; [unrolled: 1-line block ×8, first 2 shown]
.LBB5_40:
	s_or_b64 exec, exec, s[0:1]
	v_mov_b32_e32 v18, 0
	s_waitcnt lgkmcnt(0)
	; wave barrier
	s_waitcnt lgkmcnt(0)
	ds_read2_b64 v[14:17], v18 offset0:9 offset1:10
	ds_read_b64 v[20:21], v18 offset:88
	v_cmp_lt_u32_e32 vcc, 1, v0
	s_waitcnt lgkmcnt(1)
	v_fma_f64 v[14:15], v[8:9], v[14:15], 0
	v_fmac_f64_e32 v[14:15], v[10:11], v[16:17]
	s_waitcnt lgkmcnt(0)
	v_fmac_f64_e32 v[14:15], v[12:13], v[20:21]
	v_add_f64 v[6:7], v[6:7], -v[14:15]
	s_and_saveexec_b64 s[0:1], vcc
	s_cbranch_execz .LBB5_42
; %bb.41:
	v_mov_b32_e32 v16, v2
	v_mov_b32_e32 v17, v3
	;; [unrolled: 1-line block ×11, first 2 shown]
	ds_write_b64 v1, v[4:5]
	v_pk_mov_b32 v[2:3], v[16:17], v[16:17] op_sel:[0,1]
	v_pk_mov_b32 v[4:5], v[18:19], v[18:19] op_sel:[0,1]
	;; [unrolled: 1-line block ×8, first 2 shown]
.LBB5_42:
	s_or_b64 exec, exec, s[0:1]
	s_waitcnt lgkmcnt(0)
	; wave barrier
	s_waitcnt lgkmcnt(0)
	ds_read_b128 v[14:17], v18 offset:64
	ds_read_b128 v[18:21], v18 offset:80
	v_cmp_ne_u32_e32 vcc, 0, v0
	s_waitcnt lgkmcnt(1)
	v_fma_f64 v[14:15], v[6:7], v[14:15], 0
	v_fmac_f64_e32 v[14:15], v[8:9], v[16:17]
	s_waitcnt lgkmcnt(0)
	v_fmac_f64_e32 v[14:15], v[10:11], v[18:19]
	v_fmac_f64_e32 v[14:15], v[12:13], v[20:21]
	v_add_f64 v[4:5], v[4:5], -v[14:15]
	s_and_saveexec_b64 s[0:1], vcc
	s_cbranch_execz .LBB5_44
; %bb.43:
	v_mov_b32_e32 v14, 0
	v_mov_b32_e32 v15, v14
	;; [unrolled: 1-line block ×12, first 2 shown]
	ds_write_b64 v1, v[2:3]
	v_pk_mov_b32 v[2:3], v[14:15], v[14:15] op_sel:[0,1]
	v_pk_mov_b32 v[4:5], v[16:17], v[16:17] op_sel:[0,1]
	;; [unrolled: 1-line block ×8, first 2 shown]
.LBB5_44:
	s_or_b64 exec, exec, s[0:1]
	v_mov_b32_e32 v0, 0
	s_waitcnt lgkmcnt(0)
	; wave barrier
	s_waitcnt lgkmcnt(0)
	ds_read2_b64 v[14:17], v0 offset0:7 offset1:8
	ds_read2_b64 v[18:21], v0 offset0:9 offset1:10
	ds_read_b64 v[0:1], v0 offset:88
	s_and_b64 vcc, exec, s[18:19]
	s_waitcnt lgkmcnt(2)
	v_fma_f64 v[14:15], v[4:5], v[14:15], 0
	v_fmac_f64_e32 v[14:15], v[6:7], v[16:17]
	s_waitcnt lgkmcnt(1)
	v_fmac_f64_e32 v[14:15], v[8:9], v[18:19]
	v_fmac_f64_e32 v[14:15], v[10:11], v[20:21]
	s_waitcnt lgkmcnt(0)
	v_fmac_f64_e32 v[14:15], v[12:13], v[0:1]
	v_add_f64 v[2:3], v[2:3], -v[14:15]
	s_cbranch_vccz .LBB5_56
; %bb.45:
	v_pk_mov_b32 v[0:1], s[16:17], s[16:17] op_sel:[0,1]
	flat_load_dword v0, v[0:1] offset:16
	s_waitcnt vmcnt(0) lgkmcnt(0)
	v_add_u32_e32 v0, -1, v0
	v_cmp_ne_u32_e32 vcc, 4, v0
	s_and_saveexec_b64 s[8:9], vcc
	s_cbranch_execz .LBB5_47
; %bb.46:
	v_cmp_eq_u32_e32 vcc, 1, v0
	v_cndmask_b32_e32 v1, v2, v4, vcc
	v_cmp_eq_u32_e64 s[0:1], 2, v0
	v_cndmask_b32_e32 v14, v3, v5, vcc
	v_cndmask_b32_e64 v1, v1, v6, s[0:1]
	v_cmp_eq_u32_e64 s[2:3], 3, v0
	v_cndmask_b32_e64 v14, v14, v7, s[0:1]
	v_cndmask_b32_e64 v1, v1, v8, s[2:3]
	v_cmp_eq_u32_e64 s[4:5], 4, v0
	v_cndmask_b32_e64 v14, v14, v9, s[2:3]
	v_cndmask_b32_e64 v1, v1, v10, s[4:5]
	v_cmp_eq_u32_e64 s[6:7], 5, v0
	v_cndmask_b32_e64 v14, v14, v11, s[4:5]
	v_cndmask_b32_e64 v1, v1, v12, s[6:7]
	v_cndmask_b32_e64 v14, v14, v13, s[6:7]
	v_cndmask_b32_e64 v21, v13, v11, s[6:7]
	v_cndmask_b32_e64 v20, v12, v10, s[6:7]
	v_cndmask_b32_e32 v13, v5, v11, vcc
	v_cndmask_b32_e32 v12, v4, v10, vcc
	v_cmp_eq_u32_e32 vcc, 0, v0
	v_cndmask_b32_e64 v19, v14, v11, s[4:5]
	v_cndmask_b32_e64 v18, v1, v10, s[4:5]
	v_cndmask_b32_e64 v17, v9, v11, s[2:3]
	v_cndmask_b32_e64 v16, v8, v10, s[2:3]
	v_cndmask_b32_e64 v15, v7, v11, s[0:1]
	v_cndmask_b32_e64 v14, v6, v10, s[0:1]
	v_cndmask_b32_e32 v11, v3, v11, vcc
	v_cndmask_b32_e32 v10, v2, v10, vcc
	v_pk_mov_b32 v[2:3], v[10:11], v[10:11] op_sel:[0,1]
	v_pk_mov_b32 v[4:5], v[12:13], v[12:13] op_sel:[0,1]
	v_pk_mov_b32 v[6:7], v[14:15], v[14:15] op_sel:[0,1]
	v_pk_mov_b32 v[8:9], v[16:17], v[16:17] op_sel:[0,1]
	v_pk_mov_b32 v[10:11], v[18:19], v[18:19] op_sel:[0,1]
	v_pk_mov_b32 v[12:13], v[20:21], v[20:21] op_sel:[0,1]
	v_pk_mov_b32 v[14:15], v[22:23], v[22:23] op_sel:[0,1]
	v_pk_mov_b32 v[16:17], v[24:25], v[24:25] op_sel:[0,1]
.LBB5_47:
	s_or_b64 exec, exec, s[8:9]
	v_pk_mov_b32 v[0:1], s[16:17], s[16:17] op_sel:[0,1]
	flat_load_dword v0, v[0:1] offset:12
	s_waitcnt vmcnt(0) lgkmcnt(0)
	v_add_u32_e32 v0, -1, v0
	v_cmp_ne_u32_e32 vcc, 3, v0
	s_and_saveexec_b64 s[8:9], vcc
	s_cbranch_execz .LBB5_49
; %bb.48:
	v_cmp_eq_u32_e32 vcc, 1, v0
	v_cndmask_b32_e32 v1, v2, v4, vcc
	v_cmp_eq_u32_e64 s[0:1], 2, v0
	v_cndmask_b32_e32 v14, v3, v5, vcc
	v_cndmask_b32_e64 v1, v1, v6, s[0:1]
	v_cmp_eq_u32_e64 s[2:3], 3, v0
	v_cndmask_b32_e64 v14, v14, v7, s[0:1]
	v_cndmask_b32_e64 v1, v1, v8, s[2:3]
	v_cmp_eq_u32_e64 s[4:5], 4, v0
	v_cndmask_b32_e64 v14, v14, v9, s[2:3]
	v_cndmask_b32_e64 v1, v1, v10, s[4:5]
	v_cmp_eq_u32_e64 s[6:7], 5, v0
	v_cndmask_b32_e64 v14, v14, v11, s[4:5]
	v_cndmask_b32_e64 v1, v1, v12, s[6:7]
	v_cndmask_b32_e64 v14, v14, v13, s[6:7]
	v_cndmask_b32_e64 v17, v11, v9, s[4:5]
	v_cndmask_b32_e64 v16, v10, v8, s[4:5]
	v_cndmask_b32_e32 v11, v5, v9, vcc
	v_cndmask_b32_e32 v10, v4, v8, vcc
	v_cmp_eq_u32_e32 vcc, 0, v0
	v_cndmask_b32_e64 v15, v14, v9, s[2:3]
	v_cndmask_b32_e64 v14, v1, v8, s[2:3]
	v_cndmask_b32_e64 v19, v13, v9, s[6:7]
	v_cndmask_b32_e64 v18, v12, v8, s[6:7]
	v_cndmask_b32_e64 v13, v7, v9, s[0:1]
	v_cndmask_b32_e64 v12, v6, v8, s[0:1]
	v_cndmask_b32_e32 v9, v3, v9, vcc
	v_cndmask_b32_e32 v8, v2, v8, vcc
	v_pk_mov_b32 v[2:3], v[8:9], v[8:9] op_sel:[0,1]
	v_pk_mov_b32 v[4:5], v[10:11], v[10:11] op_sel:[0,1]
	v_pk_mov_b32 v[6:7], v[12:13], v[12:13] op_sel:[0,1]
	v_pk_mov_b32 v[8:9], v[14:15], v[14:15] op_sel:[0,1]
	v_pk_mov_b32 v[10:11], v[16:17], v[16:17] op_sel:[0,1]
	v_pk_mov_b32 v[12:13], v[18:19], v[18:19] op_sel:[0,1]
	v_pk_mov_b32 v[14:15], v[20:21], v[20:21] op_sel:[0,1]
	v_pk_mov_b32 v[16:17], v[22:23], v[22:23] op_sel:[0,1]
.LBB5_49:
	s_or_b64 exec, exec, s[8:9]
	;; [unrolled: 46-line block ×3, first 2 shown]
	v_pk_mov_b32 v[0:1], s[16:17], s[16:17] op_sel:[0,1]
	flat_load_dword v0, v[0:1] offset:4
	s_waitcnt vmcnt(0) lgkmcnt(0)
	v_add_u32_e32 v0, -1, v0
	v_cmp_ne_u32_e32 vcc, 1, v0
	s_and_saveexec_b64 s[8:9], vcc
	s_cbranch_execz .LBB5_53
; %bb.52:
	v_cmp_eq_u32_e32 vcc, 1, v0
	v_cndmask_b32_e32 v1, v2, v4, vcc
	v_cmp_eq_u32_e64 s[0:1], 2, v0
	v_cndmask_b32_e32 v14, v3, v5, vcc
	v_cndmask_b32_e64 v1, v1, v6, s[0:1]
	v_cmp_eq_u32_e64 s[2:3], 3, v0
	v_cndmask_b32_e64 v14, v14, v7, s[0:1]
	v_cndmask_b32_e64 v1, v1, v8, s[2:3]
	v_cmp_eq_u32_e64 s[4:5], 4, v0
	v_cndmask_b32_e64 v14, v14, v9, s[2:3]
	;; [unrolled: 3-line block ×3, first 2 shown]
	v_cndmask_b32_e64 v1, v1, v12, s[6:7]
	v_cndmask_b32_e64 v14, v14, v13, s[6:7]
	v_cndmask_b32_e32 v15, v14, v5, vcc
	v_cndmask_b32_e32 v14, v1, v4, vcc
	v_cmp_eq_u32_e32 vcc, 0, v0
	v_cndmask_b32_e64 v23, v13, v5, s[6:7]
	v_cndmask_b32_e64 v22, v12, v4, s[6:7]
	;; [unrolled: 1-line block ×4, first 2 shown]
	v_cndmask_b32_e32 v13, v3, v5, vcc
	v_cndmask_b32_e32 v12, v2, v4, vcc
	v_cndmask_b32_e64 v21, v11, v5, s[4:5]
	v_cndmask_b32_e64 v20, v10, v4, s[4:5]
	;; [unrolled: 1-line block ×4, first 2 shown]
	v_pk_mov_b32 v[2:3], v[12:13], v[12:13] op_sel:[0,1]
	v_pk_mov_b32 v[4:5], v[14:15], v[14:15] op_sel:[0,1]
	;; [unrolled: 1-line block ×8, first 2 shown]
.LBB5_53:
	s_or_b64 exec, exec, s[8:9]
	v_pk_mov_b32 v[0:1], s[16:17], s[16:17] op_sel:[0,1]
	flat_load_dword v0, v[0:1]
	s_waitcnt vmcnt(0) lgkmcnt(0)
	v_add_u32_e32 v0, -1, v0
	v_cmp_ne_u32_e32 vcc, 0, v0
	s_and_saveexec_b64 s[10:11], vcc
	s_cbranch_execz .LBB5_55
; %bb.54:
	v_cmp_eq_u32_e32 vcc, 1, v0
	v_cndmask_b32_e32 v1, v2, v4, vcc
	v_cmp_eq_u32_e64 s[0:1], 2, v0
	v_cndmask_b32_e32 v14, v3, v5, vcc
	v_cndmask_b32_e64 v1, v1, v6, s[0:1]
	v_cmp_eq_u32_e64 s[2:3], 3, v0
	v_cndmask_b32_e64 v14, v14, v7, s[0:1]
	v_cndmask_b32_e64 v1, v1, v8, s[2:3]
	v_cmp_eq_u32_e64 s[4:5], 4, v0
	v_cndmask_b32_e64 v14, v14, v9, s[2:3]
	;; [unrolled: 3-line block ×3, first 2 shown]
	v_cndmask_b32_e64 v1, v1, v12, s[6:7]
	v_cndmask_b32_e64 v14, v14, v13, s[6:7]
	v_cmp_eq_u32_e64 s[8:9], 0, v0
	v_cndmask_b32_e64 v15, v14, v3, s[8:9]
	v_cndmask_b32_e64 v14, v1, v2, s[8:9]
	v_cndmask_b32_e32 v17, v5, v3, vcc
	v_cndmask_b32_e32 v16, v4, v2, vcc
	v_cndmask_b32_e64 v25, v13, v3, s[6:7]
	v_cndmask_b32_e64 v24, v12, v2, s[6:7]
	;; [unrolled: 1-line block ×8, first 2 shown]
	v_pk_mov_b32 v[2:3], v[14:15], v[14:15] op_sel:[0,1]
	v_pk_mov_b32 v[4:5], v[16:17], v[16:17] op_sel:[0,1]
	;; [unrolled: 1-line block ×8, first 2 shown]
.LBB5_55:
	s_or_b64 exec, exec, s[10:11]
.LBB5_56:
	global_store_dwordx2 v[28:29], v[2:3], off
	global_store_dwordx2 v[30:31], v[4:5], off
	;; [unrolled: 1-line block ×6, first 2 shown]
	s_endpgm
	.section	.rodata,"a",@progbits
	.p2align	6, 0x0
	.amdhsa_kernel _ZN9rocsolver6v33100L18getri_kernel_smallILi6EdPdEEvT1_iilPiilS4_bb
		.amdhsa_group_segment_fixed_size 104
		.amdhsa_private_segment_fixed_size 0
		.amdhsa_kernarg_size 60
		.amdhsa_user_sgpr_count 6
		.amdhsa_user_sgpr_private_segment_buffer 1
		.amdhsa_user_sgpr_dispatch_ptr 0
		.amdhsa_user_sgpr_queue_ptr 0
		.amdhsa_user_sgpr_kernarg_segment_ptr 1
		.amdhsa_user_sgpr_dispatch_id 0
		.amdhsa_user_sgpr_flat_scratch_init 0
		.amdhsa_user_sgpr_kernarg_preload_length 0
		.amdhsa_user_sgpr_kernarg_preload_offset 0
		.amdhsa_user_sgpr_private_segment_size 0
		.amdhsa_uses_dynamic_stack 0
		.amdhsa_system_sgpr_private_segment_wavefront_offset 0
		.amdhsa_system_sgpr_workgroup_id_x 1
		.amdhsa_system_sgpr_workgroup_id_y 0
		.amdhsa_system_sgpr_workgroup_id_z 0
		.amdhsa_system_sgpr_workgroup_info 0
		.amdhsa_system_vgpr_workitem_id 0
		.amdhsa_next_free_vgpr 40
		.amdhsa_next_free_sgpr 21
		.amdhsa_accum_offset 40
		.amdhsa_reserve_vcc 1
		.amdhsa_reserve_flat_scratch 0
		.amdhsa_float_round_mode_32 0
		.amdhsa_float_round_mode_16_64 0
		.amdhsa_float_denorm_mode_32 3
		.amdhsa_float_denorm_mode_16_64 3
		.amdhsa_dx10_clamp 1
		.amdhsa_ieee_mode 1
		.amdhsa_fp16_overflow 0
		.amdhsa_tg_split 0
		.amdhsa_exception_fp_ieee_invalid_op 0
		.amdhsa_exception_fp_denorm_src 0
		.amdhsa_exception_fp_ieee_div_zero 0
		.amdhsa_exception_fp_ieee_overflow 0
		.amdhsa_exception_fp_ieee_underflow 0
		.amdhsa_exception_fp_ieee_inexact 0
		.amdhsa_exception_int_div_zero 0
	.end_amdhsa_kernel
	.section	.text._ZN9rocsolver6v33100L18getri_kernel_smallILi6EdPdEEvT1_iilPiilS4_bb,"axG",@progbits,_ZN9rocsolver6v33100L18getri_kernel_smallILi6EdPdEEvT1_iilPiilS4_bb,comdat
.Lfunc_end5:
	.size	_ZN9rocsolver6v33100L18getri_kernel_smallILi6EdPdEEvT1_iilPiilS4_bb, .Lfunc_end5-_ZN9rocsolver6v33100L18getri_kernel_smallILi6EdPdEEvT1_iilPiilS4_bb
                                        ; -- End function
	.section	.AMDGPU.csdata,"",@progbits
; Kernel info:
; codeLenInByte = 4476
; NumSgprs: 25
; NumVgprs: 40
; NumAgprs: 0
; TotalNumVgprs: 40
; ScratchSize: 0
; MemoryBound: 0
; FloatMode: 240
; IeeeMode: 1
; LDSByteSize: 104 bytes/workgroup (compile time only)
; SGPRBlocks: 3
; VGPRBlocks: 4
; NumSGPRsForWavesPerEU: 25
; NumVGPRsForWavesPerEU: 40
; AccumOffset: 40
; Occupancy: 8
; WaveLimiterHint : 0
; COMPUTE_PGM_RSRC2:SCRATCH_EN: 0
; COMPUTE_PGM_RSRC2:USER_SGPR: 6
; COMPUTE_PGM_RSRC2:TRAP_HANDLER: 0
; COMPUTE_PGM_RSRC2:TGID_X_EN: 1
; COMPUTE_PGM_RSRC2:TGID_Y_EN: 0
; COMPUTE_PGM_RSRC2:TGID_Z_EN: 0
; COMPUTE_PGM_RSRC2:TIDIG_COMP_CNT: 0
; COMPUTE_PGM_RSRC3_GFX90A:ACCUM_OFFSET: 9
; COMPUTE_PGM_RSRC3_GFX90A:TG_SPLIT: 0
	.section	.text._ZN9rocsolver6v33100L18getri_kernel_smallILi7EdPdEEvT1_iilPiilS4_bb,"axG",@progbits,_ZN9rocsolver6v33100L18getri_kernel_smallILi7EdPdEEvT1_iilPiilS4_bb,comdat
	.globl	_ZN9rocsolver6v33100L18getri_kernel_smallILi7EdPdEEvT1_iilPiilS4_bb ; -- Begin function _ZN9rocsolver6v33100L18getri_kernel_smallILi7EdPdEEvT1_iilPiilS4_bb
	.p2align	8
	.type	_ZN9rocsolver6v33100L18getri_kernel_smallILi7EdPdEEvT1_iilPiilS4_bb,@function
_ZN9rocsolver6v33100L18getri_kernel_smallILi7EdPdEEvT1_iilPiilS4_bb: ; @_ZN9rocsolver6v33100L18getri_kernel_smallILi7EdPdEEvT1_iilPiilS4_bb
; %bb.0:
	v_cmp_gt_u32_e32 vcc, 7, v0
	s_and_saveexec_b64 s[0:1], vcc
	s_cbranch_execz .LBB6_16
; %bb.1:
	s_load_dword s20, s[4:5], 0x38
	s_load_dwordx4 s[8:11], s[4:5], 0x10
	s_load_dwordx4 s[12:15], s[4:5], 0x28
                                        ; implicit-def: $sgpr16_sgpr17
	s_waitcnt lgkmcnt(0)
	s_bitcmp1_b32 s20, 8
	s_cselect_b64 s[18:19], -1, 0
	s_ashr_i32 s7, s6, 31
	s_bfe_u32 s0, s20, 0x10008
	s_cmp_eq_u32 s0, 0
	s_cbranch_scc1 .LBB6_3
; %bb.2:
	s_load_dword s0, s[4:5], 0x20
	s_mul_i32 s1, s6, s13
	s_mul_hi_u32 s2, s6, s12
	s_mul_i32 s3, s7, s12
	s_add_i32 s2, s2, s1
	s_add_i32 s3, s2, s3
	s_mul_i32 s2, s6, s12
	s_waitcnt lgkmcnt(0)
	s_ashr_i32 s1, s0, 31
	s_lshl_b64 s[2:3], s[2:3], 2
	s_add_u32 s2, s10, s2
	s_addc_u32 s3, s11, s3
	s_lshl_b64 s[0:1], s[0:1], 2
	s_add_u32 s16, s2, s0
	s_addc_u32 s17, s3, s1
.LBB6_3:
	s_load_dwordx4 s[0:3], s[4:5], 0x0
	s_mul_i32 s4, s6, s9
	s_mul_hi_u32 s5, s6, s8
	s_add_i32 s9, s5, s4
	v_lshlrev_b32_e32 v18, 3, v0
	s_waitcnt lgkmcnt(0)
	s_ashr_i32 s5, s2, 31
	s_mov_b32 s4, s2
	s_mul_i32 s2, s7, s8
	s_add_i32 s9, s9, s2
	s_mul_i32 s8, s6, s8
	s_lshl_b64 s[8:9], s[8:9], 3
	s_add_u32 s2, s0, s8
	s_addc_u32 s8, s1, s9
	s_lshl_b64 s[0:1], s[4:5], 3
	s_add_u32 s0, s2, s0
	s_addc_u32 s1, s8, s1
	v_mov_b32_e32 v1, s1
	v_add_co_u32_e32 v32, vcc, s0, v18
	s_ashr_i32 s5, s3, 31
	s_mov_b32 s4, s3
	s_add_i32 s2, s3, s3
	v_addc_co_u32_e32 v33, vcc, 0, v1, vcc
	s_lshl_b64 s[4:5], s[4:5], 3
	v_add_u32_e32 v2, s2, v0
	v_mov_b32_e32 v1, s5
	v_add_co_u32_e32 v34, vcc, s4, v32
	v_ashrrev_i32_e32 v3, 31, v2
	v_addc_co_u32_e32 v35, vcc, v33, v1, vcc
	v_lshlrev_b64 v[4:5], 3, v[2:3]
	v_add_u32_e32 v2, s3, v2
	v_mov_b32_e32 v1, s1
	v_add_co_u32_e32 v36, vcc, s0, v4
	v_ashrrev_i32_e32 v3, 31, v2
	v_addc_co_u32_e32 v37, vcc, v1, v5, vcc
	v_lshlrev_b64 v[4:5], 3, v[2:3]
	v_add_u32_e32 v2, s3, v2
	v_add_co_u32_e32 v38, vcc, s0, v4
	v_ashrrev_i32_e32 v3, 31, v2
	v_addc_co_u32_e32 v39, vcc, v1, v5, vcc
	v_lshlrev_b64 v[4:5], 3, v[2:3]
	v_add_u32_e32 v2, s3, v2
	v_add_co_u32_e32 v40, vcc, s0, v4
	v_ashrrev_i32_e32 v3, 31, v2
	v_addc_co_u32_e32 v41, vcc, v1, v5, vcc
	v_lshlrev_b64 v[12:13], 3, v[2:3]
	v_add_u32_e32 v2, s3, v2
	v_add_co_u32_e32 v42, vcc, s0, v12
	v_ashrrev_i32_e32 v3, 31, v2
	global_load_dwordx2 v[4:5], v[34:35], off
	global_load_dwordx2 v[6:7], v[36:37], off
	;; [unrolled: 1-line block ×4, first 2 shown]
	v_addc_co_u32_e32 v43, vcc, v1, v13, vcc
	v_lshlrev_b64 v[2:3], 3, v[2:3]
	v_add_co_u32_e32 v44, vcc, s0, v2
	global_load_dwordx2 v[12:13], v[42:43], off
	v_addc_co_u32_e32 v45, vcc, v1, v3, vcc
	global_load_dwordx2 v[2:3], v18, s[0:1]
	global_load_dwordx2 v[14:15], v[44:45], off
	v_mov_b32_e32 v1, 0
	s_bitcmp0_b32 s20, 0
	s_mov_b64 s[0:1], -1
	s_cbranch_scc1 .LBB6_14
; %bb.4:
	v_cmp_eq_u32_e64 s[0:1], 0, v0
	s_and_saveexec_b64 s[2:3], s[0:1]
	s_cbranch_execz .LBB6_6
; %bb.5:
	v_mov_b32_e32 v16, 0
	ds_write_b32 v16, v16 offset:56
.LBB6_6:
	s_or_b64 exec, exec, s[2:3]
	v_cmp_eq_u32_e32 vcc, 1, v0
	s_waitcnt vmcnt(1)
	v_cndmask_b32_e32 v16, v3, v5, vcc
	v_cmp_eq_u32_e64 s[2:3], 2, v0
	v_cndmask_b32_e64 v16, v16, v7, s[2:3]
	v_cmp_eq_u32_e64 s[4:5], 3, v0
	v_cndmask_b32_e64 v16, v16, v9, s[4:5]
	;; [unrolled: 2-line block ×4, first 2 shown]
	v_cmp_eq_u32_e64 s[12:13], 6, v0
	s_waitcnt vmcnt(0)
	v_cndmask_b32_e64 v17, v16, v15, s[12:13]
	v_cndmask_b32_e32 v16, v2, v4, vcc
	v_cndmask_b32_e64 v16, v16, v6, s[2:3]
	v_cndmask_b32_e64 v16, v16, v8, s[4:5]
	;; [unrolled: 1-line block ×5, first 2 shown]
	v_cmp_eq_f64_e32 vcc, 0, v[16:17]
	s_waitcnt lgkmcnt(0)
	; wave barrier
	s_waitcnt lgkmcnt(0)
	s_and_saveexec_b64 s[4:5], vcc
	s_cbranch_execz .LBB6_10
; %bb.7:
	v_mov_b32_e32 v19, 0
	ds_read_b32 v21, v19 offset:56
	v_add_u32_e32 v20, 1, v0
	s_waitcnt lgkmcnt(0)
	v_readfirstlane_b32 s2, v21
	s_cmp_eq_u32 s2, 0
	s_cselect_b64 s[8:9], -1, 0
	v_cmp_gt_i32_e32 vcc, s2, v20
	s_or_b64 s[8:9], s[8:9], vcc
	s_and_b64 exec, exec, s[8:9]
	s_cbranch_execz .LBB6_10
; %bb.8:
	s_mov_b64 s[8:9], 0
	v_mov_b32_e32 v21, s2
.LBB6_9:                                ; =>This Inner Loop Header: Depth=1
	ds_cmpst_rtn_b32 v21, v19, v21, v20 offset:56
	s_waitcnt lgkmcnt(0)
	v_cmp_ne_u32_e32 vcc, 0, v21
	v_cmp_le_i32_e64 s[2:3], v21, v20
	s_and_b64 s[2:3], vcc, s[2:3]
	s_and_b64 s[2:3], exec, s[2:3]
	s_or_b64 s[8:9], s[2:3], s[8:9]
	s_andn2_b64 exec, exec, s[8:9]
	s_cbranch_execnz .LBB6_9
.LBB6_10:
	s_or_b64 exec, exec, s[4:5]
	v_mov_b32_e32 v20, 0
	s_waitcnt lgkmcnt(0)
	; wave barrier
	ds_read_b32 v19, v20 offset:56
	s_and_saveexec_b64 s[2:3], s[0:1]
	s_cbranch_execz .LBB6_12
; %bb.11:
	s_lshl_b64 s[4:5], s[6:7], 2
	s_add_u32 s4, s14, s4
	s_addc_u32 s5, s15, s5
	s_waitcnt lgkmcnt(0)
	global_store_dword v20, v19, s[4:5]
.LBB6_12:
	s_or_b64 exec, exec, s[2:3]
	s_waitcnt lgkmcnt(0)
	v_cmp_ne_u32_e32 vcc, 0, v19
	s_cbranch_vccz .LBB6_17
; %bb.13:
	s_mov_b64 s[0:1], 0
                                        ; implicit-def: $vgpr2_vgpr3_vgpr4_vgpr5_vgpr6_vgpr7_vgpr8_vgpr9_vgpr10_vgpr11_vgpr12_vgpr13_vgpr14_vgpr15_vgpr16_vgpr17
.LBB6_14:
	s_and_b64 vcc, exec, s[0:1]
	s_cbranch_vccz .LBB6_16
.LBB6_15:
	s_lshl_b64 s[0:1], s[6:7], 2
	s_add_u32 s0, s14, s0
	s_addc_u32 s1, s15, s1
	v_mov_b32_e32 v1, 0
	global_load_dword v1, v1, s[0:1]
	s_waitcnt vmcnt(0)
	v_cmp_ne_u32_e32 vcc, 0, v1
	s_cbranch_vccz .LBB6_38
.LBB6_16:
	s_endpgm
.LBB6_17:
	v_div_scale_f64 v[20:21], s[2:3], v[16:17], v[16:17], 1.0
	v_rcp_f64_e32 v[22:23], v[20:21]
	v_div_scale_f64 v[24:25], vcc, 1.0, v[16:17], 1.0
	v_fma_f64 v[26:27], -v[20:21], v[22:23], 1.0
	v_fmac_f64_e32 v[22:23], v[22:23], v[26:27]
	v_fma_f64 v[26:27], -v[20:21], v[22:23], 1.0
	v_fmac_f64_e32 v[22:23], v[22:23], v[26:27]
	v_mul_f64 v[26:27], v[24:25], v[22:23]
	v_fma_f64 v[20:21], -v[20:21], v[26:27], v[24:25]
	v_div_fmas_f64 v[20:21], v[20:21], v[22:23], v[26:27]
	v_div_fixup_f64 v[16:17], v[20:21], v[16:17], 1.0
	v_cmp_eq_u32_e32 vcc, 6, v0
	v_cndmask_b32_e32 v15, v15, v17, vcc
	v_cndmask_b32_e32 v14, v14, v16, vcc
	v_cmp_eq_u32_e32 vcc, 5, v0
	v_cndmask_b32_e32 v13, v13, v17, vcc
	v_cndmask_b32_e32 v12, v12, v16, vcc
	v_cmp_eq_u32_e32 vcc, 4, v0
	v_cndmask_b32_e32 v11, v11, v17, vcc
	v_cndmask_b32_e32 v10, v10, v16, vcc
	v_cmp_eq_u32_e32 vcc, 3, v0
	v_cndmask_b32_e32 v9, v9, v17, vcc
	v_cndmask_b32_e32 v8, v8, v16, vcc
	v_cmp_eq_u32_e32 vcc, 2, v0
	v_cndmask_b32_e32 v7, v7, v17, vcc
	v_cndmask_b32_e32 v6, v6, v16, vcc
	v_cmp_eq_u32_e32 vcc, 1, v0
	v_cndmask_b32_e32 v5, v5, v17, vcc
	v_cndmask_b32_e32 v4, v4, v16, vcc
	v_cmp_eq_u32_e32 vcc, 0, v0
	v_cndmask_b32_e32 v3, v3, v17, vcc
	v_cndmask_b32_e32 v2, v2, v16, vcc
	v_xor_b32_e32 v23, 0x80000000, v17
	v_mov_b32_e32 v22, v16
	v_add_u32_e32 v20, 64, v18
	ds_write2_b64 v18, v[22:23], v[4:5] offset1:8
	s_waitcnt lgkmcnt(0)
	; wave barrier
	s_waitcnt lgkmcnt(0)
	s_and_saveexec_b64 s[2:3], s[0:1]
	s_cbranch_execz .LBB6_19
; %bb.18:
	v_mov_b32_e32 v18, 0
	ds_read_b64 v[4:5], v20
	ds_read_b64 v[18:19], v18 offset:8
	s_waitcnt lgkmcnt(1)
	v_fma_f64 v[4:5], v[16:17], v[4:5], 0
	s_waitcnt lgkmcnt(0)
	v_mul_f64 v[4:5], v[4:5], v[18:19]
.LBB6_19:
	s_or_b64 exec, exec, s[2:3]
	v_cmp_gt_u32_e32 vcc, 2, v0
	s_waitcnt lgkmcnt(0)
	; wave barrier
	ds_write_b64 v20, v[6:7]
	s_waitcnt lgkmcnt(0)
	; wave barrier
	s_waitcnt lgkmcnt(0)
	s_and_saveexec_b64 s[20:21], vcc
	s_cbranch_execz .LBB6_21
; %bb.20:
	v_cmp_eq_u32_e32 vcc, 1, v0
	v_cndmask_b32_e32 v16, v3, v5, vcc
	v_cmp_eq_u32_e64 s[2:3], 2, v0
	v_cndmask_b32_e64 v7, v16, v7, s[2:3]
	v_cndmask_b32_e32 v16, v2, v4, vcc
	v_cmp_eq_u32_e64 s[4:5], 3, v0
	v_cndmask_b32_e64 v6, v16, v6, s[2:3]
	ds_read_b64 v[22:23], v20
	v_mov_b32_e32 v16, 0
	v_cndmask_b32_e64 v7, v7, v9, s[4:5]
	v_cmp_eq_u32_e64 s[8:9], 4, v0
	v_cndmask_b32_e64 v6, v6, v8, s[4:5]
	ds_read2_b64 v[16:19], v16 offset0:2 offset1:9
	v_cndmask_b32_e64 v7, v7, v11, s[8:9]
	v_cmp_eq_u32_e64 s[10:11], 5, v0
	v_cndmask_b32_e64 v6, v6, v10, s[8:9]
	v_cndmask_b32_e64 v7, v7, v13, s[10:11]
	v_cmp_eq_u32_e64 s[12:13], 6, v0
	v_cndmask_b32_e64 v6, v6, v12, s[10:11]
	v_cndmask_b32_e64 v7, v7, v15, s[12:13]
	v_cndmask_b32_e64 v6, v6, v14, s[12:13]
	s_waitcnt lgkmcnt(1)
	v_fma_f64 v[6:7], v[6:7], v[22:23], 0
	s_waitcnt lgkmcnt(0)
	v_fma_f64 v[18:19], v[4:5], v[18:19], v[6:7]
	v_cndmask_b32_e64 v7, v7, v19, s[0:1]
	v_cndmask_b32_e64 v6, v6, v18, s[0:1]
	v_mul_f64 v[6:7], v[6:7], v[16:17]
.LBB6_21:
	s_or_b64 exec, exec, s[20:21]
	v_cmp_gt_u32_e32 vcc, 3, v0
	s_waitcnt lgkmcnt(0)
	; wave barrier
	ds_write_b64 v20, v[8:9]
	s_waitcnt lgkmcnt(0)
	; wave barrier
	s_waitcnt lgkmcnt(0)
	s_and_saveexec_b64 s[4:5], vcc
	s_cbranch_execz .LBB6_25
; %bb.22:
	v_lshl_add_u32 v21, v0, 3, 64
	s_mov_b64 s[8:9], 0
	v_pk_mov_b32 v[16:17], 0, 0
	v_pk_mov_b32 v[18:19], v[0:1], v[0:1] op_sel:[0,1]
.LBB6_23:                               ; =>This Inner Loop Header: Depth=1
	v_cmp_eq_u32_e32 vcc, 1, v18
	v_cndmask_b32_e32 v24, v3, v5, vcc
	v_cmp_eq_u32_e64 s[0:1], 2, v18
	v_cndmask_b32_e64 v24, v24, v7, s[0:1]
	v_cndmask_b32_e32 v25, v2, v4, vcc
	v_cmp_eq_u32_e32 vcc, 3, v18
	ds_read_b64 v[22:23], v21
	v_cndmask_b32_e32 v24, v24, v9, vcc
	v_cndmask_b32_e64 v25, v25, v6, s[0:1]
	v_cmp_eq_u32_e64 s[0:1], 4, v18
	v_cndmask_b32_e64 v24, v24, v11, s[0:1]
	v_cndmask_b32_e32 v25, v25, v8, vcc
	v_cmp_eq_u32_e32 vcc, 5, v18
	v_cndmask_b32_e32 v24, v24, v13, vcc
	v_cmp_eq_u32_e64 s[2:3], 6, v18
	v_cndmask_b32_e64 v26, v25, v10, s[0:1]
	v_add_co_u32_e64 v18, s[0:1], 1, v18
	v_cndmask_b32_e64 v25, v24, v15, s[2:3]
	v_cndmask_b32_e32 v24, v26, v12, vcc
	v_add_u32_e32 v26, -1, v18
	v_cndmask_b32_e64 v24, v24, v14, s[2:3]
	v_cmp_lt_u32_e32 vcc, 1, v26
	v_add_u32_e32 v21, 8, v21
	v_addc_co_u32_e64 v19, s[0:1], 0, v19, s[0:1]
	s_or_b64 s[8:9], vcc, s[8:9]
	s_waitcnt lgkmcnt(0)
	v_fmac_f64_e32 v[16:17], v[24:25], v[22:23]
	s_andn2_b64 exec, exec, s[8:9]
	s_cbranch_execnz .LBB6_23
; %bb.24:
	s_or_b64 exec, exec, s[8:9]
	v_mov_b32_e32 v8, 0
	ds_read_b64 v[8:9], v8 offset:24
	s_waitcnt lgkmcnt(0)
	v_mul_f64 v[8:9], v[16:17], v[8:9]
.LBB6_25:
	s_or_b64 exec, exec, s[4:5]
	v_cmp_gt_u32_e32 vcc, 4, v0
	s_waitcnt lgkmcnt(0)
	; wave barrier
	ds_write_b64 v20, v[10:11]
	s_waitcnt lgkmcnt(0)
	; wave barrier
	s_waitcnt lgkmcnt(0)
	s_and_saveexec_b64 s[4:5], vcc
	s_cbranch_execz .LBB6_29
; %bb.26:
	v_lshl_add_u32 v21, v0, 3, 64
	s_mov_b64 s[8:9], 0
	v_pk_mov_b32 v[16:17], 0, 0
	v_pk_mov_b32 v[18:19], v[0:1], v[0:1] op_sel:[0,1]
.LBB6_27:                               ; =>This Inner Loop Header: Depth=1
	v_cmp_eq_u32_e32 vcc, 1, v18
	v_cndmask_b32_e32 v24, v3, v5, vcc
	v_cmp_eq_u32_e64 s[0:1], 2, v18
	v_cndmask_b32_e64 v24, v24, v7, s[0:1]
	v_cndmask_b32_e32 v25, v2, v4, vcc
	v_cmp_eq_u32_e32 vcc, 3, v18
	ds_read_b64 v[22:23], v21
	v_cndmask_b32_e32 v24, v24, v9, vcc
	v_cndmask_b32_e64 v25, v25, v6, s[0:1]
	v_cmp_eq_u32_e64 s[0:1], 4, v18
	v_cndmask_b32_e64 v24, v24, v11, s[0:1]
	v_cndmask_b32_e32 v25, v25, v8, vcc
	v_cmp_eq_u32_e32 vcc, 5, v18
	v_cndmask_b32_e32 v24, v24, v13, vcc
	v_cmp_eq_u32_e64 s[2:3], 6, v18
	v_cndmask_b32_e64 v26, v25, v10, s[0:1]
	v_add_co_u32_e64 v18, s[0:1], 1, v18
	v_cndmask_b32_e64 v25, v24, v15, s[2:3]
	v_cndmask_b32_e32 v24, v26, v12, vcc
	v_add_u32_e32 v26, -1, v18
	v_cndmask_b32_e64 v24, v24, v14, s[2:3]
	v_cmp_lt_u32_e32 vcc, 2, v26
	v_add_u32_e32 v21, 8, v21
	v_addc_co_u32_e64 v19, s[0:1], 0, v19, s[0:1]
	s_or_b64 s[8:9], vcc, s[8:9]
	s_waitcnt lgkmcnt(0)
	v_fmac_f64_e32 v[16:17], v[24:25], v[22:23]
	s_andn2_b64 exec, exec, s[8:9]
	s_cbranch_execnz .LBB6_27
; %bb.28:
	s_or_b64 exec, exec, s[8:9]
	v_mov_b32_e32 v10, 0
	ds_read_b64 v[10:11], v10 offset:32
	s_waitcnt lgkmcnt(0)
	v_mul_f64 v[10:11], v[16:17], v[10:11]
.LBB6_29:
	;; [unrolled: 52-line block ×3, first 2 shown]
	s_or_b64 exec, exec, s[4:5]
	v_cmp_ne_u32_e32 vcc, 6, v0
	s_waitcnt lgkmcnt(0)
	; wave barrier
	ds_write_b64 v20, v[14:15]
	s_waitcnt lgkmcnt(0)
	; wave barrier
	s_waitcnt lgkmcnt(0)
	s_and_saveexec_b64 s[4:5], vcc
	s_cbranch_execz .LBB6_37
; %bb.34:
	v_lshl_add_u32 v20, v0, 3, 64
	s_mov_b64 s[8:9], 0
	v_pk_mov_b32 v[16:17], 0, 0
	v_pk_mov_b32 v[18:19], v[0:1], v[0:1] op_sel:[0,1]
.LBB6_35:                               ; =>This Inner Loop Header: Depth=1
	v_cmp_eq_u32_e32 vcc, 1, v18
	v_cndmask_b32_e32 v1, v3, v5, vcc
	v_cmp_eq_u32_e64 s[0:1], 2, v18
	v_cndmask_b32_e64 v1, v1, v7, s[0:1]
	v_cndmask_b32_e32 v21, v2, v4, vcc
	v_cmp_eq_u32_e32 vcc, 3, v18
	ds_read_b64 v[22:23], v20
	v_cndmask_b32_e32 v1, v1, v9, vcc
	v_cndmask_b32_e64 v21, v21, v6, s[0:1]
	v_cmp_eq_u32_e64 s[0:1], 4, v18
	v_cndmask_b32_e64 v1, v1, v11, s[0:1]
	v_cndmask_b32_e32 v21, v21, v8, vcc
	v_cmp_eq_u32_e32 vcc, 5, v18
	v_cndmask_b32_e32 v1, v1, v13, vcc
	v_cmp_eq_u32_e64 s[2:3], 6, v18
	v_cndmask_b32_e64 v21, v21, v10, s[0:1]
	v_add_co_u32_e64 v18, s[0:1], 1, v18
	v_cndmask_b32_e64 v25, v1, v15, s[2:3]
	v_cndmask_b32_e32 v1, v21, v12, vcc
	v_add_u32_e32 v21, -1, v18
	v_cndmask_b32_e64 v24, v1, v14, s[2:3]
	v_cmp_lt_u32_e32 vcc, 4, v21
	v_add_u32_e32 v20, 8, v20
	v_addc_co_u32_e64 v19, s[0:1], 0, v19, s[0:1]
	s_or_b64 s[8:9], vcc, s[8:9]
	s_waitcnt lgkmcnt(0)
	v_fmac_f64_e32 v[16:17], v[24:25], v[22:23]
	s_andn2_b64 exec, exec, s[8:9]
	s_cbranch_execnz .LBB6_35
; %bb.36:
	s_or_b64 exec, exec, s[8:9]
	v_mov_b32_e32 v1, 0
	ds_read_b64 v[14:15], v1 offset:48
	s_waitcnt lgkmcnt(0)
	v_mul_f64 v[14:15], v[16:17], v[14:15]
.LBB6_37:
	s_or_b64 exec, exec, s[4:5]
	s_waitcnt lgkmcnt(0)
	; wave barrier
	s_cbranch_execnz .LBB6_15
	s_branch .LBB6_16
.LBB6_38:
	v_lshl_add_u32 v1, v0, 3, 64
	v_cmp_eq_u32_e32 vcc, 6, v0
	s_and_saveexec_b64 s[0:1], vcc
	s_cbranch_execz .LBB6_40
; %bb.39:
	v_mov_b32_e32 v26, 0
	v_mov_b32_e32 v16, v2
	;; [unrolled: 1-line block ×14, first 2 shown]
	ds_write_b64 v1, v[12:13]
	v_pk_mov_b32 v[2:3], v[16:17], v[16:17] op_sel:[0,1]
	v_pk_mov_b32 v[4:5], v[18:19], v[18:19] op_sel:[0,1]
	v_pk_mov_b32 v[6:7], v[20:21], v[20:21] op_sel:[0,1]
	v_pk_mov_b32 v[8:9], v[22:23], v[22:23] op_sel:[0,1]
	v_pk_mov_b32 v[10:11], v[24:25], v[24:25] op_sel:[0,1]
	v_pk_mov_b32 v[12:13], v[26:27], v[26:27] op_sel:[0,1]
	v_pk_mov_b32 v[14:15], v[28:29], v[28:29] op_sel:[0,1]
	v_pk_mov_b32 v[16:17], v[30:31], v[30:31] op_sel:[0,1]
.LBB6_40:
	s_or_b64 exec, exec, s[0:1]
	v_mov_b32_e32 v24, 0
	s_waitcnt lgkmcnt(0)
	; wave barrier
	s_waitcnt lgkmcnt(0)
	ds_read_b64 v[16:17], v24 offset:112
	v_cmp_lt_u32_e32 vcc, 4, v0
	s_waitcnt lgkmcnt(0)
	v_fma_f64 v[16:17], v[14:15], v[16:17], 0
	v_add_f64 v[12:13], v[12:13], -v[16:17]
	s_and_saveexec_b64 s[0:1], vcc
	s_cbranch_execz .LBB6_42
; %bb.41:
	v_mov_b32_e32 v16, v2
	v_mov_b32_e32 v17, v3
	;; [unrolled: 1-line block ×13, first 2 shown]
	ds_write_b64 v1, v[10:11]
	v_pk_mov_b32 v[2:3], v[16:17], v[16:17] op_sel:[0,1]
	v_pk_mov_b32 v[4:5], v[18:19], v[18:19] op_sel:[0,1]
	;; [unrolled: 1-line block ×8, first 2 shown]
.LBB6_42:
	s_or_b64 exec, exec, s[0:1]
	s_waitcnt lgkmcnt(0)
	; wave barrier
	s_waitcnt lgkmcnt(0)
	ds_read2_b64 v[16:19], v24 offset0:13 offset1:14
	v_cmp_lt_u32_e32 vcc, 3, v0
	s_waitcnt lgkmcnt(0)
	v_fma_f64 v[16:17], v[12:13], v[16:17], 0
	v_fmac_f64_e32 v[16:17], v[14:15], v[18:19]
	v_add_f64 v[10:11], v[10:11], -v[16:17]
	s_and_saveexec_b64 s[0:1], vcc
	s_cbranch_execz .LBB6_44
; %bb.43:
	v_mov_b32_e32 v22, 0
	v_mov_b32_e32 v16, v2
	;; [unrolled: 1-line block ×14, first 2 shown]
	ds_write_b64 v1, v[8:9]
	v_pk_mov_b32 v[2:3], v[16:17], v[16:17] op_sel:[0,1]
	v_pk_mov_b32 v[4:5], v[18:19], v[18:19] op_sel:[0,1]
	;; [unrolled: 1-line block ×8, first 2 shown]
.LBB6_44:
	s_or_b64 exec, exec, s[0:1]
	v_mov_b32_e32 v20, 0
	s_waitcnt lgkmcnt(0)
	; wave barrier
	s_waitcnt lgkmcnt(0)
	ds_read_b128 v[16:19], v20 offset:96
	ds_read_b64 v[22:23], v20 offset:112
	v_cmp_lt_u32_e32 vcc, 2, v0
	s_waitcnt lgkmcnt(1)
	v_fma_f64 v[16:17], v[10:11], v[16:17], 0
	v_fmac_f64_e32 v[16:17], v[12:13], v[18:19]
	s_waitcnt lgkmcnt(0)
	v_fmac_f64_e32 v[16:17], v[14:15], v[22:23]
	v_add_f64 v[8:9], v[8:9], -v[16:17]
	s_and_saveexec_b64 s[0:1], vcc
	s_cbranch_execz .LBB6_46
; %bb.45:
	v_mov_b32_e32 v16, v2
	v_mov_b32_e32 v17, v3
	;; [unrolled: 1-line block ×13, first 2 shown]
	ds_write_b64 v1, v[6:7]
	v_pk_mov_b32 v[2:3], v[16:17], v[16:17] op_sel:[0,1]
	v_pk_mov_b32 v[4:5], v[18:19], v[18:19] op_sel:[0,1]
	;; [unrolled: 1-line block ×8, first 2 shown]
.LBB6_46:
	s_or_b64 exec, exec, s[0:1]
	s_waitcnt lgkmcnt(0)
	; wave barrier
	s_waitcnt lgkmcnt(0)
	ds_read2_b64 v[16:19], v20 offset0:11 offset1:12
	ds_read2_b64 v[20:23], v20 offset0:13 offset1:14
	v_cmp_lt_u32_e32 vcc, 1, v0
	s_waitcnt lgkmcnt(1)
	v_fma_f64 v[16:17], v[8:9], v[16:17], 0
	v_fmac_f64_e32 v[16:17], v[10:11], v[18:19]
	s_waitcnt lgkmcnt(0)
	v_fmac_f64_e32 v[16:17], v[12:13], v[20:21]
	v_fmac_f64_e32 v[16:17], v[14:15], v[22:23]
	v_add_f64 v[6:7], v[6:7], -v[16:17]
	s_and_saveexec_b64 s[0:1], vcc
	s_cbranch_execz .LBB6_48
; %bb.47:
	v_mov_b32_e32 v18, 0
	v_mov_b32_e32 v16, v2
	;; [unrolled: 1-line block ×14, first 2 shown]
	ds_write_b64 v1, v[4:5]
	v_pk_mov_b32 v[2:3], v[16:17], v[16:17] op_sel:[0,1]
	v_pk_mov_b32 v[4:5], v[18:19], v[18:19] op_sel:[0,1]
	;; [unrolled: 1-line block ×8, first 2 shown]
.LBB6_48:
	s_or_b64 exec, exec, s[0:1]
	v_mov_b32_e32 v18, 0
	s_waitcnt lgkmcnt(0)
	; wave barrier
	s_waitcnt lgkmcnt(0)
	ds_read_b128 v[20:23], v18 offset:80
	ds_read_b128 v[24:27], v18 offset:96
	ds_read_b64 v[16:17], v18 offset:112
	v_cmp_ne_u32_e32 vcc, 0, v0
	s_waitcnt lgkmcnt(2)
	v_fma_f64 v[20:21], v[6:7], v[20:21], 0
	v_fmac_f64_e32 v[20:21], v[8:9], v[22:23]
	s_waitcnt lgkmcnt(1)
	v_fmac_f64_e32 v[20:21], v[10:11], v[24:25]
	v_fmac_f64_e32 v[20:21], v[12:13], v[26:27]
	s_waitcnt lgkmcnt(0)
	v_fmac_f64_e32 v[20:21], v[14:15], v[16:17]
	v_add_f64 v[4:5], v[4:5], -v[20:21]
	s_and_saveexec_b64 s[0:1], vcc
	s_cbranch_execz .LBB6_50
; %bb.49:
	v_mov_b32_e32 v19, v18
	v_mov_b32_e32 v20, v4
	v_mov_b32_e32 v21, v5
	v_mov_b32_e32 v22, v6
	v_mov_b32_e32 v23, v7
	v_mov_b32_e32 v24, v8
	v_mov_b32_e32 v25, v9
	v_mov_b32_e32 v26, v10
	v_mov_b32_e32 v27, v11
	v_mov_b32_e32 v28, v12
	v_mov_b32_e32 v29, v13
	v_mov_b32_e32 v30, v14
	v_mov_b32_e32 v31, v15
	ds_write_b64 v1, v[2:3]
	v_pk_mov_b32 v[2:3], v[18:19], v[18:19] op_sel:[0,1]
	v_pk_mov_b32 v[4:5], v[20:21], v[20:21] op_sel:[0,1]
	;; [unrolled: 1-line block ×8, first 2 shown]
.LBB6_50:
	s_or_b64 exec, exec, s[0:1]
	s_waitcnt lgkmcnt(0)
	; wave barrier
	s_waitcnt lgkmcnt(0)
	ds_read2_b64 v[20:23], v18 offset0:9 offset1:10
	ds_read2_b64 v[24:27], v18 offset0:11 offset1:12
	;; [unrolled: 1-line block ×3, first 2 shown]
	s_and_b64 vcc, exec, s[18:19]
	s_waitcnt lgkmcnt(2)
	v_fma_f64 v[0:1], v[4:5], v[20:21], 0
	v_fmac_f64_e32 v[0:1], v[6:7], v[22:23]
	s_waitcnt lgkmcnt(1)
	v_fmac_f64_e32 v[0:1], v[8:9], v[24:25]
	v_fmac_f64_e32 v[0:1], v[10:11], v[26:27]
	s_waitcnt lgkmcnt(0)
	v_fmac_f64_e32 v[0:1], v[12:13], v[16:17]
	v_fmac_f64_e32 v[0:1], v[14:15], v[18:19]
	v_add_f64 v[2:3], v[2:3], -v[0:1]
	s_cbranch_vccz .LBB6_64
; %bb.51:
	v_pk_mov_b32 v[0:1], s[16:17], s[16:17] op_sel:[0,1]
	flat_load_dword v0, v[0:1] offset:20
	s_waitcnt vmcnt(0) lgkmcnt(0)
	v_add_u32_e32 v0, -1, v0
	v_cmp_ne_u32_e32 vcc, 5, v0
	s_and_saveexec_b64 s[10:11], vcc
	s_cbranch_execz .LBB6_53
; %bb.52:
	v_cmp_eq_u32_e32 vcc, 1, v0
	v_cndmask_b32_e32 v1, v2, v4, vcc
	v_cmp_eq_u32_e64 s[0:1], 2, v0
	v_cndmask_b32_e32 v16, v3, v5, vcc
	v_cndmask_b32_e64 v1, v1, v6, s[0:1]
	v_cmp_eq_u32_e64 s[2:3], 3, v0
	v_cndmask_b32_e64 v16, v16, v7, s[0:1]
	v_cndmask_b32_e64 v1, v1, v8, s[2:3]
	v_cmp_eq_u32_e64 s[4:5], 4, v0
	v_cndmask_b32_e64 v16, v16, v9, s[2:3]
	v_cndmask_b32_e64 v1, v1, v10, s[4:5]
	v_cmp_eq_u32_e64 s[6:7], 5, v0
	v_cndmask_b32_e64 v16, v16, v11, s[4:5]
	v_cndmask_b32_e64 v1, v1, v12, s[6:7]
	v_cmp_eq_u32_e64 s[8:9], 6, v0
	v_cndmask_b32_e64 v16, v16, v13, s[6:7]
	v_cndmask_b32_e64 v1, v1, v14, s[8:9]
	v_cndmask_b32_e64 v16, v16, v15, s[8:9]
	v_cndmask_b32_e64 v25, v15, v13, s[8:9]
	v_cndmask_b32_e64 v24, v14, v12, s[8:9]
	v_cndmask_b32_e32 v15, v5, v13, vcc
	v_cndmask_b32_e32 v14, v4, v12, vcc
	v_cmp_eq_u32_e32 vcc, 0, v0
	v_cndmask_b32_e64 v23, v16, v13, s[6:7]
	v_cndmask_b32_e64 v22, v1, v12, s[6:7]
	v_cndmask_b32_e64 v21, v11, v13, s[4:5]
	v_cndmask_b32_e64 v20, v10, v12, s[4:5]
	v_cndmask_b32_e64 v19, v9, v13, s[2:3]
	v_cndmask_b32_e64 v18, v8, v12, s[2:3]
	v_cndmask_b32_e64 v17, v7, v13, s[0:1]
	v_cndmask_b32_e64 v16, v6, v12, s[0:1]
	v_cndmask_b32_e32 v13, v3, v13, vcc
	v_cndmask_b32_e32 v12, v2, v12, vcc
	v_pk_mov_b32 v[2:3], v[12:13], v[12:13] op_sel:[0,1]
	v_pk_mov_b32 v[4:5], v[14:15], v[14:15] op_sel:[0,1]
	v_pk_mov_b32 v[6:7], v[16:17], v[16:17] op_sel:[0,1]
	v_pk_mov_b32 v[8:9], v[18:19], v[18:19] op_sel:[0,1]
	v_pk_mov_b32 v[10:11], v[20:21], v[20:21] op_sel:[0,1]
	v_pk_mov_b32 v[12:13], v[22:23], v[22:23] op_sel:[0,1]
	v_pk_mov_b32 v[14:15], v[24:25], v[24:25] op_sel:[0,1]
	v_pk_mov_b32 v[16:17], v[26:27], v[26:27] op_sel:[0,1]
.LBB6_53:
	s_or_b64 exec, exec, s[10:11]
	v_pk_mov_b32 v[0:1], s[16:17], s[16:17] op_sel:[0,1]
	flat_load_dword v0, v[0:1] offset:16
	s_waitcnt vmcnt(0) lgkmcnt(0)
	v_add_u32_e32 v0, -1, v0
	v_cmp_ne_u32_e32 vcc, 4, v0
	s_and_saveexec_b64 s[10:11], vcc
	s_cbranch_execz .LBB6_55
; %bb.54:
	v_cmp_eq_u32_e32 vcc, 1, v0
	v_cndmask_b32_e32 v1, v2, v4, vcc
	v_cmp_eq_u32_e64 s[0:1], 2, v0
	v_cndmask_b32_e32 v16, v3, v5, vcc
	v_cndmask_b32_e64 v1, v1, v6, s[0:1]
	v_cmp_eq_u32_e64 s[2:3], 3, v0
	v_cndmask_b32_e64 v16, v16, v7, s[0:1]
	v_cndmask_b32_e64 v1, v1, v8, s[2:3]
	v_cmp_eq_u32_e64 s[4:5], 4, v0
	v_cndmask_b32_e64 v16, v16, v9, s[2:3]
	v_cndmask_b32_e64 v1, v1, v10, s[4:5]
	v_cmp_eq_u32_e64 s[6:7], 5, v0
	v_cndmask_b32_e64 v16, v16, v11, s[4:5]
	v_cndmask_b32_e64 v1, v1, v12, s[6:7]
	v_cmp_eq_u32_e64 s[8:9], 6, v0
	v_cndmask_b32_e64 v16, v16, v13, s[6:7]
	v_cndmask_b32_e64 v1, v1, v14, s[8:9]
	v_cndmask_b32_e64 v16, v16, v15, s[8:9]
	v_cndmask_b32_e64 v21, v13, v11, s[6:7]
	v_cndmask_b32_e64 v20, v12, v10, s[6:7]
	v_cndmask_b32_e32 v13, v5, v11, vcc
	v_cndmask_b32_e32 v12, v4, v10, vcc
	v_cmp_eq_u32_e32 vcc, 0, v0
	v_cndmask_b32_e64 v19, v16, v11, s[4:5]
	v_cndmask_b32_e64 v18, v1, v10, s[4:5]
	v_cndmask_b32_e64 v23, v15, v11, s[8:9]
	v_cndmask_b32_e64 v22, v14, v10, s[8:9]
	v_cndmask_b32_e64 v17, v9, v11, s[2:3]
	v_cndmask_b32_e64 v16, v8, v10, s[2:3]
	v_cndmask_b32_e64 v15, v7, v11, s[0:1]
	v_cndmask_b32_e64 v14, v6, v10, s[0:1]
	v_cndmask_b32_e32 v11, v3, v11, vcc
	v_cndmask_b32_e32 v10, v2, v10, vcc
	v_pk_mov_b32 v[2:3], v[10:11], v[10:11] op_sel:[0,1]
	v_pk_mov_b32 v[4:5], v[12:13], v[12:13] op_sel:[0,1]
	v_pk_mov_b32 v[6:7], v[14:15], v[14:15] op_sel:[0,1]
	v_pk_mov_b32 v[8:9], v[16:17], v[16:17] op_sel:[0,1]
	v_pk_mov_b32 v[10:11], v[18:19], v[18:19] op_sel:[0,1]
	v_pk_mov_b32 v[12:13], v[20:21], v[20:21] op_sel:[0,1]
	v_pk_mov_b32 v[14:15], v[22:23], v[22:23] op_sel:[0,1]
	v_pk_mov_b32 v[16:17], v[24:25], v[24:25] op_sel:[0,1]
.LBB6_55:
	s_or_b64 exec, exec, s[10:11]
	;; [unrolled: 51-line block ×3, first 2 shown]
	v_pk_mov_b32 v[0:1], s[16:17], s[16:17] op_sel:[0,1]
	flat_load_dword v0, v[0:1] offset:8
	s_waitcnt vmcnt(0) lgkmcnt(0)
	v_add_u32_e32 v0, -1, v0
	v_cmp_ne_u32_e32 vcc, 2, v0
	s_and_saveexec_b64 s[10:11], vcc
	s_cbranch_execz .LBB6_59
; %bb.58:
	v_cmp_eq_u32_e32 vcc, 1, v0
	v_cndmask_b32_e32 v1, v2, v4, vcc
	v_cmp_eq_u32_e64 s[0:1], 2, v0
	v_cndmask_b32_e32 v16, v3, v5, vcc
	v_cndmask_b32_e64 v1, v1, v6, s[0:1]
	v_cmp_eq_u32_e64 s[2:3], 3, v0
	v_cndmask_b32_e64 v16, v16, v7, s[0:1]
	v_cndmask_b32_e64 v1, v1, v8, s[2:3]
	v_cmp_eq_u32_e64 s[4:5], 4, v0
	v_cndmask_b32_e64 v16, v16, v9, s[2:3]
	;; [unrolled: 3-line block ×4, first 2 shown]
	v_cndmask_b32_e64 v1, v1, v14, s[8:9]
	v_cndmask_b32_e64 v16, v16, v15, s[8:9]
	;; [unrolled: 1-line block ×4, first 2 shown]
	v_cndmask_b32_e32 v15, v5, v7, vcc
	v_cndmask_b32_e32 v14, v4, v6, vcc
	v_cmp_eq_u32_e32 vcc, 0, v0
	v_cndmask_b32_e64 v17, v16, v7, s[0:1]
	v_cndmask_b32_e64 v16, v1, v6, s[0:1]
	v_cndmask_b32_e64 v23, v13, v7, s[6:7]
	v_cndmask_b32_e64 v22, v12, v6, s[6:7]
	v_cndmask_b32_e32 v13, v3, v7, vcc
	v_cndmask_b32_e32 v12, v2, v6, vcc
	v_cndmask_b32_e64 v21, v11, v7, s[4:5]
	v_cndmask_b32_e64 v20, v10, v6, s[4:5]
	;; [unrolled: 1-line block ×4, first 2 shown]
	v_pk_mov_b32 v[2:3], v[12:13], v[12:13] op_sel:[0,1]
	v_pk_mov_b32 v[4:5], v[14:15], v[14:15] op_sel:[0,1]
	;; [unrolled: 1-line block ×8, first 2 shown]
.LBB6_59:
	s_or_b64 exec, exec, s[10:11]
	v_pk_mov_b32 v[0:1], s[16:17], s[16:17] op_sel:[0,1]
	flat_load_dword v0, v[0:1] offset:4
	s_waitcnt vmcnt(0) lgkmcnt(0)
	v_add_u32_e32 v0, -1, v0
	v_cmp_ne_u32_e32 vcc, 1, v0
	s_and_saveexec_b64 s[10:11], vcc
	s_cbranch_execz .LBB6_61
; %bb.60:
	v_cmp_eq_u32_e32 vcc, 1, v0
	v_cndmask_b32_e32 v1, v2, v4, vcc
	v_cmp_eq_u32_e64 s[0:1], 2, v0
	v_cndmask_b32_e32 v16, v3, v5, vcc
	v_cndmask_b32_e64 v1, v1, v6, s[0:1]
	v_cmp_eq_u32_e64 s[2:3], 3, v0
	v_cndmask_b32_e64 v16, v16, v7, s[0:1]
	v_cndmask_b32_e64 v1, v1, v8, s[2:3]
	v_cmp_eq_u32_e64 s[4:5], 4, v0
	v_cndmask_b32_e64 v16, v16, v9, s[2:3]
	;; [unrolled: 3-line block ×4, first 2 shown]
	v_cndmask_b32_e64 v1, v1, v14, s[8:9]
	v_cndmask_b32_e64 v16, v16, v15, s[8:9]
	v_cndmask_b32_e32 v17, v16, v5, vcc
	v_cndmask_b32_e32 v16, v1, v4, vcc
	v_cmp_eq_u32_e32 vcc, 0, v0
	v_cndmask_b32_e64 v27, v15, v5, s[8:9]
	v_cndmask_b32_e64 v26, v14, v4, s[8:9]
	v_cndmask_b32_e32 v15, v3, v5, vcc
	v_cndmask_b32_e32 v14, v2, v4, vcc
	v_cndmask_b32_e64 v25, v13, v5, s[6:7]
	v_cndmask_b32_e64 v24, v12, v4, s[6:7]
	;; [unrolled: 1-line block ×8, first 2 shown]
	v_pk_mov_b32 v[2:3], v[14:15], v[14:15] op_sel:[0,1]
	v_pk_mov_b32 v[4:5], v[16:17], v[16:17] op_sel:[0,1]
	;; [unrolled: 1-line block ×8, first 2 shown]
.LBB6_61:
	s_or_b64 exec, exec, s[10:11]
	v_pk_mov_b32 v[0:1], s[16:17], s[16:17] op_sel:[0,1]
	flat_load_dword v0, v[0:1]
	s_waitcnt vmcnt(0) lgkmcnt(0)
	v_add_u32_e32 v0, -1, v0
	v_cmp_ne_u32_e32 vcc, 0, v0
	s_and_saveexec_b64 s[12:13], vcc
	s_cbranch_execz .LBB6_63
; %bb.62:
	v_cmp_eq_u32_e32 vcc, 1, v0
	v_cndmask_b32_e32 v1, v2, v4, vcc
	v_cmp_eq_u32_e64 s[0:1], 2, v0
	v_cndmask_b32_e32 v16, v3, v5, vcc
	v_cndmask_b32_e64 v1, v1, v6, s[0:1]
	v_cmp_eq_u32_e64 s[2:3], 3, v0
	v_cndmask_b32_e64 v16, v16, v7, s[0:1]
	v_cndmask_b32_e64 v1, v1, v8, s[2:3]
	v_cmp_eq_u32_e64 s[4:5], 4, v0
	v_cndmask_b32_e64 v16, v16, v9, s[2:3]
	;; [unrolled: 3-line block ×4, first 2 shown]
	v_cndmask_b32_e64 v1, v1, v14, s[8:9]
	v_cndmask_b32_e64 v16, v16, v15, s[8:9]
	v_cmp_eq_u32_e64 s[10:11], 0, v0
	v_cndmask_b32_e64 v17, v16, v3, s[10:11]
	v_cndmask_b32_e64 v16, v1, v2, s[10:11]
	;; [unrolled: 1-line block ×12, first 2 shown]
	v_cndmask_b32_e32 v19, v5, v3, vcc
	v_cndmask_b32_e32 v18, v4, v2, vcc
	v_pk_mov_b32 v[2:3], v[16:17], v[16:17] op_sel:[0,1]
	v_pk_mov_b32 v[4:5], v[18:19], v[18:19] op_sel:[0,1]
	;; [unrolled: 1-line block ×8, first 2 shown]
.LBB6_63:
	s_or_b64 exec, exec, s[12:13]
.LBB6_64:
	global_store_dwordx2 v[32:33], v[2:3], off
	global_store_dwordx2 v[34:35], v[4:5], off
	;; [unrolled: 1-line block ×7, first 2 shown]
	s_endpgm
	.section	.rodata,"a",@progbits
	.p2align	6, 0x0
	.amdhsa_kernel _ZN9rocsolver6v33100L18getri_kernel_smallILi7EdPdEEvT1_iilPiilS4_bb
		.amdhsa_group_segment_fixed_size 120
		.amdhsa_private_segment_fixed_size 0
		.amdhsa_kernarg_size 60
		.amdhsa_user_sgpr_count 6
		.amdhsa_user_sgpr_private_segment_buffer 1
		.amdhsa_user_sgpr_dispatch_ptr 0
		.amdhsa_user_sgpr_queue_ptr 0
		.amdhsa_user_sgpr_kernarg_segment_ptr 1
		.amdhsa_user_sgpr_dispatch_id 0
		.amdhsa_user_sgpr_flat_scratch_init 0
		.amdhsa_user_sgpr_kernarg_preload_length 0
		.amdhsa_user_sgpr_kernarg_preload_offset 0
		.amdhsa_user_sgpr_private_segment_size 0
		.amdhsa_uses_dynamic_stack 0
		.amdhsa_system_sgpr_private_segment_wavefront_offset 0
		.amdhsa_system_sgpr_workgroup_id_x 1
		.amdhsa_system_sgpr_workgroup_id_y 0
		.amdhsa_system_sgpr_workgroup_id_z 0
		.amdhsa_system_sgpr_workgroup_info 0
		.amdhsa_system_vgpr_workitem_id 0
		.amdhsa_next_free_vgpr 46
		.amdhsa_next_free_sgpr 22
		.amdhsa_accum_offset 48
		.amdhsa_reserve_vcc 1
		.amdhsa_reserve_flat_scratch 0
		.amdhsa_float_round_mode_32 0
		.amdhsa_float_round_mode_16_64 0
		.amdhsa_float_denorm_mode_32 3
		.amdhsa_float_denorm_mode_16_64 3
		.amdhsa_dx10_clamp 1
		.amdhsa_ieee_mode 1
		.amdhsa_fp16_overflow 0
		.amdhsa_tg_split 0
		.amdhsa_exception_fp_ieee_invalid_op 0
		.amdhsa_exception_fp_denorm_src 0
		.amdhsa_exception_fp_ieee_div_zero 0
		.amdhsa_exception_fp_ieee_overflow 0
		.amdhsa_exception_fp_ieee_underflow 0
		.amdhsa_exception_fp_ieee_inexact 0
		.amdhsa_exception_int_div_zero 0
	.end_amdhsa_kernel
	.section	.text._ZN9rocsolver6v33100L18getri_kernel_smallILi7EdPdEEvT1_iilPiilS4_bb,"axG",@progbits,_ZN9rocsolver6v33100L18getri_kernel_smallILi7EdPdEEvT1_iilPiilS4_bb,comdat
.Lfunc_end6:
	.size	_ZN9rocsolver6v33100L18getri_kernel_smallILi7EdPdEEvT1_iilPiilS4_bb, .Lfunc_end6-_ZN9rocsolver6v33100L18getri_kernel_smallILi7EdPdEEvT1_iilPiilS4_bb
                                        ; -- End function
	.section	.AMDGPU.csdata,"",@progbits
; Kernel info:
; codeLenInByte = 5688
; NumSgprs: 26
; NumVgprs: 46
; NumAgprs: 0
; TotalNumVgprs: 46
; ScratchSize: 0
; MemoryBound: 0
; FloatMode: 240
; IeeeMode: 1
; LDSByteSize: 120 bytes/workgroup (compile time only)
; SGPRBlocks: 3
; VGPRBlocks: 5
; NumSGPRsForWavesPerEU: 26
; NumVGPRsForWavesPerEU: 46
; AccumOffset: 48
; Occupancy: 8
; WaveLimiterHint : 0
; COMPUTE_PGM_RSRC2:SCRATCH_EN: 0
; COMPUTE_PGM_RSRC2:USER_SGPR: 6
; COMPUTE_PGM_RSRC2:TRAP_HANDLER: 0
; COMPUTE_PGM_RSRC2:TGID_X_EN: 1
; COMPUTE_PGM_RSRC2:TGID_Y_EN: 0
; COMPUTE_PGM_RSRC2:TGID_Z_EN: 0
; COMPUTE_PGM_RSRC2:TIDIG_COMP_CNT: 0
; COMPUTE_PGM_RSRC3_GFX90A:ACCUM_OFFSET: 11
; COMPUTE_PGM_RSRC3_GFX90A:TG_SPLIT: 0
	.section	.text._ZN9rocsolver6v33100L18getri_kernel_smallILi8EdPdEEvT1_iilPiilS4_bb,"axG",@progbits,_ZN9rocsolver6v33100L18getri_kernel_smallILi8EdPdEEvT1_iilPiilS4_bb,comdat
	.globl	_ZN9rocsolver6v33100L18getri_kernel_smallILi8EdPdEEvT1_iilPiilS4_bb ; -- Begin function _ZN9rocsolver6v33100L18getri_kernel_smallILi8EdPdEEvT1_iilPiilS4_bb
	.p2align	8
	.type	_ZN9rocsolver6v33100L18getri_kernel_smallILi8EdPdEEvT1_iilPiilS4_bb,@function
_ZN9rocsolver6v33100L18getri_kernel_smallILi8EdPdEEvT1_iilPiilS4_bb: ; @_ZN9rocsolver6v33100L18getri_kernel_smallILi8EdPdEEvT1_iilPiilS4_bb
; %bb.0:
	v_cmp_gt_u32_e32 vcc, 8, v0
	s_and_saveexec_b64 s[0:1], vcc
	s_cbranch_execz .LBB7_16
; %bb.1:
	s_load_dword s12, s[4:5], 0x38
	s_load_dwordx4 s[8:11], s[4:5], 0x10
	s_load_dwordx4 s[16:19], s[4:5], 0x28
                                        ; implicit-def: $sgpr20_sgpr21
	s_waitcnt lgkmcnt(0)
	s_bitcmp1_b32 s12, 8
	s_cselect_b64 s[22:23], -1, 0
	s_ashr_i32 s7, s6, 31
	s_bfe_u32 s0, s12, 0x10008
	s_cmp_eq_u32 s0, 0
	s_cbranch_scc1 .LBB7_3
; %bb.2:
	s_load_dword s0, s[4:5], 0x20
	s_mul_i32 s1, s6, s17
	s_mul_hi_u32 s2, s6, s16
	s_mul_i32 s3, s7, s16
	s_add_i32 s2, s2, s1
	s_add_i32 s3, s2, s3
	s_mul_i32 s2, s6, s16
	s_waitcnt lgkmcnt(0)
	s_ashr_i32 s1, s0, 31
	s_lshl_b64 s[2:3], s[2:3], 2
	s_add_u32 s2, s10, s2
	s_addc_u32 s3, s11, s3
	s_lshl_b64 s[0:1], s[0:1], 2
	s_add_u32 s20, s2, s0
	s_addc_u32 s21, s3, s1
.LBB7_3:
	s_load_dwordx4 s[0:3], s[4:5], 0x0
	s_mul_i32 s4, s6, s9
	s_mul_hi_u32 s5, s6, s8
	s_add_i32 s9, s5, s4
	v_lshlrev_b32_e32 v20, 3, v0
	s_waitcnt lgkmcnt(0)
	s_ashr_i32 s5, s2, 31
	s_mov_b32 s4, s2
	s_mul_i32 s2, s7, s8
	s_add_i32 s9, s9, s2
	s_mul_i32 s8, s6, s8
	s_lshl_b64 s[8:9], s[8:9], 3
	s_add_u32 s2, s0, s8
	s_addc_u32 s8, s1, s9
	s_lshl_b64 s[0:1], s[4:5], 3
	s_add_u32 s0, s2, s0
	s_addc_u32 s1, s8, s1
	v_mov_b32_e32 v1, s1
	v_add_co_u32_e32 v34, vcc, s0, v20
	s_ashr_i32 s5, s3, 31
	s_mov_b32 s4, s3
	s_add_i32 s2, s3, s3
	v_addc_co_u32_e32 v35, vcc, 0, v1, vcc
	s_lshl_b64 s[4:5], s[4:5], 3
	v_add_u32_e32 v2, s2, v0
	v_mov_b32_e32 v1, s5
	v_add_co_u32_e32 v36, vcc, s4, v34
	v_ashrrev_i32_e32 v3, 31, v2
	v_addc_co_u32_e32 v37, vcc, v35, v1, vcc
	v_lshlrev_b64 v[4:5], 3, v[2:3]
	v_add_u32_e32 v2, s3, v2
	v_mov_b32_e32 v1, s1
	v_add_co_u32_e32 v38, vcc, s0, v4
	v_ashrrev_i32_e32 v3, 31, v2
	v_addc_co_u32_e32 v39, vcc, v1, v5, vcc
	v_lshlrev_b64 v[4:5], 3, v[2:3]
	v_add_u32_e32 v2, s3, v2
	v_add_co_u32_e32 v40, vcc, s0, v4
	v_ashrrev_i32_e32 v3, 31, v2
	v_addc_co_u32_e32 v41, vcc, v1, v5, vcc
	v_lshlrev_b64 v[4:5], 3, v[2:3]
	v_add_u32_e32 v2, s3, v2
	;; [unrolled: 5-line block ×4, first 2 shown]
	v_add_co_u32_e32 v46, vcc, s0, v12
	v_ashrrev_i32_e32 v3, 31, v2
	global_load_dwordx2 v[4:5], v[36:37], off
	global_load_dwordx2 v[6:7], v[38:39], off
	;; [unrolled: 1-line block ×4, first 2 shown]
	v_addc_co_u32_e32 v47, vcc, v1, v13, vcc
	v_lshlrev_b64 v[2:3], 3, v[2:3]
	v_add_co_u32_e32 v48, vcc, s0, v2
	global_load_dwordx2 v[12:13], v[44:45], off
	global_load_dwordx2 v[14:15], v[46:47], off
	v_addc_co_u32_e32 v49, vcc, v1, v3, vcc
	global_load_dwordx2 v[2:3], v20, s[0:1]
	global_load_dwordx2 v[16:17], v[48:49], off
	v_mov_b32_e32 v1, 0
	s_bitcmp0_b32 s12, 0
	s_mov_b64 s[0:1], -1
	s_cbranch_scc1 .LBB7_14
; %bb.4:
	v_cmp_eq_u32_e64 s[0:1], 0, v0
	s_and_saveexec_b64 s[2:3], s[0:1]
	s_cbranch_execz .LBB7_6
; %bb.5:
	v_mov_b32_e32 v18, 0
	ds_write_b32 v18, v18 offset:128
.LBB7_6:
	s_or_b64 exec, exec, s[2:3]
	v_cmp_eq_u32_e32 vcc, 1, v0
	s_waitcnt vmcnt(1)
	v_cndmask_b32_e32 v18, v3, v5, vcc
	v_cmp_eq_u32_e64 s[2:3], 2, v0
	v_cndmask_b32_e64 v18, v18, v7, s[2:3]
	v_cmp_eq_u32_e64 s[4:5], 3, v0
	v_cndmask_b32_e64 v18, v18, v9, s[4:5]
	;; [unrolled: 2-line block ×5, first 2 shown]
	v_cmp_eq_u32_e64 s[14:15], 7, v0
	s_waitcnt vmcnt(0)
	v_cndmask_b32_e64 v19, v18, v17, s[14:15]
	v_cndmask_b32_e32 v18, v2, v4, vcc
	v_cndmask_b32_e64 v18, v18, v6, s[2:3]
	v_cndmask_b32_e64 v18, v18, v8, s[4:5]
	;; [unrolled: 1-line block ×6, first 2 shown]
	v_cmp_eq_f64_e32 vcc, 0, v[18:19]
	s_waitcnt lgkmcnt(0)
	; wave barrier
	s_waitcnt lgkmcnt(0)
	s_and_saveexec_b64 s[4:5], vcc
	s_cbranch_execz .LBB7_10
; %bb.7:
	v_mov_b32_e32 v21, 0
	ds_read_b32 v23, v21 offset:128
	v_add_u32_e32 v22, 1, v0
	s_waitcnt lgkmcnt(0)
	v_readfirstlane_b32 s2, v23
	s_cmp_eq_u32 s2, 0
	s_cselect_b64 s[8:9], -1, 0
	v_cmp_gt_i32_e32 vcc, s2, v22
	s_or_b64 s[8:9], s[8:9], vcc
	s_and_b64 exec, exec, s[8:9]
	s_cbranch_execz .LBB7_10
; %bb.8:
	s_mov_b64 s[8:9], 0
	v_mov_b32_e32 v23, s2
.LBB7_9:                                ; =>This Inner Loop Header: Depth=1
	ds_cmpst_rtn_b32 v23, v21, v23, v22 offset:128
	s_waitcnt lgkmcnt(0)
	v_cmp_ne_u32_e32 vcc, 0, v23
	v_cmp_le_i32_e64 s[2:3], v23, v22
	s_and_b64 s[2:3], vcc, s[2:3]
	s_and_b64 s[2:3], exec, s[2:3]
	s_or_b64 s[8:9], s[2:3], s[8:9]
	s_andn2_b64 exec, exec, s[8:9]
	s_cbranch_execnz .LBB7_9
.LBB7_10:
	s_or_b64 exec, exec, s[4:5]
	v_mov_b32_e32 v22, 0
	s_waitcnt lgkmcnt(0)
	; wave barrier
	ds_read_b32 v21, v22 offset:128
	s_and_saveexec_b64 s[2:3], s[0:1]
	s_cbranch_execz .LBB7_12
; %bb.11:
	s_lshl_b64 s[4:5], s[6:7], 2
	s_add_u32 s4, s18, s4
	s_addc_u32 s5, s19, s5
	s_waitcnt lgkmcnt(0)
	global_store_dword v22, v21, s[4:5]
.LBB7_12:
	s_or_b64 exec, exec, s[2:3]
	s_waitcnt lgkmcnt(0)
	v_cmp_ne_u32_e32 vcc, 0, v21
	s_cbranch_vccz .LBB7_17
; %bb.13:
	s_mov_b64 s[0:1], 0
                                        ; implicit-def: $vgpr2_vgpr3_vgpr4_vgpr5_vgpr6_vgpr7_vgpr8_vgpr9_vgpr10_vgpr11_vgpr12_vgpr13_vgpr14_vgpr15_vgpr16_vgpr17
.LBB7_14:
	s_and_b64 vcc, exec, s[0:1]
	s_cbranch_vccz .LBB7_16
.LBB7_15:
	s_lshl_b64 s[0:1], s[6:7], 2
	s_add_u32 s0, s18, s0
	s_addc_u32 s1, s19, s1
	v_mov_b32_e32 v1, 0
	global_load_dword v1, v1, s[0:1]
	s_waitcnt vmcnt(0)
	v_cmp_ne_u32_e32 vcc, 0, v1
	s_cbranch_vccz .LBB7_42
.LBB7_16:
	s_endpgm
.LBB7_17:
	v_div_scale_f64 v[22:23], s[2:3], v[18:19], v[18:19], 1.0
	v_rcp_f64_e32 v[24:25], v[22:23]
	v_div_scale_f64 v[26:27], vcc, 1.0, v[18:19], 1.0
	v_fma_f64 v[28:29], -v[22:23], v[24:25], 1.0
	v_fmac_f64_e32 v[24:25], v[24:25], v[28:29]
	v_fma_f64 v[28:29], -v[22:23], v[24:25], 1.0
	v_fmac_f64_e32 v[24:25], v[24:25], v[28:29]
	v_mul_f64 v[28:29], v[26:27], v[24:25]
	v_fma_f64 v[22:23], -v[22:23], v[28:29], v[26:27]
	v_div_fmas_f64 v[22:23], v[22:23], v[24:25], v[28:29]
	v_div_fixup_f64 v[18:19], v[22:23], v[18:19], 1.0
	v_cmp_eq_u32_e32 vcc, 7, v0
	v_cndmask_b32_e32 v17, v17, v19, vcc
	v_cndmask_b32_e32 v16, v16, v18, vcc
	v_cmp_eq_u32_e32 vcc, 6, v0
	v_cndmask_b32_e32 v15, v15, v19, vcc
	v_cndmask_b32_e32 v14, v14, v18, vcc
	;; [unrolled: 3-line block ×8, first 2 shown]
	v_xor_b32_e32 v25, 0x80000000, v19
	v_mov_b32_e32 v24, v18
	v_add_u32_e32 v22, 64, v20
	ds_write2_b64 v20, v[24:25], v[4:5] offset1:8
	s_waitcnt lgkmcnt(0)
	; wave barrier
	s_waitcnt lgkmcnt(0)
	s_and_saveexec_b64 s[2:3], s[0:1]
	s_cbranch_execz .LBB7_19
; %bb.18:
	v_mov_b32_e32 v20, 0
	ds_read_b64 v[4:5], v22
	ds_read_b64 v[20:21], v20 offset:8
	s_waitcnt lgkmcnt(1)
	v_fma_f64 v[4:5], v[18:19], v[4:5], 0
	s_waitcnt lgkmcnt(0)
	v_mul_f64 v[4:5], v[4:5], v[20:21]
.LBB7_19:
	s_or_b64 exec, exec, s[2:3]
	v_cmp_gt_u32_e32 vcc, 2, v0
	s_waitcnt lgkmcnt(0)
	; wave barrier
	ds_write_b64 v22, v[6:7]
	s_waitcnt lgkmcnt(0)
	; wave barrier
	s_waitcnt lgkmcnt(0)
	s_and_saveexec_b64 s[16:17], vcc
	s_cbranch_execz .LBB7_21
; %bb.20:
	v_cmp_eq_u32_e32 vcc, 1, v0
	v_cndmask_b32_e32 v18, v3, v5, vcc
	v_cmp_eq_u32_e64 s[2:3], 2, v0
	v_cndmask_b32_e64 v7, v18, v7, s[2:3]
	v_cndmask_b32_e32 v18, v2, v4, vcc
	v_cmp_eq_u32_e64 s[4:5], 3, v0
	v_cndmask_b32_e64 v6, v18, v6, s[2:3]
	v_cndmask_b32_e64 v7, v7, v9, s[4:5]
	v_cmp_eq_u32_e64 s[8:9], 4, v0
	v_cndmask_b32_e64 v6, v6, v8, s[4:5]
	ds_read_b64 v[24:25], v22
	v_mov_b32_e32 v18, 0
	v_cndmask_b32_e64 v7, v7, v11, s[8:9]
	v_cmp_eq_u32_e64 s[10:11], 5, v0
	v_cndmask_b32_e64 v6, v6, v10, s[8:9]
	ds_read2_b64 v[18:21], v18 offset0:2 offset1:9
	v_cndmask_b32_e64 v7, v7, v13, s[10:11]
	v_cmp_eq_u32_e64 s[12:13], 6, v0
	v_cndmask_b32_e64 v6, v6, v12, s[10:11]
	v_cndmask_b32_e64 v7, v7, v15, s[12:13]
	v_cmp_eq_u32_e64 s[14:15], 7, v0
	v_cndmask_b32_e64 v6, v6, v14, s[12:13]
	v_cndmask_b32_e64 v7, v7, v17, s[14:15]
	;; [unrolled: 1-line block ×3, first 2 shown]
	s_waitcnt lgkmcnt(1)
	v_fma_f64 v[6:7], v[6:7], v[24:25], 0
	s_waitcnt lgkmcnt(0)
	v_fma_f64 v[20:21], v[4:5], v[20:21], v[6:7]
	v_cndmask_b32_e64 v7, v7, v21, s[0:1]
	v_cndmask_b32_e64 v6, v6, v20, s[0:1]
	v_mul_f64 v[6:7], v[6:7], v[18:19]
.LBB7_21:
	s_or_b64 exec, exec, s[16:17]
	v_cmp_gt_u32_e32 vcc, 3, v0
	s_waitcnt lgkmcnt(0)
	; wave barrier
	ds_write_b64 v22, v[8:9]
	s_waitcnt lgkmcnt(0)
	; wave barrier
	s_waitcnt lgkmcnt(0)
	s_and_saveexec_b64 s[4:5], vcc
	s_cbranch_execz .LBB7_25
; %bb.22:
	v_lshl_add_u32 v23, v0, 3, 64
	s_mov_b64 s[8:9], 0
	v_pk_mov_b32 v[18:19], 0, 0
	v_pk_mov_b32 v[20:21], v[0:1], v[0:1] op_sel:[0,1]
.LBB7_23:                               ; =>This Inner Loop Header: Depth=1
	v_cmp_eq_u32_e32 vcc, 1, v20
	v_cndmask_b32_e32 v26, v3, v5, vcc
	v_cmp_eq_u32_e64 s[0:1], 2, v20
	v_cndmask_b32_e64 v26, v26, v7, s[0:1]
	v_cndmask_b32_e32 v27, v2, v4, vcc
	v_cmp_eq_u32_e32 vcc, 3, v20
	v_cndmask_b32_e32 v26, v26, v9, vcc
	v_cndmask_b32_e64 v27, v27, v6, s[0:1]
	v_cmp_eq_u32_e64 s[0:1], 4, v20
	ds_read_b64 v[24:25], v23
	v_cndmask_b32_e64 v26, v26, v11, s[0:1]
	v_cndmask_b32_e32 v27, v27, v8, vcc
	v_cmp_eq_u32_e32 vcc, 5, v20
	v_cndmask_b32_e32 v26, v26, v13, vcc
	v_cndmask_b32_e64 v27, v27, v10, s[0:1]
	v_cmp_eq_u32_e64 s[0:1], 6, v20
	v_cndmask_b32_e64 v26, v26, v15, s[0:1]
	v_cmp_eq_u32_e64 s[2:3], 7, v20
	v_cndmask_b32_e32 v28, v27, v12, vcc
	v_add_co_u32_e32 v20, vcc, 1, v20
	v_addc_co_u32_e32 v21, vcc, 0, v21, vcc
	v_cndmask_b32_e64 v27, v26, v17, s[2:3]
	v_cndmask_b32_e64 v26, v28, v14, s[0:1]
	v_add_u32_e32 v28, -1, v20
	v_cndmask_b32_e64 v26, v26, v16, s[2:3]
	v_cmp_lt_u32_e32 vcc, 1, v28
	v_add_u32_e32 v23, 8, v23
	s_or_b64 s[8:9], vcc, s[8:9]
	s_waitcnt lgkmcnt(0)
	v_fmac_f64_e32 v[18:19], v[26:27], v[24:25]
	s_andn2_b64 exec, exec, s[8:9]
	s_cbranch_execnz .LBB7_23
; %bb.24:
	s_or_b64 exec, exec, s[8:9]
	v_mov_b32_e32 v8, 0
	ds_read_b64 v[8:9], v8 offset:24
	s_waitcnt lgkmcnt(0)
	v_mul_f64 v[8:9], v[18:19], v[8:9]
.LBB7_25:
	s_or_b64 exec, exec, s[4:5]
	v_cmp_gt_u32_e32 vcc, 4, v0
	s_waitcnt lgkmcnt(0)
	; wave barrier
	ds_write_b64 v22, v[10:11]
	s_waitcnt lgkmcnt(0)
	; wave barrier
	s_waitcnt lgkmcnt(0)
	s_and_saveexec_b64 s[4:5], vcc
	s_cbranch_execz .LBB7_29
; %bb.26:
	v_lshl_add_u32 v23, v0, 3, 64
	s_mov_b64 s[8:9], 0
	v_pk_mov_b32 v[18:19], 0, 0
	v_pk_mov_b32 v[20:21], v[0:1], v[0:1] op_sel:[0,1]
.LBB7_27:                               ; =>This Inner Loop Header: Depth=1
	v_cmp_eq_u32_e32 vcc, 1, v20
	v_cndmask_b32_e32 v26, v3, v5, vcc
	v_cmp_eq_u32_e64 s[0:1], 2, v20
	v_cndmask_b32_e64 v26, v26, v7, s[0:1]
	v_cndmask_b32_e32 v27, v2, v4, vcc
	v_cmp_eq_u32_e32 vcc, 3, v20
	v_cndmask_b32_e32 v26, v26, v9, vcc
	v_cndmask_b32_e64 v27, v27, v6, s[0:1]
	v_cmp_eq_u32_e64 s[0:1], 4, v20
	ds_read_b64 v[24:25], v23
	v_cndmask_b32_e64 v26, v26, v11, s[0:1]
	v_cndmask_b32_e32 v27, v27, v8, vcc
	v_cmp_eq_u32_e32 vcc, 5, v20
	v_cndmask_b32_e32 v26, v26, v13, vcc
	v_cndmask_b32_e64 v27, v27, v10, s[0:1]
	v_cmp_eq_u32_e64 s[0:1], 6, v20
	v_cndmask_b32_e64 v26, v26, v15, s[0:1]
	v_cmp_eq_u32_e64 s[2:3], 7, v20
	v_cndmask_b32_e32 v28, v27, v12, vcc
	v_add_co_u32_e32 v20, vcc, 1, v20
	v_addc_co_u32_e32 v21, vcc, 0, v21, vcc
	v_cndmask_b32_e64 v27, v26, v17, s[2:3]
	v_cndmask_b32_e64 v26, v28, v14, s[0:1]
	v_add_u32_e32 v28, -1, v20
	v_cndmask_b32_e64 v26, v26, v16, s[2:3]
	v_cmp_lt_u32_e32 vcc, 2, v28
	v_add_u32_e32 v23, 8, v23
	s_or_b64 s[8:9], vcc, s[8:9]
	s_waitcnt lgkmcnt(0)
	v_fmac_f64_e32 v[18:19], v[26:27], v[24:25]
	s_andn2_b64 exec, exec, s[8:9]
	s_cbranch_execnz .LBB7_27
; %bb.28:
	s_or_b64 exec, exec, s[8:9]
	v_mov_b32_e32 v10, 0
	ds_read_b64 v[10:11], v10 offset:32
	s_waitcnt lgkmcnt(0)
	v_mul_f64 v[10:11], v[18:19], v[10:11]
.LBB7_29:
	;; [unrolled: 55-line block ×4, first 2 shown]
	s_or_b64 exec, exec, s[4:5]
	v_cmp_ne_u32_e32 vcc, 7, v0
	s_waitcnt lgkmcnt(0)
	; wave barrier
	ds_write_b64 v22, v[16:17]
	s_waitcnt lgkmcnt(0)
	; wave barrier
	s_waitcnt lgkmcnt(0)
	s_and_saveexec_b64 s[4:5], vcc
	s_cbranch_execz .LBB7_41
; %bb.38:
	v_lshl_add_u32 v22, v0, 3, 64
	s_mov_b64 s[8:9], 0
	v_pk_mov_b32 v[18:19], 0, 0
	v_pk_mov_b32 v[20:21], v[0:1], v[0:1] op_sel:[0,1]
.LBB7_39:                               ; =>This Inner Loop Header: Depth=1
	v_cmp_eq_u32_e32 vcc, 1, v20
	v_cndmask_b32_e32 v1, v3, v5, vcc
	v_cmp_eq_u32_e64 s[0:1], 2, v20
	v_cndmask_b32_e64 v1, v1, v7, s[0:1]
	v_cndmask_b32_e32 v23, v2, v4, vcc
	v_cmp_eq_u32_e32 vcc, 3, v20
	v_cndmask_b32_e32 v1, v1, v9, vcc
	v_cndmask_b32_e64 v23, v23, v6, s[0:1]
	v_cmp_eq_u32_e64 s[0:1], 4, v20
	ds_read_b64 v[24:25], v22
	v_cndmask_b32_e64 v1, v1, v11, s[0:1]
	v_cndmask_b32_e32 v23, v23, v8, vcc
	v_cmp_eq_u32_e32 vcc, 5, v20
	v_cndmask_b32_e32 v1, v1, v13, vcc
	v_cndmask_b32_e64 v23, v23, v10, s[0:1]
	v_cmp_eq_u32_e64 s[0:1], 6, v20
	v_cndmask_b32_e64 v1, v1, v15, s[0:1]
	v_cmp_eq_u32_e64 s[2:3], 7, v20
	v_cndmask_b32_e32 v23, v23, v12, vcc
	v_add_co_u32_e32 v20, vcc, 1, v20
	v_addc_co_u32_e32 v21, vcc, 0, v21, vcc
	v_cndmask_b32_e64 v27, v1, v17, s[2:3]
	v_cndmask_b32_e64 v1, v23, v14, s[0:1]
	v_add_u32_e32 v23, -1, v20
	v_cndmask_b32_e64 v26, v1, v16, s[2:3]
	v_cmp_lt_u32_e32 vcc, 5, v23
	v_add_u32_e32 v22, 8, v22
	s_or_b64 s[8:9], vcc, s[8:9]
	s_waitcnt lgkmcnt(0)
	v_fmac_f64_e32 v[18:19], v[26:27], v[24:25]
	s_andn2_b64 exec, exec, s[8:9]
	s_cbranch_execnz .LBB7_39
; %bb.40:
	s_or_b64 exec, exec, s[8:9]
	v_mov_b32_e32 v1, 0
	ds_read_b64 v[16:17], v1 offset:56
	s_waitcnt lgkmcnt(0)
	v_mul_f64 v[16:17], v[18:19], v[16:17]
.LBB7_41:
	s_or_b64 exec, exec, s[4:5]
	s_waitcnt lgkmcnt(0)
	; wave barrier
	s_cbranch_execnz .LBB7_15
	s_branch .LBB7_16
.LBB7_42:
	v_lshl_add_u32 v1, v0, 3, 64
	v_cmp_eq_u32_e32 vcc, 7, v0
	s_and_saveexec_b64 s[0:1], vcc
	s_cbranch_execz .LBB7_44
; %bb.43:
	v_pk_mov_b32 v[30:31], v[16:17], v[16:17] op_sel:[0,1]
	s_mov_b32 s2, 0
	v_pk_mov_b32 v[28:29], v[14:15], v[14:15] op_sel:[0,1]
	v_pk_mov_b32 v[26:27], v[12:13], v[12:13] op_sel:[0,1]
	;; [unrolled: 1-line block ×7, first 2 shown]
	v_mov_b32_e32 v28, s2
	v_mov_b32_e32 v29, s2
	ds_write_b64 v1, v[14:15]
	v_pk_mov_b32 v[2:3], v[16:17], v[16:17] op_sel:[0,1]
	v_pk_mov_b32 v[4:5], v[18:19], v[18:19] op_sel:[0,1]
	;; [unrolled: 1-line block ×8, first 2 shown]
.LBB7_44:
	s_or_b64 exec, exec, s[0:1]
	v_mov_b32_e32 v30, 0
	s_waitcnt lgkmcnt(0)
	; wave barrier
	s_waitcnt lgkmcnt(0)
	ds_read_b64 v[18:19], v30 offset:120
	v_cmp_lt_u32_e32 vcc, 5, v0
	s_waitcnt lgkmcnt(0)
	v_fma_f64 v[18:19], v[16:17], v[18:19], 0
	v_add_f64 v[14:15], v[14:15], -v[18:19]
	s_and_saveexec_b64 s[0:1], vcc
	s_cbranch_execz .LBB7_46
; %bb.45:
	v_pk_mov_b32 v[28:29], v[16:17], v[16:17] op_sel:[0,1]
	s_mov_b32 s2, 0
	v_pk_mov_b32 v[26:27], v[14:15], v[14:15] op_sel:[0,1]
	v_pk_mov_b32 v[24:25], v[12:13], v[12:13] op_sel:[0,1]
	;; [unrolled: 1-line block ×7, first 2 shown]
	v_mov_b32_e32 v24, s2
	v_mov_b32_e32 v25, s2
	ds_write_b64 v1, v[12:13]
	v_pk_mov_b32 v[2:3], v[14:15], v[14:15] op_sel:[0,1]
	v_pk_mov_b32 v[4:5], v[16:17], v[16:17] op_sel:[0,1]
	;; [unrolled: 1-line block ×8, first 2 shown]
.LBB7_46:
	s_or_b64 exec, exec, s[0:1]
	s_waitcnt lgkmcnt(0)
	; wave barrier
	s_waitcnt lgkmcnt(0)
	ds_read_b128 v[18:21], v30 offset:112
	v_cmp_lt_u32_e32 vcc, 4, v0
	s_waitcnt lgkmcnt(0)
	v_fma_f64 v[18:19], v[14:15], v[18:19], 0
	v_fmac_f64_e32 v[18:19], v[16:17], v[20:21]
	v_add_f64 v[12:13], v[12:13], -v[18:19]
	s_and_saveexec_b64 s[0:1], vcc
	s_cbranch_execz .LBB7_48
; %bb.47:
	v_pk_mov_b32 v[26:27], v[16:17], v[16:17] op_sel:[0,1]
	s_mov_b32 s2, 0
	v_pk_mov_b32 v[24:25], v[14:15], v[14:15] op_sel:[0,1]
	v_pk_mov_b32 v[22:23], v[12:13], v[12:13] op_sel:[0,1]
	;; [unrolled: 1-line block ×7, first 2 shown]
	v_mov_b32_e32 v20, s2
	v_mov_b32_e32 v21, s2
	ds_write_b64 v1, v[10:11]
	v_pk_mov_b32 v[2:3], v[12:13], v[12:13] op_sel:[0,1]
	v_pk_mov_b32 v[4:5], v[14:15], v[14:15] op_sel:[0,1]
	;; [unrolled: 1-line block ×8, first 2 shown]
.LBB7_48:
	s_or_b64 exec, exec, s[0:1]
	v_mov_b32_e32 v26, 0
	s_waitcnt lgkmcnt(0)
	; wave barrier
	s_waitcnt lgkmcnt(0)
	ds_read2_b64 v[18:21], v26 offset0:13 offset1:14
	ds_read_b64 v[22:23], v26 offset:120
	v_cmp_lt_u32_e32 vcc, 3, v0
	s_waitcnt lgkmcnt(1)
	v_fma_f64 v[18:19], v[12:13], v[18:19], 0
	v_fmac_f64_e32 v[18:19], v[14:15], v[20:21]
	s_waitcnt lgkmcnt(0)
	v_fmac_f64_e32 v[18:19], v[16:17], v[22:23]
	v_add_f64 v[10:11], v[10:11], -v[18:19]
	s_and_saveexec_b64 s[0:1], vcc
	s_cbranch_execz .LBB7_50
; %bb.49:
	v_pk_mov_b32 v[24:25], v[16:17], v[16:17] op_sel:[0,1]
	s_mov_b32 s2, 0
	v_pk_mov_b32 v[22:23], v[14:15], v[14:15] op_sel:[0,1]
	v_pk_mov_b32 v[20:21], v[12:13], v[12:13] op_sel:[0,1]
	;; [unrolled: 1-line block ×7, first 2 shown]
	v_mov_b32_e32 v16, s2
	v_mov_b32_e32 v17, s2
	ds_write_b64 v1, v[8:9]
	v_pk_mov_b32 v[2:3], v[10:11], v[10:11] op_sel:[0,1]
	v_pk_mov_b32 v[4:5], v[12:13], v[12:13] op_sel:[0,1]
	;; [unrolled: 1-line block ×8, first 2 shown]
.LBB7_50:
	s_or_b64 exec, exec, s[0:1]
	s_waitcnt lgkmcnt(0)
	; wave barrier
	s_waitcnt lgkmcnt(0)
	ds_read_b128 v[18:21], v26 offset:96
	ds_read_b128 v[22:25], v26 offset:112
	v_cmp_lt_u32_e32 vcc, 2, v0
	s_waitcnt lgkmcnt(1)
	v_fma_f64 v[18:19], v[10:11], v[18:19], 0
	v_fmac_f64_e32 v[18:19], v[12:13], v[20:21]
	s_waitcnt lgkmcnt(0)
	v_fmac_f64_e32 v[18:19], v[14:15], v[22:23]
	v_fmac_f64_e32 v[18:19], v[16:17], v[24:25]
	v_add_f64 v[8:9], v[8:9], -v[18:19]
	s_and_saveexec_b64 s[0:1], vcc
	s_cbranch_execz .LBB7_52
; %bb.51:
	v_pk_mov_b32 v[22:23], v[16:17], v[16:17] op_sel:[0,1]
	s_mov_b32 s2, 0
	v_pk_mov_b32 v[20:21], v[14:15], v[14:15] op_sel:[0,1]
	v_pk_mov_b32 v[18:19], v[12:13], v[12:13] op_sel:[0,1]
	v_pk_mov_b32 v[16:17], v[10:11], v[10:11] op_sel:[0,1]
	v_pk_mov_b32 v[14:15], v[8:9], v[8:9] op_sel:[0,1]
	v_pk_mov_b32 v[12:13], v[6:7], v[6:7] op_sel:[0,1]
	v_pk_mov_b32 v[10:11], v[4:5], v[4:5] op_sel:[0,1]
	v_pk_mov_b32 v[8:9], v[2:3], v[2:3] op_sel:[0,1]
	v_mov_b32_e32 v12, s2
	v_mov_b32_e32 v13, s2
	ds_write_b64 v1, v[6:7]
	v_pk_mov_b32 v[2:3], v[8:9], v[8:9] op_sel:[0,1]
	v_pk_mov_b32 v[4:5], v[10:11], v[10:11] op_sel:[0,1]
	;; [unrolled: 1-line block ×8, first 2 shown]
.LBB7_52:
	s_or_b64 exec, exec, s[0:1]
	v_mov_b32_e32 v22, 0
	s_waitcnt lgkmcnt(0)
	; wave barrier
	s_waitcnt lgkmcnt(0)
	ds_read2_b64 v[18:21], v22 offset0:11 offset1:12
	ds_read2_b64 v[24:27], v22 offset0:13 offset1:14
	ds_read_b64 v[28:29], v22 offset:120
	v_cmp_lt_u32_e32 vcc, 1, v0
	s_waitcnt lgkmcnt(2)
	v_fma_f64 v[18:19], v[8:9], v[18:19], 0
	v_fmac_f64_e32 v[18:19], v[10:11], v[20:21]
	s_waitcnt lgkmcnt(1)
	v_fmac_f64_e32 v[18:19], v[12:13], v[24:25]
	v_fmac_f64_e32 v[18:19], v[14:15], v[26:27]
	s_waitcnt lgkmcnt(0)
	v_fmac_f64_e32 v[18:19], v[16:17], v[28:29]
	v_add_f64 v[6:7], v[6:7], -v[18:19]
	s_and_saveexec_b64 s[0:1], vcc
	s_cbranch_execz .LBB7_54
; %bb.53:
	v_pk_mov_b32 v[20:21], v[16:17], v[16:17] op_sel:[0,1]
	s_mov_b32 s2, 0
	v_pk_mov_b32 v[18:19], v[14:15], v[14:15] op_sel:[0,1]
	v_pk_mov_b32 v[16:17], v[12:13], v[12:13] op_sel:[0,1]
	;; [unrolled: 1-line block ×7, first 2 shown]
	v_mov_b32_e32 v8, s2
	v_mov_b32_e32 v9, s2
	ds_write_b64 v1, v[4:5]
	v_pk_mov_b32 v[2:3], v[6:7], v[6:7] op_sel:[0,1]
	v_pk_mov_b32 v[4:5], v[8:9], v[8:9] op_sel:[0,1]
	v_pk_mov_b32 v[6:7], v[10:11], v[10:11] op_sel:[0,1]
	v_pk_mov_b32 v[8:9], v[12:13], v[12:13] op_sel:[0,1]
	v_pk_mov_b32 v[10:11], v[14:15], v[14:15] op_sel:[0,1]
	v_pk_mov_b32 v[12:13], v[16:17], v[16:17] op_sel:[0,1]
	v_pk_mov_b32 v[14:15], v[18:19], v[18:19] op_sel:[0,1]
	v_pk_mov_b32 v[16:17], v[20:21], v[20:21] op_sel:[0,1]
.LBB7_54:
	s_or_b64 exec, exec, s[0:1]
	s_waitcnt lgkmcnt(0)
	; wave barrier
	s_waitcnt lgkmcnt(0)
	ds_read_b128 v[18:21], v22 offset:80
	ds_read_b128 v[24:27], v22 offset:96
	;; [unrolled: 1-line block ×3, first 2 shown]
	s_mov_b32 s2, 0
	v_cmp_ne_u32_e32 vcc, 0, v0
	s_waitcnt lgkmcnt(2)
	v_fma_f64 v[18:19], v[6:7], v[18:19], 0
	v_fmac_f64_e32 v[18:19], v[8:9], v[20:21]
	s_waitcnt lgkmcnt(1)
	v_fmac_f64_e32 v[18:19], v[10:11], v[24:25]
	v_fmac_f64_e32 v[18:19], v[12:13], v[26:27]
	s_waitcnt lgkmcnt(0)
	v_fmac_f64_e32 v[18:19], v[14:15], v[28:29]
	v_fmac_f64_e32 v[18:19], v[16:17], v[30:31]
	v_add_f64 v[4:5], v[4:5], -v[18:19]
	s_and_saveexec_b64 s[0:1], vcc
	s_cbranch_execz .LBB7_56
; %bb.55:
	v_pk_mov_b32 v[18:19], v[16:17], v[16:17] op_sel:[0,1]
	v_pk_mov_b32 v[16:17], v[14:15], v[14:15] op_sel:[0,1]
	;; [unrolled: 1-line block ×8, first 2 shown]
	v_mov_b32_e32 v4, s2
	v_mov_b32_e32 v5, s2
	ds_write_b64 v1, v[2:3]
	v_pk_mov_b32 v[2:3], v[4:5], v[4:5] op_sel:[0,1]
	v_pk_mov_b32 v[4:5], v[6:7], v[6:7] op_sel:[0,1]
	;; [unrolled: 1-line block ×8, first 2 shown]
.LBB7_56:
	s_or_b64 exec, exec, s[0:1]
	v_mov_b32_e32 v30, 0
	s_waitcnt lgkmcnt(0)
	; wave barrier
	s_waitcnt lgkmcnt(0)
	ds_read2_b64 v[18:21], v30 offset0:9 offset1:10
	ds_read2_b64 v[22:25], v30 offset0:11 offset1:12
	;; [unrolled: 1-line block ×3, first 2 shown]
	s_and_b64 vcc, exec, s[22:23]
	s_waitcnt lgkmcnt(2)
	v_fma_f64 v[0:1], v[4:5], v[18:19], 0
	ds_read_b64 v[18:19], v30 offset:120
	v_fmac_f64_e32 v[0:1], v[6:7], v[20:21]
	s_waitcnt lgkmcnt(2)
	v_fmac_f64_e32 v[0:1], v[8:9], v[22:23]
	v_fmac_f64_e32 v[0:1], v[10:11], v[24:25]
	s_waitcnt lgkmcnt(1)
	v_fmac_f64_e32 v[0:1], v[12:13], v[26:27]
	;; [unrolled: 3-line block ×3, first 2 shown]
	v_add_f64 v[2:3], v[2:3], -v[0:1]
	s_cbranch_vccz .LBB7_72
; %bb.57:
	v_pk_mov_b32 v[0:1], s[20:21], s[20:21] op_sel:[0,1]
	flat_load_dword v0, v[0:1] offset:24
	s_waitcnt vmcnt(0) lgkmcnt(0)
	v_add_u32_e32 v0, -1, v0
	v_cmp_ne_u32_e32 vcc, 6, v0
	s_and_saveexec_b64 s[12:13], vcc
	s_cbranch_execz .LBB7_59
; %bb.58:
	v_cmp_eq_u32_e32 vcc, 1, v0
	v_cndmask_b32_e32 v1, v2, v4, vcc
	v_cmp_eq_u32_e64 s[0:1], 2, v0
	v_cndmask_b32_e32 v18, v3, v5, vcc
	v_cndmask_b32_e64 v1, v1, v6, s[0:1]
	v_cmp_eq_u32_e64 s[2:3], 3, v0
	v_cndmask_b32_e64 v18, v18, v7, s[0:1]
	v_cndmask_b32_e64 v1, v1, v8, s[2:3]
	v_cmp_eq_u32_e64 s[4:5], 4, v0
	v_cndmask_b32_e64 v18, v18, v9, s[2:3]
	v_cndmask_b32_e64 v1, v1, v10, s[4:5]
	v_cmp_eq_u32_e64 s[6:7], 5, v0
	v_cndmask_b32_e64 v18, v18, v11, s[4:5]
	v_cndmask_b32_e64 v1, v1, v12, s[6:7]
	v_cmp_eq_u32_e64 s[8:9], 6, v0
	v_cndmask_b32_e64 v18, v18, v13, s[6:7]
	v_cndmask_b32_e64 v1, v1, v14, s[8:9]
	v_cmp_eq_u32_e64 s[10:11], 7, v0
	v_cndmask_b32_e64 v18, v18, v15, s[8:9]
	v_cndmask_b32_e64 v1, v1, v16, s[10:11]
	v_cndmask_b32_e64 v18, v18, v17, s[10:11]
	v_cndmask_b32_e64 v29, v17, v15, s[10:11]
	v_cndmask_b32_e64 v28, v16, v14, s[10:11]
	v_cndmask_b32_e32 v17, v5, v15, vcc
	v_cndmask_b32_e32 v16, v4, v14, vcc
	v_cmp_eq_u32_e32 vcc, 0, v0
	v_cndmask_b32_e64 v27, v18, v15, s[8:9]
	v_cndmask_b32_e64 v26, v1, v14, s[8:9]
	v_cndmask_b32_e64 v25, v13, v15, s[6:7]
	v_cndmask_b32_e64 v24, v12, v14, s[6:7]
	v_cndmask_b32_e64 v23, v11, v15, s[4:5]
	v_cndmask_b32_e64 v22, v10, v14, s[4:5]
	v_cndmask_b32_e64 v21, v9, v15, s[2:3]
	v_cndmask_b32_e64 v20, v8, v14, s[2:3]
	v_cndmask_b32_e64 v19, v7, v15, s[0:1]
	v_cndmask_b32_e64 v18, v6, v14, s[0:1]
	v_cndmask_b32_e32 v15, v3, v15, vcc
	v_cndmask_b32_e32 v14, v2, v14, vcc
	v_pk_mov_b32 v[2:3], v[14:15], v[14:15] op_sel:[0,1]
	v_pk_mov_b32 v[4:5], v[16:17], v[16:17] op_sel:[0,1]
	v_pk_mov_b32 v[6:7], v[18:19], v[18:19] op_sel:[0,1]
	v_pk_mov_b32 v[8:9], v[20:21], v[20:21] op_sel:[0,1]
	v_pk_mov_b32 v[10:11], v[22:23], v[22:23] op_sel:[0,1]
	v_pk_mov_b32 v[12:13], v[24:25], v[24:25] op_sel:[0,1]
	v_pk_mov_b32 v[14:15], v[26:27], v[26:27] op_sel:[0,1]
	v_pk_mov_b32 v[16:17], v[28:29], v[28:29] op_sel:[0,1]
.LBB7_59:
	s_or_b64 exec, exec, s[12:13]
	v_pk_mov_b32 v[0:1], s[20:21], s[20:21] op_sel:[0,1]
	flat_load_dword v0, v[0:1] offset:20
	s_waitcnt vmcnt(0) lgkmcnt(0)
	v_add_u32_e32 v0, -1, v0
	v_cmp_ne_u32_e32 vcc, 5, v0
	s_and_saveexec_b64 s[12:13], vcc
	s_cbranch_execz .LBB7_61
; %bb.60:
	v_cmp_eq_u32_e32 vcc, 1, v0
	v_cndmask_b32_e32 v1, v2, v4, vcc
	v_cmp_eq_u32_e64 s[0:1], 2, v0
	v_cndmask_b32_e32 v18, v3, v5, vcc
	v_cndmask_b32_e64 v1, v1, v6, s[0:1]
	v_cmp_eq_u32_e64 s[2:3], 3, v0
	v_cndmask_b32_e64 v18, v18, v7, s[0:1]
	v_cndmask_b32_e64 v1, v1, v8, s[2:3]
	v_cmp_eq_u32_e64 s[4:5], 4, v0
	v_cndmask_b32_e64 v18, v18, v9, s[2:3]
	v_cndmask_b32_e64 v1, v1, v10, s[4:5]
	v_cmp_eq_u32_e64 s[6:7], 5, v0
	v_cndmask_b32_e64 v18, v18, v11, s[4:5]
	v_cndmask_b32_e64 v1, v1, v12, s[6:7]
	v_cmp_eq_u32_e64 s[8:9], 6, v0
	v_cndmask_b32_e64 v18, v18, v13, s[6:7]
	v_cndmask_b32_e64 v1, v1, v14, s[8:9]
	v_cmp_eq_u32_e64 s[10:11], 7, v0
	v_cndmask_b32_e64 v18, v18, v15, s[8:9]
	v_cndmask_b32_e64 v1, v1, v16, s[10:11]
	v_cndmask_b32_e64 v18, v18, v17, s[10:11]
	v_cndmask_b32_e64 v25, v15, v13, s[8:9]
	v_cndmask_b32_e64 v24, v14, v12, s[8:9]
	v_cndmask_b32_e32 v15, v5, v13, vcc
	v_cndmask_b32_e32 v14, v4, v12, vcc
	v_cmp_eq_u32_e32 vcc, 0, v0
	v_cndmask_b32_e64 v23, v18, v13, s[6:7]
	v_cndmask_b32_e64 v22, v1, v12, s[6:7]
	v_cndmask_b32_e64 v27, v17, v13, s[10:11]
	v_cndmask_b32_e64 v26, v16, v12, s[10:11]
	v_cndmask_b32_e64 v21, v11, v13, s[4:5]
	v_cndmask_b32_e64 v20, v10, v12, s[4:5]
	v_cndmask_b32_e64 v19, v9, v13, s[2:3]
	v_cndmask_b32_e64 v18, v8, v12, s[2:3]
	v_cndmask_b32_e64 v17, v7, v13, s[0:1]
	v_cndmask_b32_e64 v16, v6, v12, s[0:1]
	v_cndmask_b32_e32 v13, v3, v13, vcc
	v_cndmask_b32_e32 v12, v2, v12, vcc
	v_pk_mov_b32 v[2:3], v[12:13], v[12:13] op_sel:[0,1]
	v_pk_mov_b32 v[4:5], v[14:15], v[14:15] op_sel:[0,1]
	v_pk_mov_b32 v[6:7], v[16:17], v[16:17] op_sel:[0,1]
	v_pk_mov_b32 v[8:9], v[18:19], v[18:19] op_sel:[0,1]
	v_pk_mov_b32 v[10:11], v[20:21], v[20:21] op_sel:[0,1]
	v_pk_mov_b32 v[12:13], v[22:23], v[22:23] op_sel:[0,1]
	v_pk_mov_b32 v[14:15], v[24:25], v[24:25] op_sel:[0,1]
	v_pk_mov_b32 v[16:17], v[26:27], v[26:27] op_sel:[0,1]
.LBB7_61:
	s_or_b64 exec, exec, s[12:13]
	;; [unrolled: 56-line block ×3, first 2 shown]
	v_pk_mov_b32 v[0:1], s[20:21], s[20:21] op_sel:[0,1]
	flat_load_dword v0, v[0:1] offset:12
	s_waitcnt vmcnt(0) lgkmcnt(0)
	v_add_u32_e32 v0, -1, v0
	v_cmp_ne_u32_e32 vcc, 3, v0
	s_and_saveexec_b64 s[12:13], vcc
	s_cbranch_execz .LBB7_65
; %bb.64:
	v_cmp_eq_u32_e32 vcc, 1, v0
	v_cndmask_b32_e32 v1, v2, v4, vcc
	v_cmp_eq_u32_e64 s[0:1], 2, v0
	v_cndmask_b32_e32 v18, v3, v5, vcc
	v_cndmask_b32_e64 v1, v1, v6, s[0:1]
	v_cmp_eq_u32_e64 s[2:3], 3, v0
	v_cndmask_b32_e64 v18, v18, v7, s[0:1]
	v_cndmask_b32_e64 v1, v1, v8, s[2:3]
	v_cmp_eq_u32_e64 s[4:5], 4, v0
	v_cndmask_b32_e64 v18, v18, v9, s[2:3]
	;; [unrolled: 3-line block ×5, first 2 shown]
	v_cndmask_b32_e64 v25, v15, v9, s[8:9]
	v_cndmask_b32_e64 v24, v14, v8, s[8:9]
	v_cndmask_b32_e32 v15, v5, v9, vcc
	v_cndmask_b32_e32 v14, v4, v8, vcc
	v_cmp_eq_u32_e32 vcc, 0, v0
	v_cndmask_b32_e64 v1, v1, v16, s[10:11]
	v_cndmask_b32_e64 v18, v18, v17, s[10:11]
	;; [unrolled: 1-line block ×8, first 2 shown]
	v_cndmask_b32_e32 v13, v3, v9, vcc
	v_cndmask_b32_e32 v12, v2, v8, vcc
	v_cndmask_b32_e64 v19, v18, v9, s[2:3]
	v_cndmask_b32_e64 v18, v1, v8, s[2:3]
	;; [unrolled: 1-line block ×4, first 2 shown]
	v_pk_mov_b32 v[2:3], v[12:13], v[12:13] op_sel:[0,1]
	v_pk_mov_b32 v[4:5], v[14:15], v[14:15] op_sel:[0,1]
	;; [unrolled: 1-line block ×8, first 2 shown]
.LBB7_65:
	s_or_b64 exec, exec, s[12:13]
	v_pk_mov_b32 v[0:1], s[20:21], s[20:21] op_sel:[0,1]
	flat_load_dword v0, v[0:1] offset:8
	s_waitcnt vmcnt(0) lgkmcnt(0)
	v_add_u32_e32 v0, -1, v0
	v_cmp_ne_u32_e32 vcc, 2, v0
	s_and_saveexec_b64 s[12:13], vcc
	s_cbranch_execz .LBB7_67
; %bb.66:
	v_cmp_eq_u32_e32 vcc, 1, v0
	v_cndmask_b32_e32 v1, v2, v4, vcc
	v_cmp_eq_u32_e64 s[0:1], 2, v0
	v_cndmask_b32_e32 v18, v3, v5, vcc
	v_cndmask_b32_e64 v1, v1, v6, s[0:1]
	v_cmp_eq_u32_e64 s[2:3], 3, v0
	v_cndmask_b32_e64 v18, v18, v7, s[0:1]
	v_cndmask_b32_e64 v1, v1, v8, s[2:3]
	v_cmp_eq_u32_e64 s[4:5], 4, v0
	v_cndmask_b32_e64 v18, v18, v9, s[2:3]
	;; [unrolled: 3-line block ×5, first 2 shown]
	v_cndmask_b32_e64 v1, v1, v16, s[10:11]
	v_cndmask_b32_e64 v18, v18, v17, s[10:11]
	;; [unrolled: 1-line block ×4, first 2 shown]
	v_cndmask_b32_e32 v17, v5, v7, vcc
	v_cndmask_b32_e32 v16, v4, v6, vcc
	v_cmp_eq_u32_e32 vcc, 0, v0
	v_cndmask_b32_e64 v27, v15, v7, s[8:9]
	v_cndmask_b32_e64 v26, v14, v6, s[8:9]
	v_cndmask_b32_e32 v15, v3, v7, vcc
	v_cndmask_b32_e32 v14, v2, v6, vcc
	v_cndmask_b32_e64 v19, v18, v7, s[0:1]
	v_cndmask_b32_e64 v18, v1, v6, s[0:1]
	;; [unrolled: 1-line block ×8, first 2 shown]
	v_pk_mov_b32 v[2:3], v[14:15], v[14:15] op_sel:[0,1]
	v_pk_mov_b32 v[4:5], v[16:17], v[16:17] op_sel:[0,1]
	;; [unrolled: 1-line block ×8, first 2 shown]
.LBB7_67:
	s_or_b64 exec, exec, s[12:13]
	v_pk_mov_b32 v[0:1], s[20:21], s[20:21] op_sel:[0,1]
	flat_load_dword v0, v[0:1] offset:4
	s_waitcnt vmcnt(0) lgkmcnt(0)
	v_add_u32_e32 v0, -1, v0
	v_cmp_ne_u32_e32 vcc, 1, v0
	s_and_saveexec_b64 s[12:13], vcc
	s_cbranch_execz .LBB7_69
; %bb.68:
	v_cmp_eq_u32_e32 vcc, 1, v0
	v_cndmask_b32_e32 v1, v2, v4, vcc
	v_cmp_eq_u32_e64 s[0:1], 2, v0
	v_cndmask_b32_e32 v18, v3, v5, vcc
	v_cndmask_b32_e64 v1, v1, v6, s[0:1]
	v_cmp_eq_u32_e64 s[2:3], 3, v0
	v_cndmask_b32_e64 v18, v18, v7, s[0:1]
	v_cndmask_b32_e64 v1, v1, v8, s[2:3]
	v_cmp_eq_u32_e64 s[4:5], 4, v0
	v_cndmask_b32_e64 v18, v18, v9, s[2:3]
	;; [unrolled: 3-line block ×5, first 2 shown]
	v_cndmask_b32_e64 v1, v1, v16, s[10:11]
	v_cndmask_b32_e64 v18, v18, v17, s[10:11]
	v_cndmask_b32_e32 v19, v18, v5, vcc
	v_cndmask_b32_e32 v18, v1, v4, vcc
	v_cmp_eq_u32_e32 vcc, 0, v0
	v_cndmask_b32_e64 v31, v17, v5, s[10:11]
	v_cndmask_b32_e64 v30, v16, v4, s[10:11]
	v_cndmask_b32_e32 v17, v3, v5, vcc
	v_cndmask_b32_e32 v16, v2, v4, vcc
	v_cndmask_b32_e64 v29, v15, v5, s[8:9]
	v_cndmask_b32_e64 v28, v14, v4, s[8:9]
	;; [unrolled: 1-line block ×10, first 2 shown]
	v_pk_mov_b32 v[2:3], v[16:17], v[16:17] op_sel:[0,1]
	v_pk_mov_b32 v[4:5], v[18:19], v[18:19] op_sel:[0,1]
	;; [unrolled: 1-line block ×8, first 2 shown]
.LBB7_69:
	s_or_b64 exec, exec, s[12:13]
	v_pk_mov_b32 v[0:1], s[20:21], s[20:21] op_sel:[0,1]
	flat_load_dword v0, v[0:1]
	s_waitcnt vmcnt(0) lgkmcnt(0)
	v_add_u32_e32 v0, -1, v0
	v_cmp_ne_u32_e32 vcc, 0, v0
	s_and_saveexec_b64 s[14:15], vcc
	s_cbranch_execz .LBB7_71
; %bb.70:
	v_cmp_eq_u32_e32 vcc, 1, v0
	v_cndmask_b32_e32 v1, v2, v4, vcc
	v_cmp_eq_u32_e64 s[0:1], 2, v0
	v_cndmask_b32_e32 v18, v3, v5, vcc
	v_cndmask_b32_e64 v1, v1, v6, s[0:1]
	v_cmp_eq_u32_e64 s[2:3], 3, v0
	v_cndmask_b32_e64 v18, v18, v7, s[0:1]
	v_cndmask_b32_e64 v1, v1, v8, s[2:3]
	v_cmp_eq_u32_e64 s[4:5], 4, v0
	v_cndmask_b32_e64 v18, v18, v9, s[2:3]
	;; [unrolled: 3-line block ×5, first 2 shown]
	v_cndmask_b32_e64 v1, v1, v16, s[10:11]
	v_cndmask_b32_e64 v18, v18, v17, s[10:11]
	v_cmp_eq_u32_e64 s[12:13], 0, v0
	v_cndmask_b32_e64 v19, v18, v3, s[12:13]
	v_cndmask_b32_e64 v18, v1, v2, s[12:13]
	;; [unrolled: 1-line block ×14, first 2 shown]
	v_cndmask_b32_e32 v21, v5, v3, vcc
	v_cndmask_b32_e32 v20, v4, v2, vcc
	v_pk_mov_b32 v[2:3], v[18:19], v[18:19] op_sel:[0,1]
	v_pk_mov_b32 v[4:5], v[20:21], v[20:21] op_sel:[0,1]
	;; [unrolled: 1-line block ×8, first 2 shown]
.LBB7_71:
	s_or_b64 exec, exec, s[14:15]
.LBB7_72:
	global_store_dwordx2 v[34:35], v[2:3], off
	global_store_dwordx2 v[36:37], v[4:5], off
	global_store_dwordx2 v[38:39], v[6:7], off
	global_store_dwordx2 v[40:41], v[8:9], off
	global_store_dwordx2 v[42:43], v[10:11], off
	global_store_dwordx2 v[44:45], v[12:13], off
	global_store_dwordx2 v[46:47], v[14:15], off
	global_store_dwordx2 v[48:49], v[16:17], off
	s_endpgm
	.section	.rodata,"a",@progbits
	.p2align	6, 0x0
	.amdhsa_kernel _ZN9rocsolver6v33100L18getri_kernel_smallILi8EdPdEEvT1_iilPiilS4_bb
		.amdhsa_group_segment_fixed_size 136
		.amdhsa_private_segment_fixed_size 0
		.amdhsa_kernarg_size 60
		.amdhsa_user_sgpr_count 6
		.amdhsa_user_sgpr_private_segment_buffer 1
		.amdhsa_user_sgpr_dispatch_ptr 0
		.amdhsa_user_sgpr_queue_ptr 0
		.amdhsa_user_sgpr_kernarg_segment_ptr 1
		.amdhsa_user_sgpr_dispatch_id 0
		.amdhsa_user_sgpr_flat_scratch_init 0
		.amdhsa_user_sgpr_kernarg_preload_length 0
		.amdhsa_user_sgpr_kernarg_preload_offset 0
		.amdhsa_user_sgpr_private_segment_size 0
		.amdhsa_uses_dynamic_stack 0
		.amdhsa_system_sgpr_private_segment_wavefront_offset 0
		.amdhsa_system_sgpr_workgroup_id_x 1
		.amdhsa_system_sgpr_workgroup_id_y 0
		.amdhsa_system_sgpr_workgroup_id_z 0
		.amdhsa_system_sgpr_workgroup_info 0
		.amdhsa_system_vgpr_workitem_id 0
		.amdhsa_next_free_vgpr 50
		.amdhsa_next_free_sgpr 24
		.amdhsa_accum_offset 52
		.amdhsa_reserve_vcc 1
		.amdhsa_reserve_flat_scratch 0
		.amdhsa_float_round_mode_32 0
		.amdhsa_float_round_mode_16_64 0
		.amdhsa_float_denorm_mode_32 3
		.amdhsa_float_denorm_mode_16_64 3
		.amdhsa_dx10_clamp 1
		.amdhsa_ieee_mode 1
		.amdhsa_fp16_overflow 0
		.amdhsa_tg_split 0
		.amdhsa_exception_fp_ieee_invalid_op 0
		.amdhsa_exception_fp_denorm_src 0
		.amdhsa_exception_fp_ieee_div_zero 0
		.amdhsa_exception_fp_ieee_overflow 0
		.amdhsa_exception_fp_ieee_underflow 0
		.amdhsa_exception_fp_ieee_inexact 0
		.amdhsa_exception_int_div_zero 0
	.end_amdhsa_kernel
	.section	.text._ZN9rocsolver6v33100L18getri_kernel_smallILi8EdPdEEvT1_iilPiilS4_bb,"axG",@progbits,_ZN9rocsolver6v33100L18getri_kernel_smallILi8EdPdEEvT1_iilPiilS4_bb,comdat
.Lfunc_end7:
	.size	_ZN9rocsolver6v33100L18getri_kernel_smallILi8EdPdEEvT1_iilPiilS4_bb, .Lfunc_end7-_ZN9rocsolver6v33100L18getri_kernel_smallILi8EdPdEEvT1_iilPiilS4_bb
                                        ; -- End function
	.section	.AMDGPU.csdata,"",@progbits
; Kernel info:
; codeLenInByte = 7136
; NumSgprs: 28
; NumVgprs: 50
; NumAgprs: 0
; TotalNumVgprs: 50
; ScratchSize: 0
; MemoryBound: 0
; FloatMode: 240
; IeeeMode: 1
; LDSByteSize: 136 bytes/workgroup (compile time only)
; SGPRBlocks: 3
; VGPRBlocks: 6
; NumSGPRsForWavesPerEU: 28
; NumVGPRsForWavesPerEU: 50
; AccumOffset: 52
; Occupancy: 8
; WaveLimiterHint : 0
; COMPUTE_PGM_RSRC2:SCRATCH_EN: 0
; COMPUTE_PGM_RSRC2:USER_SGPR: 6
; COMPUTE_PGM_RSRC2:TRAP_HANDLER: 0
; COMPUTE_PGM_RSRC2:TGID_X_EN: 1
; COMPUTE_PGM_RSRC2:TGID_Y_EN: 0
; COMPUTE_PGM_RSRC2:TGID_Z_EN: 0
; COMPUTE_PGM_RSRC2:TIDIG_COMP_CNT: 0
; COMPUTE_PGM_RSRC3_GFX90A:ACCUM_OFFSET: 12
; COMPUTE_PGM_RSRC3_GFX90A:TG_SPLIT: 0
	.section	.text._ZN9rocsolver6v33100L18getri_kernel_smallILi9EdPdEEvT1_iilPiilS4_bb,"axG",@progbits,_ZN9rocsolver6v33100L18getri_kernel_smallILi9EdPdEEvT1_iilPiilS4_bb,comdat
	.globl	_ZN9rocsolver6v33100L18getri_kernel_smallILi9EdPdEEvT1_iilPiilS4_bb ; -- Begin function _ZN9rocsolver6v33100L18getri_kernel_smallILi9EdPdEEvT1_iilPiilS4_bb
	.p2align	8
	.type	_ZN9rocsolver6v33100L18getri_kernel_smallILi9EdPdEEvT1_iilPiilS4_bb,@function
_ZN9rocsolver6v33100L18getri_kernel_smallILi9EdPdEEvT1_iilPiilS4_bb: ; @_ZN9rocsolver6v33100L18getri_kernel_smallILi9EdPdEEvT1_iilPiilS4_bb
; %bb.0:
	v_cmp_gt_u32_e32 vcc, 9, v0
	s_and_saveexec_b64 s[0:1], vcc
	s_cbranch_execz .LBB8_16
; %bb.1:
	s_load_dword s12, s[4:5], 0x38
	s_load_dwordx4 s[8:11], s[4:5], 0x10
	s_load_dwordx4 s[24:27], s[4:5], 0x28
                                        ; implicit-def: $sgpr28_sgpr29
	s_waitcnt lgkmcnt(0)
	s_bitcmp1_b32 s12, 8
	s_cselect_b64 s[30:31], -1, 0
	s_ashr_i32 s7, s6, 31
	s_bfe_u32 s0, s12, 0x10008
	s_cmp_eq_u32 s0, 0
	s_cbranch_scc1 .LBB8_3
; %bb.2:
	s_load_dword s0, s[4:5], 0x20
	s_mul_i32 s1, s6, s25
	s_mul_hi_u32 s2, s6, s24
	s_mul_i32 s3, s7, s24
	s_add_i32 s2, s2, s1
	s_add_i32 s3, s2, s3
	s_mul_i32 s2, s6, s24
	s_waitcnt lgkmcnt(0)
	s_ashr_i32 s1, s0, 31
	s_lshl_b64 s[2:3], s[2:3], 2
	s_add_u32 s2, s10, s2
	s_addc_u32 s3, s11, s3
	s_lshl_b64 s[0:1], s[0:1], 2
	s_add_u32 s28, s2, s0
	s_addc_u32 s29, s3, s1
.LBB8_3:
	s_load_dwordx4 s[0:3], s[4:5], 0x0
	s_mul_i32 s4, s6, s9
	s_mul_hi_u32 s5, s6, s8
	s_add_i32 s9, s5, s4
	v_lshlrev_b32_e32 v22, 3, v0
	s_waitcnt lgkmcnt(0)
	s_ashr_i32 s5, s2, 31
	s_mov_b32 s4, s2
	s_mul_i32 s2, s7, s8
	s_add_i32 s9, s9, s2
	s_mul_i32 s8, s6, s8
	s_lshl_b64 s[8:9], s[8:9], 3
	s_add_u32 s2, s0, s8
	s_addc_u32 s8, s1, s9
	s_lshl_b64 s[0:1], s[4:5], 3
	s_add_u32 s0, s2, s0
	s_addc_u32 s1, s8, s1
	v_mov_b32_e32 v1, s1
	v_add_co_u32_e32 v52, vcc, s0, v22
	s_ashr_i32 s5, s3, 31
	s_mov_b32 s4, s3
	s_add_i32 s2, s3, s3
	v_addc_co_u32_e32 v53, vcc, 0, v1, vcc
	s_lshl_b64 s[4:5], s[4:5], 3
	v_add_u32_e32 v4, s2, v0
	v_mov_b32_e32 v1, s5
	v_add_co_u32_e32 v54, vcc, s4, v52
	v_ashrrev_i32_e32 v5, 31, v4
	v_addc_co_u32_e32 v55, vcc, v53, v1, vcc
	v_lshlrev_b64 v[6:7], 3, v[4:5]
	v_add_u32_e32 v4, s3, v4
	v_mov_b32_e32 v1, s1
	v_add_co_u32_e32 v56, vcc, s0, v6
	v_ashrrev_i32_e32 v5, 31, v4
	v_addc_co_u32_e32 v57, vcc, v1, v7, vcc
	v_lshlrev_b64 v[6:7], 3, v[4:5]
	v_add_u32_e32 v12, s3, v4
	v_add_co_u32_e32 v58, vcc, s0, v6
	v_ashrrev_i32_e32 v13, 31, v12
	v_addc_co_u32_e32 v59, vcc, v1, v7, vcc
	v_lshlrev_b64 v[4:5], 3, v[12:13]
	v_add_u32_e32 v12, s3, v12
	;; [unrolled: 5-line block ×5, first 2 shown]
	v_add_co_u32_e32 v66, vcc, s0, v14
	v_ashrrev_i32_e32 v13, 31, v12
	v_addc_co_u32_e32 v67, vcc, v1, v15, vcc
	v_lshlrev_b64 v[12:13], 3, v[12:13]
	v_add_co_u32_e32 v68, vcc, s0, v12
	global_load_dwordx2 v[2:3], v22, s[0:1]
	global_load_dwordx2 v[4:5], v[54:55], off
	global_load_dwordx2 v[6:7], v[56:57], off
	;; [unrolled: 1-line block ×4, first 2 shown]
	v_addc_co_u32_e32 v69, vcc, v1, v13, vcc
	global_load_dwordx2 v[12:13], v[62:63], off
	global_load_dwordx2 v[14:15], v[64:65], off
	;; [unrolled: 1-line block ×4, first 2 shown]
	v_mov_b32_e32 v1, 0
	s_bitcmp0_b32 s12, 0
	s_mov_b64 s[0:1], -1
	s_cbranch_scc1 .LBB8_14
; %bb.4:
	v_cmp_eq_u32_e64 s[0:1], 0, v0
	s_and_saveexec_b64 s[2:3], s[0:1]
	s_cbranch_execz .LBB8_6
; %bb.5:
	v_mov_b32_e32 v20, 0
	ds_write_b32 v20, v20 offset:72
.LBB8_6:
	s_or_b64 exec, exec, s[2:3]
	v_cmp_eq_u32_e32 vcc, 1, v0
	s_waitcnt vmcnt(7)
	v_cndmask_b32_e32 v20, v3, v5, vcc
	v_cmp_eq_u32_e64 s[2:3], 2, v0
	s_waitcnt vmcnt(6)
	v_cndmask_b32_e64 v20, v20, v7, s[2:3]
	v_cmp_eq_u32_e64 s[4:5], 3, v0
	s_waitcnt vmcnt(5)
	v_cndmask_b32_e64 v20, v20, v9, s[4:5]
	;; [unrolled: 3-line block ×7, first 2 shown]
	v_cndmask_b32_e32 v20, v2, v4, vcc
	v_cndmask_b32_e64 v20, v20, v6, s[2:3]
	v_cndmask_b32_e64 v20, v20, v8, s[4:5]
	;; [unrolled: 1-line block ×7, first 2 shown]
	v_cmp_eq_f64_e32 vcc, 0, v[20:21]
	s_waitcnt lgkmcnt(0)
	; wave barrier
	s_waitcnt lgkmcnt(0)
	s_and_saveexec_b64 s[4:5], vcc
	s_cbranch_execz .LBB8_10
; %bb.7:
	v_mov_b32_e32 v23, 0
	ds_read_b32 v25, v23 offset:72
	v_add_u32_e32 v24, 1, v0
	s_waitcnt lgkmcnt(0)
	v_readfirstlane_b32 s2, v25
	s_cmp_eq_u32 s2, 0
	s_cselect_b64 s[8:9], -1, 0
	v_cmp_gt_i32_e32 vcc, s2, v24
	s_or_b64 s[8:9], s[8:9], vcc
	s_and_b64 exec, exec, s[8:9]
	s_cbranch_execz .LBB8_10
; %bb.8:
	s_mov_b64 s[8:9], 0
	v_mov_b32_e32 v25, s2
.LBB8_9:                                ; =>This Inner Loop Header: Depth=1
	ds_cmpst_rtn_b32 v25, v23, v25, v24 offset:72
	s_waitcnt lgkmcnt(0)
	v_cmp_ne_u32_e32 vcc, 0, v25
	v_cmp_le_i32_e64 s[2:3], v25, v24
	s_and_b64 s[2:3], vcc, s[2:3]
	s_and_b64 s[2:3], exec, s[2:3]
	s_or_b64 s[8:9], s[2:3], s[8:9]
	s_andn2_b64 exec, exec, s[8:9]
	s_cbranch_execnz .LBB8_9
.LBB8_10:
	s_or_b64 exec, exec, s[4:5]
	v_mov_b32_e32 v24, 0
	s_waitcnt lgkmcnt(0)
	; wave barrier
	ds_read_b32 v23, v24 offset:72
	s_and_saveexec_b64 s[2:3], s[0:1]
	s_cbranch_execz .LBB8_12
; %bb.11:
	s_lshl_b64 s[4:5], s[6:7], 2
	s_add_u32 s4, s26, s4
	s_addc_u32 s5, s27, s5
	s_waitcnt lgkmcnt(0)
	global_store_dword v24, v23, s[4:5]
.LBB8_12:
	s_or_b64 exec, exec, s[2:3]
	s_waitcnt lgkmcnt(0)
	v_cmp_ne_u32_e32 vcc, 0, v23
	s_cbranch_vccz .LBB8_17
; %bb.13:
	s_mov_b64 s[0:1], 0
                                        ; implicit-def: $vgpr2_vgpr3_vgpr4_vgpr5_vgpr6_vgpr7_vgpr8_vgpr9_vgpr10_vgpr11_vgpr12_vgpr13_vgpr14_vgpr15_vgpr16_vgpr17_vgpr18_vgpr19_vgpr20_vgpr21_vgpr22_vgpr23_vgpr24_vgpr25_vgpr26_vgpr27_vgpr28_vgpr29_vgpr30_vgpr31_vgpr32_vgpr33
.LBB8_14:
	s_and_b64 vcc, exec, s[0:1]
	s_cbranch_vccz .LBB8_16
.LBB8_15:
	s_lshl_b64 s[0:1], s[6:7], 2
	s_add_u32 s0, s26, s0
	s_addc_u32 s1, s27, s1
	v_mov_b32_e32 v1, 0
	global_load_dword v1, v1, s[0:1]
	s_waitcnt vmcnt(0)
	v_cmp_ne_u32_e32 vcc, 0, v1
	s_cbranch_vccz .LBB8_58
.LBB8_16:
	s_endpgm
.LBB8_17:
	v_div_scale_f64 v[24:25], s[2:3], v[20:21], v[20:21], 1.0
	v_rcp_f64_e32 v[26:27], v[24:25]
	v_div_scale_f64 v[28:29], vcc, 1.0, v[20:21], 1.0
	v_fma_f64 v[30:31], -v[24:25], v[26:27], 1.0
	v_fmac_f64_e32 v[26:27], v[26:27], v[30:31]
	v_fma_f64 v[30:31], -v[24:25], v[26:27], 1.0
	v_fmac_f64_e32 v[26:27], v[26:27], v[30:31]
	v_mul_f64 v[30:31], v[28:29], v[26:27]
	v_fma_f64 v[24:25], -v[24:25], v[30:31], v[28:29]
	v_div_fmas_f64 v[24:25], v[24:25], v[26:27], v[30:31]
	v_div_fixup_f64 v[20:21], v[24:25], v[20:21], 1.0
	v_cmp_eq_u32_e32 vcc, 8, v0
	v_cndmask_b32_e32 v19, v19, v21, vcc
	v_cndmask_b32_e32 v18, v18, v20, vcc
	v_cmp_eq_u32_e32 vcc, 7, v0
	v_cndmask_b32_e32 v17, v17, v21, vcc
	v_cndmask_b32_e32 v16, v16, v20, vcc
	;; [unrolled: 3-line block ×9, first 2 shown]
	v_xor_b32_e32 v27, 0x80000000, v21
	v_mov_b32_e32 v26, v20
	v_add_u32_e32 v24, 0x50, v22
	ds_write2_b64 v22, v[26:27], v[4:5] offset1:10
	s_waitcnt lgkmcnt(0)
	; wave barrier
	s_waitcnt lgkmcnt(0)
	s_and_saveexec_b64 s[2:3], s[0:1]
	s_cbranch_execz .LBB8_19
; %bb.18:
	v_mov_b32_e32 v22, 0
	ds_read_b64 v[4:5], v24
	ds_read_b64 v[22:23], v22 offset:8
	s_waitcnt lgkmcnt(1)
	v_fma_f64 v[4:5], v[20:21], v[4:5], 0
	s_waitcnt lgkmcnt(0)
	v_mul_f64 v[4:5], v[4:5], v[22:23]
.LBB8_19:
	s_or_b64 exec, exec, s[2:3]
	v_cmp_gt_u32_e32 vcc, 2, v0
	s_waitcnt lgkmcnt(0)
	; wave barrier
	ds_write_b64 v24, v[6:7]
	s_waitcnt lgkmcnt(0)
	; wave barrier
	s_waitcnt lgkmcnt(0)
	s_and_saveexec_b64 s[18:19], vcc
	s_cbranch_execz .LBB8_21
; %bb.20:
	v_cmp_eq_u32_e32 vcc, 1, v0
	v_cndmask_b32_e32 v20, v3, v5, vcc
	v_cmp_eq_u32_e64 s[2:3], 2, v0
	v_cndmask_b32_e64 v7, v20, v7, s[2:3]
	v_cndmask_b32_e32 v20, v2, v4, vcc
	v_cmp_eq_u32_e64 s[4:5], 3, v0
	v_cndmask_b32_e64 v6, v20, v6, s[2:3]
	v_cndmask_b32_e64 v7, v7, v9, s[4:5]
	v_cmp_eq_u32_e64 s[8:9], 4, v0
	v_cndmask_b32_e64 v6, v6, v8, s[4:5]
	v_cndmask_b32_e64 v7, v7, v11, s[8:9]
	v_cmp_eq_u32_e64 s[10:11], 5, v0
	v_cndmask_b32_e64 v6, v6, v10, s[8:9]
	ds_read_b64 v[26:27], v24
	v_mov_b32_e32 v20, 0
	v_cndmask_b32_e64 v7, v7, v13, s[10:11]
	v_cmp_eq_u32_e64 s[12:13], 6, v0
	v_cndmask_b32_e64 v6, v6, v12, s[10:11]
	ds_read2_b64 v[20:23], v20 offset0:2 offset1:11
	v_cndmask_b32_e64 v7, v7, v15, s[12:13]
	v_cmp_eq_u32_e64 s[14:15], 7, v0
	v_cndmask_b32_e64 v6, v6, v14, s[12:13]
	v_cndmask_b32_e64 v7, v7, v17, s[14:15]
	v_cmp_eq_u32_e64 s[16:17], 8, v0
	v_cndmask_b32_e64 v6, v6, v16, s[14:15]
	v_cndmask_b32_e64 v7, v7, v19, s[16:17]
	;; [unrolled: 1-line block ×3, first 2 shown]
	s_waitcnt lgkmcnt(1)
	v_fma_f64 v[6:7], v[6:7], v[26:27], 0
	s_waitcnt lgkmcnt(0)
	v_fma_f64 v[22:23], v[4:5], v[22:23], v[6:7]
	v_cndmask_b32_e64 v7, v7, v23, s[0:1]
	v_cndmask_b32_e64 v6, v6, v22, s[0:1]
	v_mul_f64 v[6:7], v[6:7], v[20:21]
.LBB8_21:
	s_or_b64 exec, exec, s[18:19]
	v_cmp_gt_u32_e32 vcc, 3, v0
	s_waitcnt lgkmcnt(0)
	; wave barrier
	ds_write_b64 v24, v[8:9]
	s_waitcnt lgkmcnt(0)
	; wave barrier
	s_waitcnt lgkmcnt(0)
	s_and_saveexec_b64 s[10:11], vcc
	s_cbranch_execz .LBB8_25
; %bb.22:
	v_mov_b32_e32 v20, 0x50
	v_lshl_add_u32 v25, v0, 3, v20
	s_mov_b64 s[12:13], 0
	v_pk_mov_b32 v[20:21], 0, 0
	v_pk_mov_b32 v[22:23], v[0:1], v[0:1] op_sel:[0,1]
.LBB8_23:                               ; =>This Inner Loop Header: Depth=1
	v_cmp_eq_u32_e64 s[2:3], 1, v22
	v_cndmask_b32_e64 v28, v3, v5, s[2:3]
	v_cmp_eq_u32_e64 s[4:5], 2, v22
	v_cndmask_b32_e64 v28, v28, v7, s[4:5]
	v_cndmask_b32_e64 v29, v2, v4, s[2:3]
	v_cmp_eq_u32_e64 s[2:3], 3, v22
	v_cndmask_b32_e64 v28, v28, v9, s[2:3]
	v_cndmask_b32_e64 v29, v29, v6, s[4:5]
	v_cmp_eq_u32_e64 s[4:5], 4, v22
	v_cndmask_b32_e64 v28, v28, v11, s[4:5]
	v_cndmask_b32_e64 v29, v29, v8, s[2:3]
	v_cmp_eq_u32_e64 s[2:3], 5, v22
	ds_read_b64 v[26:27], v25
	v_cndmask_b32_e64 v28, v28, v13, s[2:3]
	v_cndmask_b32_e64 v29, v29, v10, s[4:5]
	v_cmp_eq_u32_e64 s[4:5], 6, v22
	v_cndmask_b32_e64 v28, v28, v15, s[4:5]
	v_cndmask_b32_e64 v29, v29, v12, s[2:3]
	v_cmp_eq_u32_e64 s[2:3], 7, v22
	v_cndmask_b32_e64 v28, v28, v17, s[2:3]
	v_cmp_eq_u32_e64 s[8:9], 8, v22
	v_cndmask_b32_e64 v30, v29, v14, s[4:5]
	v_add_co_u32_e64 v22, s[4:5], 1, v22
	v_cndmask_b32_e64 v29, v28, v19, s[8:9]
	v_cndmask_b32_e64 v28, v30, v16, s[2:3]
	v_add_u32_e32 v30, -1, v22
	v_cndmask_b32_e64 v28, v28, v18, s[8:9]
	v_cmp_lt_u32_e64 s[2:3], 1, v30
	v_add_u32_e32 v25, 8, v25
	v_addc_co_u32_e64 v23, s[4:5], 0, v23, s[4:5]
	s_or_b64 s[12:13], s[2:3], s[12:13]
	s_waitcnt lgkmcnt(0)
	v_fmac_f64_e32 v[20:21], v[28:29], v[26:27]
	s_andn2_b64 exec, exec, s[12:13]
	s_cbranch_execnz .LBB8_23
; %bb.24:
	s_or_b64 exec, exec, s[12:13]
	v_mov_b32_e32 v8, 0
	ds_read_b64 v[8:9], v8 offset:24
	s_waitcnt lgkmcnt(0)
	v_mul_f64 v[8:9], v[20:21], v[8:9]
.LBB8_25:
	s_or_b64 exec, exec, s[10:11]
	v_cmp_gt_u32_e64 s[2:3], 4, v0
	s_waitcnt lgkmcnt(0)
	; wave barrier
	ds_write_b64 v24, v[10:11]
	s_waitcnt lgkmcnt(0)
	; wave barrier
	s_waitcnt lgkmcnt(0)
	s_and_saveexec_b64 s[10:11], s[2:3]
	s_cbranch_execz .LBB8_29
; %bb.26:
	v_mov_b32_e32 v20, 0x50
	v_lshl_add_u32 v25, v0, 3, v20
	s_mov_b64 s[12:13], 0
	v_pk_mov_b32 v[20:21], 0, 0
	v_pk_mov_b32 v[22:23], v[0:1], v[0:1] op_sel:[0,1]
.LBB8_27:                               ; =>This Inner Loop Header: Depth=1
	v_cmp_eq_u32_e64 s[2:3], 1, v22
	v_cndmask_b32_e64 v28, v3, v5, s[2:3]
	v_cmp_eq_u32_e64 s[4:5], 2, v22
	v_cndmask_b32_e64 v28, v28, v7, s[4:5]
	v_cndmask_b32_e64 v29, v2, v4, s[2:3]
	v_cmp_eq_u32_e64 s[2:3], 3, v22
	v_cndmask_b32_e64 v28, v28, v9, s[2:3]
	v_cndmask_b32_e64 v29, v29, v6, s[4:5]
	v_cmp_eq_u32_e64 s[4:5], 4, v22
	v_cndmask_b32_e64 v28, v28, v11, s[4:5]
	v_cndmask_b32_e64 v29, v29, v8, s[2:3]
	v_cmp_eq_u32_e64 s[2:3], 5, v22
	ds_read_b64 v[26:27], v25
	v_cndmask_b32_e64 v28, v28, v13, s[2:3]
	v_cndmask_b32_e64 v29, v29, v10, s[4:5]
	v_cmp_eq_u32_e64 s[4:5], 6, v22
	v_cndmask_b32_e64 v28, v28, v15, s[4:5]
	v_cndmask_b32_e64 v29, v29, v12, s[2:3]
	v_cmp_eq_u32_e64 s[2:3], 7, v22
	v_cndmask_b32_e64 v28, v28, v17, s[2:3]
	v_cmp_eq_u32_e64 s[8:9], 8, v22
	v_cndmask_b32_e64 v30, v29, v14, s[4:5]
	v_add_co_u32_e64 v22, s[4:5], 1, v22
	v_cndmask_b32_e64 v29, v28, v19, s[8:9]
	v_cndmask_b32_e64 v28, v30, v16, s[2:3]
	v_add_u32_e32 v30, -1, v22
	v_cndmask_b32_e64 v28, v28, v18, s[8:9]
	v_cmp_lt_u32_e64 s[2:3], 2, v30
	v_add_u32_e32 v25, 8, v25
	v_addc_co_u32_e64 v23, s[4:5], 0, v23, s[4:5]
	s_or_b64 s[12:13], s[2:3], s[12:13]
	s_waitcnt lgkmcnt(0)
	v_fmac_f64_e32 v[20:21], v[28:29], v[26:27]
	s_andn2_b64 exec, exec, s[12:13]
	s_cbranch_execnz .LBB8_27
; %bb.28:
	s_or_b64 exec, exec, s[12:13]
	v_mov_b32_e32 v10, 0
	ds_read_b64 v[10:11], v10 offset:32
	s_waitcnt lgkmcnt(0)
	v_mul_f64 v[10:11], v[20:21], v[10:11]
.LBB8_29:
	s_or_b64 exec, exec, s[10:11]
	v_cmp_gt_u32_e64 s[2:3], 5, v0
	s_waitcnt lgkmcnt(0)
	; wave barrier
	ds_write_b64 v24, v[12:13]
	s_waitcnt lgkmcnt(0)
	; wave barrier
	s_waitcnt lgkmcnt(0)
	s_and_saveexec_b64 s[12:13], s[2:3]
	;; [unrolled: 59-line block ×4, first 2 shown]
	s_cbranch_execz .LBB8_41
; %bb.38:
	v_mov_b32_e32 v20, 0x50
	v_lshl_add_u32 v25, v0, 3, v20
	s_mov_b64 s[16:17], 0
	v_pk_mov_b32 v[20:21], 0, 0
	v_pk_mov_b32 v[22:23], v[0:1], v[0:1] op_sel:[0,1]
.LBB8_39:                               ; =>This Inner Loop Header: Depth=1
	v_cmp_eq_u32_e64 s[8:9], 1, v22
	v_cndmask_b32_e64 v1, v3, v5, s[8:9]
	v_cmp_eq_u32_e64 s[10:11], 2, v22
	v_cndmask_b32_e64 v1, v1, v7, s[10:11]
	v_cndmask_b32_e64 v28, v2, v4, s[8:9]
	v_cmp_eq_u32_e64 s[8:9], 3, v22
	v_cndmask_b32_e64 v1, v1, v9, s[8:9]
	v_cndmask_b32_e64 v28, v28, v6, s[10:11]
	v_cmp_eq_u32_e64 s[10:11], 4, v22
	v_cndmask_b32_e64 v1, v1, v11, s[10:11]
	v_cndmask_b32_e64 v28, v28, v8, s[8:9]
	v_cmp_eq_u32_e64 s[8:9], 5, v22
	ds_read_b64 v[26:27], v25
	v_cndmask_b32_e64 v1, v1, v13, s[8:9]
	v_cndmask_b32_e64 v28, v28, v10, s[10:11]
	v_cmp_eq_u32_e64 s[10:11], 6, v22
	v_cndmask_b32_e64 v1, v1, v15, s[10:11]
	v_cndmask_b32_e64 v28, v28, v12, s[8:9]
	v_cmp_eq_u32_e64 s[8:9], 7, v22
	v_cndmask_b32_e64 v1, v1, v17, s[8:9]
	v_cmp_eq_u32_e64 s[12:13], 8, v22
	v_cndmask_b32_e64 v28, v28, v14, s[10:11]
	v_add_co_u32_e64 v22, s[10:11], 1, v22
	v_cndmask_b32_e64 v29, v1, v19, s[12:13]
	v_cndmask_b32_e64 v1, v28, v16, s[8:9]
	v_add_u32_e32 v30, -1, v22
	v_cndmask_b32_e64 v28, v1, v18, s[12:13]
	v_cmp_lt_u32_e64 s[8:9], 5, v30
	v_add_u32_e32 v25, 8, v25
	v_addc_co_u32_e64 v23, s[10:11], 0, v23, s[10:11]
	s_or_b64 s[16:17], s[8:9], s[16:17]
	s_waitcnt lgkmcnt(0)
	v_fmac_f64_e32 v[20:21], v[28:29], v[26:27]
	s_andn2_b64 exec, exec, s[16:17]
	s_cbranch_execnz .LBB8_39
; %bb.40:
	s_or_b64 exec, exec, s[16:17]
	v_mov_b32_e32 v1, 0
	ds_read_b64 v[16:17], v1 offset:56
	s_waitcnt lgkmcnt(0)
	v_mul_f64 v[16:17], v[20:21], v[16:17]
.LBB8_41:
	s_or_b64 exec, exec, s[14:15]
	v_cmp_ne_u32_e64 s[8:9], 8, v0
	s_waitcnt lgkmcnt(0)
	; wave barrier
	ds_write_b64 v24, v[18:19]
	s_waitcnt lgkmcnt(0)
	; wave barrier
	s_waitcnt lgkmcnt(0)
	s_and_saveexec_b64 s[24:25], s[8:9]
	s_cbranch_execz .LBB8_57
; %bb.42:
	v_cmp_eq_u32_e64 s[8:9], 1, v0
	v_cndmask_b32_e64 v1, v3, v5, s[8:9]
	v_cmp_eq_u32_e64 s[10:11], 2, v0
	v_cndmask_b32_e64 v1, v1, v7, s[10:11]
	v_cmp_eq_u32_e64 s[12:13], 3, v0
	v_cndmask_b32_e64 v1, v1, v9, s[12:13]
	v_cmp_eq_u32_e64 s[14:15], 4, v0
	v_cndmask_b32_e64 v1, v1, v11, s[14:15]
	v_cmp_eq_u32_e64 s[16:17], 5, v0
	v_cndmask_b32_e64 v1, v1, v13, s[16:17]
	v_cmp_eq_u32_e64 s[18:19], 6, v0
	v_cndmask_b32_e64 v1, v1, v15, s[18:19]
	v_cmp_eq_u32_e64 s[20:21], 7, v0
	v_cndmask_b32_e64 v1, v1, v17, s[20:21]
	v_cmp_eq_u32_e64 s[22:23], 8, v0
	v_cndmask_b32_e64 v21, v1, v19, s[22:23]
	v_cndmask_b32_e64 v1, v2, v4, s[8:9]
	v_cndmask_b32_e64 v1, v1, v6, s[10:11]
	;; [unrolled: 1-line block ×4, first 2 shown]
	ds_read_b64 v[22:23], v24
	v_cndmask_b32_e64 v1, v1, v12, s[16:17]
	v_cndmask_b32_e64 v1, v1, v14, s[18:19]
	;; [unrolled: 1-line block ×4, first 2 shown]
	s_waitcnt lgkmcnt(0)
	v_fma_f64 v[20:21], v[20:21], v[22:23], 0
	s_and_saveexec_b64 s[22:23], s[4:5]
	s_cbranch_execz .LBB8_56
; %bb.43:
	v_add_u32_e32 v1, 1, v0
	v_cmp_eq_u32_e64 s[4:5], 1, v1
	v_cndmask_b32_e64 v22, v3, v5, s[4:5]
	v_cmp_eq_u32_e64 s[8:9], 2, v1
	v_cmp_eq_u32_e64 s[10:11], 3, v1
	;; [unrolled: 1-line block ×7, first 2 shown]
	v_cndmask_b32_e64 v1, v2, v4, s[4:5]
	v_cndmask_b32_e64 v22, v22, v7, s[8:9]
	;; [unrolled: 1-line block ×7, first 2 shown]
	ds_read_b64 v[26:27], v24 offset:8
	v_cndmask_b32_e64 v22, v22, v13, s[14:15]
	v_cndmask_b32_e64 v1, v1, v12, s[14:15]
	;; [unrolled: 1-line block ×8, first 2 shown]
	s_waitcnt lgkmcnt(0)
	v_fmac_f64_e32 v[20:21], v[22:23], v[26:27]
	v_cmp_ne_u32_e64 s[4:5], 6, v0
	s_and_saveexec_b64 s[34:35], s[4:5]
	s_cbranch_execz .LBB8_55
; %bb.44:
	v_add_u32_e32 v1, 2, v0
	v_cmp_eq_u32_e64 s[4:5], 1, v1
	v_cndmask_b32_e64 v22, v3, v5, s[4:5]
	v_cmp_eq_u32_e64 s[8:9], 2, v1
	v_cmp_eq_u32_e64 s[10:11], 3, v1
	;; [unrolled: 1-line block ×7, first 2 shown]
	v_cndmask_b32_e64 v1, v2, v4, s[4:5]
	v_cndmask_b32_e64 v22, v22, v7, s[8:9]
	;; [unrolled: 1-line block ×7, first 2 shown]
	ds_read_b64 v[26:27], v24 offset:16
	v_cndmask_b32_e64 v22, v22, v13, s[14:15]
	v_cndmask_b32_e64 v1, v1, v12, s[14:15]
	v_cndmask_b32_e64 v22, v22, v15, s[16:17]
	v_cndmask_b32_e64 v1, v1, v14, s[16:17]
	v_cndmask_b32_e64 v22, v22, v17, s[18:19]
	v_cndmask_b32_e64 v1, v1, v16, s[18:19]
	v_cndmask_b32_e64 v23, v22, v19, s[20:21]
	v_cndmask_b32_e64 v22, v1, v18, s[20:21]
	s_waitcnt lgkmcnt(0)
	v_fmac_f64_e32 v[20:21], v[22:23], v[26:27]
	s_and_saveexec_b64 s[20:21], s[2:3]
	s_cbranch_execz .LBB8_54
; %bb.45:
	v_add_u32_e32 v1, 3, v0
	v_cmp_eq_u32_e64 s[2:3], 1, v1
	v_cndmask_b32_e64 v22, v3, v5, s[2:3]
	v_cmp_eq_u32_e64 s[4:5], 2, v1
	v_cmp_eq_u32_e64 s[8:9], 3, v1
	;; [unrolled: 1-line block ×7, first 2 shown]
	v_cndmask_b32_e64 v1, v2, v4, s[2:3]
	v_cndmask_b32_e64 v22, v22, v7, s[4:5]
	;; [unrolled: 1-line block ×7, first 2 shown]
	ds_read_b64 v[26:27], v24 offset:24
	v_cndmask_b32_e64 v22, v22, v13, s[12:13]
	v_cndmask_b32_e64 v1, v1, v12, s[12:13]
	;; [unrolled: 1-line block ×8, first 2 shown]
	s_waitcnt lgkmcnt(0)
	v_fmac_f64_e32 v[20:21], v[22:23], v[26:27]
	v_cmp_ne_u32_e64 s[2:3], 4, v0
	s_and_saveexec_b64 s[36:37], s[2:3]
	s_cbranch_execz .LBB8_53
; %bb.46:
	v_add_u32_e32 v1, 4, v0
	v_cmp_eq_u32_e64 s[2:3], 1, v1
	v_cndmask_b32_e64 v22, v3, v5, s[2:3]
	v_cmp_eq_u32_e64 s[4:5], 2, v1
	v_cmp_eq_u32_e64 s[8:9], 3, v1
	;; [unrolled: 1-line block ×7, first 2 shown]
	v_cndmask_b32_e64 v1, v2, v4, s[2:3]
	v_cndmask_b32_e64 v22, v22, v7, s[4:5]
	;; [unrolled: 1-line block ×7, first 2 shown]
	ds_read_b64 v[26:27], v24 offset:32
	v_cndmask_b32_e64 v22, v22, v13, s[12:13]
	v_cndmask_b32_e64 v1, v1, v12, s[12:13]
	;; [unrolled: 1-line block ×8, first 2 shown]
	s_waitcnt lgkmcnt(0)
	v_fmac_f64_e32 v[20:21], v[22:23], v[26:27]
	s_and_saveexec_b64 s[18:19], vcc
	s_cbranch_execz .LBB8_52
; %bb.47:
	v_add_u32_e32 v1, 5, v0
	v_cmp_eq_u32_e32 vcc, 1, v1
	v_cndmask_b32_e32 v22, v3, v5, vcc
	v_cmp_eq_u32_e64 s[2:3], 2, v1
	v_cmp_eq_u32_e64 s[4:5], 3, v1
	;; [unrolled: 1-line block ×7, first 2 shown]
	v_cndmask_b32_e32 v1, v2, v4, vcc
	v_cndmask_b32_e64 v22, v22, v7, s[2:3]
	v_cndmask_b32_e64 v1, v1, v6, s[2:3]
	;; [unrolled: 1-line block ×6, first 2 shown]
	ds_read_b64 v[26:27], v24 offset:40
	v_cndmask_b32_e64 v22, v22, v13, s[10:11]
	v_cndmask_b32_e64 v1, v1, v12, s[10:11]
	;; [unrolled: 1-line block ×8, first 2 shown]
	s_waitcnt lgkmcnt(0)
	v_fmac_f64_e32 v[20:21], v[22:23], v[26:27]
	v_cmp_ne_u32_e32 vcc, 2, v0
	s_and_saveexec_b64 s[38:39], vcc
	s_cbranch_execz .LBB8_51
; %bb.48:
	v_add_u32_e32 v1, 6, v0
	v_cmp_eq_u32_e32 vcc, 1, v1
	v_cndmask_b32_e32 v22, v3, v5, vcc
	v_cmp_eq_u32_e64 s[2:3], 2, v1
	v_cndmask_b32_e64 v22, v22, v7, s[2:3]
	v_cmp_eq_u32_e64 s[4:5], 3, v1
	v_cndmask_b32_e64 v22, v22, v9, s[4:5]
	;; [unrolled: 2-line block ×4, first 2 shown]
	v_cmp_eq_u32_e64 s[12:13], 6, v1
	v_cmp_eq_u32_e64 s[14:15], 7, v1
	;; [unrolled: 1-line block ×3, first 2 shown]
	v_cndmask_b32_e32 v1, v2, v4, vcc
	v_cndmask_b32_e64 v22, v22, v15, s[12:13]
	v_cndmask_b32_e64 v1, v1, v6, s[2:3]
	v_cndmask_b32_e64 v22, v22, v17, s[14:15]
	v_cndmask_b32_e64 v1, v1, v8, s[4:5]
	v_cndmask_b32_e64 v19, v22, v19, s[16:17]
	v_cndmask_b32_e64 v1, v1, v10, s[8:9]
	ds_read_b64 v[22:23], v24 offset:48
	v_cndmask_b32_e64 v1, v1, v12, s[10:11]
	v_cndmask_b32_e64 v1, v1, v14, s[12:13]
	;; [unrolled: 1-line block ×4, first 2 shown]
	s_waitcnt lgkmcnt(0)
	v_fmac_f64_e32 v[20:21], v[18:19], v[22:23]
	s_and_saveexec_b64 s[2:3], s[0:1]
	s_cbranch_execz .LBB8_50
; %bb.49:
	ds_read_b64 v[18:19], v24 offset:56
	s_waitcnt lgkmcnt(0)
	v_fmac_f64_e32 v[20:21], v[16:17], v[18:19]
.LBB8_50:
	s_or_b64 exec, exec, s[2:3]
.LBB8_51:
	s_or_b64 exec, exec, s[38:39]
.LBB8_52:
	s_or_b64 exec, exec, s[18:19]
.LBB8_53:
	s_or_b64 exec, exec, s[36:37]
.LBB8_54:
	s_or_b64 exec, exec, s[20:21]
.LBB8_55:
	s_or_b64 exec, exec, s[34:35]
.LBB8_56:
	s_or_b64 exec, exec, s[22:23]
	v_mov_b32_e32 v1, 0
	ds_read_b64 v[18:19], v1 offset:64
	s_waitcnt lgkmcnt(0)
	v_mul_f64 v[18:19], v[20:21], v[18:19]
.LBB8_57:
	s_or_b64 exec, exec, s[24:25]
	s_waitcnt lgkmcnt(0)
	; wave barrier
	s_cbranch_execnz .LBB8_15
	s_branch .LBB8_16
.LBB8_58:
	v_mov_b32_e32 v1, 0x50
	v_lshl_add_u32 v1, v0, 3, v1
	v_cmp_eq_u32_e32 vcc, 8, v0
	s_and_saveexec_b64 s[0:1], vcc
	s_cbranch_execz .LBB8_60
; %bb.59:
	ds_write_b64 v1, v[16:17]
	v_mov_b32_e32 v16, 0
	v_mov_b32_e32 v17, v16
.LBB8_60:
	s_or_b64 exec, exec, s[0:1]
	v_mov_b32_e32 v34, 0
	s_waitcnt lgkmcnt(0)
	; wave barrier
	s_waitcnt lgkmcnt(0)
	ds_read_b64 v[20:21], v34 offset:144
	v_cmp_lt_u32_e32 vcc, 6, v0
	s_waitcnt lgkmcnt(0)
	v_fma_f64 v[20:21], v[18:19], v[20:21], 0
	v_add_f64 v[16:17], v[16:17], -v[20:21]
	s_and_saveexec_b64 s[0:1], vcc
	s_cbranch_execz .LBB8_62
; %bb.61:
	v_mov_b32_e32 v22, v2
	v_mov_b32_e32 v23, v3
	;; [unrolled: 1-line block ×17, first 2 shown]
	ds_write_b64 v1, v[14:15]
	v_pk_mov_b32 v[2:3], v[22:23], v[22:23] op_sel:[0,1]
	v_pk_mov_b32 v[4:5], v[24:25], v[24:25] op_sel:[0,1]
	;; [unrolled: 1-line block ×16, first 2 shown]
.LBB8_62:
	s_or_b64 exec, exec, s[0:1]
	s_waitcnt lgkmcnt(0)
	; wave barrier
	s_waitcnt lgkmcnt(0)
	ds_read2_b64 v[20:23], v34 offset0:17 offset1:18
	v_cmp_lt_u32_e32 vcc, 5, v0
	s_waitcnt lgkmcnt(0)
	v_fma_f64 v[20:21], v[16:17], v[20:21], 0
	v_fmac_f64_e32 v[20:21], v[18:19], v[22:23]
	v_add_f64 v[14:15], v[14:15], -v[20:21]
	s_and_saveexec_b64 s[0:1], vcc
	s_cbranch_execz .LBB8_64
; %bb.63:
	v_mov_b32_e32 v30, 0
	v_mov_b32_e32 v20, v2
	v_mov_b32_e32 v21, v3
	v_mov_b32_e32 v22, v4
	v_mov_b32_e32 v23, v5
	v_mov_b32_e32 v24, v6
	v_mov_b32_e32 v25, v7
	v_mov_b32_e32 v26, v8
	v_mov_b32_e32 v27, v9
	v_mov_b32_e32 v28, v10
	v_mov_b32_e32 v29, v11
	v_mov_b32_e32 v31, v30
	v_mov_b32_e32 v32, v14
	v_mov_b32_e32 v33, v15
	v_mov_b32_e32 v34, v16
	v_mov_b32_e32 v35, v17
	v_mov_b32_e32 v36, v18
	v_mov_b32_e32 v37, v19
	ds_write_b64 v1, v[12:13]
	v_pk_mov_b32 v[2:3], v[20:21], v[20:21] op_sel:[0,1]
	v_pk_mov_b32 v[4:5], v[22:23], v[22:23] op_sel:[0,1]
	v_pk_mov_b32 v[6:7], v[24:25], v[24:25] op_sel:[0,1]
	v_pk_mov_b32 v[8:9], v[26:27], v[26:27] op_sel:[0,1]
	v_pk_mov_b32 v[10:11], v[28:29], v[28:29] op_sel:[0,1]
	v_pk_mov_b32 v[12:13], v[30:31], v[30:31] op_sel:[0,1]
	v_pk_mov_b32 v[14:15], v[32:33], v[32:33] op_sel:[0,1]
	v_pk_mov_b32 v[16:17], v[34:35], v[34:35] op_sel:[0,1]
	v_pk_mov_b32 v[18:19], v[36:37], v[36:37] op_sel:[0,1]
	v_pk_mov_b32 v[20:21], v[38:39], v[38:39] op_sel:[0,1]
	v_pk_mov_b32 v[22:23], v[40:41], v[40:41] op_sel:[0,1]
	v_pk_mov_b32 v[24:25], v[42:43], v[42:43] op_sel:[0,1]
	v_pk_mov_b32 v[26:27], v[44:45], v[44:45] op_sel:[0,1]
	v_pk_mov_b32 v[28:29], v[46:47], v[46:47] op_sel:[0,1]
	v_pk_mov_b32 v[30:31], v[48:49], v[48:49] op_sel:[0,1]
	v_pk_mov_b32 v[32:33], v[50:51], v[50:51] op_sel:[0,1]
.LBB8_64:
	s_or_b64 exec, exec, s[0:1]
	v_mov_b32_e32 v34, 0
	s_waitcnt lgkmcnt(0)
	; wave barrier
	s_waitcnt lgkmcnt(0)
	ds_read_b128 v[20:23], v34 offset:128
	v_cmp_lt_u32_e32 vcc, 4, v0
	s_waitcnt lgkmcnt(0)
	v_fma_f64 v[20:21], v[14:15], v[20:21], 0
	v_fmac_f64_e32 v[20:21], v[16:17], v[22:23]
	ds_read_b64 v[22:23], v34 offset:144
	s_waitcnt lgkmcnt(0)
	v_fmac_f64_e32 v[20:21], v[18:19], v[22:23]
	v_add_f64 v[12:13], v[12:13], -v[20:21]
	s_and_saveexec_b64 s[0:1], vcc
	s_cbranch_execz .LBB8_66
; %bb.65:
	v_mov_b32_e32 v26, v2
	v_mov_b32_e32 v27, v3
	;; [unrolled: 1-line block ×17, first 2 shown]
	ds_write_b64 v1, v[10:11]
	v_pk_mov_b32 v[2:3], v[26:27], v[26:27] op_sel:[0,1]
	v_pk_mov_b32 v[4:5], v[28:29], v[28:29] op_sel:[0,1]
	;; [unrolled: 1-line block ×16, first 2 shown]
.LBB8_66:
	s_or_b64 exec, exec, s[0:1]
	s_waitcnt lgkmcnt(0)
	; wave barrier
	s_waitcnt lgkmcnt(0)
	ds_read2_b64 v[20:23], v34 offset0:15 offset1:16
	ds_read2_b64 v[24:27], v34 offset0:17 offset1:18
	v_cmp_lt_u32_e32 vcc, 3, v0
	s_waitcnt lgkmcnt(1)
	v_fma_f64 v[20:21], v[12:13], v[20:21], 0
	v_fmac_f64_e32 v[20:21], v[14:15], v[22:23]
	s_waitcnt lgkmcnt(0)
	v_fmac_f64_e32 v[20:21], v[16:17], v[24:25]
	v_fmac_f64_e32 v[20:21], v[18:19], v[26:27]
	v_add_f64 v[10:11], v[10:11], -v[20:21]
	s_and_saveexec_b64 s[0:1], vcc
	s_cbranch_execz .LBB8_68
; %bb.67:
	v_mov_b32_e32 v26, 0
	v_mov_b32_e32 v20, v2
	;; [unrolled: 1-line block ×18, first 2 shown]
	ds_write_b64 v1, v[8:9]
	v_pk_mov_b32 v[2:3], v[20:21], v[20:21] op_sel:[0,1]
	v_pk_mov_b32 v[4:5], v[22:23], v[22:23] op_sel:[0,1]
	;; [unrolled: 1-line block ×16, first 2 shown]
.LBB8_68:
	s_or_b64 exec, exec, s[0:1]
	v_mov_b32_e32 v34, 0
	s_waitcnt lgkmcnt(0)
	; wave barrier
	s_waitcnt lgkmcnt(0)
	ds_read_b128 v[20:23], v34 offset:112
	ds_read_b128 v[24:27], v34 offset:128
	v_cmp_lt_u32_e32 vcc, 2, v0
	s_waitcnt lgkmcnt(1)
	v_fma_f64 v[20:21], v[10:11], v[20:21], 0
	v_fmac_f64_e32 v[20:21], v[12:13], v[22:23]
	ds_read_b64 v[22:23], v34 offset:144
	s_waitcnt lgkmcnt(1)
	v_fmac_f64_e32 v[20:21], v[14:15], v[24:25]
	v_fmac_f64_e32 v[20:21], v[16:17], v[26:27]
	s_waitcnt lgkmcnt(0)
	v_fmac_f64_e32 v[20:21], v[18:19], v[22:23]
	v_add_f64 v[8:9], v[8:9], -v[20:21]
	s_and_saveexec_b64 s[0:1], vcc
	s_cbranch_execz .LBB8_70
; %bb.69:
	v_mov_b32_e32 v30, v2
	v_mov_b32_e32 v31, v3
	;; [unrolled: 1-line block ×17, first 2 shown]
	ds_write_b64 v1, v[6:7]
	v_pk_mov_b32 v[2:3], v[30:31], v[30:31] op_sel:[0,1]
	v_pk_mov_b32 v[4:5], v[32:33], v[32:33] op_sel:[0,1]
	;; [unrolled: 1-line block ×16, first 2 shown]
.LBB8_70:
	s_or_b64 exec, exec, s[0:1]
	s_waitcnt lgkmcnt(0)
	; wave barrier
	s_waitcnt lgkmcnt(0)
	ds_read2_b64 v[20:23], v34 offset0:13 offset1:14
	ds_read2_b64 v[24:27], v34 offset0:15 offset1:16
	ds_read2_b64 v[28:31], v34 offset0:17 offset1:18
	v_cmp_lt_u32_e32 vcc, 1, v0
	s_waitcnt lgkmcnt(2)
	v_fma_f64 v[20:21], v[8:9], v[20:21], 0
	v_fmac_f64_e32 v[20:21], v[10:11], v[22:23]
	s_waitcnt lgkmcnt(1)
	v_fmac_f64_e32 v[20:21], v[12:13], v[24:25]
	v_fmac_f64_e32 v[20:21], v[14:15], v[26:27]
	s_waitcnt lgkmcnt(0)
	v_fmac_f64_e32 v[20:21], v[16:17], v[28:29]
	v_fmac_f64_e32 v[20:21], v[18:19], v[30:31]
	v_add_f64 v[6:7], v[6:7], -v[20:21]
	s_and_saveexec_b64 s[0:1], vcc
	s_cbranch_execz .LBB8_72
; %bb.71:
	v_mov_b32_e32 v22, 0
	v_mov_b32_e32 v20, v2
	;; [unrolled: 1-line block ×18, first 2 shown]
	ds_write_b64 v1, v[4:5]
	v_pk_mov_b32 v[2:3], v[20:21], v[20:21] op_sel:[0,1]
	v_pk_mov_b32 v[4:5], v[22:23], v[22:23] op_sel:[0,1]
	;; [unrolled: 1-line block ×16, first 2 shown]
.LBB8_72:
	s_or_b64 exec, exec, s[0:1]
	v_mov_b32_e32 v34, 0
	s_waitcnt lgkmcnt(0)
	; wave barrier
	s_waitcnt lgkmcnt(0)
	ds_read_b128 v[20:23], v34 offset:96
	ds_read_b128 v[24:27], v34 offset:112
	v_cmp_ne_u32_e32 vcc, 0, v0
	s_waitcnt lgkmcnt(1)
	v_fma_f64 v[28:29], v[6:7], v[20:21], 0
	v_fmac_f64_e32 v[28:29], v[8:9], v[22:23]
	ds_read_b128 v[20:23], v34 offset:128
	s_waitcnt lgkmcnt(1)
	v_fmac_f64_e32 v[28:29], v[10:11], v[24:25]
	v_fmac_f64_e32 v[28:29], v[12:13], v[26:27]
	s_waitcnt lgkmcnt(0)
	v_fmac_f64_e32 v[28:29], v[14:15], v[20:21]
	ds_read_b64 v[20:21], v34 offset:144
	v_fmac_f64_e32 v[28:29], v[16:17], v[22:23]
	s_waitcnt lgkmcnt(0)
	v_fmac_f64_e32 v[28:29], v[18:19], v[20:21]
	v_add_f64 v[4:5], v[4:5], -v[28:29]
	s_and_saveexec_b64 s[0:1], vcc
	s_cbranch_execz .LBB8_74
; %bb.73:
	v_mov_b32_e32 v35, v34
	v_mov_b32_e32 v36, v4
	;; [unrolled: 1-line block ×17, first 2 shown]
	ds_write_b64 v1, v[2:3]
	v_pk_mov_b32 v[2:3], v[34:35], v[34:35] op_sel:[0,1]
	v_pk_mov_b32 v[4:5], v[36:37], v[36:37] op_sel:[0,1]
	v_pk_mov_b32 v[6:7], v[38:39], v[38:39] op_sel:[0,1]
	v_pk_mov_b32 v[8:9], v[40:41], v[40:41] op_sel:[0,1]
	v_pk_mov_b32 v[10:11], v[42:43], v[42:43] op_sel:[0,1]
	v_pk_mov_b32 v[12:13], v[44:45], v[44:45] op_sel:[0,1]
	v_pk_mov_b32 v[14:15], v[46:47], v[46:47] op_sel:[0,1]
	v_pk_mov_b32 v[16:17], v[48:49], v[48:49] op_sel:[0,1]
	v_pk_mov_b32 v[18:19], v[50:51], v[50:51] op_sel:[0,1]
	v_pk_mov_b32 v[20:21], v[52:53], v[52:53] op_sel:[0,1]
	v_pk_mov_b32 v[22:23], v[54:55], v[54:55] op_sel:[0,1]
	v_pk_mov_b32 v[24:25], v[56:57], v[56:57] op_sel:[0,1]
	v_pk_mov_b32 v[26:27], v[58:59], v[58:59] op_sel:[0,1]
	v_pk_mov_b32 v[28:29], v[60:61], v[60:61] op_sel:[0,1]
	v_pk_mov_b32 v[30:31], v[62:63], v[62:63] op_sel:[0,1]
	v_pk_mov_b32 v[32:33], v[64:65], v[64:65] op_sel:[0,1]
.LBB8_74:
	s_or_b64 exec, exec, s[0:1]
	s_waitcnt lgkmcnt(0)
	; wave barrier
	s_waitcnt lgkmcnt(0)
	ds_read2_b64 v[20:23], v34 offset0:11 offset1:12
	ds_read2_b64 v[24:27], v34 offset0:13 offset1:14
	;; [unrolled: 1-line block ×4, first 2 shown]
	s_and_b64 vcc, exec, s[30:31]
	s_waitcnt lgkmcnt(3)
	v_fma_f64 v[0:1], v[4:5], v[20:21], 0
	v_fmac_f64_e32 v[0:1], v[6:7], v[22:23]
	s_waitcnt lgkmcnt(2)
	v_fmac_f64_e32 v[0:1], v[8:9], v[24:25]
	v_fmac_f64_e32 v[0:1], v[10:11], v[26:27]
	s_waitcnt lgkmcnt(1)
	v_fmac_f64_e32 v[0:1], v[12:13], v[28:29]
	;; [unrolled: 3-line block ×3, first 2 shown]
	v_fmac_f64_e32 v[0:1], v[18:19], v[34:35]
	v_add_f64 v[2:3], v[2:3], -v[0:1]
	s_cbranch_vccz .LBB8_92
; %bb.75:
	v_pk_mov_b32 v[0:1], s[28:29], s[28:29] op_sel:[0,1]
	flat_load_dword v0, v[0:1] offset:28
	s_waitcnt vmcnt(0) lgkmcnt(0)
	v_add_u32_e32 v0, -1, v0
	v_cmp_ne_u32_e32 vcc, 7, v0
	s_and_saveexec_b64 s[14:15], vcc
	s_cbranch_execz .LBB8_77
; %bb.76:
	v_cmp_eq_u32_e32 vcc, 1, v0
	v_cndmask_b32_e32 v1, v2, v4, vcc
	v_cmp_eq_u32_e64 s[0:1], 2, v0
	v_cndmask_b32_e32 v20, v3, v5, vcc
	v_cndmask_b32_e64 v1, v1, v6, s[0:1]
	v_cmp_eq_u32_e64 s[2:3], 3, v0
	v_cndmask_b32_e64 v20, v20, v7, s[0:1]
	v_cndmask_b32_e64 v1, v1, v8, s[2:3]
	v_cmp_eq_u32_e64 s[4:5], 4, v0
	v_cndmask_b32_e64 v20, v20, v9, s[2:3]
	;; [unrolled: 3-line block ×6, first 2 shown]
	v_cndmask_b32_e64 v1, v1, v18, s[12:13]
	v_cndmask_b32_e64 v20, v20, v19, s[12:13]
	v_cndmask_b32_e64 v33, v19, v17, s[12:13]
	v_cndmask_b32_e64 v32, v18, v16, s[12:13]
	v_cndmask_b32_e32 v19, v5, v17, vcc
	v_cndmask_b32_e32 v18, v4, v16, vcc
	v_cmp_eq_u32_e32 vcc, 0, v0
	v_cndmask_b32_e64 v31, v20, v17, s[10:11]
	v_cndmask_b32_e64 v30, v1, v16, s[10:11]
	;; [unrolled: 1-line block ×12, first 2 shown]
	v_cndmask_b32_e32 v17, v3, v17, vcc
	v_cndmask_b32_e32 v16, v2, v16, vcc
	v_pk_mov_b32 v[2:3], v[16:17], v[16:17] op_sel:[0,1]
	v_pk_mov_b32 v[4:5], v[18:19], v[18:19] op_sel:[0,1]
	;; [unrolled: 1-line block ×16, first 2 shown]
.LBB8_77:
	s_or_b64 exec, exec, s[14:15]
	v_pk_mov_b32 v[0:1], s[28:29], s[28:29] op_sel:[0,1]
	flat_load_dword v0, v[0:1] offset:24
	s_waitcnt vmcnt(0) lgkmcnt(0)
	v_add_u32_e32 v0, -1, v0
	v_cmp_ne_u32_e32 vcc, 6, v0
	s_and_saveexec_b64 s[14:15], vcc
	s_cbranch_execz .LBB8_79
; %bb.78:
	v_cmp_eq_u32_e32 vcc, 1, v0
	v_cndmask_b32_e32 v1, v2, v4, vcc
	v_cmp_eq_u32_e64 s[0:1], 2, v0
	v_cndmask_b32_e32 v20, v3, v5, vcc
	v_cndmask_b32_e64 v1, v1, v6, s[0:1]
	v_cmp_eq_u32_e64 s[2:3], 3, v0
	v_cndmask_b32_e64 v20, v20, v7, s[0:1]
	v_cndmask_b32_e64 v1, v1, v8, s[2:3]
	v_cmp_eq_u32_e64 s[4:5], 4, v0
	v_cndmask_b32_e64 v20, v20, v9, s[2:3]
	;; [unrolled: 3-line block ×6, first 2 shown]
	v_cndmask_b32_e64 v1, v1, v18, s[12:13]
	v_cndmask_b32_e64 v20, v20, v19, s[12:13]
	;; [unrolled: 1-line block ×4, first 2 shown]
	v_cndmask_b32_e32 v17, v5, v15, vcc
	v_cndmask_b32_e32 v16, v4, v14, vcc
	v_cmp_eq_u32_e32 vcc, 0, v0
	v_cndmask_b32_e64 v27, v20, v15, s[8:9]
	v_cndmask_b32_e64 v26, v1, v14, s[8:9]
	;; [unrolled: 1-line block ×12, first 2 shown]
	v_cndmask_b32_e32 v15, v3, v15, vcc
	v_cndmask_b32_e32 v14, v2, v14, vcc
	v_pk_mov_b32 v[2:3], v[14:15], v[14:15] op_sel:[0,1]
	v_pk_mov_b32 v[4:5], v[16:17], v[16:17] op_sel:[0,1]
	;; [unrolled: 1-line block ×16, first 2 shown]
.LBB8_79:
	s_or_b64 exec, exec, s[14:15]
	v_pk_mov_b32 v[0:1], s[28:29], s[28:29] op_sel:[0,1]
	flat_load_dword v0, v[0:1] offset:20
	s_waitcnt vmcnt(0) lgkmcnt(0)
	v_add_u32_e32 v0, -1, v0
	v_cmp_ne_u32_e32 vcc, 5, v0
	s_and_saveexec_b64 s[14:15], vcc
	s_cbranch_execz .LBB8_81
; %bb.80:
	v_cmp_eq_u32_e32 vcc, 1, v0
	v_cndmask_b32_e32 v1, v2, v4, vcc
	v_cmp_eq_u32_e64 s[0:1], 2, v0
	v_cndmask_b32_e32 v20, v3, v5, vcc
	v_cndmask_b32_e64 v1, v1, v6, s[0:1]
	v_cmp_eq_u32_e64 s[2:3], 3, v0
	v_cndmask_b32_e64 v20, v20, v7, s[0:1]
	v_cndmask_b32_e64 v1, v1, v8, s[2:3]
	v_cmp_eq_u32_e64 s[4:5], 4, v0
	v_cndmask_b32_e64 v20, v20, v9, s[2:3]
	;; [unrolled: 3-line block ×6, first 2 shown]
	v_cndmask_b32_e64 v1, v1, v18, s[12:13]
	v_cndmask_b32_e64 v20, v20, v19, s[12:13]
	;; [unrolled: 1-line block ×4, first 2 shown]
	v_cndmask_b32_e32 v15, v5, v13, vcc
	v_cndmask_b32_e32 v14, v4, v12, vcc
	v_cmp_eq_u32_e32 vcc, 0, v0
	v_cndmask_b32_e64 v23, v20, v13, s[6:7]
	v_cndmask_b32_e64 v22, v1, v12, s[6:7]
	;; [unrolled: 1-line block ×12, first 2 shown]
	v_cndmask_b32_e32 v13, v3, v13, vcc
	v_cndmask_b32_e32 v12, v2, v12, vcc
	v_pk_mov_b32 v[2:3], v[12:13], v[12:13] op_sel:[0,1]
	v_pk_mov_b32 v[4:5], v[14:15], v[14:15] op_sel:[0,1]
	;; [unrolled: 1-line block ×16, first 2 shown]
.LBB8_81:
	s_or_b64 exec, exec, s[14:15]
	v_pk_mov_b32 v[0:1], s[28:29], s[28:29] op_sel:[0,1]
	flat_load_dword v0, v[0:1] offset:16
	s_waitcnt vmcnt(0) lgkmcnt(0)
	v_add_u32_e32 v0, -1, v0
	v_cmp_ne_u32_e32 vcc, 4, v0
	s_and_saveexec_b64 s[14:15], vcc
	s_cbranch_execz .LBB8_83
; %bb.82:
	v_cmp_eq_u32_e32 vcc, 1, v0
	v_cndmask_b32_e32 v1, v2, v4, vcc
	v_cmp_eq_u32_e64 s[0:1], 2, v0
	v_cndmask_b32_e32 v20, v3, v5, vcc
	v_cndmask_b32_e64 v1, v1, v6, s[0:1]
	v_cmp_eq_u32_e64 s[2:3], 3, v0
	v_cndmask_b32_e64 v20, v20, v7, s[0:1]
	v_cndmask_b32_e64 v1, v1, v8, s[2:3]
	v_cmp_eq_u32_e64 s[4:5], 4, v0
	v_cndmask_b32_e64 v20, v20, v9, s[2:3]
	;; [unrolled: 3-line block ×6, first 2 shown]
	v_cndmask_b32_e64 v1, v1, v18, s[12:13]
	v_cndmask_b32_e64 v20, v20, v19, s[12:13]
	;; [unrolled: 1-line block ×4, first 2 shown]
	v_cndmask_b32_e32 v15, v5, v11, vcc
	v_cndmask_b32_e32 v14, v4, v10, vcc
	v_cmp_eq_u32_e32 vcc, 0, v0
	v_cndmask_b32_e64 v21, v20, v11, s[4:5]
	v_cndmask_b32_e64 v20, v1, v10, s[4:5]
	v_cndmask_b32_e64 v29, v19, v11, s[12:13]
	v_cndmask_b32_e64 v28, v18, v10, s[12:13]
	v_cndmask_b32_e64 v27, v17, v11, s[10:11]
	v_cndmask_b32_e64 v26, v16, v10, s[10:11]
	v_cndmask_b32_e64 v23, v13, v11, s[6:7]
	v_cndmask_b32_e64 v22, v12, v10, s[6:7]
	v_cndmask_b32_e64 v19, v9, v11, s[2:3]
	v_cndmask_b32_e64 v18, v8, v10, s[2:3]
	v_cndmask_b32_e64 v17, v7, v11, s[0:1]
	v_cndmask_b32_e64 v16, v6, v10, s[0:1]
	v_cndmask_b32_e32 v13, v3, v11, vcc
	v_cndmask_b32_e32 v12, v2, v10, vcc
	v_pk_mov_b32 v[2:3], v[12:13], v[12:13] op_sel:[0,1]
	v_pk_mov_b32 v[4:5], v[14:15], v[14:15] op_sel:[0,1]
	;; [unrolled: 1-line block ×16, first 2 shown]
.LBB8_83:
	s_or_b64 exec, exec, s[14:15]
	v_pk_mov_b32 v[0:1], s[28:29], s[28:29] op_sel:[0,1]
	flat_load_dword v0, v[0:1] offset:12
	s_waitcnt vmcnt(0) lgkmcnt(0)
	v_add_u32_e32 v0, -1, v0
	v_cmp_ne_u32_e32 vcc, 3, v0
	s_and_saveexec_b64 s[14:15], vcc
	s_cbranch_execz .LBB8_85
; %bb.84:
	v_cmp_eq_u32_e32 vcc, 1, v0
	v_cndmask_b32_e32 v1, v2, v4, vcc
	v_cmp_eq_u32_e64 s[0:1], 2, v0
	v_cndmask_b32_e32 v20, v3, v5, vcc
	v_cndmask_b32_e64 v1, v1, v6, s[0:1]
	v_cmp_eq_u32_e64 s[2:3], 3, v0
	v_cndmask_b32_e64 v20, v20, v7, s[0:1]
	v_cndmask_b32_e64 v1, v1, v8, s[2:3]
	v_cmp_eq_u32_e64 s[4:5], 4, v0
	v_cndmask_b32_e64 v20, v20, v9, s[2:3]
	;; [unrolled: 3-line block ×6, first 2 shown]
	v_cndmask_b32_e64 v1, v1, v18, s[12:13]
	v_cndmask_b32_e64 v20, v20, v19, s[12:13]
	;; [unrolled: 1-line block ×4, first 2 shown]
	v_cndmask_b32_e32 v17, v5, v9, vcc
	v_cndmask_b32_e32 v16, v4, v8, vcc
	v_cmp_eq_u32_e32 vcc, 0, v0
	v_cndmask_b32_e64 v21, v20, v9, s[2:3]
	v_cndmask_b32_e64 v20, v1, v8, s[2:3]
	;; [unrolled: 1-line block ×12, first 2 shown]
	v_cndmask_b32_e32 v15, v3, v9, vcc
	v_cndmask_b32_e32 v14, v2, v8, vcc
	v_pk_mov_b32 v[2:3], v[14:15], v[14:15] op_sel:[0,1]
	v_pk_mov_b32 v[4:5], v[16:17], v[16:17] op_sel:[0,1]
	;; [unrolled: 1-line block ×16, first 2 shown]
.LBB8_85:
	s_or_b64 exec, exec, s[14:15]
	v_pk_mov_b32 v[0:1], s[28:29], s[28:29] op_sel:[0,1]
	flat_load_dword v0, v[0:1] offset:8
	s_waitcnt vmcnt(0) lgkmcnt(0)
	v_add_u32_e32 v0, -1, v0
	v_cmp_ne_u32_e32 vcc, 2, v0
	s_and_saveexec_b64 s[14:15], vcc
	s_cbranch_execz .LBB8_87
; %bb.86:
	v_cmp_eq_u32_e32 vcc, 1, v0
	v_cndmask_b32_e32 v1, v2, v4, vcc
	v_cmp_eq_u32_e64 s[0:1], 2, v0
	v_cndmask_b32_e32 v20, v3, v5, vcc
	v_cndmask_b32_e64 v1, v1, v6, s[0:1]
	v_cmp_eq_u32_e64 s[2:3], 3, v0
	v_cndmask_b32_e64 v20, v20, v7, s[0:1]
	v_cndmask_b32_e64 v1, v1, v8, s[2:3]
	v_cmp_eq_u32_e64 s[4:5], 4, v0
	v_cndmask_b32_e64 v20, v20, v9, s[2:3]
	v_cndmask_b32_e64 v1, v1, v10, s[4:5]
	v_cmp_eq_u32_e64 s[6:7], 5, v0
	v_cndmask_b32_e64 v20, v20, v11, s[4:5]
	v_cndmask_b32_e64 v1, v1, v12, s[6:7]
	v_cmp_eq_u32_e64 s[8:9], 6, v0
	v_cndmask_b32_e64 v20, v20, v13, s[6:7]
	v_cndmask_b32_e64 v1, v1, v14, s[8:9]
	v_cmp_eq_u32_e64 s[10:11], 7, v0
	v_cndmask_b32_e64 v20, v20, v15, s[8:9]
	v_cndmask_b32_e64 v1, v1, v16, s[10:11]
	v_cmp_eq_u32_e64 s[12:13], 8, v0
	v_cndmask_b32_e64 v20, v20, v17, s[10:11]
	v_cndmask_b32_e64 v1, v1, v18, s[12:13]
	v_cndmask_b32_e64 v20, v20, v19, s[12:13]
	;; [unrolled: 1-line block ×4, first 2 shown]
	v_cndmask_b32_e32 v19, v5, v7, vcc
	v_cndmask_b32_e32 v18, v4, v6, vcc
	v_cmp_eq_u32_e32 vcc, 0, v0
	v_cndmask_b32_e64 v21, v20, v7, s[0:1]
	v_cndmask_b32_e64 v20, v1, v6, s[0:1]
	;; [unrolled: 1-line block ×12, first 2 shown]
	v_cndmask_b32_e32 v17, v3, v7, vcc
	v_cndmask_b32_e32 v16, v2, v6, vcc
	v_pk_mov_b32 v[2:3], v[16:17], v[16:17] op_sel:[0,1]
	v_pk_mov_b32 v[4:5], v[18:19], v[18:19] op_sel:[0,1]
	;; [unrolled: 1-line block ×16, first 2 shown]
.LBB8_87:
	s_or_b64 exec, exec, s[14:15]
	v_pk_mov_b32 v[0:1], s[28:29], s[28:29] op_sel:[0,1]
	flat_load_dword v0, v[0:1] offset:4
	s_waitcnt vmcnt(0) lgkmcnt(0)
	v_add_u32_e32 v0, -1, v0
	v_cmp_ne_u32_e32 vcc, 1, v0
	s_and_saveexec_b64 s[14:15], vcc
	s_cbranch_execz .LBB8_89
; %bb.88:
	v_cmp_eq_u32_e32 vcc, 1, v0
	v_cndmask_b32_e32 v1, v2, v4, vcc
	v_cmp_eq_u32_e64 s[0:1], 2, v0
	v_cndmask_b32_e32 v20, v3, v5, vcc
	v_cndmask_b32_e64 v1, v1, v6, s[0:1]
	v_cmp_eq_u32_e64 s[2:3], 3, v0
	v_cndmask_b32_e64 v20, v20, v7, s[0:1]
	v_cndmask_b32_e64 v1, v1, v8, s[2:3]
	v_cmp_eq_u32_e64 s[4:5], 4, v0
	v_cndmask_b32_e64 v20, v20, v9, s[2:3]
	;; [unrolled: 3-line block ×6, first 2 shown]
	v_cndmask_b32_e64 v1, v1, v18, s[12:13]
	v_cndmask_b32_e64 v20, v20, v19, s[12:13]
	v_cndmask_b32_e32 v21, v20, v5, vcc
	v_cndmask_b32_e32 v20, v1, v4, vcc
	v_cmp_eq_u32_e32 vcc, 0, v0
	v_cndmask_b32_e64 v35, v19, v5, s[12:13]
	v_cndmask_b32_e64 v34, v18, v4, s[12:13]
	;; [unrolled: 1-line block ×14, first 2 shown]
	v_cndmask_b32_e32 v19, v3, v5, vcc
	v_cndmask_b32_e32 v18, v2, v4, vcc
	v_pk_mov_b32 v[2:3], v[18:19], v[18:19] op_sel:[0,1]
	v_pk_mov_b32 v[4:5], v[20:21], v[20:21] op_sel:[0,1]
	;; [unrolled: 1-line block ×16, first 2 shown]
.LBB8_89:
	s_or_b64 exec, exec, s[14:15]
	v_pk_mov_b32 v[0:1], s[28:29], s[28:29] op_sel:[0,1]
	flat_load_dword v0, v[0:1]
	s_waitcnt vmcnt(0) lgkmcnt(0)
	v_add_u32_e32 v0, -1, v0
	v_cmp_ne_u32_e32 vcc, 0, v0
	s_and_saveexec_b64 s[16:17], vcc
	s_cbranch_execz .LBB8_91
; %bb.90:
	v_cmp_eq_u32_e32 vcc, 1, v0
	v_cndmask_b32_e32 v1, v2, v4, vcc
	v_cmp_eq_u32_e64 s[0:1], 2, v0
	v_cndmask_b32_e32 v20, v3, v5, vcc
	v_cndmask_b32_e64 v1, v1, v6, s[0:1]
	v_cmp_eq_u32_e64 s[2:3], 3, v0
	v_cndmask_b32_e64 v20, v20, v7, s[0:1]
	v_cndmask_b32_e64 v1, v1, v8, s[2:3]
	v_cmp_eq_u32_e64 s[4:5], 4, v0
	v_cndmask_b32_e64 v20, v20, v9, s[2:3]
	;; [unrolled: 3-line block ×6, first 2 shown]
	v_cndmask_b32_e64 v1, v1, v18, s[12:13]
	v_cndmask_b32_e64 v20, v20, v19, s[12:13]
	v_cmp_eq_u32_e64 s[14:15], 0, v0
	v_cndmask_b32_e64 v21, v20, v3, s[14:15]
	v_cndmask_b32_e64 v20, v1, v2, s[14:15]
	;; [unrolled: 1-line block ×12, first 2 shown]
	v_cndmask_b32_e32 v23, v5, v3, vcc
	v_cndmask_b32_e32 v22, v4, v2, vcc
	v_cndmask_b32_e64 v37, v19, v3, s[12:13]
	v_cndmask_b32_e64 v36, v18, v2, s[12:13]
	;; [unrolled: 1-line block ×4, first 2 shown]
	v_pk_mov_b32 v[2:3], v[20:21], v[20:21] op_sel:[0,1]
	v_pk_mov_b32 v[4:5], v[22:23], v[22:23] op_sel:[0,1]
	;; [unrolled: 1-line block ×16, first 2 shown]
.LBB8_91:
	s_or_b64 exec, exec, s[16:17]
.LBB8_92:
	global_store_dwordx2 v[52:53], v[2:3], off
	global_store_dwordx2 v[54:55], v[4:5], off
	;; [unrolled: 1-line block ×9, first 2 shown]
	s_endpgm
	.section	.rodata,"a",@progbits
	.p2align	6, 0x0
	.amdhsa_kernel _ZN9rocsolver6v33100L18getri_kernel_smallILi9EdPdEEvT1_iilPiilS4_bb
		.amdhsa_group_segment_fixed_size 152
		.amdhsa_private_segment_fixed_size 0
		.amdhsa_kernarg_size 60
		.amdhsa_user_sgpr_count 6
		.amdhsa_user_sgpr_private_segment_buffer 1
		.amdhsa_user_sgpr_dispatch_ptr 0
		.amdhsa_user_sgpr_queue_ptr 0
		.amdhsa_user_sgpr_kernarg_segment_ptr 1
		.amdhsa_user_sgpr_dispatch_id 0
		.amdhsa_user_sgpr_flat_scratch_init 0
		.amdhsa_user_sgpr_kernarg_preload_length 0
		.amdhsa_user_sgpr_kernarg_preload_offset 0
		.amdhsa_user_sgpr_private_segment_size 0
		.amdhsa_uses_dynamic_stack 0
		.amdhsa_system_sgpr_private_segment_wavefront_offset 0
		.amdhsa_system_sgpr_workgroup_id_x 1
		.amdhsa_system_sgpr_workgroup_id_y 0
		.amdhsa_system_sgpr_workgroup_id_z 0
		.amdhsa_system_sgpr_workgroup_info 0
		.amdhsa_system_vgpr_workitem_id 0
		.amdhsa_next_free_vgpr 70
		.amdhsa_next_free_sgpr 40
		.amdhsa_accum_offset 72
		.amdhsa_reserve_vcc 1
		.amdhsa_reserve_flat_scratch 0
		.amdhsa_float_round_mode_32 0
		.amdhsa_float_round_mode_16_64 0
		.amdhsa_float_denorm_mode_32 3
		.amdhsa_float_denorm_mode_16_64 3
		.amdhsa_dx10_clamp 1
		.amdhsa_ieee_mode 1
		.amdhsa_fp16_overflow 0
		.amdhsa_tg_split 0
		.amdhsa_exception_fp_ieee_invalid_op 0
		.amdhsa_exception_fp_denorm_src 0
		.amdhsa_exception_fp_ieee_div_zero 0
		.amdhsa_exception_fp_ieee_overflow 0
		.amdhsa_exception_fp_ieee_underflow 0
		.amdhsa_exception_fp_ieee_inexact 0
		.amdhsa_exception_int_div_zero 0
	.end_amdhsa_kernel
	.section	.text._ZN9rocsolver6v33100L18getri_kernel_smallILi9EdPdEEvT1_iilPiilS4_bb,"axG",@progbits,_ZN9rocsolver6v33100L18getri_kernel_smallILi9EdPdEEvT1_iilPiilS4_bb,comdat
.Lfunc_end8:
	.size	_ZN9rocsolver6v33100L18getri_kernel_smallILi9EdPdEEvT1_iilPiilS4_bb, .Lfunc_end8-_ZN9rocsolver6v33100L18getri_kernel_smallILi9EdPdEEvT1_iilPiilS4_bb
                                        ; -- End function
	.section	.AMDGPU.csdata,"",@progbits
; Kernel info:
; codeLenInByte = 11076
; NumSgprs: 44
; NumVgprs: 70
; NumAgprs: 0
; TotalNumVgprs: 70
; ScratchSize: 0
; MemoryBound: 0
; FloatMode: 240
; IeeeMode: 1
; LDSByteSize: 152 bytes/workgroup (compile time only)
; SGPRBlocks: 5
; VGPRBlocks: 8
; NumSGPRsForWavesPerEU: 44
; NumVGPRsForWavesPerEU: 70
; AccumOffset: 72
; Occupancy: 7
; WaveLimiterHint : 0
; COMPUTE_PGM_RSRC2:SCRATCH_EN: 0
; COMPUTE_PGM_RSRC2:USER_SGPR: 6
; COMPUTE_PGM_RSRC2:TRAP_HANDLER: 0
; COMPUTE_PGM_RSRC2:TGID_X_EN: 1
; COMPUTE_PGM_RSRC2:TGID_Y_EN: 0
; COMPUTE_PGM_RSRC2:TGID_Z_EN: 0
; COMPUTE_PGM_RSRC2:TIDIG_COMP_CNT: 0
; COMPUTE_PGM_RSRC3_GFX90A:ACCUM_OFFSET: 17
; COMPUTE_PGM_RSRC3_GFX90A:TG_SPLIT: 0
	.section	.text._ZN9rocsolver6v33100L18getri_kernel_smallILi10EdPdEEvT1_iilPiilS4_bb,"axG",@progbits,_ZN9rocsolver6v33100L18getri_kernel_smallILi10EdPdEEvT1_iilPiilS4_bb,comdat
	.globl	_ZN9rocsolver6v33100L18getri_kernel_smallILi10EdPdEEvT1_iilPiilS4_bb ; -- Begin function _ZN9rocsolver6v33100L18getri_kernel_smallILi10EdPdEEvT1_iilPiilS4_bb
	.p2align	8
	.type	_ZN9rocsolver6v33100L18getri_kernel_smallILi10EdPdEEvT1_iilPiilS4_bb,@function
_ZN9rocsolver6v33100L18getri_kernel_smallILi10EdPdEEvT1_iilPiilS4_bb: ; @_ZN9rocsolver6v33100L18getri_kernel_smallILi10EdPdEEvT1_iilPiilS4_bb
; %bb.0:
	v_cmp_gt_u32_e32 vcc, 10, v0
	s_and_saveexec_b64 s[0:1], vcc
	s_cbranch_execz .LBB9_16
; %bb.1:
	s_load_dword s12, s[4:5], 0x38
	s_load_dwordx4 s[8:11], s[4:5], 0x10
	s_load_dwordx4 s[24:27], s[4:5], 0x28
                                        ; implicit-def: $sgpr28_sgpr29
	s_waitcnt lgkmcnt(0)
	s_bitcmp1_b32 s12, 8
	s_cselect_b64 s[30:31], -1, 0
	s_ashr_i32 s7, s6, 31
	s_bfe_u32 s0, s12, 0x10008
	s_cmp_eq_u32 s0, 0
	s_cbranch_scc1 .LBB9_3
; %bb.2:
	s_load_dword s0, s[4:5], 0x20
	s_mul_i32 s1, s6, s25
	s_mul_hi_u32 s2, s6, s24
	s_mul_i32 s3, s7, s24
	s_add_i32 s2, s2, s1
	s_add_i32 s3, s2, s3
	s_mul_i32 s2, s6, s24
	s_waitcnt lgkmcnt(0)
	s_ashr_i32 s1, s0, 31
	s_lshl_b64 s[2:3], s[2:3], 2
	s_add_u32 s2, s10, s2
	s_addc_u32 s3, s11, s3
	s_lshl_b64 s[0:1], s[0:1], 2
	s_add_u32 s28, s2, s0
	s_addc_u32 s29, s3, s1
.LBB9_3:
	s_load_dwordx4 s[0:3], s[4:5], 0x0
	s_mul_i32 s4, s6, s9
	s_mul_hi_u32 s5, s6, s8
	s_add_i32 s9, s5, s4
	v_lshlrev_b32_e32 v24, 3, v0
	s_waitcnt lgkmcnt(0)
	s_ashr_i32 s5, s2, 31
	s_mov_b32 s4, s2
	s_mul_i32 s2, s7, s8
	s_add_i32 s9, s9, s2
	s_mul_i32 s8, s6, s8
	s_lshl_b64 s[8:9], s[8:9], 3
	s_add_u32 s2, s0, s8
	s_addc_u32 s8, s1, s9
	s_lshl_b64 s[0:1], s[4:5], 3
	s_add_u32 s0, s2, s0
	s_addc_u32 s1, s8, s1
	v_mov_b32_e32 v1, s1
	v_add_co_u32_e32 v52, vcc, s0, v24
	s_ashr_i32 s5, s3, 31
	s_mov_b32 s4, s3
	s_add_i32 s2, s3, s3
	v_addc_co_u32_e32 v53, vcc, 0, v1, vcc
	s_lshl_b64 s[4:5], s[4:5], 3
	v_add_u32_e32 v2, s2, v0
	v_mov_b32_e32 v1, s5
	v_add_co_u32_e32 v54, vcc, s4, v52
	v_ashrrev_i32_e32 v3, 31, v2
	v_addc_co_u32_e32 v55, vcc, v53, v1, vcc
	v_lshlrev_b64 v[4:5], 3, v[2:3]
	v_add_u32_e32 v2, s3, v2
	v_mov_b32_e32 v1, s1
	v_add_co_u32_e32 v56, vcc, s0, v4
	v_ashrrev_i32_e32 v3, 31, v2
	v_addc_co_u32_e32 v57, vcc, v1, v5, vcc
	v_lshlrev_b64 v[4:5], 3, v[2:3]
	v_add_u32_e32 v2, s3, v2
	v_add_co_u32_e32 v58, vcc, s0, v4
	v_ashrrev_i32_e32 v3, 31, v2
	v_addc_co_u32_e32 v59, vcc, v1, v5, vcc
	v_lshlrev_b64 v[4:5], 3, v[2:3]
	v_add_u32_e32 v2, s3, v2
	;; [unrolled: 5-line block ×6, first 2 shown]
	v_add_co_u32_e32 v68, vcc, s0, v12
	v_ashrrev_i32_e32 v3, 31, v2
	global_load_dwordx2 v[4:5], v[54:55], off
	global_load_dwordx2 v[6:7], v[56:57], off
	;; [unrolled: 1-line block ×4, first 2 shown]
	v_addc_co_u32_e32 v69, vcc, v1, v13, vcc
	global_load_dwordx2 v[12:13], v[62:63], off
	global_load_dwordx2 v[14:15], v[64:65], off
	global_load_dwordx2 v[16:17], v[66:67], off
	global_load_dwordx2 v[18:19], v[68:69], off
	v_lshlrev_b64 v[2:3], 3, v[2:3]
	v_add_co_u32_e32 v70, vcc, s0, v2
	v_addc_co_u32_e32 v71, vcc, v1, v3, vcc
	global_load_dwordx2 v[2:3], v24, s[0:1]
	global_load_dwordx2 v[20:21], v[70:71], off
	v_mov_b32_e32 v1, 0
	s_bitcmp0_b32 s12, 0
	s_mov_b64 s[0:1], -1
	s_cbranch_scc1 .LBB9_14
; %bb.4:
	v_cmp_eq_u32_e64 s[0:1], 0, v0
	s_and_saveexec_b64 s[2:3], s[0:1]
	s_cbranch_execz .LBB9_6
; %bb.5:
	v_mov_b32_e32 v22, 0
	ds_write_b32 v22, v22 offset:160
.LBB9_6:
	s_or_b64 exec, exec, s[2:3]
	v_cmp_eq_u32_e32 vcc, 1, v0
	s_waitcnt vmcnt(1)
	v_cndmask_b32_e32 v22, v3, v5, vcc
	v_cmp_eq_u32_e64 s[2:3], 2, v0
	v_cndmask_b32_e64 v22, v22, v7, s[2:3]
	v_cmp_eq_u32_e64 s[4:5], 3, v0
	v_cndmask_b32_e64 v22, v22, v9, s[4:5]
	;; [unrolled: 2-line block ×7, first 2 shown]
	v_cmp_eq_u32_e64 s[18:19], 9, v0
	s_waitcnt vmcnt(0)
	v_cndmask_b32_e64 v23, v22, v21, s[18:19]
	v_cndmask_b32_e32 v22, v2, v4, vcc
	v_cndmask_b32_e64 v22, v22, v6, s[2:3]
	v_cndmask_b32_e64 v22, v22, v8, s[4:5]
	;; [unrolled: 1-line block ×8, first 2 shown]
	v_cmp_eq_f64_e32 vcc, 0, v[22:23]
	s_waitcnt lgkmcnt(0)
	; wave barrier
	s_waitcnt lgkmcnt(0)
	s_and_saveexec_b64 s[4:5], vcc
	s_cbranch_execz .LBB9_10
; %bb.7:
	v_mov_b32_e32 v25, 0
	ds_read_b32 v27, v25 offset:160
	v_add_u32_e32 v26, 1, v0
	s_waitcnt lgkmcnt(0)
	v_readfirstlane_b32 s2, v27
	s_cmp_eq_u32 s2, 0
	s_cselect_b64 s[8:9], -1, 0
	v_cmp_gt_i32_e32 vcc, s2, v26
	s_or_b64 s[8:9], s[8:9], vcc
	s_and_b64 exec, exec, s[8:9]
	s_cbranch_execz .LBB9_10
; %bb.8:
	s_mov_b64 s[8:9], 0
	v_mov_b32_e32 v27, s2
.LBB9_9:                                ; =>This Inner Loop Header: Depth=1
	ds_cmpst_rtn_b32 v27, v25, v27, v26 offset:160
	s_waitcnt lgkmcnt(0)
	v_cmp_ne_u32_e32 vcc, 0, v27
	v_cmp_le_i32_e64 s[2:3], v27, v26
	s_and_b64 s[2:3], vcc, s[2:3]
	s_and_b64 s[2:3], exec, s[2:3]
	s_or_b64 s[8:9], s[2:3], s[8:9]
	s_andn2_b64 exec, exec, s[8:9]
	s_cbranch_execnz .LBB9_9
.LBB9_10:
	s_or_b64 exec, exec, s[4:5]
	v_mov_b32_e32 v26, 0
	s_waitcnt lgkmcnt(0)
	; wave barrier
	ds_read_b32 v25, v26 offset:160
	s_and_saveexec_b64 s[2:3], s[0:1]
	s_cbranch_execz .LBB9_12
; %bb.11:
	s_lshl_b64 s[4:5], s[6:7], 2
	s_add_u32 s4, s26, s4
	s_addc_u32 s5, s27, s5
	s_waitcnt lgkmcnt(0)
	global_store_dword v26, v25, s[4:5]
.LBB9_12:
	s_or_b64 exec, exec, s[2:3]
	s_waitcnt lgkmcnt(0)
	v_cmp_ne_u32_e32 vcc, 0, v25
	s_cbranch_vccz .LBB9_17
; %bb.13:
	s_mov_b64 s[0:1], 0
                                        ; implicit-def: $vgpr2_vgpr3_vgpr4_vgpr5_vgpr6_vgpr7_vgpr8_vgpr9_vgpr10_vgpr11_vgpr12_vgpr13_vgpr14_vgpr15_vgpr16_vgpr17_vgpr18_vgpr19_vgpr20_vgpr21_vgpr22_vgpr23_vgpr24_vgpr25_vgpr26_vgpr27_vgpr28_vgpr29_vgpr30_vgpr31_vgpr32_vgpr33
.LBB9_14:
	s_and_b64 vcc, exec, s[0:1]
	s_cbranch_vccz .LBB9_16
.LBB9_15:
	s_lshl_b64 s[0:1], s[6:7], 2
	s_add_u32 s0, s26, s0
	s_addc_u32 s1, s27, s1
	v_mov_b32_e32 v1, 0
	global_load_dword v1, v1, s[0:1]
	s_waitcnt vmcnt(0)
	v_cmp_ne_u32_e32 vcc, 0, v1
	s_cbranch_vccz .LBB9_62
.LBB9_16:
	s_endpgm
.LBB9_17:
	v_div_scale_f64 v[26:27], s[2:3], v[22:23], v[22:23], 1.0
	v_rcp_f64_e32 v[28:29], v[26:27]
	v_div_scale_f64 v[30:31], vcc, 1.0, v[22:23], 1.0
	v_fma_f64 v[32:33], -v[26:27], v[28:29], 1.0
	v_fmac_f64_e32 v[28:29], v[28:29], v[32:33]
	v_fma_f64 v[32:33], -v[26:27], v[28:29], 1.0
	v_fmac_f64_e32 v[28:29], v[28:29], v[32:33]
	v_mul_f64 v[32:33], v[30:31], v[28:29]
	v_fma_f64 v[26:27], -v[26:27], v[32:33], v[30:31]
	v_div_fmas_f64 v[26:27], v[26:27], v[28:29], v[32:33]
	v_div_fixup_f64 v[22:23], v[26:27], v[22:23], 1.0
	v_cmp_eq_u32_e32 vcc, 9, v0
	v_cndmask_b32_e32 v21, v21, v23, vcc
	v_cndmask_b32_e32 v20, v20, v22, vcc
	v_cmp_eq_u32_e32 vcc, 8, v0
	v_cndmask_b32_e32 v19, v19, v23, vcc
	v_cndmask_b32_e32 v18, v18, v22, vcc
	v_cmp_eq_u32_e32 vcc, 7, v0
	v_cndmask_b32_e32 v17, v17, v23, vcc
	v_cndmask_b32_e32 v16, v16, v22, vcc
	v_cmp_eq_u32_e32 vcc, 6, v0
	v_cndmask_b32_e32 v15, v15, v23, vcc
	v_cndmask_b32_e32 v14, v14, v22, vcc
	v_cmp_eq_u32_e32 vcc, 5, v0
	v_cndmask_b32_e32 v13, v13, v23, vcc
	v_cndmask_b32_e32 v12, v12, v22, vcc
	v_cmp_eq_u32_e32 vcc, 4, v0
	v_cndmask_b32_e32 v11, v11, v23, vcc
	v_cndmask_b32_e32 v10, v10, v22, vcc
	v_cmp_eq_u32_e32 vcc, 3, v0
	v_cndmask_b32_e32 v9, v9, v23, vcc
	v_cndmask_b32_e32 v8, v8, v22, vcc
	v_cmp_eq_u32_e32 vcc, 2, v0
	v_cndmask_b32_e32 v7, v7, v23, vcc
	v_cndmask_b32_e32 v6, v6, v22, vcc
	v_cmp_eq_u32_e32 vcc, 1, v0
	v_cndmask_b32_e32 v5, v5, v23, vcc
	v_cndmask_b32_e32 v4, v4, v22, vcc
	v_cmp_eq_u32_e32 vcc, 0, v0
	v_cndmask_b32_e32 v3, v3, v23, vcc
	v_cndmask_b32_e32 v2, v2, v22, vcc
	v_xor_b32_e32 v29, 0x80000000, v23
	v_mov_b32_e32 v28, v22
	v_add_u32_e32 v26, 0x50, v24
	ds_write2_b64 v24, v[28:29], v[4:5] offset1:10
	s_waitcnt lgkmcnt(0)
	; wave barrier
	s_waitcnt lgkmcnt(0)
	s_and_saveexec_b64 s[2:3], s[0:1]
	s_cbranch_execz .LBB9_19
; %bb.18:
	v_mov_b32_e32 v24, 0
	ds_read_b64 v[4:5], v26
	ds_read_b64 v[24:25], v24 offset:8
	s_waitcnt lgkmcnt(1)
	v_fma_f64 v[4:5], v[22:23], v[4:5], 0
	s_waitcnt lgkmcnt(0)
	v_mul_f64 v[4:5], v[4:5], v[24:25]
.LBB9_19:
	s_or_b64 exec, exec, s[2:3]
	v_cmp_gt_u32_e32 vcc, 2, v0
	s_waitcnt lgkmcnt(0)
	; wave barrier
	ds_write_b64 v26, v[6:7]
	s_waitcnt lgkmcnt(0)
	; wave barrier
	s_waitcnt lgkmcnt(0)
	s_and_saveexec_b64 s[22:23], vcc
	s_cbranch_execz .LBB9_21
; %bb.20:
	v_cmp_eq_u32_e64 s[2:3], 1, v0
	v_cndmask_b32_e64 v22, v3, v5, s[2:3]
	v_cmp_eq_u32_e64 s[4:5], 2, v0
	v_cndmask_b32_e64 v7, v22, v7, s[4:5]
	v_cndmask_b32_e64 v22, v2, v4, s[2:3]
	v_cmp_eq_u32_e64 s[8:9], 3, v0
	v_cndmask_b32_e64 v6, v22, v6, s[4:5]
	;; [unrolled: 3-line block ×5, first 2 shown]
	ds_read_b64 v[28:29], v26
	v_mov_b32_e32 v22, 0
	v_cndmask_b32_e64 v7, v7, v15, s[14:15]
	v_cmp_eq_u32_e64 s[16:17], 7, v0
	v_cndmask_b32_e64 v6, v6, v14, s[14:15]
	ds_read2_b64 v[22:25], v22 offset0:2 offset1:11
	v_cndmask_b32_e64 v7, v7, v17, s[16:17]
	v_cmp_eq_u32_e64 s[18:19], 8, v0
	v_cndmask_b32_e64 v6, v6, v16, s[16:17]
	v_cndmask_b32_e64 v7, v7, v19, s[18:19]
	v_cmp_eq_u32_e64 s[20:21], 9, v0
	v_cndmask_b32_e64 v6, v6, v18, s[18:19]
	v_cndmask_b32_e64 v7, v7, v21, s[20:21]
	;; [unrolled: 1-line block ×3, first 2 shown]
	s_waitcnt lgkmcnt(1)
	v_fma_f64 v[6:7], v[6:7], v[28:29], 0
	s_waitcnt lgkmcnt(0)
	v_fma_f64 v[24:25], v[4:5], v[24:25], v[6:7]
	v_cndmask_b32_e64 v7, v7, v25, s[0:1]
	v_cndmask_b32_e64 v6, v6, v24, s[0:1]
	v_mul_f64 v[6:7], v[6:7], v[22:23]
.LBB9_21:
	s_or_b64 exec, exec, s[22:23]
	v_cmp_gt_u32_e64 s[2:3], 3, v0
	s_waitcnt lgkmcnt(0)
	; wave barrier
	ds_write_b64 v26, v[8:9]
	s_waitcnt lgkmcnt(0)
	; wave barrier
	s_waitcnt lgkmcnt(0)
	s_and_saveexec_b64 s[10:11], s[2:3]
	s_cbranch_execz .LBB9_25
; %bb.22:
	v_mov_b32_e32 v22, 0x50
	v_lshl_add_u32 v27, v0, 3, v22
	s_mov_b64 s[12:13], 0
	v_pk_mov_b32 v[22:23], 0, 0
	v_pk_mov_b32 v[24:25], v[0:1], v[0:1] op_sel:[0,1]
.LBB9_23:                               ; =>This Inner Loop Header: Depth=1
	v_cmp_eq_u32_e64 s[2:3], 1, v24
	v_cndmask_b32_e64 v30, v3, v5, s[2:3]
	v_cmp_eq_u32_e64 s[4:5], 2, v24
	v_cndmask_b32_e64 v30, v30, v7, s[4:5]
	v_cndmask_b32_e64 v31, v2, v4, s[2:3]
	v_cmp_eq_u32_e64 s[2:3], 3, v24
	v_cndmask_b32_e64 v30, v30, v9, s[2:3]
	v_cndmask_b32_e64 v31, v31, v6, s[4:5]
	v_cmp_eq_u32_e64 s[4:5], 4, v24
	v_cndmask_b32_e64 v30, v30, v11, s[4:5]
	v_cndmask_b32_e64 v31, v31, v8, s[2:3]
	v_cmp_eq_u32_e64 s[2:3], 5, v24
	v_cndmask_b32_e64 v30, v30, v13, s[2:3]
	v_cndmask_b32_e64 v31, v31, v10, s[4:5]
	v_cmp_eq_u32_e64 s[4:5], 6, v24
	ds_read_b64 v[28:29], v27
	v_cndmask_b32_e64 v30, v30, v15, s[4:5]
	v_cndmask_b32_e64 v31, v31, v12, s[2:3]
	v_cmp_eq_u32_e64 s[2:3], 7, v24
	v_cndmask_b32_e64 v30, v30, v17, s[2:3]
	v_cndmask_b32_e64 v31, v31, v14, s[4:5]
	v_cmp_eq_u32_e64 s[4:5], 8, v24
	v_cndmask_b32_e64 v30, v30, v19, s[4:5]
	v_cmp_eq_u32_e64 s[8:9], 9, v24
	v_cndmask_b32_e64 v32, v31, v16, s[2:3]
	v_add_co_u32_e64 v24, s[2:3], 1, v24
	v_addc_co_u32_e64 v25, s[2:3], 0, v25, s[2:3]
	v_cndmask_b32_e64 v31, v30, v21, s[8:9]
	v_cndmask_b32_e64 v30, v32, v18, s[4:5]
	v_add_u32_e32 v32, -1, v24
	v_cndmask_b32_e64 v30, v30, v20, s[8:9]
	v_cmp_lt_u32_e64 s[2:3], 1, v32
	v_add_u32_e32 v27, 8, v27
	s_or_b64 s[12:13], s[2:3], s[12:13]
	s_waitcnt lgkmcnt(0)
	v_fmac_f64_e32 v[22:23], v[30:31], v[28:29]
	s_andn2_b64 exec, exec, s[12:13]
	s_cbranch_execnz .LBB9_23
; %bb.24:
	s_or_b64 exec, exec, s[12:13]
	v_mov_b32_e32 v8, 0
	ds_read_b64 v[8:9], v8 offset:24
	s_waitcnt lgkmcnt(0)
	v_mul_f64 v[8:9], v[22:23], v[8:9]
.LBB9_25:
	s_or_b64 exec, exec, s[10:11]
	v_cmp_gt_u32_e64 s[2:3], 4, v0
	s_waitcnt lgkmcnt(0)
	; wave barrier
	ds_write_b64 v26, v[10:11]
	s_waitcnt lgkmcnt(0)
	; wave barrier
	s_waitcnt lgkmcnt(0)
	s_and_saveexec_b64 s[12:13], s[2:3]
	s_cbranch_execz .LBB9_29
; %bb.26:
	v_mov_b32_e32 v22, 0x50
	v_lshl_add_u32 v27, v0, 3, v22
	s_mov_b64 s[14:15], 0
	v_pk_mov_b32 v[22:23], 0, 0
	v_pk_mov_b32 v[24:25], v[0:1], v[0:1] op_sel:[0,1]
.LBB9_27:                               ; =>This Inner Loop Header: Depth=1
	v_cmp_eq_u32_e64 s[4:5], 1, v24
	v_cndmask_b32_e64 v30, v3, v5, s[4:5]
	v_cmp_eq_u32_e64 s[8:9], 2, v24
	v_cndmask_b32_e64 v30, v30, v7, s[8:9]
	v_cndmask_b32_e64 v31, v2, v4, s[4:5]
	v_cmp_eq_u32_e64 s[4:5], 3, v24
	v_cndmask_b32_e64 v30, v30, v9, s[4:5]
	v_cndmask_b32_e64 v31, v31, v6, s[8:9]
	v_cmp_eq_u32_e64 s[8:9], 4, v24
	v_cndmask_b32_e64 v30, v30, v11, s[8:9]
	v_cndmask_b32_e64 v31, v31, v8, s[4:5]
	v_cmp_eq_u32_e64 s[4:5], 5, v24
	v_cndmask_b32_e64 v30, v30, v13, s[4:5]
	v_cndmask_b32_e64 v31, v31, v10, s[8:9]
	v_cmp_eq_u32_e64 s[8:9], 6, v24
	ds_read_b64 v[28:29], v27
	v_cndmask_b32_e64 v30, v30, v15, s[8:9]
	v_cndmask_b32_e64 v31, v31, v12, s[4:5]
	v_cmp_eq_u32_e64 s[4:5], 7, v24
	v_cndmask_b32_e64 v30, v30, v17, s[4:5]
	v_cndmask_b32_e64 v31, v31, v14, s[8:9]
	v_cmp_eq_u32_e64 s[8:9], 8, v24
	v_cndmask_b32_e64 v30, v30, v19, s[8:9]
	v_cmp_eq_u32_e64 s[10:11], 9, v24
	v_cndmask_b32_e64 v32, v31, v16, s[4:5]
	v_add_co_u32_e64 v24, s[4:5], 1, v24
	v_addc_co_u32_e64 v25, s[4:5], 0, v25, s[4:5]
	v_cndmask_b32_e64 v31, v30, v21, s[10:11]
	v_cndmask_b32_e64 v30, v32, v18, s[8:9]
	v_add_u32_e32 v32, -1, v24
	v_cndmask_b32_e64 v30, v30, v20, s[10:11]
	v_cmp_lt_u32_e64 s[4:5], 2, v32
	v_add_u32_e32 v27, 8, v27
	s_or_b64 s[14:15], s[4:5], s[14:15]
	s_waitcnt lgkmcnt(0)
	v_fmac_f64_e32 v[22:23], v[30:31], v[28:29]
	s_andn2_b64 exec, exec, s[14:15]
	s_cbranch_execnz .LBB9_27
; %bb.28:
	s_or_b64 exec, exec, s[14:15]
	v_mov_b32_e32 v10, 0
	ds_read_b64 v[10:11], v10 offset:32
	s_waitcnt lgkmcnt(0)
	v_mul_f64 v[10:11], v[22:23], v[10:11]
.LBB9_29:
	s_or_b64 exec, exec, s[12:13]
	v_cmp_gt_u32_e64 s[4:5], 5, v0
	s_waitcnt lgkmcnt(0)
	; wave barrier
	ds_write_b64 v26, v[12:13]
	s_waitcnt lgkmcnt(0)
	; wave barrier
	s_waitcnt lgkmcnt(0)
	s_and_saveexec_b64 s[12:13], s[4:5]
	s_cbranch_execz .LBB9_33
; %bb.30:
	v_mov_b32_e32 v22, 0x50
	v_lshl_add_u32 v27, v0, 3, v22
	s_mov_b64 s[14:15], 0
	v_pk_mov_b32 v[22:23], 0, 0
	v_pk_mov_b32 v[24:25], v[0:1], v[0:1] op_sel:[0,1]
.LBB9_31:                               ; =>This Inner Loop Header: Depth=1
	v_cmp_eq_u32_e64 s[4:5], 1, v24
	v_cndmask_b32_e64 v30, v3, v5, s[4:5]
	v_cmp_eq_u32_e64 s[8:9], 2, v24
	v_cndmask_b32_e64 v30, v30, v7, s[8:9]
	v_cndmask_b32_e64 v31, v2, v4, s[4:5]
	v_cmp_eq_u32_e64 s[4:5], 3, v24
	v_cndmask_b32_e64 v30, v30, v9, s[4:5]
	v_cndmask_b32_e64 v31, v31, v6, s[8:9]
	v_cmp_eq_u32_e64 s[8:9], 4, v24
	v_cndmask_b32_e64 v30, v30, v11, s[8:9]
	v_cndmask_b32_e64 v31, v31, v8, s[4:5]
	v_cmp_eq_u32_e64 s[4:5], 5, v24
	v_cndmask_b32_e64 v30, v30, v13, s[4:5]
	v_cndmask_b32_e64 v31, v31, v10, s[8:9]
	v_cmp_eq_u32_e64 s[8:9], 6, v24
	ds_read_b64 v[28:29], v27
	v_cndmask_b32_e64 v30, v30, v15, s[8:9]
	v_cndmask_b32_e64 v31, v31, v12, s[4:5]
	v_cmp_eq_u32_e64 s[4:5], 7, v24
	v_cndmask_b32_e64 v30, v30, v17, s[4:5]
	v_cndmask_b32_e64 v31, v31, v14, s[8:9]
	v_cmp_eq_u32_e64 s[8:9], 8, v24
	v_cndmask_b32_e64 v30, v30, v19, s[8:9]
	v_cmp_eq_u32_e64 s[10:11], 9, v24
	v_cndmask_b32_e64 v32, v31, v16, s[4:5]
	v_add_co_u32_e64 v24, s[4:5], 1, v24
	v_addc_co_u32_e64 v25, s[4:5], 0, v25, s[4:5]
	v_cndmask_b32_e64 v31, v30, v21, s[10:11]
	v_cndmask_b32_e64 v30, v32, v18, s[8:9]
	v_add_u32_e32 v32, -1, v24
	v_cndmask_b32_e64 v30, v30, v20, s[10:11]
	v_cmp_lt_u32_e64 s[4:5], 3, v32
	v_add_u32_e32 v27, 8, v27
	s_or_b64 s[14:15], s[4:5], s[14:15]
	s_waitcnt lgkmcnt(0)
	v_fmac_f64_e32 v[22:23], v[30:31], v[28:29]
	s_andn2_b64 exec, exec, s[14:15]
	s_cbranch_execnz .LBB9_31
; %bb.32:
	s_or_b64 exec, exec, s[14:15]
	v_mov_b32_e32 v12, 0
	ds_read_b64 v[12:13], v12 offset:40
	s_waitcnt lgkmcnt(0)
	v_mul_f64 v[12:13], v[22:23], v[12:13]
.LBB9_33:
	s_or_b64 exec, exec, s[12:13]
	v_cmp_gt_u32_e64 s[4:5], 6, v0
	s_waitcnt lgkmcnt(0)
	; wave barrier
	ds_write_b64 v26, v[14:15]
	s_waitcnt lgkmcnt(0)
	; wave barrier
	s_waitcnt lgkmcnt(0)
	s_and_saveexec_b64 s[14:15], s[4:5]
	s_cbranch_execz .LBB9_37
; %bb.34:
	v_mov_b32_e32 v22, 0x50
	v_lshl_add_u32 v27, v0, 3, v22
	s_mov_b64 s[16:17], 0
	v_pk_mov_b32 v[22:23], 0, 0
	v_pk_mov_b32 v[24:25], v[0:1], v[0:1] op_sel:[0,1]
.LBB9_35:                               ; =>This Inner Loop Header: Depth=1
	v_cmp_eq_u32_e64 s[8:9], 1, v24
	v_cndmask_b32_e64 v30, v3, v5, s[8:9]
	v_cmp_eq_u32_e64 s[10:11], 2, v24
	v_cndmask_b32_e64 v30, v30, v7, s[10:11]
	v_cndmask_b32_e64 v31, v2, v4, s[8:9]
	v_cmp_eq_u32_e64 s[8:9], 3, v24
	v_cndmask_b32_e64 v30, v30, v9, s[8:9]
	v_cndmask_b32_e64 v31, v31, v6, s[10:11]
	v_cmp_eq_u32_e64 s[10:11], 4, v24
	v_cndmask_b32_e64 v30, v30, v11, s[10:11]
	v_cndmask_b32_e64 v31, v31, v8, s[8:9]
	v_cmp_eq_u32_e64 s[8:9], 5, v24
	v_cndmask_b32_e64 v30, v30, v13, s[8:9]
	v_cndmask_b32_e64 v31, v31, v10, s[10:11]
	v_cmp_eq_u32_e64 s[10:11], 6, v24
	ds_read_b64 v[28:29], v27
	v_cndmask_b32_e64 v30, v30, v15, s[10:11]
	v_cndmask_b32_e64 v31, v31, v12, s[8:9]
	v_cmp_eq_u32_e64 s[8:9], 7, v24
	v_cndmask_b32_e64 v30, v30, v17, s[8:9]
	v_cndmask_b32_e64 v31, v31, v14, s[10:11]
	v_cmp_eq_u32_e64 s[10:11], 8, v24
	v_cndmask_b32_e64 v30, v30, v19, s[10:11]
	v_cmp_eq_u32_e64 s[12:13], 9, v24
	v_cndmask_b32_e64 v32, v31, v16, s[8:9]
	v_add_co_u32_e64 v24, s[8:9], 1, v24
	v_addc_co_u32_e64 v25, s[8:9], 0, v25, s[8:9]
	v_cndmask_b32_e64 v31, v30, v21, s[12:13]
	v_cndmask_b32_e64 v30, v32, v18, s[10:11]
	v_add_u32_e32 v32, -1, v24
	v_cndmask_b32_e64 v30, v30, v20, s[12:13]
	v_cmp_lt_u32_e64 s[8:9], 4, v32
	v_add_u32_e32 v27, 8, v27
	s_or_b64 s[16:17], s[8:9], s[16:17]
	s_waitcnt lgkmcnt(0)
	v_fmac_f64_e32 v[22:23], v[30:31], v[28:29]
	s_andn2_b64 exec, exec, s[16:17]
	s_cbranch_execnz .LBB9_35
; %bb.36:
	s_or_b64 exec, exec, s[16:17]
	v_mov_b32_e32 v14, 0
	ds_read_b64 v[14:15], v14 offset:48
	s_waitcnt lgkmcnt(0)
	v_mul_f64 v[14:15], v[22:23], v[14:15]
.LBB9_37:
	s_or_b64 exec, exec, s[14:15]
	v_cmp_gt_u32_e64 s[8:9], 7, v0
	s_waitcnt lgkmcnt(0)
	; wave barrier
	ds_write_b64 v26, v[16:17]
	s_waitcnt lgkmcnt(0)
	; wave barrier
	s_waitcnt lgkmcnt(0)
	s_and_saveexec_b64 s[14:15], s[8:9]
	s_cbranch_execz .LBB9_41
; %bb.38:
	v_mov_b32_e32 v22, 0x50
	v_lshl_add_u32 v27, v0, 3, v22
	s_mov_b64 s[16:17], 0
	v_pk_mov_b32 v[22:23], 0, 0
	v_pk_mov_b32 v[24:25], v[0:1], v[0:1] op_sel:[0,1]
.LBB9_39:                               ; =>This Inner Loop Header: Depth=1
	v_cmp_eq_u32_e64 s[8:9], 1, v24
	v_cndmask_b32_e64 v30, v3, v5, s[8:9]
	v_cmp_eq_u32_e64 s[10:11], 2, v24
	v_cndmask_b32_e64 v30, v30, v7, s[10:11]
	v_cndmask_b32_e64 v31, v2, v4, s[8:9]
	v_cmp_eq_u32_e64 s[8:9], 3, v24
	v_cndmask_b32_e64 v30, v30, v9, s[8:9]
	v_cndmask_b32_e64 v31, v31, v6, s[10:11]
	v_cmp_eq_u32_e64 s[10:11], 4, v24
	v_cndmask_b32_e64 v30, v30, v11, s[10:11]
	v_cndmask_b32_e64 v31, v31, v8, s[8:9]
	v_cmp_eq_u32_e64 s[8:9], 5, v24
	v_cndmask_b32_e64 v30, v30, v13, s[8:9]
	v_cndmask_b32_e64 v31, v31, v10, s[10:11]
	v_cmp_eq_u32_e64 s[10:11], 6, v24
	ds_read_b64 v[28:29], v27
	v_cndmask_b32_e64 v30, v30, v15, s[10:11]
	v_cndmask_b32_e64 v31, v31, v12, s[8:9]
	v_cmp_eq_u32_e64 s[8:9], 7, v24
	v_cndmask_b32_e64 v30, v30, v17, s[8:9]
	v_cndmask_b32_e64 v31, v31, v14, s[10:11]
	v_cmp_eq_u32_e64 s[10:11], 8, v24
	v_cndmask_b32_e64 v30, v30, v19, s[10:11]
	v_cmp_eq_u32_e64 s[12:13], 9, v24
	v_cndmask_b32_e64 v32, v31, v16, s[8:9]
	v_add_co_u32_e64 v24, s[8:9], 1, v24
	v_addc_co_u32_e64 v25, s[8:9], 0, v25, s[8:9]
	v_cndmask_b32_e64 v31, v30, v21, s[12:13]
	v_cndmask_b32_e64 v30, v32, v18, s[10:11]
	v_add_u32_e32 v32, -1, v24
	v_cndmask_b32_e64 v30, v30, v20, s[12:13]
	v_cmp_lt_u32_e64 s[8:9], 5, v32
	v_add_u32_e32 v27, 8, v27
	s_or_b64 s[16:17], s[8:9], s[16:17]
	s_waitcnt lgkmcnt(0)
	v_fmac_f64_e32 v[22:23], v[30:31], v[28:29]
	s_andn2_b64 exec, exec, s[16:17]
	s_cbranch_execnz .LBB9_39
; %bb.40:
	s_or_b64 exec, exec, s[16:17]
	v_mov_b32_e32 v16, 0
	ds_read_b64 v[16:17], v16 offset:56
	s_waitcnt lgkmcnt(0)
	v_mul_f64 v[16:17], v[22:23], v[16:17]
.LBB9_41:
	s_or_b64 exec, exec, s[14:15]
	v_cmp_gt_u32_e64 s[8:9], 8, v0
	s_waitcnt lgkmcnt(0)
	; wave barrier
	ds_write_b64 v26, v[18:19]
	s_waitcnt lgkmcnt(0)
	; wave barrier
	s_waitcnt lgkmcnt(0)
	s_and_saveexec_b64 s[34:35], s[8:9]
	s_cbranch_execz .LBB9_57
; %bb.42:
	v_cmp_eq_u32_e64 s[8:9], 1, v0
	v_cndmask_b32_e64 v22, v3, v5, s[8:9]
	v_cmp_eq_u32_e64 s[10:11], 2, v0
	v_cndmask_b32_e64 v22, v22, v7, s[10:11]
	;; [unrolled: 2-line block ×9, first 2 shown]
	v_cndmask_b32_e64 v22, v2, v4, s[8:9]
	v_cndmask_b32_e64 v22, v22, v6, s[10:11]
	;; [unrolled: 1-line block ×5, first 2 shown]
	ds_read_b64 v[24:25], v26
	v_cndmask_b32_e64 v22, v22, v14, s[18:19]
	v_cndmask_b32_e64 v22, v22, v16, s[20:21]
	;; [unrolled: 1-line block ×4, first 2 shown]
	s_waitcnt lgkmcnt(0)
	v_fma_f64 v[22:23], v[22:23], v[24:25], 0
	v_cmp_ne_u32_e64 s[8:9], 7, v0
	s_and_saveexec_b64 s[36:37], s[8:9]
	s_cbranch_execz .LBB9_56
; %bb.43:
	v_add_u32_e32 v24, 1, v0
	v_cmp_eq_u32_e64 s[8:9], 1, v24
	v_cndmask_b32_e64 v25, v3, v5, s[8:9]
	v_cmp_eq_u32_e64 s[10:11], 2, v24
	v_cmp_eq_u32_e64 s[12:13], 3, v24
	;; [unrolled: 1-line block ×8, first 2 shown]
	v_cndmask_b32_e64 v24, v2, v4, s[8:9]
	v_cndmask_b32_e64 v25, v25, v7, s[10:11]
	;; [unrolled: 1-line block ×9, first 2 shown]
	ds_read_b64 v[28:29], v26 offset:8
	v_cndmask_b32_e64 v25, v25, v15, s[18:19]
	v_cndmask_b32_e64 v24, v24, v14, s[18:19]
	;; [unrolled: 1-line block ×8, first 2 shown]
	s_waitcnt lgkmcnt(0)
	v_fmac_f64_e32 v[22:23], v[24:25], v[28:29]
	s_and_saveexec_b64 s[24:25], s[4:5]
	s_cbranch_execz .LBB9_55
; %bb.44:
	v_add_u32_e32 v24, 2, v0
	v_cmp_eq_u32_e64 s[4:5], 1, v24
	v_cndmask_b32_e64 v25, v3, v5, s[4:5]
	v_cmp_eq_u32_e64 s[8:9], 2, v24
	v_cmp_eq_u32_e64 s[10:11], 3, v24
	;; [unrolled: 1-line block ×8, first 2 shown]
	v_cndmask_b32_e64 v24, v2, v4, s[4:5]
	v_cndmask_b32_e64 v25, v25, v7, s[8:9]
	;; [unrolled: 1-line block ×9, first 2 shown]
	ds_read_b64 v[28:29], v26 offset:16
	v_cndmask_b32_e64 v25, v25, v15, s[16:17]
	v_cndmask_b32_e64 v24, v24, v14, s[16:17]
	;; [unrolled: 1-line block ×8, first 2 shown]
	s_waitcnt lgkmcnt(0)
	v_fmac_f64_e32 v[22:23], v[24:25], v[28:29]
	v_cmp_ne_u32_e64 s[4:5], 5, v0
	s_and_saveexec_b64 s[38:39], s[4:5]
	s_cbranch_execz .LBB9_54
; %bb.45:
	v_add_u32_e32 v24, 3, v0
	v_cmp_eq_u32_e64 s[4:5], 1, v24
	v_cndmask_b32_e64 v25, v3, v5, s[4:5]
	v_cmp_eq_u32_e64 s[8:9], 2, v24
	v_cmp_eq_u32_e64 s[10:11], 3, v24
	;; [unrolled: 1-line block ×8, first 2 shown]
	v_cndmask_b32_e64 v24, v2, v4, s[4:5]
	v_cndmask_b32_e64 v25, v25, v7, s[8:9]
	;; [unrolled: 1-line block ×9, first 2 shown]
	ds_read_b64 v[28:29], v26 offset:24
	v_cndmask_b32_e64 v25, v25, v15, s[16:17]
	v_cndmask_b32_e64 v24, v24, v14, s[16:17]
	;; [unrolled: 1-line block ×8, first 2 shown]
	s_waitcnt lgkmcnt(0)
	v_fmac_f64_e32 v[22:23], v[24:25], v[28:29]
	s_and_saveexec_b64 s[22:23], s[2:3]
	s_cbranch_execz .LBB9_53
; %bb.46:
	v_or_b32_e32 v24, 4, v0
	v_cmp_eq_u32_e64 s[2:3], 1, v24
	v_cndmask_b32_e64 v25, v3, v5, s[2:3]
	v_cmp_eq_u32_e64 s[4:5], 2, v24
	v_cmp_eq_u32_e64 s[8:9], 3, v24
	;; [unrolled: 1-line block ×8, first 2 shown]
	v_cndmask_b32_e64 v24, v2, v4, s[2:3]
	v_cndmask_b32_e64 v25, v25, v7, s[4:5]
	v_cndmask_b32_e64 v24, v24, v6, s[4:5]
	v_cndmask_b32_e64 v25, v25, v9, s[8:9]
	v_cndmask_b32_e64 v24, v24, v8, s[8:9]
	v_cndmask_b32_e64 v25, v25, v11, s[10:11]
	v_cndmask_b32_e64 v24, v24, v10, s[10:11]
	v_cndmask_b32_e64 v25, v25, v13, s[12:13]
	v_cndmask_b32_e64 v24, v24, v12, s[12:13]
	ds_read_b64 v[28:29], v26 offset:32
	v_cndmask_b32_e64 v25, v25, v15, s[14:15]
	v_cndmask_b32_e64 v24, v24, v14, s[14:15]
	;; [unrolled: 1-line block ×8, first 2 shown]
	s_waitcnt lgkmcnt(0)
	v_fmac_f64_e32 v[22:23], v[24:25], v[28:29]
	v_cmp_ne_u32_e64 s[2:3], 3, v0
	s_and_saveexec_b64 s[40:41], s[2:3]
	s_cbranch_execz .LBB9_52
; %bb.47:
	v_add_u32_e32 v24, 5, v0
	v_cmp_eq_u32_e64 s[2:3], 1, v24
	v_cndmask_b32_e64 v25, v3, v5, s[2:3]
	v_cmp_eq_u32_e64 s[4:5], 2, v24
	v_cmp_eq_u32_e64 s[8:9], 3, v24
	;; [unrolled: 1-line block ×8, first 2 shown]
	v_cndmask_b32_e64 v24, v2, v4, s[2:3]
	v_cndmask_b32_e64 v25, v25, v7, s[4:5]
	;; [unrolled: 1-line block ×9, first 2 shown]
	ds_read_b64 v[28:29], v26 offset:40
	v_cndmask_b32_e64 v25, v25, v15, s[14:15]
	v_cndmask_b32_e64 v24, v24, v14, s[14:15]
	;; [unrolled: 1-line block ×8, first 2 shown]
	s_waitcnt lgkmcnt(0)
	v_fmac_f64_e32 v[22:23], v[24:25], v[28:29]
	s_and_saveexec_b64 s[20:21], vcc
	s_cbranch_execz .LBB9_51
; %bb.48:
	v_or_b32_e32 v24, 6, v0
	v_cmp_eq_u32_e32 vcc, 1, v24
	v_cndmask_b32_e32 v25, v3, v5, vcc
	v_cmp_eq_u32_e64 s[2:3], 2, v24
	v_cndmask_b32_e64 v25, v25, v7, s[2:3]
	v_cmp_eq_u32_e64 s[4:5], 3, v24
	v_cndmask_b32_e64 v25, v25, v9, s[4:5]
	;; [unrolled: 2-line block ×3, first 2 shown]
	v_cmp_eq_u32_e64 s[10:11], 5, v24
	v_cmp_eq_u32_e64 s[12:13], 6, v24
	;; [unrolled: 1-line block ×5, first 2 shown]
	v_cndmask_b32_e32 v24, v2, v4, vcc
	v_cndmask_b32_e64 v25, v25, v13, s[10:11]
	v_cndmask_b32_e64 v24, v24, v6, s[2:3]
	v_cndmask_b32_e64 v25, v25, v15, s[12:13]
	v_cndmask_b32_e64 v24, v24, v8, s[4:5]
	v_cndmask_b32_e64 v25, v25, v17, s[14:15]
	v_cndmask_b32_e64 v24, v24, v10, s[8:9]
	v_cndmask_b32_e64 v19, v25, v19, s[16:17]
	v_cndmask_b32_e64 v27, v24, v12, s[10:11]
	ds_read_b64 v[24:25], v26 offset:48
	v_cndmask_b32_e64 v27, v27, v14, s[12:13]
	v_cndmask_b32_e64 v27, v27, v16, s[14:15]
	;; [unrolled: 1-line block ×5, first 2 shown]
	s_waitcnt lgkmcnt(0)
	v_fmac_f64_e32 v[22:23], v[18:19], v[24:25]
	s_and_saveexec_b64 s[2:3], s[0:1]
	s_cbranch_execz .LBB9_50
; %bb.49:
	ds_read_b64 v[18:19], v26 offset:56
	s_waitcnt lgkmcnt(0)
	v_fmac_f64_e32 v[22:23], v[16:17], v[18:19]
.LBB9_50:
	s_or_b64 exec, exec, s[2:3]
.LBB9_51:
	s_or_b64 exec, exec, s[20:21]
.LBB9_52:
	s_or_b64 exec, exec, s[40:41]
.LBB9_53:
	s_or_b64 exec, exec, s[22:23]
.LBB9_54:
	s_or_b64 exec, exec, s[38:39]
.LBB9_55:
	s_or_b64 exec, exec, s[24:25]
.LBB9_56:
	s_or_b64 exec, exec, s[36:37]
	v_mov_b32_e32 v18, 0
	ds_read_b64 v[18:19], v18 offset:64
	s_waitcnt lgkmcnt(0)
	v_mul_f64 v[18:19], v[22:23], v[18:19]
.LBB9_57:
	s_or_b64 exec, exec, s[34:35]
	v_cmp_ne_u32_e32 vcc, 9, v0
	s_waitcnt lgkmcnt(0)
	; wave barrier
	ds_write_b64 v26, v[20:21]
	s_waitcnt lgkmcnt(0)
	; wave barrier
	s_waitcnt lgkmcnt(0)
	s_and_saveexec_b64 s[4:5], vcc
	s_cbranch_execz .LBB9_61
; %bb.58:
	v_mov_b32_e32 v22, 0x50
	v_lshl_add_u32 v26, v0, 3, v22
	s_mov_b64 s[8:9], 0
	v_pk_mov_b32 v[22:23], 0, 0
	v_pk_mov_b32 v[24:25], v[0:1], v[0:1] op_sel:[0,1]
.LBB9_59:                               ; =>This Inner Loop Header: Depth=1
	v_cmp_eq_u32_e32 vcc, 1, v24
	v_cndmask_b32_e32 v1, v3, v5, vcc
	v_cmp_eq_u32_e64 s[0:1], 2, v24
	v_cndmask_b32_e64 v1, v1, v7, s[0:1]
	v_cndmask_b32_e32 v27, v2, v4, vcc
	v_cmp_eq_u32_e32 vcc, 3, v24
	v_cndmask_b32_e32 v1, v1, v9, vcc
	v_cndmask_b32_e64 v27, v27, v6, s[0:1]
	v_cmp_eq_u32_e64 s[0:1], 4, v24
	v_cndmask_b32_e64 v1, v1, v11, s[0:1]
	v_cndmask_b32_e32 v27, v27, v8, vcc
	v_cmp_eq_u32_e32 vcc, 5, v24
	v_cndmask_b32_e32 v1, v1, v13, vcc
	v_cndmask_b32_e64 v27, v27, v10, s[0:1]
	v_cmp_eq_u32_e64 s[0:1], 6, v24
	ds_read_b64 v[28:29], v26
	v_cndmask_b32_e64 v1, v1, v15, s[0:1]
	v_cndmask_b32_e32 v27, v27, v12, vcc
	v_cmp_eq_u32_e32 vcc, 7, v24
	v_cndmask_b32_e32 v1, v1, v17, vcc
	v_cndmask_b32_e64 v27, v27, v14, s[0:1]
	v_cmp_eq_u32_e64 s[0:1], 8, v24
	v_cndmask_b32_e64 v1, v1, v19, s[0:1]
	v_cmp_eq_u32_e64 s[2:3], 9, v24
	v_cndmask_b32_e32 v27, v27, v16, vcc
	v_add_co_u32_e32 v24, vcc, 1, v24
	v_addc_co_u32_e32 v25, vcc, 0, v25, vcc
	v_cndmask_b32_e64 v31, v1, v21, s[2:3]
	v_cndmask_b32_e64 v1, v27, v18, s[0:1]
	v_add_u32_e32 v27, -1, v24
	v_cndmask_b32_e64 v30, v1, v20, s[2:3]
	v_cmp_lt_u32_e32 vcc, 7, v27
	v_add_u32_e32 v26, 8, v26
	s_or_b64 s[8:9], vcc, s[8:9]
	s_waitcnt lgkmcnt(0)
	v_fmac_f64_e32 v[22:23], v[30:31], v[28:29]
	s_andn2_b64 exec, exec, s[8:9]
	s_cbranch_execnz .LBB9_59
; %bb.60:
	s_or_b64 exec, exec, s[8:9]
	v_mov_b32_e32 v1, 0
	ds_read_b64 v[20:21], v1 offset:72
	s_waitcnt lgkmcnt(0)
	v_mul_f64 v[20:21], v[22:23], v[20:21]
.LBB9_61:
	s_or_b64 exec, exec, s[4:5]
	s_waitcnt lgkmcnt(0)
	; wave barrier
	s_cbranch_execnz .LBB9_15
	s_branch .LBB9_16
.LBB9_62:
	v_mov_b32_e32 v1, 0x50
	v_lshl_add_u32 v1, v0, 3, v1
	v_cmp_eq_u32_e32 vcc, 9, v0
	s_and_saveexec_b64 s[0:1], vcc
	s_cbranch_execz .LBB9_64
; %bb.63:
	ds_write_b64 v1, v[18:19]
	v_mov_b32_e32 v18, 0
	v_mov_b32_e32 v19, v18
.LBB9_64:
	s_or_b64 exec, exec, s[0:1]
	v_mov_b32_e32 v36, 0
	s_waitcnt lgkmcnt(0)
	; wave barrier
	s_waitcnt lgkmcnt(0)
	ds_read_b64 v[22:23], v36 offset:152
	v_cmp_lt_u32_e32 vcc, 7, v0
	s_waitcnt lgkmcnt(0)
	v_fma_f64 v[22:23], v[20:21], v[22:23], 0
	v_add_f64 v[18:19], v[18:19], -v[22:23]
	s_and_saveexec_b64 s[0:1], vcc
	s_cbranch_execz .LBB9_66
; %bb.65:
	v_mov_b32_e32 v22, v2
	v_mov_b32_e32 v23, v3
	;; [unrolled: 1-line block ×19, first 2 shown]
	ds_write_b64 v1, v[16:17]
	v_pk_mov_b32 v[2:3], v[22:23], v[22:23] op_sel:[0,1]
	v_pk_mov_b32 v[4:5], v[24:25], v[24:25] op_sel:[0,1]
	;; [unrolled: 1-line block ×16, first 2 shown]
.LBB9_66:
	s_or_b64 exec, exec, s[0:1]
	s_waitcnt lgkmcnt(0)
	; wave barrier
	s_waitcnt lgkmcnt(0)
	ds_read_b128 v[22:25], v36 offset:144
	v_cmp_lt_u32_e32 vcc, 6, v0
	s_waitcnt lgkmcnt(0)
	v_fma_f64 v[22:23], v[18:19], v[22:23], 0
	v_fmac_f64_e32 v[22:23], v[20:21], v[24:25]
	v_add_f64 v[16:17], v[16:17], -v[22:23]
	s_and_saveexec_b64 s[0:1], vcc
	s_cbranch_execz .LBB9_68
; %bb.67:
	v_mov_b32_e32 v34, 0
	v_mov_b32_e32 v22, v2
	;; [unrolled: 1-line block ×20, first 2 shown]
	ds_write_b64 v1, v[14:15]
	v_pk_mov_b32 v[2:3], v[22:23], v[22:23] op_sel:[0,1]
	v_pk_mov_b32 v[4:5], v[24:25], v[24:25] op_sel:[0,1]
	;; [unrolled: 1-line block ×16, first 2 shown]
.LBB9_68:
	s_or_b64 exec, exec, s[0:1]
	v_mov_b32_e32 v34, 0
	s_waitcnt lgkmcnt(0)
	; wave barrier
	s_waitcnt lgkmcnt(0)
	ds_read2_b64 v[22:25], v34 offset0:17 offset1:18
	ds_read_b64 v[26:27], v34 offset:152
	v_cmp_lt_u32_e32 vcc, 5, v0
	s_waitcnt lgkmcnt(1)
	v_fma_f64 v[22:23], v[16:17], v[22:23], 0
	v_fmac_f64_e32 v[22:23], v[18:19], v[24:25]
	s_waitcnt lgkmcnt(0)
	v_fmac_f64_e32 v[22:23], v[20:21], v[26:27]
	v_add_f64 v[14:15], v[14:15], -v[22:23]
	s_and_saveexec_b64 s[0:1], vcc
	s_cbranch_execz .LBB9_70
; %bb.69:
	v_mov_b32_e32 v24, v2
	v_mov_b32_e32 v25, v3
	;; [unrolled: 1-line block ×19, first 2 shown]
	ds_write_b64 v1, v[12:13]
	v_pk_mov_b32 v[2:3], v[24:25], v[24:25] op_sel:[0,1]
	v_pk_mov_b32 v[4:5], v[26:27], v[26:27] op_sel:[0,1]
	;; [unrolled: 1-line block ×16, first 2 shown]
.LBB9_70:
	s_or_b64 exec, exec, s[0:1]
	s_waitcnt lgkmcnt(0)
	; wave barrier
	s_waitcnt lgkmcnt(0)
	ds_read_b128 v[22:25], v34 offset:128
	ds_read_b128 v[26:29], v34 offset:144
	v_cmp_lt_u32_e32 vcc, 4, v0
	s_waitcnt lgkmcnt(1)
	v_fma_f64 v[22:23], v[14:15], v[22:23], 0
	v_fmac_f64_e32 v[22:23], v[16:17], v[24:25]
	s_waitcnt lgkmcnt(0)
	v_fmac_f64_e32 v[22:23], v[18:19], v[26:27]
	v_fmac_f64_e32 v[22:23], v[20:21], v[28:29]
	v_add_f64 v[12:13], v[12:13], -v[22:23]
	s_and_saveexec_b64 s[0:1], vcc
	s_cbranch_execz .LBB9_72
; %bb.71:
	v_mov_b32_e32 v30, 0
	v_mov_b32_e32 v22, v2
	;; [unrolled: 1-line block ×20, first 2 shown]
	ds_write_b64 v1, v[10:11]
	v_pk_mov_b32 v[2:3], v[22:23], v[22:23] op_sel:[0,1]
	v_pk_mov_b32 v[4:5], v[24:25], v[24:25] op_sel:[0,1]
	;; [unrolled: 1-line block ×16, first 2 shown]
.LBB9_72:
	s_or_b64 exec, exec, s[0:1]
	v_mov_b32_e32 v34, 0
	s_waitcnt lgkmcnt(0)
	; wave barrier
	s_waitcnt lgkmcnt(0)
	ds_read2_b64 v[22:25], v34 offset0:15 offset1:16
	ds_read2_b64 v[26:29], v34 offset0:17 offset1:18
	v_cmp_lt_u32_e32 vcc, 3, v0
	s_waitcnt lgkmcnt(1)
	v_fma_f64 v[22:23], v[12:13], v[22:23], 0
	v_fmac_f64_e32 v[22:23], v[14:15], v[24:25]
	ds_read_b64 v[24:25], v34 offset:152
	s_waitcnt lgkmcnt(1)
	v_fmac_f64_e32 v[22:23], v[16:17], v[26:27]
	v_fmac_f64_e32 v[22:23], v[18:19], v[28:29]
	s_waitcnt lgkmcnt(0)
	v_fmac_f64_e32 v[22:23], v[20:21], v[24:25]
	v_add_f64 v[10:11], v[10:11], -v[22:23]
	s_and_saveexec_b64 s[0:1], vcc
	s_cbranch_execz .LBB9_74
; %bb.73:
	v_mov_b32_e32 v28, v2
	v_mov_b32_e32 v29, v3
	;; [unrolled: 1-line block ×19, first 2 shown]
	ds_write_b64 v1, v[8:9]
	v_pk_mov_b32 v[2:3], v[28:29], v[28:29] op_sel:[0,1]
	v_pk_mov_b32 v[4:5], v[30:31], v[30:31] op_sel:[0,1]
	;; [unrolled: 1-line block ×16, first 2 shown]
.LBB9_74:
	s_or_b64 exec, exec, s[0:1]
	s_waitcnt lgkmcnt(0)
	; wave barrier
	s_waitcnt lgkmcnt(0)
	ds_read_b128 v[22:25], v34 offset:112
	ds_read_b128 v[26:29], v34 offset:128
	;; [unrolled: 1-line block ×3, first 2 shown]
	v_cmp_lt_u32_e32 vcc, 2, v0
	s_waitcnt lgkmcnt(2)
	v_fma_f64 v[22:23], v[10:11], v[22:23], 0
	v_fmac_f64_e32 v[22:23], v[12:13], v[24:25]
	s_waitcnt lgkmcnt(1)
	v_fmac_f64_e32 v[22:23], v[14:15], v[26:27]
	v_fmac_f64_e32 v[22:23], v[16:17], v[28:29]
	s_waitcnt lgkmcnt(0)
	v_fmac_f64_e32 v[22:23], v[18:19], v[30:31]
	v_fmac_f64_e32 v[22:23], v[20:21], v[32:33]
	v_add_f64 v[8:9], v[8:9], -v[22:23]
	s_and_saveexec_b64 s[0:1], vcc
	s_cbranch_execz .LBB9_76
; %bb.75:
	v_mov_b32_e32 v26, 0
	v_mov_b32_e32 v22, v2
	;; [unrolled: 1-line block ×20, first 2 shown]
	ds_write_b64 v1, v[6:7]
	v_pk_mov_b32 v[2:3], v[22:23], v[22:23] op_sel:[0,1]
	v_pk_mov_b32 v[4:5], v[24:25], v[24:25] op_sel:[0,1]
	;; [unrolled: 1-line block ×16, first 2 shown]
.LBB9_76:
	s_or_b64 exec, exec, s[0:1]
	v_mov_b32_e32 v34, 0
	s_waitcnt lgkmcnt(0)
	; wave barrier
	s_waitcnt lgkmcnt(0)
	ds_read2_b64 v[22:25], v34 offset0:13 offset1:14
	ds_read2_b64 v[26:29], v34 offset0:15 offset1:16
	v_cmp_lt_u32_e32 vcc, 1, v0
	s_waitcnt lgkmcnt(1)
	v_fma_f64 v[30:31], v[8:9], v[22:23], 0
	v_fmac_f64_e32 v[30:31], v[10:11], v[24:25]
	ds_read2_b64 v[22:25], v34 offset0:17 offset1:18
	s_waitcnt lgkmcnt(1)
	v_fmac_f64_e32 v[30:31], v[12:13], v[26:27]
	ds_read_b64 v[26:27], v34 offset:152
	v_fmac_f64_e32 v[30:31], v[14:15], v[28:29]
	s_waitcnt lgkmcnt(1)
	v_fmac_f64_e32 v[30:31], v[16:17], v[22:23]
	v_fmac_f64_e32 v[30:31], v[18:19], v[24:25]
	s_waitcnt lgkmcnt(0)
	v_fmac_f64_e32 v[30:31], v[20:21], v[26:27]
	v_add_f64 v[6:7], v[6:7], -v[30:31]
	s_and_saveexec_b64 s[0:1], vcc
	s_cbranch_execz .LBB9_78
; %bb.77:
	v_mov_b32_e32 v32, v2
	v_mov_b32_e32 v33, v3
	;; [unrolled: 1-line block ×19, first 2 shown]
	ds_write_b64 v1, v[4:5]
	v_pk_mov_b32 v[2:3], v[32:33], v[32:33] op_sel:[0,1]
	v_pk_mov_b32 v[4:5], v[34:35], v[34:35] op_sel:[0,1]
	v_pk_mov_b32 v[6:7], v[36:37], v[36:37] op_sel:[0,1]
	v_pk_mov_b32 v[8:9], v[38:39], v[38:39] op_sel:[0,1]
	v_pk_mov_b32 v[10:11], v[40:41], v[40:41] op_sel:[0,1]
	v_pk_mov_b32 v[12:13], v[42:43], v[42:43] op_sel:[0,1]
	v_pk_mov_b32 v[14:15], v[44:45], v[44:45] op_sel:[0,1]
	v_pk_mov_b32 v[16:17], v[46:47], v[46:47] op_sel:[0,1]
	v_pk_mov_b32 v[18:19], v[48:49], v[48:49] op_sel:[0,1]
	v_pk_mov_b32 v[20:21], v[50:51], v[50:51] op_sel:[0,1]
	v_pk_mov_b32 v[22:23], v[52:53], v[52:53] op_sel:[0,1]
	v_pk_mov_b32 v[24:25], v[54:55], v[54:55] op_sel:[0,1]
	v_pk_mov_b32 v[26:27], v[56:57], v[56:57] op_sel:[0,1]
	v_pk_mov_b32 v[28:29], v[58:59], v[58:59] op_sel:[0,1]
	v_pk_mov_b32 v[30:31], v[60:61], v[60:61] op_sel:[0,1]
	v_pk_mov_b32 v[32:33], v[62:63], v[62:63] op_sel:[0,1]
.LBB9_78:
	s_or_b64 exec, exec, s[0:1]
	s_waitcnt lgkmcnt(0)
	; wave barrier
	s_waitcnt lgkmcnt(0)
	ds_read_b128 v[22:25], v34 offset:96
	ds_read_b128 v[26:29], v34 offset:112
	;; [unrolled: 1-line block ×4, first 2 shown]
	v_cmp_ne_u32_e32 vcc, 0, v0
	s_waitcnt lgkmcnt(3)
	v_fma_f64 v[22:23], v[6:7], v[22:23], 0
	v_fmac_f64_e32 v[22:23], v[8:9], v[24:25]
	s_waitcnt lgkmcnt(2)
	v_fmac_f64_e32 v[22:23], v[10:11], v[26:27]
	v_fmac_f64_e32 v[22:23], v[12:13], v[28:29]
	s_waitcnt lgkmcnt(1)
	v_fmac_f64_e32 v[22:23], v[14:15], v[30:31]
	;; [unrolled: 3-line block ×3, first 2 shown]
	v_fmac_f64_e32 v[22:23], v[20:21], v[36:37]
	v_add_f64 v[4:5], v[4:5], -v[22:23]
	s_and_saveexec_b64 s[0:1], vcc
	s_cbranch_execz .LBB9_80
; %bb.79:
	v_mov_b32_e32 v22, 0
	v_mov_b32_e32 v23, v22
	;; [unrolled: 1-line block ×20, first 2 shown]
	ds_write_b64 v1, v[2:3]
	v_pk_mov_b32 v[2:3], v[22:23], v[22:23] op_sel:[0,1]
	v_pk_mov_b32 v[4:5], v[24:25], v[24:25] op_sel:[0,1]
	;; [unrolled: 1-line block ×16, first 2 shown]
.LBB9_80:
	s_or_b64 exec, exec, s[0:1]
	v_mov_b32_e32 v34, 0
	s_waitcnt lgkmcnt(0)
	; wave barrier
	s_waitcnt lgkmcnt(0)
	ds_read2_b64 v[22:25], v34 offset0:11 offset1:12
	ds_read2_b64 v[26:29], v34 offset0:13 offset1:14
	s_and_b64 vcc, exec, s[30:31]
	ds_read2_b64 v[30:33], v34 offset0:17 offset1:18
	s_waitcnt lgkmcnt(2)
	v_fma_f64 v[0:1], v[4:5], v[22:23], 0
	v_fmac_f64_e32 v[0:1], v[6:7], v[24:25]
	ds_read2_b64 v[22:25], v34 offset0:15 offset1:16
	s_waitcnt lgkmcnt(2)
	v_fmac_f64_e32 v[0:1], v[8:9], v[26:27]
	v_fmac_f64_e32 v[0:1], v[10:11], v[28:29]
	ds_read_b64 v[26:27], v34 offset:152
	s_waitcnt lgkmcnt(1)
	v_fmac_f64_e32 v[0:1], v[12:13], v[22:23]
	v_fmac_f64_e32 v[0:1], v[14:15], v[24:25]
	;; [unrolled: 1-line block ×4, first 2 shown]
	s_waitcnt lgkmcnt(0)
	v_fmac_f64_e32 v[0:1], v[20:21], v[26:27]
	v_add_f64 v[2:3], v[2:3], -v[0:1]
	s_cbranch_vccz .LBB9_100
; %bb.81:
	v_pk_mov_b32 v[0:1], s[28:29], s[28:29] op_sel:[0,1]
	flat_load_dword v0, v[0:1] offset:32
	s_waitcnt vmcnt(0) lgkmcnt(0)
	v_add_u32_e32 v0, -1, v0
	v_cmp_ne_u32_e32 vcc, 8, v0
	s_and_saveexec_b64 s[16:17], vcc
	s_cbranch_execz .LBB9_83
; %bb.82:
	v_cmp_eq_u32_e32 vcc, 1, v0
	v_cndmask_b32_e32 v1, v2, v4, vcc
	v_cmp_eq_u32_e64 s[0:1], 2, v0
	v_cndmask_b32_e32 v22, v3, v5, vcc
	v_cndmask_b32_e64 v1, v1, v6, s[0:1]
	v_cmp_eq_u32_e64 s[2:3], 3, v0
	v_cndmask_b32_e64 v22, v22, v7, s[0:1]
	v_cndmask_b32_e64 v1, v1, v8, s[2:3]
	v_cmp_eq_u32_e64 s[4:5], 4, v0
	v_cndmask_b32_e64 v22, v22, v9, s[2:3]
	;; [unrolled: 3-line block ×7, first 2 shown]
	v_cndmask_b32_e64 v1, v1, v20, s[14:15]
	v_cndmask_b32_e64 v22, v22, v21, s[14:15]
	;; [unrolled: 1-line block ×4, first 2 shown]
	v_cndmask_b32_e32 v21, v5, v19, vcc
	v_cndmask_b32_e32 v20, v4, v18, vcc
	v_cmp_eq_u32_e32 vcc, 0, v0
	v_cndmask_b32_e64 v35, v22, v19, s[12:13]
	v_cndmask_b32_e64 v34, v1, v18, s[12:13]
	;; [unrolled: 1-line block ×14, first 2 shown]
	v_cndmask_b32_e32 v19, v3, v19, vcc
	v_cndmask_b32_e32 v18, v2, v18, vcc
	v_pk_mov_b32 v[2:3], v[18:19], v[18:19] op_sel:[0,1]
	v_pk_mov_b32 v[4:5], v[20:21], v[20:21] op_sel:[0,1]
	;; [unrolled: 1-line block ×16, first 2 shown]
.LBB9_83:
	s_or_b64 exec, exec, s[16:17]
	v_pk_mov_b32 v[0:1], s[28:29], s[28:29] op_sel:[0,1]
	flat_load_dword v0, v[0:1] offset:28
	s_waitcnt vmcnt(0) lgkmcnt(0)
	v_add_u32_e32 v0, -1, v0
	v_cmp_ne_u32_e32 vcc, 7, v0
	s_and_saveexec_b64 s[16:17], vcc
	s_cbranch_execz .LBB9_85
; %bb.84:
	v_cmp_eq_u32_e32 vcc, 1, v0
	v_cndmask_b32_e32 v1, v2, v4, vcc
	v_cmp_eq_u32_e64 s[0:1], 2, v0
	v_cndmask_b32_e32 v22, v3, v5, vcc
	v_cndmask_b32_e64 v1, v1, v6, s[0:1]
	v_cmp_eq_u32_e64 s[2:3], 3, v0
	v_cndmask_b32_e64 v22, v22, v7, s[0:1]
	v_cndmask_b32_e64 v1, v1, v8, s[2:3]
	v_cmp_eq_u32_e64 s[4:5], 4, v0
	v_cndmask_b32_e64 v22, v22, v9, s[2:3]
	;; [unrolled: 3-line block ×7, first 2 shown]
	v_cndmask_b32_e64 v1, v1, v20, s[14:15]
	v_cndmask_b32_e64 v22, v22, v21, s[14:15]
	v_cndmask_b32_e64 v33, v19, v17, s[12:13]
	v_cndmask_b32_e64 v32, v18, v16, s[12:13]
	v_cndmask_b32_e32 v19, v5, v17, vcc
	v_cndmask_b32_e32 v18, v4, v16, vcc
	v_cmp_eq_u32_e32 vcc, 0, v0
	v_cndmask_b32_e64 v31, v22, v17, s[10:11]
	v_cndmask_b32_e64 v30, v1, v16, s[10:11]
	;; [unrolled: 1-line block ×14, first 2 shown]
	v_cndmask_b32_e32 v17, v3, v17, vcc
	v_cndmask_b32_e32 v16, v2, v16, vcc
	v_pk_mov_b32 v[2:3], v[16:17], v[16:17] op_sel:[0,1]
	v_pk_mov_b32 v[4:5], v[18:19], v[18:19] op_sel:[0,1]
	;; [unrolled: 1-line block ×16, first 2 shown]
.LBB9_85:
	s_or_b64 exec, exec, s[16:17]
	v_pk_mov_b32 v[0:1], s[28:29], s[28:29] op_sel:[0,1]
	flat_load_dword v0, v[0:1] offset:24
	s_waitcnt vmcnt(0) lgkmcnt(0)
	v_add_u32_e32 v0, -1, v0
	v_cmp_ne_u32_e32 vcc, 6, v0
	s_and_saveexec_b64 s[16:17], vcc
	s_cbranch_execz .LBB9_87
; %bb.86:
	v_cmp_eq_u32_e32 vcc, 1, v0
	v_cndmask_b32_e32 v1, v2, v4, vcc
	v_cmp_eq_u32_e64 s[0:1], 2, v0
	v_cndmask_b32_e32 v22, v3, v5, vcc
	v_cndmask_b32_e64 v1, v1, v6, s[0:1]
	v_cmp_eq_u32_e64 s[2:3], 3, v0
	v_cndmask_b32_e64 v22, v22, v7, s[0:1]
	v_cndmask_b32_e64 v1, v1, v8, s[2:3]
	v_cmp_eq_u32_e64 s[4:5], 4, v0
	v_cndmask_b32_e64 v22, v22, v9, s[2:3]
	;; [unrolled: 3-line block ×7, first 2 shown]
	v_cndmask_b32_e64 v1, v1, v20, s[14:15]
	v_cndmask_b32_e64 v22, v22, v21, s[14:15]
	;; [unrolled: 1-line block ×4, first 2 shown]
	v_cndmask_b32_e32 v17, v5, v15, vcc
	v_cndmask_b32_e32 v16, v4, v14, vcc
	v_cmp_eq_u32_e32 vcc, 0, v0
	v_cndmask_b32_e64 v27, v22, v15, s[8:9]
	v_cndmask_b32_e64 v26, v1, v14, s[8:9]
	;; [unrolled: 1-line block ×14, first 2 shown]
	v_cndmask_b32_e32 v15, v3, v15, vcc
	v_cndmask_b32_e32 v14, v2, v14, vcc
	v_pk_mov_b32 v[2:3], v[14:15], v[14:15] op_sel:[0,1]
	v_pk_mov_b32 v[4:5], v[16:17], v[16:17] op_sel:[0,1]
	v_pk_mov_b32 v[6:7], v[18:19], v[18:19] op_sel:[0,1]
	v_pk_mov_b32 v[8:9], v[20:21], v[20:21] op_sel:[0,1]
	v_pk_mov_b32 v[10:11], v[22:23], v[22:23] op_sel:[0,1]
	v_pk_mov_b32 v[12:13], v[24:25], v[24:25] op_sel:[0,1]
	v_pk_mov_b32 v[14:15], v[26:27], v[26:27] op_sel:[0,1]
	v_pk_mov_b32 v[16:17], v[28:29], v[28:29] op_sel:[0,1]
	v_pk_mov_b32 v[18:19], v[30:31], v[30:31] op_sel:[0,1]
	v_pk_mov_b32 v[20:21], v[32:33], v[32:33] op_sel:[0,1]
	v_pk_mov_b32 v[22:23], v[34:35], v[34:35] op_sel:[0,1]
	v_pk_mov_b32 v[24:25], v[36:37], v[36:37] op_sel:[0,1]
	v_pk_mov_b32 v[26:27], v[38:39], v[38:39] op_sel:[0,1]
	v_pk_mov_b32 v[28:29], v[40:41], v[40:41] op_sel:[0,1]
	v_pk_mov_b32 v[30:31], v[42:43], v[42:43] op_sel:[0,1]
	v_pk_mov_b32 v[32:33], v[44:45], v[44:45] op_sel:[0,1]
.LBB9_87:
	s_or_b64 exec, exec, s[16:17]
	v_pk_mov_b32 v[0:1], s[28:29], s[28:29] op_sel:[0,1]
	flat_load_dword v0, v[0:1] offset:20
	s_waitcnt vmcnt(0) lgkmcnt(0)
	v_add_u32_e32 v0, -1, v0
	v_cmp_ne_u32_e32 vcc, 5, v0
	s_and_saveexec_b64 s[16:17], vcc
	s_cbranch_execz .LBB9_89
; %bb.88:
	v_cmp_eq_u32_e32 vcc, 1, v0
	v_cndmask_b32_e32 v1, v2, v4, vcc
	v_cmp_eq_u32_e64 s[0:1], 2, v0
	v_cndmask_b32_e32 v22, v3, v5, vcc
	v_cndmask_b32_e64 v1, v1, v6, s[0:1]
	v_cmp_eq_u32_e64 s[2:3], 3, v0
	v_cndmask_b32_e64 v22, v22, v7, s[0:1]
	v_cndmask_b32_e64 v1, v1, v8, s[2:3]
	v_cmp_eq_u32_e64 s[4:5], 4, v0
	v_cndmask_b32_e64 v22, v22, v9, s[2:3]
	;; [unrolled: 3-line block ×7, first 2 shown]
	v_cndmask_b32_e64 v1, v1, v20, s[14:15]
	v_cndmask_b32_e64 v22, v22, v21, s[14:15]
	;; [unrolled: 1-line block ×4, first 2 shown]
	v_cndmask_b32_e32 v15, v5, v13, vcc
	v_cndmask_b32_e32 v14, v4, v12, vcc
	v_cmp_eq_u32_e32 vcc, 0, v0
	v_cndmask_b32_e64 v23, v22, v13, s[6:7]
	v_cndmask_b32_e64 v22, v1, v12, s[6:7]
	;; [unrolled: 1-line block ×14, first 2 shown]
	v_cndmask_b32_e32 v13, v3, v13, vcc
	v_cndmask_b32_e32 v12, v2, v12, vcc
	v_pk_mov_b32 v[2:3], v[12:13], v[12:13] op_sel:[0,1]
	v_pk_mov_b32 v[4:5], v[14:15], v[14:15] op_sel:[0,1]
	;; [unrolled: 1-line block ×16, first 2 shown]
.LBB9_89:
	s_or_b64 exec, exec, s[16:17]
	v_pk_mov_b32 v[0:1], s[28:29], s[28:29] op_sel:[0,1]
	flat_load_dword v0, v[0:1] offset:16
	s_waitcnt vmcnt(0) lgkmcnt(0)
	v_add_u32_e32 v0, -1, v0
	v_cmp_ne_u32_e32 vcc, 4, v0
	s_and_saveexec_b64 s[16:17], vcc
	s_cbranch_execz .LBB9_91
; %bb.90:
	v_cmp_eq_u32_e32 vcc, 1, v0
	v_cndmask_b32_e32 v1, v2, v4, vcc
	v_cmp_eq_u32_e64 s[0:1], 2, v0
	v_cndmask_b32_e32 v22, v3, v5, vcc
	v_cndmask_b32_e64 v1, v1, v6, s[0:1]
	v_cmp_eq_u32_e64 s[2:3], 3, v0
	v_cndmask_b32_e64 v22, v22, v7, s[0:1]
	v_cndmask_b32_e64 v1, v1, v8, s[2:3]
	v_cmp_eq_u32_e64 s[4:5], 4, v0
	v_cndmask_b32_e64 v22, v22, v9, s[2:3]
	;; [unrolled: 3-line block ×7, first 2 shown]
	v_cndmask_b32_e64 v1, v1, v20, s[14:15]
	v_cndmask_b32_e64 v22, v22, v21, s[14:15]
	;; [unrolled: 1-line block ×4, first 2 shown]
	v_cndmask_b32_e32 v17, v5, v11, vcc
	v_cndmask_b32_e32 v16, v4, v10, vcc
	v_cmp_eq_u32_e32 vcc, 0, v0
	v_cndmask_b32_e64 v23, v22, v11, s[4:5]
	v_cndmask_b32_e64 v22, v1, v10, s[4:5]
	;; [unrolled: 1-line block ×14, first 2 shown]
	v_cndmask_b32_e32 v15, v3, v11, vcc
	v_cndmask_b32_e32 v14, v2, v10, vcc
	v_pk_mov_b32 v[2:3], v[14:15], v[14:15] op_sel:[0,1]
	v_pk_mov_b32 v[4:5], v[16:17], v[16:17] op_sel:[0,1]
	;; [unrolled: 1-line block ×16, first 2 shown]
.LBB9_91:
	s_or_b64 exec, exec, s[16:17]
	v_pk_mov_b32 v[0:1], s[28:29], s[28:29] op_sel:[0,1]
	flat_load_dword v0, v[0:1] offset:12
	s_waitcnt vmcnt(0) lgkmcnt(0)
	v_add_u32_e32 v0, -1, v0
	v_cmp_ne_u32_e32 vcc, 3, v0
	s_and_saveexec_b64 s[16:17], vcc
	s_cbranch_execz .LBB9_93
; %bb.92:
	v_cmp_eq_u32_e32 vcc, 1, v0
	v_cndmask_b32_e32 v1, v2, v4, vcc
	v_cmp_eq_u32_e64 s[0:1], 2, v0
	v_cndmask_b32_e32 v22, v3, v5, vcc
	v_cndmask_b32_e64 v1, v1, v6, s[0:1]
	v_cmp_eq_u32_e64 s[2:3], 3, v0
	v_cndmask_b32_e64 v22, v22, v7, s[0:1]
	v_cndmask_b32_e64 v1, v1, v8, s[2:3]
	v_cmp_eq_u32_e64 s[4:5], 4, v0
	v_cndmask_b32_e64 v22, v22, v9, s[2:3]
	;; [unrolled: 3-line block ×7, first 2 shown]
	v_cndmask_b32_e64 v1, v1, v20, s[14:15]
	v_cndmask_b32_e64 v22, v22, v21, s[14:15]
	;; [unrolled: 1-line block ×4, first 2 shown]
	v_cndmask_b32_e32 v19, v5, v9, vcc
	v_cndmask_b32_e32 v18, v4, v8, vcc
	v_cmp_eq_u32_e32 vcc, 0, v0
	v_cndmask_b32_e64 v23, v22, v9, s[2:3]
	v_cndmask_b32_e64 v22, v1, v8, s[2:3]
	;; [unrolled: 1-line block ×14, first 2 shown]
	v_cndmask_b32_e32 v17, v3, v9, vcc
	v_cndmask_b32_e32 v16, v2, v8, vcc
	v_pk_mov_b32 v[2:3], v[16:17], v[16:17] op_sel:[0,1]
	v_pk_mov_b32 v[4:5], v[18:19], v[18:19] op_sel:[0,1]
	;; [unrolled: 1-line block ×16, first 2 shown]
.LBB9_93:
	s_or_b64 exec, exec, s[16:17]
	v_pk_mov_b32 v[0:1], s[28:29], s[28:29] op_sel:[0,1]
	flat_load_dword v0, v[0:1] offset:8
	s_waitcnt vmcnt(0) lgkmcnt(0)
	v_add_u32_e32 v0, -1, v0
	v_cmp_ne_u32_e32 vcc, 2, v0
	s_and_saveexec_b64 s[16:17], vcc
	s_cbranch_execz .LBB9_95
; %bb.94:
	v_cmp_eq_u32_e32 vcc, 1, v0
	v_cndmask_b32_e32 v1, v2, v4, vcc
	v_cmp_eq_u32_e64 s[0:1], 2, v0
	v_cndmask_b32_e32 v22, v3, v5, vcc
	v_cndmask_b32_e64 v1, v1, v6, s[0:1]
	v_cmp_eq_u32_e64 s[2:3], 3, v0
	v_cndmask_b32_e64 v22, v22, v7, s[0:1]
	v_cndmask_b32_e64 v1, v1, v8, s[2:3]
	v_cmp_eq_u32_e64 s[4:5], 4, v0
	v_cndmask_b32_e64 v22, v22, v9, s[2:3]
	;; [unrolled: 3-line block ×7, first 2 shown]
	v_cndmask_b32_e64 v1, v1, v20, s[14:15]
	v_cndmask_b32_e64 v22, v22, v21, s[14:15]
	;; [unrolled: 1-line block ×4, first 2 shown]
	v_cndmask_b32_e32 v21, v5, v7, vcc
	v_cndmask_b32_e32 v20, v4, v6, vcc
	v_cmp_eq_u32_e32 vcc, 0, v0
	v_cndmask_b32_e64 v23, v22, v7, s[0:1]
	v_cndmask_b32_e64 v22, v1, v6, s[0:1]
	;; [unrolled: 1-line block ×14, first 2 shown]
	v_cndmask_b32_e32 v19, v3, v7, vcc
	v_cndmask_b32_e32 v18, v2, v6, vcc
	v_pk_mov_b32 v[2:3], v[18:19], v[18:19] op_sel:[0,1]
	v_pk_mov_b32 v[4:5], v[20:21], v[20:21] op_sel:[0,1]
	v_pk_mov_b32 v[6:7], v[22:23], v[22:23] op_sel:[0,1]
	v_pk_mov_b32 v[8:9], v[24:25], v[24:25] op_sel:[0,1]
	v_pk_mov_b32 v[10:11], v[26:27], v[26:27] op_sel:[0,1]
	v_pk_mov_b32 v[12:13], v[28:29], v[28:29] op_sel:[0,1]
	v_pk_mov_b32 v[14:15], v[30:31], v[30:31] op_sel:[0,1]
	v_pk_mov_b32 v[16:17], v[32:33], v[32:33] op_sel:[0,1]
	v_pk_mov_b32 v[18:19], v[34:35], v[34:35] op_sel:[0,1]
	v_pk_mov_b32 v[20:21], v[36:37], v[36:37] op_sel:[0,1]
	v_pk_mov_b32 v[22:23], v[38:39], v[38:39] op_sel:[0,1]
	v_pk_mov_b32 v[24:25], v[40:41], v[40:41] op_sel:[0,1]
	v_pk_mov_b32 v[26:27], v[42:43], v[42:43] op_sel:[0,1]
	v_pk_mov_b32 v[28:29], v[44:45], v[44:45] op_sel:[0,1]
	v_pk_mov_b32 v[30:31], v[46:47], v[46:47] op_sel:[0,1]
	v_pk_mov_b32 v[32:33], v[48:49], v[48:49] op_sel:[0,1]
.LBB9_95:
	s_or_b64 exec, exec, s[16:17]
	v_pk_mov_b32 v[0:1], s[28:29], s[28:29] op_sel:[0,1]
	flat_load_dword v0, v[0:1] offset:4
	s_waitcnt vmcnt(0) lgkmcnt(0)
	v_add_u32_e32 v0, -1, v0
	v_cmp_ne_u32_e32 vcc, 1, v0
	s_and_saveexec_b64 s[16:17], vcc
	s_cbranch_execz .LBB9_97
; %bb.96:
	v_cmp_eq_u32_e32 vcc, 1, v0
	v_cndmask_b32_e32 v1, v2, v4, vcc
	v_cmp_eq_u32_e64 s[0:1], 2, v0
	v_cndmask_b32_e32 v22, v3, v5, vcc
	v_cndmask_b32_e64 v1, v1, v6, s[0:1]
	v_cmp_eq_u32_e64 s[2:3], 3, v0
	v_cndmask_b32_e64 v22, v22, v7, s[0:1]
	v_cndmask_b32_e64 v1, v1, v8, s[2:3]
	v_cmp_eq_u32_e64 s[4:5], 4, v0
	v_cndmask_b32_e64 v22, v22, v9, s[2:3]
	;; [unrolled: 3-line block ×7, first 2 shown]
	v_cndmask_b32_e64 v1, v1, v20, s[14:15]
	v_cndmask_b32_e64 v22, v22, v21, s[14:15]
	v_cndmask_b32_e32 v23, v22, v5, vcc
	v_cndmask_b32_e32 v22, v1, v4, vcc
	v_cmp_eq_u32_e32 vcc, 0, v0
	v_cndmask_b32_e64 v39, v21, v5, s[14:15]
	v_cndmask_b32_e64 v38, v20, v4, s[14:15]
	;; [unrolled: 1-line block ×12, first 2 shown]
	v_cndmask_b32_e32 v21, v3, v5, vcc
	v_cndmask_b32_e32 v20, v2, v4, vcc
	v_cndmask_b32_e64 v37, v19, v5, s[12:13]
	v_cndmask_b32_e64 v36, v18, v4, s[12:13]
	;; [unrolled: 1-line block ×4, first 2 shown]
	v_pk_mov_b32 v[2:3], v[20:21], v[20:21] op_sel:[0,1]
	v_pk_mov_b32 v[4:5], v[22:23], v[22:23] op_sel:[0,1]
	;; [unrolled: 1-line block ×16, first 2 shown]
.LBB9_97:
	s_or_b64 exec, exec, s[16:17]
	v_pk_mov_b32 v[0:1], s[28:29], s[28:29] op_sel:[0,1]
	flat_load_dword v0, v[0:1]
	s_waitcnt vmcnt(0) lgkmcnt(0)
	v_add_u32_e32 v0, -1, v0
	v_cmp_ne_u32_e32 vcc, 0, v0
	s_and_saveexec_b64 s[18:19], vcc
	s_cbranch_execz .LBB9_99
; %bb.98:
	v_cmp_eq_u32_e32 vcc, 1, v0
	v_cndmask_b32_e32 v1, v2, v4, vcc
	v_cmp_eq_u32_e64 s[0:1], 2, v0
	v_cndmask_b32_e32 v22, v3, v5, vcc
	v_cndmask_b32_e64 v1, v1, v6, s[0:1]
	v_cmp_eq_u32_e64 s[2:3], 3, v0
	v_cndmask_b32_e64 v22, v22, v7, s[0:1]
	v_cndmask_b32_e64 v1, v1, v8, s[2:3]
	v_cmp_eq_u32_e64 s[4:5], 4, v0
	v_cndmask_b32_e64 v22, v22, v9, s[2:3]
	;; [unrolled: 3-line block ×7, first 2 shown]
	v_cndmask_b32_e64 v1, v1, v20, s[14:15]
	v_cndmask_b32_e64 v22, v22, v21, s[14:15]
	v_cmp_eq_u32_e64 s[16:17], 0, v0
	v_cndmask_b32_e64 v23, v22, v3, s[16:17]
	v_cndmask_b32_e64 v22, v1, v2, s[16:17]
	;; [unrolled: 1-line block ×10, first 2 shown]
	v_cndmask_b32_e32 v25, v5, v3, vcc
	v_cndmask_b32_e32 v24, v4, v2, vcc
	v_cndmask_b32_e64 v41, v21, v3, s[14:15]
	v_cndmask_b32_e64 v40, v20, v2, s[14:15]
	;; [unrolled: 1-line block ×8, first 2 shown]
	v_pk_mov_b32 v[2:3], v[22:23], v[22:23] op_sel:[0,1]
	v_pk_mov_b32 v[4:5], v[24:25], v[24:25] op_sel:[0,1]
	;; [unrolled: 1-line block ×16, first 2 shown]
.LBB9_99:
	s_or_b64 exec, exec, s[18:19]
.LBB9_100:
	global_store_dwordx2 v[52:53], v[2:3], off
	global_store_dwordx2 v[54:55], v[4:5], off
	;; [unrolled: 1-line block ×10, first 2 shown]
	s_endpgm
	.section	.rodata,"a",@progbits
	.p2align	6, 0x0
	.amdhsa_kernel _ZN9rocsolver6v33100L18getri_kernel_smallILi10EdPdEEvT1_iilPiilS4_bb
		.amdhsa_group_segment_fixed_size 168
		.amdhsa_private_segment_fixed_size 0
		.amdhsa_kernarg_size 60
		.amdhsa_user_sgpr_count 6
		.amdhsa_user_sgpr_private_segment_buffer 1
		.amdhsa_user_sgpr_dispatch_ptr 0
		.amdhsa_user_sgpr_queue_ptr 0
		.amdhsa_user_sgpr_kernarg_segment_ptr 1
		.amdhsa_user_sgpr_dispatch_id 0
		.amdhsa_user_sgpr_flat_scratch_init 0
		.amdhsa_user_sgpr_kernarg_preload_length 0
		.amdhsa_user_sgpr_kernarg_preload_offset 0
		.amdhsa_user_sgpr_private_segment_size 0
		.amdhsa_uses_dynamic_stack 0
		.amdhsa_system_sgpr_private_segment_wavefront_offset 0
		.amdhsa_system_sgpr_workgroup_id_x 1
		.amdhsa_system_sgpr_workgroup_id_y 0
		.amdhsa_system_sgpr_workgroup_id_z 0
		.amdhsa_system_sgpr_workgroup_info 0
		.amdhsa_system_vgpr_workitem_id 0
		.amdhsa_next_free_vgpr 72
		.amdhsa_next_free_sgpr 42
		.amdhsa_accum_offset 72
		.amdhsa_reserve_vcc 1
		.amdhsa_reserve_flat_scratch 0
		.amdhsa_float_round_mode_32 0
		.amdhsa_float_round_mode_16_64 0
		.amdhsa_float_denorm_mode_32 3
		.amdhsa_float_denorm_mode_16_64 3
		.amdhsa_dx10_clamp 1
		.amdhsa_ieee_mode 1
		.amdhsa_fp16_overflow 0
		.amdhsa_tg_split 0
		.amdhsa_exception_fp_ieee_invalid_op 0
		.amdhsa_exception_fp_denorm_src 0
		.amdhsa_exception_fp_ieee_div_zero 0
		.amdhsa_exception_fp_ieee_overflow 0
		.amdhsa_exception_fp_ieee_underflow 0
		.amdhsa_exception_fp_ieee_inexact 0
		.amdhsa_exception_int_div_zero 0
	.end_amdhsa_kernel
	.section	.text._ZN9rocsolver6v33100L18getri_kernel_smallILi10EdPdEEvT1_iilPiilS4_bb,"axG",@progbits,_ZN9rocsolver6v33100L18getri_kernel_smallILi10EdPdEEvT1_iilPiilS4_bb,comdat
.Lfunc_end9:
	.size	_ZN9rocsolver6v33100L18getri_kernel_smallILi10EdPdEEvT1_iilPiilS4_bb, .Lfunc_end9-_ZN9rocsolver6v33100L18getri_kernel_smallILi10EdPdEEvT1_iilPiilS4_bb
                                        ; -- End function
	.section	.AMDGPU.csdata,"",@progbits
; Kernel info:
; codeLenInByte = 13032
; NumSgprs: 46
; NumVgprs: 72
; NumAgprs: 0
; TotalNumVgprs: 72
; ScratchSize: 0
; MemoryBound: 0
; FloatMode: 240
; IeeeMode: 1
; LDSByteSize: 168 bytes/workgroup (compile time only)
; SGPRBlocks: 5
; VGPRBlocks: 8
; NumSGPRsForWavesPerEU: 46
; NumVGPRsForWavesPerEU: 72
; AccumOffset: 72
; Occupancy: 7
; WaveLimiterHint : 0
; COMPUTE_PGM_RSRC2:SCRATCH_EN: 0
; COMPUTE_PGM_RSRC2:USER_SGPR: 6
; COMPUTE_PGM_RSRC2:TRAP_HANDLER: 0
; COMPUTE_PGM_RSRC2:TGID_X_EN: 1
; COMPUTE_PGM_RSRC2:TGID_Y_EN: 0
; COMPUTE_PGM_RSRC2:TGID_Z_EN: 0
; COMPUTE_PGM_RSRC2:TIDIG_COMP_CNT: 0
; COMPUTE_PGM_RSRC3_GFX90A:ACCUM_OFFSET: 17
; COMPUTE_PGM_RSRC3_GFX90A:TG_SPLIT: 0
	.section	.text._ZN9rocsolver6v33100L18getri_kernel_smallILi11EdPdEEvT1_iilPiilS4_bb,"axG",@progbits,_ZN9rocsolver6v33100L18getri_kernel_smallILi11EdPdEEvT1_iilPiilS4_bb,comdat
	.globl	_ZN9rocsolver6v33100L18getri_kernel_smallILi11EdPdEEvT1_iilPiilS4_bb ; -- Begin function _ZN9rocsolver6v33100L18getri_kernel_smallILi11EdPdEEvT1_iilPiilS4_bb
	.p2align	8
	.type	_ZN9rocsolver6v33100L18getri_kernel_smallILi11EdPdEEvT1_iilPiilS4_bb,@function
_ZN9rocsolver6v33100L18getri_kernel_smallILi11EdPdEEvT1_iilPiilS4_bb: ; @_ZN9rocsolver6v33100L18getri_kernel_smallILi11EdPdEEvT1_iilPiilS4_bb
; %bb.0:
	v_cmp_gt_u32_e32 vcc, 11, v0
	s_and_saveexec_b64 s[0:1], vcc
	s_cbranch_execz .LBB10_16
; %bb.1:
	s_load_dword s12, s[4:5], 0x38
	s_load_dwordx4 s[8:11], s[4:5], 0x10
	s_load_dwordx4 s[28:31], s[4:5], 0x28
                                        ; implicit-def: $sgpr34_sgpr35
	s_waitcnt lgkmcnt(0)
	s_bitcmp1_b32 s12, 8
	s_cselect_b64 s[36:37], -1, 0
	s_ashr_i32 s7, s6, 31
	s_bfe_u32 s0, s12, 0x10008
	s_cmp_eq_u32 s0, 0
	s_cbranch_scc1 .LBB10_3
; %bb.2:
	s_load_dword s0, s[4:5], 0x20
	s_mul_i32 s1, s6, s29
	s_mul_hi_u32 s2, s6, s28
	s_mul_i32 s3, s7, s28
	s_add_i32 s2, s2, s1
	s_add_i32 s3, s2, s3
	s_mul_i32 s2, s6, s28
	s_waitcnt lgkmcnt(0)
	s_ashr_i32 s1, s0, 31
	s_lshl_b64 s[2:3], s[2:3], 2
	s_add_u32 s2, s10, s2
	s_addc_u32 s3, s11, s3
	s_lshl_b64 s[0:1], s[0:1], 2
	s_add_u32 s34, s2, s0
	s_addc_u32 s35, s3, s1
.LBB10_3:
	s_load_dwordx4 s[0:3], s[4:5], 0x0
	s_mul_i32 s4, s6, s9
	s_mul_hi_u32 s5, s6, s8
	s_add_i32 s9, s5, s4
	v_lshlrev_b32_e32 v26, 3, v0
	s_waitcnt lgkmcnt(0)
	s_ashr_i32 s5, s2, 31
	s_mov_b32 s4, s2
	s_mul_i32 s2, s7, s8
	s_add_i32 s9, s9, s2
	s_mul_i32 s8, s6, s8
	s_lshl_b64 s[8:9], s[8:9], 3
	s_add_u32 s2, s0, s8
	s_addc_u32 s8, s1, s9
	s_lshl_b64 s[0:1], s[4:5], 3
	s_add_u32 s0, s2, s0
	s_addc_u32 s1, s8, s1
	v_mov_b32_e32 v1, s1
	v_add_co_u32_e32 v56, vcc, s0, v26
	s_ashr_i32 s5, s3, 31
	s_mov_b32 s4, s3
	s_add_i32 s2, s3, s3
	v_addc_co_u32_e32 v57, vcc, 0, v1, vcc
	s_lshl_b64 s[4:5], s[4:5], 3
	v_add_u32_e32 v2, s2, v0
	v_mov_b32_e32 v1, s5
	v_add_co_u32_e32 v58, vcc, s4, v56
	v_ashrrev_i32_e32 v3, 31, v2
	v_addc_co_u32_e32 v59, vcc, v57, v1, vcc
	v_lshlrev_b64 v[4:5], 3, v[2:3]
	v_add_u32_e32 v2, s3, v2
	v_mov_b32_e32 v1, s1
	v_add_co_u32_e32 v60, vcc, s0, v4
	v_ashrrev_i32_e32 v3, 31, v2
	v_addc_co_u32_e32 v61, vcc, v1, v5, vcc
	v_lshlrev_b64 v[4:5], 3, v[2:3]
	v_add_u32_e32 v2, s3, v2
	v_add_co_u32_e32 v62, vcc, s0, v4
	v_ashrrev_i32_e32 v3, 31, v2
	v_addc_co_u32_e32 v63, vcc, v1, v5, vcc
	v_lshlrev_b64 v[4:5], 3, v[2:3]
	v_add_u32_e32 v2, s3, v2
	;; [unrolled: 5-line block ×7, first 2 shown]
	v_add_co_u32_e32 v74, vcc, s0, v20
	v_ashrrev_i32_e32 v3, 31, v2
	global_load_dwordx2 v[4:5], v[58:59], off
	global_load_dwordx2 v[6:7], v[60:61], off
	;; [unrolled: 1-line block ×8, first 2 shown]
	v_addc_co_u32_e32 v75, vcc, v1, v21, vcc
	v_lshlrev_b64 v[2:3], 3, v[2:3]
	v_add_co_u32_e32 v76, vcc, s0, v2
	global_load_dwordx2 v[20:21], v[74:75], off
	v_addc_co_u32_e32 v77, vcc, v1, v3, vcc
	global_load_dwordx2 v[2:3], v26, s[0:1]
	global_load_dwordx2 v[22:23], v[76:77], off
	v_mov_b32_e32 v1, 0
	s_bitcmp0_b32 s12, 0
	s_mov_b64 s[0:1], -1
	s_cbranch_scc1 .LBB10_14
; %bb.4:
	v_cmp_eq_u32_e64 s[0:1], 0, v0
	s_and_saveexec_b64 s[2:3], s[0:1]
	s_cbranch_execz .LBB10_6
; %bb.5:
	v_mov_b32_e32 v24, 0
	ds_write_b32 v24, v24 offset:88
.LBB10_6:
	s_or_b64 exec, exec, s[2:3]
	v_cmp_eq_u32_e32 vcc, 1, v0
	s_waitcnt vmcnt(1)
	v_cndmask_b32_e32 v24, v3, v5, vcc
	v_cmp_eq_u32_e64 s[2:3], 2, v0
	v_cndmask_b32_e64 v24, v24, v7, s[2:3]
	v_cmp_eq_u32_e64 s[4:5], 3, v0
	v_cndmask_b32_e64 v24, v24, v9, s[4:5]
	;; [unrolled: 2-line block ×8, first 2 shown]
	v_cmp_eq_u32_e64 s[20:21], 10, v0
	s_waitcnt vmcnt(0)
	v_cndmask_b32_e64 v25, v24, v23, s[20:21]
	v_cndmask_b32_e32 v24, v2, v4, vcc
	v_cndmask_b32_e64 v24, v24, v6, s[2:3]
	v_cndmask_b32_e64 v24, v24, v8, s[4:5]
	;; [unrolled: 1-line block ×9, first 2 shown]
	v_cmp_eq_f64_e32 vcc, 0, v[24:25]
	s_waitcnt lgkmcnt(0)
	; wave barrier
	s_waitcnt lgkmcnt(0)
	s_and_saveexec_b64 s[4:5], vcc
	s_cbranch_execz .LBB10_10
; %bb.7:
	v_mov_b32_e32 v27, 0
	ds_read_b32 v29, v27 offset:88
	v_add_u32_e32 v28, 1, v0
	s_waitcnt lgkmcnt(0)
	v_readfirstlane_b32 s2, v29
	s_cmp_eq_u32 s2, 0
	s_cselect_b64 s[8:9], -1, 0
	v_cmp_gt_i32_e32 vcc, s2, v28
	s_or_b64 s[8:9], s[8:9], vcc
	s_and_b64 exec, exec, s[8:9]
	s_cbranch_execz .LBB10_10
; %bb.8:
	s_mov_b64 s[8:9], 0
	v_mov_b32_e32 v29, s2
.LBB10_9:                               ; =>This Inner Loop Header: Depth=1
	ds_cmpst_rtn_b32 v29, v27, v29, v28 offset:88
	s_waitcnt lgkmcnt(0)
	v_cmp_ne_u32_e32 vcc, 0, v29
	v_cmp_le_i32_e64 s[2:3], v29, v28
	s_and_b64 s[2:3], vcc, s[2:3]
	s_and_b64 s[2:3], exec, s[2:3]
	s_or_b64 s[8:9], s[2:3], s[8:9]
	s_andn2_b64 exec, exec, s[8:9]
	s_cbranch_execnz .LBB10_9
.LBB10_10:
	s_or_b64 exec, exec, s[4:5]
	v_mov_b32_e32 v28, 0
	s_waitcnt lgkmcnt(0)
	; wave barrier
	ds_read_b32 v27, v28 offset:88
	s_and_saveexec_b64 s[2:3], s[0:1]
	s_cbranch_execz .LBB10_12
; %bb.11:
	s_lshl_b64 s[4:5], s[6:7], 2
	s_add_u32 s4, s30, s4
	s_addc_u32 s5, s31, s5
	s_waitcnt lgkmcnt(0)
	global_store_dword v28, v27, s[4:5]
.LBB10_12:
	s_or_b64 exec, exec, s[2:3]
	s_waitcnt lgkmcnt(0)
	v_cmp_ne_u32_e32 vcc, 0, v27
	s_cbranch_vccz .LBB10_17
; %bb.13:
	s_mov_b64 s[0:1], 0
                                        ; implicit-def: $vgpr2_vgpr3_vgpr4_vgpr5_vgpr6_vgpr7_vgpr8_vgpr9_vgpr10_vgpr11_vgpr12_vgpr13_vgpr14_vgpr15_vgpr16_vgpr17_vgpr18_vgpr19_vgpr20_vgpr21_vgpr22_vgpr23_vgpr24_vgpr25_vgpr26_vgpr27_vgpr28_vgpr29_vgpr30_vgpr31_vgpr32_vgpr33
.LBB10_14:
	s_and_b64 vcc, exec, s[0:1]
	s_cbranch_vccz .LBB10_16
.LBB10_15:
	s_lshl_b64 s[0:1], s[6:7], 2
	s_add_u32 s0, s30, s0
	s_addc_u32 s1, s31, s1
	v_mov_b32_e32 v1, 0
	global_load_dword v1, v1, s[0:1]
	s_waitcnt vmcnt(0)
	v_cmp_ne_u32_e32 vcc, 0, v1
	s_cbranch_vccz .LBB10_66
.LBB10_16:
	s_endpgm
.LBB10_17:
	v_div_scale_f64 v[28:29], s[2:3], v[24:25], v[24:25], 1.0
	v_rcp_f64_e32 v[30:31], v[28:29]
	v_div_scale_f64 v[32:33], vcc, 1.0, v[24:25], 1.0
	v_fma_f64 v[34:35], -v[28:29], v[30:31], 1.0
	v_fmac_f64_e32 v[30:31], v[30:31], v[34:35]
	v_fma_f64 v[34:35], -v[28:29], v[30:31], 1.0
	v_fmac_f64_e32 v[30:31], v[30:31], v[34:35]
	v_mul_f64 v[34:35], v[32:33], v[30:31]
	v_fma_f64 v[28:29], -v[28:29], v[34:35], v[32:33]
	v_div_fmas_f64 v[28:29], v[28:29], v[30:31], v[34:35]
	v_div_fixup_f64 v[24:25], v[28:29], v[24:25], 1.0
	v_cmp_eq_u32_e32 vcc, 10, v0
	v_cndmask_b32_e32 v23, v23, v25, vcc
	v_cndmask_b32_e32 v22, v22, v24, vcc
	v_cmp_eq_u32_e32 vcc, 9, v0
	v_cndmask_b32_e32 v21, v21, v25, vcc
	v_cndmask_b32_e32 v20, v20, v24, vcc
	;; [unrolled: 3-line block ×11, first 2 shown]
	v_xor_b32_e32 v31, 0x80000000, v25
	v_mov_b32_e32 v30, v24
	v_add_u32_e32 v28, 0x60, v26
	ds_write2_b64 v26, v[30:31], v[4:5] offset1:12
	s_waitcnt lgkmcnt(0)
	; wave barrier
	s_waitcnt lgkmcnt(0)
	s_and_saveexec_b64 s[2:3], s[0:1]
	s_cbranch_execz .LBB10_19
; %bb.18:
	v_mov_b32_e32 v26, 0
	ds_read_b64 v[4:5], v28
	ds_read_b64 v[26:27], v26 offset:8
	s_waitcnt lgkmcnt(1)
	v_fma_f64 v[4:5], v[24:25], v[4:5], 0
	s_waitcnt lgkmcnt(0)
	v_mul_f64 v[4:5], v[4:5], v[26:27]
.LBB10_19:
	s_or_b64 exec, exec, s[2:3]
	v_cmp_gt_u32_e32 vcc, 2, v0
	s_waitcnt lgkmcnt(0)
	; wave barrier
	ds_write_b64 v28, v[6:7]
	s_waitcnt lgkmcnt(0)
	; wave barrier
	s_waitcnt lgkmcnt(0)
	s_and_saveexec_b64 s[24:25], vcc
	s_cbranch_execz .LBB10_21
; %bb.20:
	v_cmp_eq_u32_e64 s[2:3], 1, v0
	v_cndmask_b32_e64 v24, v3, v5, s[2:3]
	v_cmp_eq_u32_e64 s[4:5], 2, v0
	v_cndmask_b32_e64 v7, v24, v7, s[4:5]
	v_cndmask_b32_e64 v24, v2, v4, s[2:3]
	v_cmp_eq_u32_e64 s[8:9], 3, v0
	v_cndmask_b32_e64 v6, v24, v6, s[4:5]
	;; [unrolled: 3-line block ×6, first 2 shown]
	ds_read_b64 v[30:31], v28
	v_mov_b32_e32 v24, 0
	v_cndmask_b32_e64 v7, v7, v17, s[16:17]
	v_cmp_eq_u32_e64 s[18:19], 8, v0
	v_cndmask_b32_e64 v6, v6, v16, s[16:17]
	ds_read2_b64 v[24:27], v24 offset0:2 offset1:13
	v_cndmask_b32_e64 v7, v7, v19, s[18:19]
	v_cmp_eq_u32_e64 s[20:21], 9, v0
	v_cndmask_b32_e64 v6, v6, v18, s[18:19]
	v_cndmask_b32_e64 v7, v7, v21, s[20:21]
	v_cmp_eq_u32_e64 s[22:23], 10, v0
	v_cndmask_b32_e64 v6, v6, v20, s[20:21]
	v_cndmask_b32_e64 v7, v7, v23, s[22:23]
	v_cndmask_b32_e64 v6, v6, v22, s[22:23]
	s_waitcnt lgkmcnt(1)
	v_fma_f64 v[6:7], v[6:7], v[30:31], 0
	s_waitcnt lgkmcnt(0)
	v_fma_f64 v[26:27], v[4:5], v[26:27], v[6:7]
	v_cndmask_b32_e64 v7, v7, v27, s[0:1]
	v_cndmask_b32_e64 v6, v6, v26, s[0:1]
	v_mul_f64 v[6:7], v[6:7], v[24:25]
.LBB10_21:
	s_or_b64 exec, exec, s[24:25]
	v_cmp_gt_u32_e64 s[2:3], 3, v0
	s_waitcnt lgkmcnt(0)
	; wave barrier
	ds_write_b64 v28, v[8:9]
	s_waitcnt lgkmcnt(0)
	; wave barrier
	s_waitcnt lgkmcnt(0)
	s_and_saveexec_b64 s[10:11], s[2:3]
	s_cbranch_execz .LBB10_25
; %bb.22:
	v_mov_b32_e32 v24, 0x60
	v_lshl_add_u32 v29, v0, 3, v24
	s_mov_b64 s[12:13], 0
	v_pk_mov_b32 v[24:25], 0, 0
	v_pk_mov_b32 v[26:27], v[0:1], v[0:1] op_sel:[0,1]
.LBB10_23:                              ; =>This Inner Loop Header: Depth=1
	v_cmp_eq_u32_e64 s[2:3], 1, v26
	v_cndmask_b32_e64 v32, v3, v5, s[2:3]
	v_cmp_eq_u32_e64 s[4:5], 2, v26
	v_cndmask_b32_e64 v32, v32, v7, s[4:5]
	v_cndmask_b32_e64 v33, v2, v4, s[2:3]
	v_cmp_eq_u32_e64 s[2:3], 3, v26
	v_cndmask_b32_e64 v32, v32, v9, s[2:3]
	;; [unrolled: 3-line block ×5, first 2 shown]
	v_cndmask_b32_e64 v33, v33, v12, s[2:3]
	v_cmp_eq_u32_e64 s[2:3], 7, v26
	ds_read_b64 v[30:31], v29
	v_cndmask_b32_e64 v32, v32, v17, s[2:3]
	v_cndmask_b32_e64 v33, v33, v14, s[4:5]
	v_cmp_eq_u32_e64 s[4:5], 8, v26
	v_cndmask_b32_e64 v32, v32, v19, s[4:5]
	v_cndmask_b32_e64 v33, v33, v16, s[2:3]
	v_cmp_eq_u32_e64 s[2:3], 9, v26
	v_cndmask_b32_e64 v32, v32, v21, s[2:3]
	v_cmp_eq_u32_e64 s[8:9], 10, v26
	v_cndmask_b32_e64 v34, v33, v18, s[4:5]
	v_add_co_u32_e64 v26, s[4:5], 1, v26
	v_cndmask_b32_e64 v33, v32, v23, s[8:9]
	v_cndmask_b32_e64 v32, v34, v20, s[2:3]
	v_add_u32_e32 v34, -1, v26
	v_cndmask_b32_e64 v32, v32, v22, s[8:9]
	v_cmp_lt_u32_e64 s[2:3], 1, v34
	v_add_u32_e32 v29, 8, v29
	v_addc_co_u32_e64 v27, s[4:5], 0, v27, s[4:5]
	s_or_b64 s[12:13], s[2:3], s[12:13]
	s_waitcnt lgkmcnt(0)
	v_fmac_f64_e32 v[24:25], v[32:33], v[30:31]
	s_andn2_b64 exec, exec, s[12:13]
	s_cbranch_execnz .LBB10_23
; %bb.24:
	s_or_b64 exec, exec, s[12:13]
	v_mov_b32_e32 v8, 0
	ds_read_b64 v[8:9], v8 offset:24
	s_waitcnt lgkmcnt(0)
	v_mul_f64 v[8:9], v[24:25], v[8:9]
.LBB10_25:
	s_or_b64 exec, exec, s[10:11]
	v_cmp_gt_u32_e64 s[2:3], 4, v0
	s_waitcnt lgkmcnt(0)
	; wave barrier
	ds_write_b64 v28, v[10:11]
	s_waitcnt lgkmcnt(0)
	; wave barrier
	s_waitcnt lgkmcnt(0)
	s_and_saveexec_b64 s[12:13], s[2:3]
	s_cbranch_execz .LBB10_29
; %bb.26:
	v_mov_b32_e32 v24, 0x60
	v_lshl_add_u32 v29, v0, 3, v24
	s_mov_b64 s[14:15], 0
	v_pk_mov_b32 v[24:25], 0, 0
	v_pk_mov_b32 v[26:27], v[0:1], v[0:1] op_sel:[0,1]
.LBB10_27:                              ; =>This Inner Loop Header: Depth=1
	v_cmp_eq_u32_e64 s[4:5], 1, v26
	v_cndmask_b32_e64 v32, v3, v5, s[4:5]
	v_cmp_eq_u32_e64 s[8:9], 2, v26
	v_cndmask_b32_e64 v32, v32, v7, s[8:9]
	v_cndmask_b32_e64 v33, v2, v4, s[4:5]
	v_cmp_eq_u32_e64 s[4:5], 3, v26
	v_cndmask_b32_e64 v32, v32, v9, s[4:5]
	;; [unrolled: 3-line block ×5, first 2 shown]
	v_cndmask_b32_e64 v33, v33, v12, s[4:5]
	v_cmp_eq_u32_e64 s[4:5], 7, v26
	ds_read_b64 v[30:31], v29
	v_cndmask_b32_e64 v32, v32, v17, s[4:5]
	v_cndmask_b32_e64 v33, v33, v14, s[8:9]
	v_cmp_eq_u32_e64 s[8:9], 8, v26
	v_cndmask_b32_e64 v32, v32, v19, s[8:9]
	v_cndmask_b32_e64 v33, v33, v16, s[4:5]
	v_cmp_eq_u32_e64 s[4:5], 9, v26
	v_cndmask_b32_e64 v32, v32, v21, s[4:5]
	v_cmp_eq_u32_e64 s[10:11], 10, v26
	v_cndmask_b32_e64 v34, v33, v18, s[8:9]
	v_add_co_u32_e64 v26, s[8:9], 1, v26
	v_cndmask_b32_e64 v33, v32, v23, s[10:11]
	v_cndmask_b32_e64 v32, v34, v20, s[4:5]
	v_add_u32_e32 v34, -1, v26
	v_cndmask_b32_e64 v32, v32, v22, s[10:11]
	v_cmp_lt_u32_e64 s[4:5], 2, v34
	v_add_u32_e32 v29, 8, v29
	v_addc_co_u32_e64 v27, s[8:9], 0, v27, s[8:9]
	s_or_b64 s[14:15], s[4:5], s[14:15]
	s_waitcnt lgkmcnt(0)
	v_fmac_f64_e32 v[24:25], v[32:33], v[30:31]
	s_andn2_b64 exec, exec, s[14:15]
	s_cbranch_execnz .LBB10_27
; %bb.28:
	s_or_b64 exec, exec, s[14:15]
	v_mov_b32_e32 v10, 0
	ds_read_b64 v[10:11], v10 offset:32
	s_waitcnt lgkmcnt(0)
	v_mul_f64 v[10:11], v[24:25], v[10:11]
.LBB10_29:
	s_or_b64 exec, exec, s[12:13]
	v_cmp_gt_u32_e64 s[4:5], 5, v0
	s_waitcnt lgkmcnt(0)
	; wave barrier
	ds_write_b64 v28, v[12:13]
	s_waitcnt lgkmcnt(0)
	; wave barrier
	s_waitcnt lgkmcnt(0)
	s_and_saveexec_b64 s[12:13], s[4:5]
	s_cbranch_execz .LBB10_33
; %bb.30:
	v_mov_b32_e32 v24, 0x60
	v_lshl_add_u32 v29, v0, 3, v24
	s_mov_b64 s[14:15], 0
	v_pk_mov_b32 v[24:25], 0, 0
	v_pk_mov_b32 v[26:27], v[0:1], v[0:1] op_sel:[0,1]
.LBB10_31:                              ; =>This Inner Loop Header: Depth=1
	v_cmp_eq_u32_e64 s[4:5], 1, v26
	v_cndmask_b32_e64 v32, v3, v5, s[4:5]
	v_cmp_eq_u32_e64 s[8:9], 2, v26
	v_cndmask_b32_e64 v32, v32, v7, s[8:9]
	v_cndmask_b32_e64 v33, v2, v4, s[4:5]
	v_cmp_eq_u32_e64 s[4:5], 3, v26
	v_cndmask_b32_e64 v32, v32, v9, s[4:5]
	;; [unrolled: 3-line block ×5, first 2 shown]
	v_cndmask_b32_e64 v33, v33, v12, s[4:5]
	v_cmp_eq_u32_e64 s[4:5], 7, v26
	ds_read_b64 v[30:31], v29
	v_cndmask_b32_e64 v32, v32, v17, s[4:5]
	v_cndmask_b32_e64 v33, v33, v14, s[8:9]
	v_cmp_eq_u32_e64 s[8:9], 8, v26
	v_cndmask_b32_e64 v32, v32, v19, s[8:9]
	v_cndmask_b32_e64 v33, v33, v16, s[4:5]
	v_cmp_eq_u32_e64 s[4:5], 9, v26
	v_cndmask_b32_e64 v32, v32, v21, s[4:5]
	v_cmp_eq_u32_e64 s[10:11], 10, v26
	v_cndmask_b32_e64 v34, v33, v18, s[8:9]
	v_add_co_u32_e64 v26, s[8:9], 1, v26
	v_cndmask_b32_e64 v33, v32, v23, s[10:11]
	v_cndmask_b32_e64 v32, v34, v20, s[4:5]
	v_add_u32_e32 v34, -1, v26
	v_cndmask_b32_e64 v32, v32, v22, s[10:11]
	v_cmp_lt_u32_e64 s[4:5], 3, v34
	v_add_u32_e32 v29, 8, v29
	v_addc_co_u32_e64 v27, s[8:9], 0, v27, s[8:9]
	s_or_b64 s[14:15], s[4:5], s[14:15]
	s_waitcnt lgkmcnt(0)
	v_fmac_f64_e32 v[24:25], v[32:33], v[30:31]
	s_andn2_b64 exec, exec, s[14:15]
	s_cbranch_execnz .LBB10_31
; %bb.32:
	s_or_b64 exec, exec, s[14:15]
	v_mov_b32_e32 v12, 0
	ds_read_b64 v[12:13], v12 offset:40
	s_waitcnt lgkmcnt(0)
	v_mul_f64 v[12:13], v[24:25], v[12:13]
.LBB10_33:
	s_or_b64 exec, exec, s[12:13]
	v_cmp_gt_u32_e64 s[4:5], 6, v0
	s_waitcnt lgkmcnt(0)
	; wave barrier
	ds_write_b64 v28, v[14:15]
	s_waitcnt lgkmcnt(0)
	; wave barrier
	s_waitcnt lgkmcnt(0)
	s_and_saveexec_b64 s[14:15], s[4:5]
	s_cbranch_execz .LBB10_37
; %bb.34:
	v_mov_b32_e32 v24, 0x60
	v_lshl_add_u32 v29, v0, 3, v24
	s_mov_b64 s[16:17], 0
	v_pk_mov_b32 v[24:25], 0, 0
	v_pk_mov_b32 v[26:27], v[0:1], v[0:1] op_sel:[0,1]
.LBB10_35:                              ; =>This Inner Loop Header: Depth=1
	v_cmp_eq_u32_e64 s[8:9], 1, v26
	v_cndmask_b32_e64 v32, v3, v5, s[8:9]
	v_cmp_eq_u32_e64 s[10:11], 2, v26
	v_cndmask_b32_e64 v32, v32, v7, s[10:11]
	v_cndmask_b32_e64 v33, v2, v4, s[8:9]
	v_cmp_eq_u32_e64 s[8:9], 3, v26
	v_cndmask_b32_e64 v32, v32, v9, s[8:9]
	;; [unrolled: 3-line block ×5, first 2 shown]
	v_cndmask_b32_e64 v33, v33, v12, s[8:9]
	v_cmp_eq_u32_e64 s[8:9], 7, v26
	ds_read_b64 v[30:31], v29
	v_cndmask_b32_e64 v32, v32, v17, s[8:9]
	v_cndmask_b32_e64 v33, v33, v14, s[10:11]
	v_cmp_eq_u32_e64 s[10:11], 8, v26
	v_cndmask_b32_e64 v32, v32, v19, s[10:11]
	v_cndmask_b32_e64 v33, v33, v16, s[8:9]
	v_cmp_eq_u32_e64 s[8:9], 9, v26
	v_cndmask_b32_e64 v32, v32, v21, s[8:9]
	v_cmp_eq_u32_e64 s[12:13], 10, v26
	v_cndmask_b32_e64 v34, v33, v18, s[10:11]
	v_add_co_u32_e64 v26, s[10:11], 1, v26
	v_cndmask_b32_e64 v33, v32, v23, s[12:13]
	v_cndmask_b32_e64 v32, v34, v20, s[8:9]
	v_add_u32_e32 v34, -1, v26
	v_cndmask_b32_e64 v32, v32, v22, s[12:13]
	v_cmp_lt_u32_e64 s[8:9], 4, v34
	v_add_u32_e32 v29, 8, v29
	v_addc_co_u32_e64 v27, s[10:11], 0, v27, s[10:11]
	s_or_b64 s[16:17], s[8:9], s[16:17]
	s_waitcnt lgkmcnt(0)
	v_fmac_f64_e32 v[24:25], v[32:33], v[30:31]
	s_andn2_b64 exec, exec, s[16:17]
	s_cbranch_execnz .LBB10_35
; %bb.36:
	s_or_b64 exec, exec, s[16:17]
	v_mov_b32_e32 v14, 0
	ds_read_b64 v[14:15], v14 offset:48
	s_waitcnt lgkmcnt(0)
	v_mul_f64 v[14:15], v[24:25], v[14:15]
.LBB10_37:
	s_or_b64 exec, exec, s[14:15]
	v_cmp_gt_u32_e64 s[8:9], 7, v0
	s_waitcnt lgkmcnt(0)
	; wave barrier
	ds_write_b64 v28, v[16:17]
	s_waitcnt lgkmcnt(0)
	; wave barrier
	s_waitcnt lgkmcnt(0)
	s_and_saveexec_b64 s[14:15], s[8:9]
	s_cbranch_execz .LBB10_41
; %bb.38:
	v_mov_b32_e32 v24, 0x60
	v_lshl_add_u32 v29, v0, 3, v24
	s_mov_b64 s[16:17], 0
	v_pk_mov_b32 v[24:25], 0, 0
	v_pk_mov_b32 v[26:27], v[0:1], v[0:1] op_sel:[0,1]
.LBB10_39:                              ; =>This Inner Loop Header: Depth=1
	v_cmp_eq_u32_e64 s[8:9], 1, v26
	v_cndmask_b32_e64 v32, v3, v5, s[8:9]
	v_cmp_eq_u32_e64 s[10:11], 2, v26
	v_cndmask_b32_e64 v32, v32, v7, s[10:11]
	v_cndmask_b32_e64 v33, v2, v4, s[8:9]
	v_cmp_eq_u32_e64 s[8:9], 3, v26
	v_cndmask_b32_e64 v32, v32, v9, s[8:9]
	;; [unrolled: 3-line block ×5, first 2 shown]
	v_cndmask_b32_e64 v33, v33, v12, s[8:9]
	v_cmp_eq_u32_e64 s[8:9], 7, v26
	ds_read_b64 v[30:31], v29
	v_cndmask_b32_e64 v32, v32, v17, s[8:9]
	v_cndmask_b32_e64 v33, v33, v14, s[10:11]
	v_cmp_eq_u32_e64 s[10:11], 8, v26
	v_cndmask_b32_e64 v32, v32, v19, s[10:11]
	v_cndmask_b32_e64 v33, v33, v16, s[8:9]
	v_cmp_eq_u32_e64 s[8:9], 9, v26
	v_cndmask_b32_e64 v32, v32, v21, s[8:9]
	v_cmp_eq_u32_e64 s[12:13], 10, v26
	v_cndmask_b32_e64 v34, v33, v18, s[10:11]
	v_add_co_u32_e64 v26, s[10:11], 1, v26
	v_cndmask_b32_e64 v33, v32, v23, s[12:13]
	v_cndmask_b32_e64 v32, v34, v20, s[8:9]
	v_add_u32_e32 v34, -1, v26
	v_cndmask_b32_e64 v32, v32, v22, s[12:13]
	v_cmp_lt_u32_e64 s[8:9], 5, v34
	v_add_u32_e32 v29, 8, v29
	v_addc_co_u32_e64 v27, s[10:11], 0, v27, s[10:11]
	s_or_b64 s[16:17], s[8:9], s[16:17]
	s_waitcnt lgkmcnt(0)
	v_fmac_f64_e32 v[24:25], v[32:33], v[30:31]
	s_andn2_b64 exec, exec, s[16:17]
	s_cbranch_execnz .LBB10_39
; %bb.40:
	s_or_b64 exec, exec, s[16:17]
	v_mov_b32_e32 v16, 0
	ds_read_b64 v[16:17], v16 offset:56
	s_waitcnt lgkmcnt(0)
	v_mul_f64 v[16:17], v[24:25], v[16:17]
.LBB10_41:
	s_or_b64 exec, exec, s[14:15]
	v_cmp_gt_u32_e64 s[8:9], 8, v0
	s_waitcnt lgkmcnt(0)
	; wave barrier
	ds_write_b64 v28, v[18:19]
	s_waitcnt lgkmcnt(0)
	; wave barrier
	s_waitcnt lgkmcnt(0)
	s_and_saveexec_b64 s[28:29], s[8:9]
	s_cbranch_execz .LBB10_57
; %bb.42:
	v_cmp_eq_u32_e64 s[8:9], 1, v0
	v_cndmask_b32_e64 v24, v3, v5, s[8:9]
	v_cmp_eq_u32_e64 s[10:11], 2, v0
	v_cndmask_b32_e64 v24, v24, v7, s[10:11]
	;; [unrolled: 2-line block ×10, first 2 shown]
	v_cndmask_b32_e64 v24, v2, v4, s[8:9]
	v_cndmask_b32_e64 v24, v24, v6, s[10:11]
	;; [unrolled: 1-line block ×6, first 2 shown]
	ds_read_b64 v[26:27], v28
	v_cndmask_b32_e64 v24, v24, v16, s[20:21]
	v_cndmask_b32_e64 v24, v24, v18, s[22:23]
	;; [unrolled: 1-line block ×4, first 2 shown]
	s_waitcnt lgkmcnt(0)
	v_fma_f64 v[24:25], v[24:25], v[26:27], 0
	v_cmp_ne_u32_e64 s[8:9], 7, v0
	s_and_saveexec_b64 s[38:39], s[8:9]
	s_cbranch_execz .LBB10_56
; %bb.43:
	v_add_u32_e32 v26, 1, v0
	v_cmp_eq_u32_e64 s[8:9], 1, v26
	v_cndmask_b32_e64 v27, v3, v5, s[8:9]
	v_cmp_eq_u32_e64 s[10:11], 2, v26
	v_cmp_eq_u32_e64 s[12:13], 3, v26
	;; [unrolled: 1-line block ×9, first 2 shown]
	v_cndmask_b32_e64 v26, v2, v4, s[8:9]
	v_cndmask_b32_e64 v27, v27, v7, s[10:11]
	;; [unrolled: 1-line block ×11, first 2 shown]
	ds_read_b64 v[30:31], v28 offset:8
	v_cndmask_b32_e64 v27, v27, v17, s[20:21]
	v_cndmask_b32_e64 v26, v26, v16, s[20:21]
	;; [unrolled: 1-line block ×8, first 2 shown]
	s_waitcnt lgkmcnt(0)
	v_fmac_f64_e32 v[24:25], v[26:27], v[30:31]
	s_and_saveexec_b64 s[26:27], s[4:5]
	s_cbranch_execz .LBB10_55
; %bb.44:
	v_add_u32_e32 v26, 2, v0
	v_cmp_eq_u32_e64 s[4:5], 1, v26
	v_cndmask_b32_e64 v27, v3, v5, s[4:5]
	v_cmp_eq_u32_e64 s[8:9], 2, v26
	v_cmp_eq_u32_e64 s[10:11], 3, v26
	v_cmp_eq_u32_e64 s[12:13], 4, v26
	v_cmp_eq_u32_e64 s[14:15], 5, v26
	v_cmp_eq_u32_e64 s[16:17], 6, v26
	v_cmp_eq_u32_e64 s[18:19], 7, v26
	v_cmp_eq_u32_e64 s[20:21], 8, v26
	v_cmp_eq_u32_e64 s[22:23], 9, v26
	v_cmp_eq_u32_e64 s[24:25], 10, v26
	v_cndmask_b32_e64 v26, v2, v4, s[4:5]
	v_cndmask_b32_e64 v27, v27, v7, s[8:9]
	;; [unrolled: 1-line block ×11, first 2 shown]
	ds_read_b64 v[30:31], v28 offset:16
	v_cndmask_b32_e64 v27, v27, v17, s[18:19]
	v_cndmask_b32_e64 v26, v26, v16, s[18:19]
	;; [unrolled: 1-line block ×8, first 2 shown]
	s_waitcnt lgkmcnt(0)
	v_fmac_f64_e32 v[24:25], v[26:27], v[30:31]
	v_cmp_ne_u32_e64 s[4:5], 5, v0
	s_and_saveexec_b64 s[40:41], s[4:5]
	s_cbranch_execz .LBB10_54
; %bb.45:
	v_add_u32_e32 v26, 3, v0
	v_cmp_eq_u32_e64 s[4:5], 1, v26
	v_cndmask_b32_e64 v27, v3, v5, s[4:5]
	v_cmp_eq_u32_e64 s[8:9], 2, v26
	v_cmp_eq_u32_e64 s[10:11], 3, v26
	;; [unrolled: 1-line block ×9, first 2 shown]
	v_cndmask_b32_e64 v26, v2, v4, s[4:5]
	v_cndmask_b32_e64 v27, v27, v7, s[8:9]
	;; [unrolled: 1-line block ×11, first 2 shown]
	ds_read_b64 v[30:31], v28 offset:24
	v_cndmask_b32_e64 v27, v27, v17, s[18:19]
	v_cndmask_b32_e64 v26, v26, v16, s[18:19]
	;; [unrolled: 1-line block ×8, first 2 shown]
	s_waitcnt lgkmcnt(0)
	v_fmac_f64_e32 v[24:25], v[26:27], v[30:31]
	s_and_saveexec_b64 s[24:25], s[2:3]
	s_cbranch_execz .LBB10_53
; %bb.46:
	v_or_b32_e32 v26, 4, v0
	v_cmp_eq_u32_e64 s[2:3], 1, v26
	v_cndmask_b32_e64 v27, v3, v5, s[2:3]
	v_cmp_eq_u32_e64 s[4:5], 2, v26
	v_cmp_eq_u32_e64 s[8:9], 3, v26
	;; [unrolled: 1-line block ×9, first 2 shown]
	v_cndmask_b32_e64 v26, v2, v4, s[2:3]
	v_cndmask_b32_e64 v27, v27, v7, s[4:5]
	v_cndmask_b32_e64 v26, v26, v6, s[4:5]
	v_cndmask_b32_e64 v27, v27, v9, s[8:9]
	v_cndmask_b32_e64 v26, v26, v8, s[8:9]
	v_cndmask_b32_e64 v27, v27, v11, s[10:11]
	v_cndmask_b32_e64 v26, v26, v10, s[10:11]
	v_cndmask_b32_e64 v27, v27, v13, s[12:13]
	v_cndmask_b32_e64 v26, v26, v12, s[12:13]
	v_cndmask_b32_e64 v27, v27, v15, s[14:15]
	v_cndmask_b32_e64 v26, v26, v14, s[14:15]
	ds_read_b64 v[30:31], v28 offset:32
	v_cndmask_b32_e64 v27, v27, v17, s[16:17]
	v_cndmask_b32_e64 v26, v26, v16, s[16:17]
	;; [unrolled: 1-line block ×8, first 2 shown]
	s_waitcnt lgkmcnt(0)
	v_fmac_f64_e32 v[24:25], v[26:27], v[30:31]
	v_cmp_ne_u32_e64 s[2:3], 3, v0
	s_and_saveexec_b64 s[42:43], s[2:3]
	s_cbranch_execz .LBB10_52
; %bb.47:
	v_add_u32_e32 v26, 5, v0
	v_cmp_eq_u32_e64 s[2:3], 1, v26
	v_cndmask_b32_e64 v27, v3, v5, s[2:3]
	v_cmp_eq_u32_e64 s[4:5], 2, v26
	v_cmp_eq_u32_e64 s[8:9], 3, v26
	;; [unrolled: 1-line block ×9, first 2 shown]
	v_cndmask_b32_e64 v26, v2, v4, s[2:3]
	v_cndmask_b32_e64 v27, v27, v7, s[4:5]
	;; [unrolled: 1-line block ×11, first 2 shown]
	ds_read_b64 v[30:31], v28 offset:40
	v_cndmask_b32_e64 v27, v27, v17, s[16:17]
	v_cndmask_b32_e64 v26, v26, v16, s[16:17]
	;; [unrolled: 1-line block ×8, first 2 shown]
	s_waitcnt lgkmcnt(0)
	v_fmac_f64_e32 v[24:25], v[26:27], v[30:31]
	s_and_saveexec_b64 s[22:23], vcc
	s_cbranch_execz .LBB10_51
; %bb.48:
	v_or_b32_e32 v26, 6, v0
	v_cmp_eq_u32_e32 vcc, 1, v26
	v_cndmask_b32_e32 v27, v3, v5, vcc
	v_cmp_eq_u32_e64 s[2:3], 2, v26
	v_cndmask_b32_e64 v27, v27, v7, s[2:3]
	v_cmp_eq_u32_e64 s[4:5], 3, v26
	v_cndmask_b32_e64 v27, v27, v9, s[4:5]
	v_cmp_eq_u32_e64 s[8:9], 4, v26
	v_cmp_eq_u32_e64 s[10:11], 5, v26
	;; [unrolled: 1-line block ×7, first 2 shown]
	v_cndmask_b32_e32 v26, v2, v4, vcc
	v_cndmask_b32_e64 v27, v27, v11, s[8:9]
	v_cndmask_b32_e64 v26, v26, v6, s[2:3]
	;; [unrolled: 1-line block ×10, first 2 shown]
	ds_read_b64 v[26:27], v28 offset:48
	v_cndmask_b32_e64 v29, v29, v16, s[14:15]
	v_cndmask_b32_e64 v18, v29, v18, s[16:17]
	;; [unrolled: 1-line block ×6, first 2 shown]
	s_waitcnt lgkmcnt(0)
	v_fmac_f64_e32 v[24:25], v[18:19], v[26:27]
	s_and_saveexec_b64 s[2:3], s[0:1]
	s_cbranch_execz .LBB10_50
; %bb.49:
	ds_read_b64 v[18:19], v28 offset:56
	s_waitcnt lgkmcnt(0)
	v_fmac_f64_e32 v[24:25], v[16:17], v[18:19]
.LBB10_50:
	s_or_b64 exec, exec, s[2:3]
.LBB10_51:
	s_or_b64 exec, exec, s[22:23]
.LBB10_52:
	s_or_b64 exec, exec, s[42:43]
.LBB10_53:
	s_or_b64 exec, exec, s[24:25]
.LBB10_54:
	s_or_b64 exec, exec, s[40:41]
.LBB10_55:
	s_or_b64 exec, exec, s[26:27]
.LBB10_56:
	s_or_b64 exec, exec, s[38:39]
	v_mov_b32_e32 v18, 0
	ds_read_b64 v[18:19], v18 offset:64
	s_waitcnt lgkmcnt(0)
	v_mul_f64 v[18:19], v[24:25], v[18:19]
.LBB10_57:
	s_or_b64 exec, exec, s[28:29]
	v_cmp_gt_u32_e32 vcc, 9, v0
	s_waitcnt lgkmcnt(0)
	; wave barrier
	ds_write_b64 v28, v[20:21]
	s_waitcnt lgkmcnt(0)
	; wave barrier
	s_waitcnt lgkmcnt(0)
	s_and_saveexec_b64 s[4:5], vcc
	s_cbranch_execz .LBB10_61
; %bb.58:
	v_mov_b32_e32 v24, 0x60
	v_lshl_add_u32 v29, v0, 3, v24
	s_mov_b64 s[8:9], 0
	v_pk_mov_b32 v[24:25], 0, 0
	v_pk_mov_b32 v[26:27], v[0:1], v[0:1] op_sel:[0,1]
.LBB10_59:                              ; =>This Inner Loop Header: Depth=1
	v_cmp_eq_u32_e32 vcc, 1, v26
	v_cndmask_b32_e32 v32, v3, v5, vcc
	v_cmp_eq_u32_e64 s[0:1], 2, v26
	v_cndmask_b32_e64 v32, v32, v7, s[0:1]
	v_cndmask_b32_e32 v33, v2, v4, vcc
	v_cmp_eq_u32_e32 vcc, 3, v26
	v_cndmask_b32_e32 v32, v32, v9, vcc
	v_cndmask_b32_e64 v33, v33, v6, s[0:1]
	v_cmp_eq_u32_e64 s[0:1], 4, v26
	v_cndmask_b32_e64 v32, v32, v11, s[0:1]
	v_cndmask_b32_e32 v33, v33, v8, vcc
	v_cmp_eq_u32_e32 vcc, 5, v26
	v_cndmask_b32_e32 v32, v32, v13, vcc
	v_cndmask_b32_e64 v33, v33, v10, s[0:1]
	v_cmp_eq_u32_e64 s[0:1], 6, v26
	v_cndmask_b32_e64 v32, v32, v15, s[0:1]
	v_cndmask_b32_e32 v33, v33, v12, vcc
	v_cmp_eq_u32_e32 vcc, 7, v26
	ds_read_b64 v[30:31], v29
	v_cndmask_b32_e32 v32, v32, v17, vcc
	v_cndmask_b32_e64 v33, v33, v14, s[0:1]
	v_cmp_eq_u32_e64 s[0:1], 8, v26
	v_cndmask_b32_e64 v32, v32, v19, s[0:1]
	v_cndmask_b32_e32 v33, v33, v16, vcc
	v_cmp_eq_u32_e32 vcc, 9, v26
	v_cndmask_b32_e32 v32, v32, v21, vcc
	v_cmp_eq_u32_e64 s[2:3], 10, v26
	v_cndmask_b32_e64 v34, v33, v18, s[0:1]
	v_add_co_u32_e64 v26, s[0:1], 1, v26
	v_cndmask_b32_e64 v33, v32, v23, s[2:3]
	v_cndmask_b32_e32 v32, v34, v20, vcc
	v_add_u32_e32 v34, -1, v26
	v_cndmask_b32_e64 v32, v32, v22, s[2:3]
	v_cmp_lt_u32_e32 vcc, 7, v34
	v_add_u32_e32 v29, 8, v29
	v_addc_co_u32_e64 v27, s[0:1], 0, v27, s[0:1]
	s_or_b64 s[8:9], vcc, s[8:9]
	s_waitcnt lgkmcnt(0)
	v_fmac_f64_e32 v[24:25], v[32:33], v[30:31]
	s_andn2_b64 exec, exec, s[8:9]
	s_cbranch_execnz .LBB10_59
; %bb.60:
	s_or_b64 exec, exec, s[8:9]
	v_mov_b32_e32 v20, 0
	ds_read_b64 v[20:21], v20 offset:72
	s_waitcnt lgkmcnt(0)
	v_mul_f64 v[20:21], v[24:25], v[20:21]
.LBB10_61:
	s_or_b64 exec, exec, s[4:5]
	v_cmp_ne_u32_e32 vcc, 10, v0
	s_waitcnt lgkmcnt(0)
	; wave barrier
	ds_write_b64 v28, v[22:23]
	s_waitcnt lgkmcnt(0)
	; wave barrier
	s_waitcnt lgkmcnt(0)
	s_and_saveexec_b64 s[4:5], vcc
	s_cbranch_execz .LBB10_65
; %bb.62:
	v_mov_b32_e32 v24, 0x60
	v_lshl_add_u32 v28, v0, 3, v24
	s_mov_b64 s[8:9], 0
	v_pk_mov_b32 v[24:25], 0, 0
	v_pk_mov_b32 v[26:27], v[0:1], v[0:1] op_sel:[0,1]
.LBB10_63:                              ; =>This Inner Loop Header: Depth=1
	v_cmp_eq_u32_e32 vcc, 1, v26
	v_cndmask_b32_e32 v1, v3, v5, vcc
	v_cmp_eq_u32_e64 s[0:1], 2, v26
	v_cndmask_b32_e64 v1, v1, v7, s[0:1]
	v_cndmask_b32_e32 v29, v2, v4, vcc
	v_cmp_eq_u32_e32 vcc, 3, v26
	v_cndmask_b32_e32 v1, v1, v9, vcc
	v_cndmask_b32_e64 v29, v29, v6, s[0:1]
	v_cmp_eq_u32_e64 s[0:1], 4, v26
	v_cndmask_b32_e64 v1, v1, v11, s[0:1]
	v_cndmask_b32_e32 v29, v29, v8, vcc
	v_cmp_eq_u32_e32 vcc, 5, v26
	v_cndmask_b32_e32 v1, v1, v13, vcc
	v_cndmask_b32_e64 v29, v29, v10, s[0:1]
	v_cmp_eq_u32_e64 s[0:1], 6, v26
	v_cndmask_b32_e64 v1, v1, v15, s[0:1]
	v_cndmask_b32_e32 v29, v29, v12, vcc
	v_cmp_eq_u32_e32 vcc, 7, v26
	ds_read_b64 v[30:31], v28
	v_cndmask_b32_e32 v1, v1, v17, vcc
	v_cndmask_b32_e64 v29, v29, v14, s[0:1]
	v_cmp_eq_u32_e64 s[0:1], 8, v26
	v_cndmask_b32_e64 v1, v1, v19, s[0:1]
	v_cndmask_b32_e32 v29, v29, v16, vcc
	v_cmp_eq_u32_e32 vcc, 9, v26
	v_cndmask_b32_e32 v1, v1, v21, vcc
	v_cmp_eq_u32_e64 s[2:3], 10, v26
	v_cndmask_b32_e64 v29, v29, v18, s[0:1]
	v_add_co_u32_e64 v26, s[0:1], 1, v26
	v_cndmask_b32_e64 v33, v1, v23, s[2:3]
	v_cndmask_b32_e32 v1, v29, v20, vcc
	v_add_u32_e32 v29, -1, v26
	v_cndmask_b32_e64 v32, v1, v22, s[2:3]
	v_cmp_lt_u32_e32 vcc, 8, v29
	v_add_u32_e32 v28, 8, v28
	v_addc_co_u32_e64 v27, s[0:1], 0, v27, s[0:1]
	s_or_b64 s[8:9], vcc, s[8:9]
	s_waitcnt lgkmcnt(0)
	v_fmac_f64_e32 v[24:25], v[32:33], v[30:31]
	s_andn2_b64 exec, exec, s[8:9]
	s_cbranch_execnz .LBB10_63
; %bb.64:
	s_or_b64 exec, exec, s[8:9]
	v_mov_b32_e32 v1, 0
	ds_read_b64 v[22:23], v1 offset:80
	s_waitcnt lgkmcnt(0)
	v_mul_f64 v[22:23], v[24:25], v[22:23]
.LBB10_65:
	s_or_b64 exec, exec, s[4:5]
	s_waitcnt lgkmcnt(0)
	; wave barrier
	s_cbranch_execnz .LBB10_15
	s_branch .LBB10_16
.LBB10_66:
	v_mov_b32_e32 v1, 0x60
	v_lshl_add_u32 v1, v0, 3, v1
	v_cmp_eq_u32_e32 vcc, 10, v0
	s_and_saveexec_b64 s[0:1], vcc
	s_cbranch_execz .LBB10_68
; %bb.67:
	ds_write_b64 v1, v[20:21]
	v_mov_b32_e32 v20, 0
	v_mov_b32_e32 v21, v20
.LBB10_68:
	s_or_b64 exec, exec, s[0:1]
	v_mov_b32_e32 v40, 0
	s_waitcnt lgkmcnt(0)
	; wave barrier
	s_waitcnt lgkmcnt(0)
	ds_read_b64 v[24:25], v40 offset:176
	v_cmp_lt_u32_e32 vcc, 8, v0
	s_waitcnt lgkmcnt(0)
	v_fma_f64 v[24:25], v[22:23], v[24:25], 0
	v_add_f64 v[20:21], v[20:21], -v[24:25]
	s_and_saveexec_b64 s[0:1], vcc
	s_cbranch_execz .LBB10_70
; %bb.69:
	v_mov_b32_e32 v24, v2
	v_mov_b32_e32 v25, v3
	;; [unrolled: 1-line block ×21, first 2 shown]
	ds_write_b64 v1, v[18:19]
	v_pk_mov_b32 v[2:3], v[24:25], v[24:25] op_sel:[0,1]
	v_pk_mov_b32 v[4:5], v[26:27], v[26:27] op_sel:[0,1]
	v_pk_mov_b32 v[6:7], v[28:29], v[28:29] op_sel:[0,1]
	v_pk_mov_b32 v[8:9], v[30:31], v[30:31] op_sel:[0,1]
	v_pk_mov_b32 v[10:11], v[32:33], v[32:33] op_sel:[0,1]
	v_pk_mov_b32 v[12:13], v[34:35], v[34:35] op_sel:[0,1]
	v_pk_mov_b32 v[14:15], v[36:37], v[36:37] op_sel:[0,1]
	v_pk_mov_b32 v[16:17], v[38:39], v[38:39] op_sel:[0,1]
	v_pk_mov_b32 v[18:19], v[40:41], v[40:41] op_sel:[0,1]
	v_pk_mov_b32 v[20:21], v[42:43], v[42:43] op_sel:[0,1]
	v_pk_mov_b32 v[22:23], v[44:45], v[44:45] op_sel:[0,1]
	v_pk_mov_b32 v[24:25], v[46:47], v[46:47] op_sel:[0,1]
	v_pk_mov_b32 v[26:27], v[48:49], v[48:49] op_sel:[0,1]
	v_pk_mov_b32 v[28:29], v[50:51], v[50:51] op_sel:[0,1]
	v_pk_mov_b32 v[30:31], v[52:53], v[52:53] op_sel:[0,1]
	v_pk_mov_b32 v[32:33], v[54:55], v[54:55] op_sel:[0,1]
.LBB10_70:
	s_or_b64 exec, exec, s[0:1]
	s_waitcnt lgkmcnt(0)
	; wave barrier
	s_waitcnt lgkmcnt(0)
	ds_read2_b64 v[24:27], v40 offset0:21 offset1:22
	v_cmp_lt_u32_e32 vcc, 7, v0
	s_waitcnt lgkmcnt(0)
	v_fma_f64 v[24:25], v[20:21], v[24:25], 0
	v_fmac_f64_e32 v[24:25], v[22:23], v[26:27]
	v_add_f64 v[18:19], v[18:19], -v[24:25]
	s_and_saveexec_b64 s[0:1], vcc
	s_cbranch_execz .LBB10_72
; %bb.71:
	v_mov_b32_e32 v38, 0
	v_mov_b32_e32 v24, v2
	;; [unrolled: 1-line block ×22, first 2 shown]
	ds_write_b64 v1, v[16:17]
	v_pk_mov_b32 v[2:3], v[24:25], v[24:25] op_sel:[0,1]
	v_pk_mov_b32 v[4:5], v[26:27], v[26:27] op_sel:[0,1]
	;; [unrolled: 1-line block ×16, first 2 shown]
.LBB10_72:
	s_or_b64 exec, exec, s[0:1]
	v_mov_b32_e32 v36, 0
	s_waitcnt lgkmcnt(0)
	; wave barrier
	s_waitcnt lgkmcnt(0)
	ds_read_b128 v[24:27], v36 offset:160
	ds_read_b64 v[28:29], v36 offset:176
	v_cmp_lt_u32_e32 vcc, 6, v0
	s_waitcnt lgkmcnt(1)
	v_fma_f64 v[24:25], v[18:19], v[24:25], 0
	v_fmac_f64_e32 v[24:25], v[20:21], v[26:27]
	s_waitcnt lgkmcnt(0)
	v_fmac_f64_e32 v[24:25], v[22:23], v[28:29]
	v_add_f64 v[16:17], v[16:17], -v[24:25]
	s_and_saveexec_b64 s[0:1], vcc
	s_cbranch_execz .LBB10_74
; %bb.73:
	v_mov_b32_e32 v24, v2
	v_mov_b32_e32 v25, v3
	;; [unrolled: 1-line block ×21, first 2 shown]
	ds_write_b64 v1, v[14:15]
	v_pk_mov_b32 v[2:3], v[24:25], v[24:25] op_sel:[0,1]
	v_pk_mov_b32 v[4:5], v[26:27], v[26:27] op_sel:[0,1]
	;; [unrolled: 1-line block ×16, first 2 shown]
.LBB10_74:
	s_or_b64 exec, exec, s[0:1]
	s_waitcnt lgkmcnt(0)
	; wave barrier
	s_waitcnt lgkmcnt(0)
	ds_read2_b64 v[24:27], v36 offset0:19 offset1:20
	ds_read2_b64 v[28:31], v36 offset0:21 offset1:22
	v_cmp_lt_u32_e32 vcc, 5, v0
	s_waitcnt lgkmcnt(1)
	v_fma_f64 v[24:25], v[16:17], v[24:25], 0
	v_fmac_f64_e32 v[24:25], v[18:19], v[26:27]
	s_waitcnt lgkmcnt(0)
	v_fmac_f64_e32 v[24:25], v[20:21], v[28:29]
	v_fmac_f64_e32 v[24:25], v[22:23], v[30:31]
	v_add_f64 v[14:15], v[14:15], -v[24:25]
	s_and_saveexec_b64 s[0:1], vcc
	s_cbranch_execz .LBB10_76
; %bb.75:
	v_mov_b32_e32 v34, 0
	v_mov_b32_e32 v24, v2
	v_mov_b32_e32 v25, v3
	v_mov_b32_e32 v26, v4
	v_mov_b32_e32 v27, v5
	v_mov_b32_e32 v28, v6
	v_mov_b32_e32 v29, v7
	v_mov_b32_e32 v30, v8
	v_mov_b32_e32 v31, v9
	v_mov_b32_e32 v32, v10
	v_mov_b32_e32 v33, v11
	v_mov_b32_e32 v35, v34
	v_mov_b32_e32 v36, v14
	v_mov_b32_e32 v37, v15
	v_mov_b32_e32 v38, v16
	v_mov_b32_e32 v39, v17
	v_mov_b32_e32 v40, v18
	v_mov_b32_e32 v41, v19
	v_mov_b32_e32 v42, v20
	v_mov_b32_e32 v43, v21
	v_mov_b32_e32 v44, v22
	v_mov_b32_e32 v45, v23
	ds_write_b64 v1, v[12:13]
	v_pk_mov_b32 v[2:3], v[24:25], v[24:25] op_sel:[0,1]
	v_pk_mov_b32 v[4:5], v[26:27], v[26:27] op_sel:[0,1]
	;; [unrolled: 1-line block ×16, first 2 shown]
.LBB10_76:
	s_or_b64 exec, exec, s[0:1]
	v_mov_b32_e32 v34, 0
	s_waitcnt lgkmcnt(0)
	; wave barrier
	s_waitcnt lgkmcnt(0)
	ds_read_b128 v[24:27], v34 offset:144
	ds_read_b128 v[28:31], v34 offset:160
	v_cmp_lt_u32_e32 vcc, 4, v0
	s_waitcnt lgkmcnt(1)
	v_fma_f64 v[24:25], v[14:15], v[24:25], 0
	v_fmac_f64_e32 v[24:25], v[16:17], v[26:27]
	ds_read_b64 v[26:27], v34 offset:176
	s_waitcnt lgkmcnt(1)
	v_fmac_f64_e32 v[24:25], v[18:19], v[28:29]
	v_fmac_f64_e32 v[24:25], v[20:21], v[30:31]
	s_waitcnt lgkmcnt(0)
	v_fmac_f64_e32 v[24:25], v[22:23], v[26:27]
	v_add_f64 v[12:13], v[12:13], -v[24:25]
	s_and_saveexec_b64 s[0:1], vcc
	s_cbranch_execz .LBB10_78
; %bb.77:
	v_mov_b32_e32 v26, v2
	v_mov_b32_e32 v27, v3
	;; [unrolled: 1-line block ×21, first 2 shown]
	ds_write_b64 v1, v[10:11]
	v_pk_mov_b32 v[2:3], v[26:27], v[26:27] op_sel:[0,1]
	v_pk_mov_b32 v[4:5], v[28:29], v[28:29] op_sel:[0,1]
	;; [unrolled: 1-line block ×16, first 2 shown]
.LBB10_78:
	s_or_b64 exec, exec, s[0:1]
	s_waitcnt lgkmcnt(0)
	; wave barrier
	s_waitcnt lgkmcnt(0)
	ds_read2_b64 v[24:27], v34 offset0:17 offset1:18
	ds_read2_b64 v[28:31], v34 offset0:19 offset1:20
	;; [unrolled: 1-line block ×3, first 2 shown]
	v_cmp_lt_u32_e32 vcc, 3, v0
	s_waitcnt lgkmcnt(2)
	v_fma_f64 v[24:25], v[12:13], v[24:25], 0
	v_fmac_f64_e32 v[24:25], v[14:15], v[26:27]
	s_waitcnt lgkmcnt(1)
	v_fmac_f64_e32 v[24:25], v[16:17], v[28:29]
	v_fmac_f64_e32 v[24:25], v[18:19], v[30:31]
	s_waitcnt lgkmcnt(0)
	v_fmac_f64_e32 v[24:25], v[20:21], v[32:33]
	v_fmac_f64_e32 v[24:25], v[22:23], v[34:35]
	v_add_f64 v[10:11], v[10:11], -v[24:25]
	s_and_saveexec_b64 s[0:1], vcc
	s_cbranch_execz .LBB10_80
; %bb.79:
	v_mov_b32_e32 v30, 0
	v_mov_b32_e32 v24, v2
	;; [unrolled: 1-line block ×22, first 2 shown]
	ds_write_b64 v1, v[8:9]
	v_pk_mov_b32 v[2:3], v[24:25], v[24:25] op_sel:[0,1]
	v_pk_mov_b32 v[4:5], v[26:27], v[26:27] op_sel:[0,1]
	;; [unrolled: 1-line block ×16, first 2 shown]
.LBB10_80:
	s_or_b64 exec, exec, s[0:1]
	v_mov_b32_e32 v34, 0
	s_waitcnt lgkmcnt(0)
	; wave barrier
	s_waitcnt lgkmcnt(0)
	ds_read_b128 v[24:27], v34 offset:128
	ds_read_b128 v[28:31], v34 offset:144
	v_cmp_lt_u32_e32 vcc, 2, v0
	s_waitcnt lgkmcnt(1)
	v_fma_f64 v[32:33], v[10:11], v[24:25], 0
	v_fmac_f64_e32 v[32:33], v[12:13], v[26:27]
	ds_read_b128 v[24:27], v34 offset:160
	s_waitcnt lgkmcnt(1)
	v_fmac_f64_e32 v[32:33], v[14:15], v[28:29]
	ds_read_b64 v[28:29], v34 offset:176
	v_fmac_f64_e32 v[32:33], v[16:17], v[30:31]
	s_waitcnt lgkmcnt(1)
	v_fmac_f64_e32 v[32:33], v[18:19], v[24:25]
	v_fmac_f64_e32 v[32:33], v[20:21], v[26:27]
	s_waitcnt lgkmcnt(0)
	v_fmac_f64_e32 v[32:33], v[22:23], v[28:29]
	v_add_f64 v[8:9], v[8:9], -v[32:33]
	s_and_saveexec_b64 s[0:1], vcc
	s_cbranch_execz .LBB10_82
; %bb.81:
	v_mov_b32_e32 v30, v2
	v_mov_b32_e32 v31, v3
	;; [unrolled: 1-line block ×21, first 2 shown]
	ds_write_b64 v1, v[6:7]
	v_pk_mov_b32 v[2:3], v[30:31], v[30:31] op_sel:[0,1]
	v_pk_mov_b32 v[4:5], v[32:33], v[32:33] op_sel:[0,1]
	;; [unrolled: 1-line block ×16, first 2 shown]
.LBB10_82:
	s_or_b64 exec, exec, s[0:1]
	s_waitcnt lgkmcnt(0)
	; wave barrier
	s_waitcnt lgkmcnt(0)
	ds_read2_b64 v[24:27], v34 offset0:15 offset1:16
	ds_read2_b64 v[28:31], v34 offset0:17 offset1:18
	v_cmp_lt_u32_e32 vcc, 1, v0
	s_waitcnt lgkmcnt(1)
	v_fma_f64 v[36:37], v[8:9], v[24:25], 0
	v_fmac_f64_e32 v[36:37], v[10:11], v[26:27]
	ds_read2_b64 v[24:27], v34 offset0:19 offset1:20
	ds_read2_b64 v[32:35], v34 offset0:21 offset1:22
	s_waitcnt lgkmcnt(2)
	v_fmac_f64_e32 v[36:37], v[12:13], v[28:29]
	v_fmac_f64_e32 v[36:37], v[14:15], v[30:31]
	s_waitcnt lgkmcnt(1)
	v_fmac_f64_e32 v[36:37], v[16:17], v[24:25]
	v_fmac_f64_e32 v[36:37], v[18:19], v[26:27]
	;; [unrolled: 3-line block ×3, first 2 shown]
	v_add_f64 v[6:7], v[6:7], -v[36:37]
	s_and_saveexec_b64 s[0:1], vcc
	s_cbranch_execz .LBB10_84
; %bb.83:
	v_mov_b32_e32 v26, 0
	v_mov_b32_e32 v24, v2
	;; [unrolled: 1-line block ×22, first 2 shown]
	ds_write_b64 v1, v[4:5]
	v_pk_mov_b32 v[2:3], v[24:25], v[24:25] op_sel:[0,1]
	v_pk_mov_b32 v[4:5], v[26:27], v[26:27] op_sel:[0,1]
	;; [unrolled: 1-line block ×16, first 2 shown]
.LBB10_84:
	s_or_b64 exec, exec, s[0:1]
	v_mov_b32_e32 v34, 0
	s_waitcnt lgkmcnt(0)
	; wave barrier
	s_waitcnt lgkmcnt(0)
	ds_read_b128 v[24:27], v34 offset:112
	ds_read_b128 v[28:31], v34 offset:128
	v_cmp_ne_u32_e32 vcc, 0, v0
	s_waitcnt lgkmcnt(1)
	v_fma_f64 v[32:33], v[6:7], v[24:25], 0
	v_fmac_f64_e32 v[32:33], v[8:9], v[26:27]
	ds_read_b128 v[24:27], v34 offset:144
	s_waitcnt lgkmcnt(1)
	v_fmac_f64_e32 v[32:33], v[10:11], v[28:29]
	v_fmac_f64_e32 v[32:33], v[12:13], v[30:31]
	ds_read_b128 v[28:31], v34 offset:160
	s_waitcnt lgkmcnt(1)
	v_fmac_f64_e32 v[32:33], v[14:15], v[24:25]
	ds_read_b64 v[24:25], v34 offset:176
	v_fmac_f64_e32 v[32:33], v[16:17], v[26:27]
	s_waitcnt lgkmcnt(1)
	v_fmac_f64_e32 v[32:33], v[18:19], v[28:29]
	v_fmac_f64_e32 v[32:33], v[20:21], v[30:31]
	s_waitcnt lgkmcnt(0)
	v_fmac_f64_e32 v[32:33], v[22:23], v[24:25]
	v_add_f64 v[4:5], v[4:5], -v[32:33]
	s_and_saveexec_b64 s[0:1], vcc
	s_cbranch_execz .LBB10_86
; %bb.85:
	v_mov_b32_e32 v35, v34
	v_mov_b32_e32 v36, v4
	;; [unrolled: 1-line block ×21, first 2 shown]
	ds_write_b64 v1, v[2:3]
	v_pk_mov_b32 v[2:3], v[34:35], v[34:35] op_sel:[0,1]
	v_pk_mov_b32 v[4:5], v[36:37], v[36:37] op_sel:[0,1]
	;; [unrolled: 1-line block ×16, first 2 shown]
.LBB10_86:
	s_or_b64 exec, exec, s[0:1]
	s_waitcnt lgkmcnt(0)
	; wave barrier
	s_waitcnt lgkmcnt(0)
	ds_read2_b64 v[24:27], v34 offset0:13 offset1:14
	ds_read2_b64 v[28:31], v34 offset0:15 offset1:16
	s_and_b64 vcc, exec, s[36:37]
	s_waitcnt lgkmcnt(1)
	v_fma_f64 v[0:1], v[4:5], v[24:25], 0
	v_fmac_f64_e32 v[0:1], v[6:7], v[26:27]
	ds_read2_b64 v[24:27], v34 offset0:17 offset1:18
	s_waitcnt lgkmcnt(1)
	v_fmac_f64_e32 v[0:1], v[8:9], v[28:29]
	v_fmac_f64_e32 v[0:1], v[10:11], v[30:31]
	ds_read2_b64 v[28:31], v34 offset0:19 offset1:20
	ds_read2_b64 v[32:35], v34 offset0:21 offset1:22
	s_waitcnt lgkmcnt(2)
	v_fmac_f64_e32 v[0:1], v[12:13], v[24:25]
	v_fmac_f64_e32 v[0:1], v[14:15], v[26:27]
	s_waitcnt lgkmcnt(1)
	v_fmac_f64_e32 v[0:1], v[16:17], v[28:29]
	v_fmac_f64_e32 v[0:1], v[18:19], v[30:31]
	s_waitcnt lgkmcnt(0)
	v_fmac_f64_e32 v[0:1], v[20:21], v[32:33]
	v_fmac_f64_e32 v[0:1], v[22:23], v[34:35]
	v_add_f64 v[2:3], v[2:3], -v[0:1]
	s_cbranch_vccz .LBB10_108
; %bb.87:
	v_pk_mov_b32 v[0:1], s[34:35], s[34:35] op_sel:[0,1]
	flat_load_dword v0, v[0:1] offset:36
	s_waitcnt vmcnt(0) lgkmcnt(0)
	v_add_u32_e32 v0, -1, v0
	v_cmp_ne_u32_e32 vcc, 9, v0
	s_and_saveexec_b64 s[18:19], vcc
	s_cbranch_execz .LBB10_89
; %bb.88:
	v_cmp_eq_u32_e32 vcc, 1, v0
	v_cndmask_b32_e32 v1, v2, v4, vcc
	v_cmp_eq_u32_e64 s[0:1], 2, v0
	v_cndmask_b32_e32 v24, v3, v5, vcc
	v_cndmask_b32_e64 v1, v1, v6, s[0:1]
	v_cmp_eq_u32_e64 s[2:3], 3, v0
	v_cndmask_b32_e64 v24, v24, v7, s[0:1]
	v_cndmask_b32_e64 v1, v1, v8, s[2:3]
	v_cmp_eq_u32_e64 s[4:5], 4, v0
	v_cndmask_b32_e64 v24, v24, v9, s[2:3]
	;; [unrolled: 3-line block ×8, first 2 shown]
	v_cndmask_b32_e64 v1, v1, v22, s[16:17]
	v_cndmask_b32_e64 v24, v24, v23, s[16:17]
	;; [unrolled: 1-line block ×4, first 2 shown]
	v_cndmask_b32_e32 v23, v5, v21, vcc
	v_cndmask_b32_e32 v22, v4, v20, vcc
	v_cmp_eq_u32_e32 vcc, 0, v0
	v_cndmask_b32_e64 v39, v24, v21, s[14:15]
	v_cndmask_b32_e64 v38, v1, v20, s[14:15]
	;; [unrolled: 1-line block ×16, first 2 shown]
	v_cndmask_b32_e32 v21, v3, v21, vcc
	v_cndmask_b32_e32 v20, v2, v20, vcc
	v_pk_mov_b32 v[2:3], v[20:21], v[20:21] op_sel:[0,1]
	v_pk_mov_b32 v[4:5], v[22:23], v[22:23] op_sel:[0,1]
	;; [unrolled: 1-line block ×16, first 2 shown]
.LBB10_89:
	s_or_b64 exec, exec, s[18:19]
	v_pk_mov_b32 v[0:1], s[34:35], s[34:35] op_sel:[0,1]
	flat_load_dword v0, v[0:1] offset:32
	s_waitcnt vmcnt(0) lgkmcnt(0)
	v_add_u32_e32 v0, -1, v0
	v_cmp_ne_u32_e32 vcc, 8, v0
	s_and_saveexec_b64 s[18:19], vcc
	s_cbranch_execz .LBB10_91
; %bb.90:
	v_cmp_eq_u32_e32 vcc, 1, v0
	v_cndmask_b32_e32 v1, v2, v4, vcc
	v_cmp_eq_u32_e64 s[0:1], 2, v0
	v_cndmask_b32_e32 v24, v3, v5, vcc
	v_cndmask_b32_e64 v1, v1, v6, s[0:1]
	v_cmp_eq_u32_e64 s[2:3], 3, v0
	v_cndmask_b32_e64 v24, v24, v7, s[0:1]
	v_cndmask_b32_e64 v1, v1, v8, s[2:3]
	v_cmp_eq_u32_e64 s[4:5], 4, v0
	v_cndmask_b32_e64 v24, v24, v9, s[2:3]
	;; [unrolled: 3-line block ×8, first 2 shown]
	v_cndmask_b32_e64 v1, v1, v22, s[16:17]
	v_cndmask_b32_e64 v24, v24, v23, s[16:17]
	;; [unrolled: 1-line block ×4, first 2 shown]
	v_cndmask_b32_e32 v21, v5, v19, vcc
	v_cndmask_b32_e32 v20, v4, v18, vcc
	v_cmp_eq_u32_e32 vcc, 0, v0
	v_cndmask_b32_e64 v35, v24, v19, s[12:13]
	v_cndmask_b32_e64 v34, v1, v18, s[12:13]
	;; [unrolled: 1-line block ×16, first 2 shown]
	v_cndmask_b32_e32 v19, v3, v19, vcc
	v_cndmask_b32_e32 v18, v2, v18, vcc
	v_pk_mov_b32 v[2:3], v[18:19], v[18:19] op_sel:[0,1]
	v_pk_mov_b32 v[4:5], v[20:21], v[20:21] op_sel:[0,1]
	;; [unrolled: 1-line block ×16, first 2 shown]
.LBB10_91:
	s_or_b64 exec, exec, s[18:19]
	v_pk_mov_b32 v[0:1], s[34:35], s[34:35] op_sel:[0,1]
	flat_load_dword v0, v[0:1] offset:28
	s_waitcnt vmcnt(0) lgkmcnt(0)
	v_add_u32_e32 v0, -1, v0
	v_cmp_ne_u32_e32 vcc, 7, v0
	s_and_saveexec_b64 s[18:19], vcc
	s_cbranch_execz .LBB10_93
; %bb.92:
	v_cmp_eq_u32_e32 vcc, 1, v0
	v_cndmask_b32_e32 v1, v2, v4, vcc
	v_cmp_eq_u32_e64 s[0:1], 2, v0
	v_cndmask_b32_e32 v24, v3, v5, vcc
	v_cndmask_b32_e64 v1, v1, v6, s[0:1]
	v_cmp_eq_u32_e64 s[2:3], 3, v0
	v_cndmask_b32_e64 v24, v24, v7, s[0:1]
	v_cndmask_b32_e64 v1, v1, v8, s[2:3]
	v_cmp_eq_u32_e64 s[4:5], 4, v0
	v_cndmask_b32_e64 v24, v24, v9, s[2:3]
	;; [unrolled: 3-line block ×8, first 2 shown]
	v_cndmask_b32_e64 v1, v1, v22, s[16:17]
	v_cndmask_b32_e64 v24, v24, v23, s[16:17]
	;; [unrolled: 1-line block ×4, first 2 shown]
	v_cndmask_b32_e32 v19, v5, v17, vcc
	v_cndmask_b32_e32 v18, v4, v16, vcc
	v_cmp_eq_u32_e32 vcc, 0, v0
	v_cndmask_b32_e64 v31, v24, v17, s[10:11]
	v_cndmask_b32_e64 v30, v1, v16, s[10:11]
	;; [unrolled: 1-line block ×16, first 2 shown]
	v_cndmask_b32_e32 v17, v3, v17, vcc
	v_cndmask_b32_e32 v16, v2, v16, vcc
	v_pk_mov_b32 v[2:3], v[16:17], v[16:17] op_sel:[0,1]
	v_pk_mov_b32 v[4:5], v[18:19], v[18:19] op_sel:[0,1]
	;; [unrolled: 1-line block ×16, first 2 shown]
.LBB10_93:
	s_or_b64 exec, exec, s[18:19]
	v_pk_mov_b32 v[0:1], s[34:35], s[34:35] op_sel:[0,1]
	flat_load_dword v0, v[0:1] offset:24
	s_waitcnt vmcnt(0) lgkmcnt(0)
	v_add_u32_e32 v0, -1, v0
	v_cmp_ne_u32_e32 vcc, 6, v0
	s_and_saveexec_b64 s[18:19], vcc
	s_cbranch_execz .LBB10_95
; %bb.94:
	v_cmp_eq_u32_e32 vcc, 1, v0
	v_cndmask_b32_e32 v1, v2, v4, vcc
	v_cmp_eq_u32_e64 s[0:1], 2, v0
	v_cndmask_b32_e32 v24, v3, v5, vcc
	v_cndmask_b32_e64 v1, v1, v6, s[0:1]
	v_cmp_eq_u32_e64 s[2:3], 3, v0
	v_cndmask_b32_e64 v24, v24, v7, s[0:1]
	v_cndmask_b32_e64 v1, v1, v8, s[2:3]
	v_cmp_eq_u32_e64 s[4:5], 4, v0
	v_cndmask_b32_e64 v24, v24, v9, s[2:3]
	;; [unrolled: 3-line block ×8, first 2 shown]
	v_cndmask_b32_e64 v1, v1, v22, s[16:17]
	v_cndmask_b32_e64 v24, v24, v23, s[16:17]
	;; [unrolled: 1-line block ×4, first 2 shown]
	v_cndmask_b32_e32 v17, v5, v15, vcc
	v_cndmask_b32_e32 v16, v4, v14, vcc
	v_cmp_eq_u32_e32 vcc, 0, v0
	v_cndmask_b32_e64 v27, v24, v15, s[8:9]
	v_cndmask_b32_e64 v26, v1, v14, s[8:9]
	;; [unrolled: 1-line block ×16, first 2 shown]
	v_cndmask_b32_e32 v15, v3, v15, vcc
	v_cndmask_b32_e32 v14, v2, v14, vcc
	v_pk_mov_b32 v[2:3], v[14:15], v[14:15] op_sel:[0,1]
	v_pk_mov_b32 v[4:5], v[16:17], v[16:17] op_sel:[0,1]
	;; [unrolled: 1-line block ×16, first 2 shown]
.LBB10_95:
	s_or_b64 exec, exec, s[18:19]
	v_pk_mov_b32 v[0:1], s[34:35], s[34:35] op_sel:[0,1]
	flat_load_dword v0, v[0:1] offset:20
	s_waitcnt vmcnt(0) lgkmcnt(0)
	v_add_u32_e32 v0, -1, v0
	v_cmp_ne_u32_e32 vcc, 5, v0
	s_and_saveexec_b64 s[18:19], vcc
	s_cbranch_execz .LBB10_97
; %bb.96:
	v_cmp_eq_u32_e32 vcc, 1, v0
	v_cndmask_b32_e32 v1, v2, v4, vcc
	v_cmp_eq_u32_e64 s[0:1], 2, v0
	v_cndmask_b32_e32 v24, v3, v5, vcc
	v_cndmask_b32_e64 v1, v1, v6, s[0:1]
	v_cmp_eq_u32_e64 s[2:3], 3, v0
	v_cndmask_b32_e64 v24, v24, v7, s[0:1]
	v_cndmask_b32_e64 v1, v1, v8, s[2:3]
	v_cmp_eq_u32_e64 s[4:5], 4, v0
	v_cndmask_b32_e64 v24, v24, v9, s[2:3]
	;; [unrolled: 3-line block ×8, first 2 shown]
	v_cndmask_b32_e64 v1, v1, v22, s[16:17]
	v_cndmask_b32_e64 v24, v24, v23, s[16:17]
	;; [unrolled: 1-line block ×4, first 2 shown]
	v_cndmask_b32_e32 v17, v5, v13, vcc
	v_cndmask_b32_e32 v16, v4, v12, vcc
	v_cmp_eq_u32_e32 vcc, 0, v0
	v_cndmask_b32_e64 v25, v24, v13, s[6:7]
	v_cndmask_b32_e64 v24, v1, v12, s[6:7]
	;; [unrolled: 1-line block ×16, first 2 shown]
	v_cndmask_b32_e32 v15, v3, v13, vcc
	v_cndmask_b32_e32 v14, v2, v12, vcc
	v_pk_mov_b32 v[2:3], v[14:15], v[14:15] op_sel:[0,1]
	v_pk_mov_b32 v[4:5], v[16:17], v[16:17] op_sel:[0,1]
	;; [unrolled: 1-line block ×16, first 2 shown]
.LBB10_97:
	s_or_b64 exec, exec, s[18:19]
	v_pk_mov_b32 v[0:1], s[34:35], s[34:35] op_sel:[0,1]
	flat_load_dword v0, v[0:1] offset:16
	s_waitcnt vmcnt(0) lgkmcnt(0)
	v_add_u32_e32 v0, -1, v0
	v_cmp_ne_u32_e32 vcc, 4, v0
	s_and_saveexec_b64 s[18:19], vcc
	s_cbranch_execz .LBB10_99
; %bb.98:
	v_cmp_eq_u32_e32 vcc, 1, v0
	v_cndmask_b32_e32 v1, v2, v4, vcc
	v_cmp_eq_u32_e64 s[0:1], 2, v0
	v_cndmask_b32_e32 v24, v3, v5, vcc
	v_cndmask_b32_e64 v1, v1, v6, s[0:1]
	v_cmp_eq_u32_e64 s[2:3], 3, v0
	v_cndmask_b32_e64 v24, v24, v7, s[0:1]
	v_cndmask_b32_e64 v1, v1, v8, s[2:3]
	v_cmp_eq_u32_e64 s[4:5], 4, v0
	v_cndmask_b32_e64 v24, v24, v9, s[2:3]
	;; [unrolled: 3-line block ×8, first 2 shown]
	v_cndmask_b32_e64 v1, v1, v22, s[16:17]
	v_cndmask_b32_e64 v24, v24, v23, s[16:17]
	;; [unrolled: 1-line block ×4, first 2 shown]
	v_cndmask_b32_e32 v19, v5, v11, vcc
	v_cndmask_b32_e32 v18, v4, v10, vcc
	v_cmp_eq_u32_e32 vcc, 0, v0
	v_cndmask_b32_e64 v25, v24, v11, s[4:5]
	v_cndmask_b32_e64 v24, v1, v10, s[4:5]
	;; [unrolled: 1-line block ×16, first 2 shown]
	v_cndmask_b32_e32 v17, v3, v11, vcc
	v_cndmask_b32_e32 v16, v2, v10, vcc
	v_pk_mov_b32 v[2:3], v[16:17], v[16:17] op_sel:[0,1]
	v_pk_mov_b32 v[4:5], v[18:19], v[18:19] op_sel:[0,1]
	;; [unrolled: 1-line block ×16, first 2 shown]
.LBB10_99:
	s_or_b64 exec, exec, s[18:19]
	v_pk_mov_b32 v[0:1], s[34:35], s[34:35] op_sel:[0,1]
	flat_load_dword v0, v[0:1] offset:12
	s_waitcnt vmcnt(0) lgkmcnt(0)
	v_add_u32_e32 v0, -1, v0
	v_cmp_ne_u32_e32 vcc, 3, v0
	s_and_saveexec_b64 s[18:19], vcc
	s_cbranch_execz .LBB10_101
; %bb.100:
	v_cmp_eq_u32_e32 vcc, 1, v0
	v_cndmask_b32_e32 v1, v2, v4, vcc
	v_cmp_eq_u32_e64 s[0:1], 2, v0
	v_cndmask_b32_e32 v24, v3, v5, vcc
	v_cndmask_b32_e64 v1, v1, v6, s[0:1]
	v_cmp_eq_u32_e64 s[2:3], 3, v0
	v_cndmask_b32_e64 v24, v24, v7, s[0:1]
	v_cndmask_b32_e64 v1, v1, v8, s[2:3]
	v_cmp_eq_u32_e64 s[4:5], 4, v0
	v_cndmask_b32_e64 v24, v24, v9, s[2:3]
	;; [unrolled: 3-line block ×8, first 2 shown]
	v_cndmask_b32_e64 v1, v1, v22, s[16:17]
	v_cndmask_b32_e64 v24, v24, v23, s[16:17]
	;; [unrolled: 1-line block ×4, first 2 shown]
	v_cndmask_b32_e32 v21, v5, v9, vcc
	v_cndmask_b32_e32 v20, v4, v8, vcc
	v_cmp_eq_u32_e32 vcc, 0, v0
	v_cndmask_b32_e64 v25, v24, v9, s[2:3]
	v_cndmask_b32_e64 v24, v1, v8, s[2:3]
	;; [unrolled: 1-line block ×16, first 2 shown]
	v_cndmask_b32_e32 v19, v3, v9, vcc
	v_cndmask_b32_e32 v18, v2, v8, vcc
	v_pk_mov_b32 v[2:3], v[18:19], v[18:19] op_sel:[0,1]
	v_pk_mov_b32 v[4:5], v[20:21], v[20:21] op_sel:[0,1]
	;; [unrolled: 1-line block ×16, first 2 shown]
.LBB10_101:
	s_or_b64 exec, exec, s[18:19]
	v_pk_mov_b32 v[0:1], s[34:35], s[34:35] op_sel:[0,1]
	flat_load_dword v0, v[0:1] offset:8
	s_waitcnt vmcnt(0) lgkmcnt(0)
	v_add_u32_e32 v0, -1, v0
	v_cmp_ne_u32_e32 vcc, 2, v0
	s_and_saveexec_b64 s[18:19], vcc
	s_cbranch_execz .LBB10_103
; %bb.102:
	v_cmp_eq_u32_e32 vcc, 1, v0
	v_cndmask_b32_e32 v1, v2, v4, vcc
	v_cmp_eq_u32_e64 s[0:1], 2, v0
	v_cndmask_b32_e32 v24, v3, v5, vcc
	v_cndmask_b32_e64 v1, v1, v6, s[0:1]
	v_cmp_eq_u32_e64 s[2:3], 3, v0
	v_cndmask_b32_e64 v24, v24, v7, s[0:1]
	v_cndmask_b32_e64 v1, v1, v8, s[2:3]
	v_cmp_eq_u32_e64 s[4:5], 4, v0
	v_cndmask_b32_e64 v24, v24, v9, s[2:3]
	v_cndmask_b32_e64 v1, v1, v10, s[4:5]
	v_cmp_eq_u32_e64 s[6:7], 5, v0
	v_cndmask_b32_e64 v24, v24, v11, s[4:5]
	v_cndmask_b32_e64 v1, v1, v12, s[6:7]
	v_cmp_eq_u32_e64 s[8:9], 6, v0
	v_cndmask_b32_e64 v24, v24, v13, s[6:7]
	v_cndmask_b32_e64 v1, v1, v14, s[8:9]
	v_cmp_eq_u32_e64 s[10:11], 7, v0
	v_cndmask_b32_e64 v24, v24, v15, s[8:9]
	v_cndmask_b32_e64 v1, v1, v16, s[10:11]
	v_cmp_eq_u32_e64 s[12:13], 8, v0
	v_cndmask_b32_e64 v24, v24, v17, s[10:11]
	v_cndmask_b32_e64 v1, v1, v18, s[12:13]
	v_cmp_eq_u32_e64 s[14:15], 9, v0
	v_cndmask_b32_e64 v24, v24, v19, s[12:13]
	v_cndmask_b32_e64 v1, v1, v20, s[14:15]
	v_cmp_eq_u32_e64 s[16:17], 10, v0
	v_cndmask_b32_e64 v24, v24, v21, s[14:15]
	v_cndmask_b32_e64 v1, v1, v22, s[16:17]
	v_cndmask_b32_e64 v24, v24, v23, s[16:17]
	;; [unrolled: 1-line block ×4, first 2 shown]
	v_cndmask_b32_e32 v23, v5, v7, vcc
	v_cndmask_b32_e32 v22, v4, v6, vcc
	v_cmp_eq_u32_e32 vcc, 0, v0
	v_cndmask_b32_e64 v25, v24, v7, s[0:1]
	v_cndmask_b32_e64 v24, v1, v6, s[0:1]
	;; [unrolled: 1-line block ×12, first 2 shown]
	v_cndmask_b32_e32 v21, v3, v7, vcc
	v_cndmask_b32_e32 v20, v2, v6, vcc
	v_cndmask_b32_e64 v37, v19, v7, s[12:13]
	v_cndmask_b32_e64 v36, v18, v6, s[12:13]
	;; [unrolled: 1-line block ×4, first 2 shown]
	v_pk_mov_b32 v[2:3], v[20:21], v[20:21] op_sel:[0,1]
	v_pk_mov_b32 v[4:5], v[22:23], v[22:23] op_sel:[0,1]
	;; [unrolled: 1-line block ×16, first 2 shown]
.LBB10_103:
	s_or_b64 exec, exec, s[18:19]
	v_pk_mov_b32 v[0:1], s[34:35], s[34:35] op_sel:[0,1]
	flat_load_dword v0, v[0:1] offset:4
	s_waitcnt vmcnt(0) lgkmcnt(0)
	v_add_u32_e32 v0, -1, v0
	v_cmp_ne_u32_e32 vcc, 1, v0
	s_and_saveexec_b64 s[18:19], vcc
	s_cbranch_execz .LBB10_105
; %bb.104:
	v_cmp_eq_u32_e32 vcc, 1, v0
	v_cndmask_b32_e32 v1, v2, v4, vcc
	v_cmp_eq_u32_e64 s[0:1], 2, v0
	v_cndmask_b32_e32 v24, v3, v5, vcc
	v_cndmask_b32_e64 v1, v1, v6, s[0:1]
	v_cmp_eq_u32_e64 s[2:3], 3, v0
	v_cndmask_b32_e64 v24, v24, v7, s[0:1]
	v_cndmask_b32_e64 v1, v1, v8, s[2:3]
	v_cmp_eq_u32_e64 s[4:5], 4, v0
	v_cndmask_b32_e64 v24, v24, v9, s[2:3]
	;; [unrolled: 3-line block ×8, first 2 shown]
	v_cndmask_b32_e64 v1, v1, v22, s[16:17]
	v_cndmask_b32_e64 v24, v24, v23, s[16:17]
	v_cndmask_b32_e32 v25, v24, v5, vcc
	v_cndmask_b32_e32 v24, v1, v4, vcc
	v_cmp_eq_u32_e32 vcc, 0, v0
	v_cndmask_b32_e64 v43, v23, v5, s[16:17]
	v_cndmask_b32_e64 v42, v22, v4, s[16:17]
	;; [unrolled: 1-line block ×10, first 2 shown]
	v_cndmask_b32_e32 v23, v3, v5, vcc
	v_cndmask_b32_e32 v22, v2, v4, vcc
	v_cndmask_b32_e64 v41, v21, v5, s[14:15]
	v_cndmask_b32_e64 v40, v20, v4, s[14:15]
	;; [unrolled: 1-line block ×8, first 2 shown]
	v_pk_mov_b32 v[2:3], v[22:23], v[22:23] op_sel:[0,1]
	v_pk_mov_b32 v[4:5], v[24:25], v[24:25] op_sel:[0,1]
	;; [unrolled: 1-line block ×16, first 2 shown]
.LBB10_105:
	s_or_b64 exec, exec, s[18:19]
	v_pk_mov_b32 v[0:1], s[34:35], s[34:35] op_sel:[0,1]
	flat_load_dword v0, v[0:1]
	s_waitcnt vmcnt(0) lgkmcnt(0)
	v_add_u32_e32 v0, -1, v0
	v_cmp_ne_u32_e32 vcc, 0, v0
	s_and_saveexec_b64 s[20:21], vcc
	s_cbranch_execz .LBB10_107
; %bb.106:
	v_cmp_eq_u32_e32 vcc, 1, v0
	v_cndmask_b32_e32 v1, v2, v4, vcc
	v_cmp_eq_u32_e64 s[0:1], 2, v0
	v_cndmask_b32_e32 v24, v3, v5, vcc
	v_cndmask_b32_e64 v1, v1, v6, s[0:1]
	v_cmp_eq_u32_e64 s[2:3], 3, v0
	v_cndmask_b32_e64 v24, v24, v7, s[0:1]
	v_cndmask_b32_e64 v1, v1, v8, s[2:3]
	v_cmp_eq_u32_e64 s[4:5], 4, v0
	v_cndmask_b32_e64 v24, v24, v9, s[2:3]
	;; [unrolled: 3-line block ×8, first 2 shown]
	v_cndmask_b32_e64 v1, v1, v22, s[16:17]
	v_cndmask_b32_e64 v24, v24, v23, s[16:17]
	v_cmp_eq_u32_e64 s[18:19], 0, v0
	v_cndmask_b32_e64 v25, v24, v3, s[18:19]
	v_cndmask_b32_e64 v24, v1, v2, s[18:19]
	;; [unrolled: 1-line block ×8, first 2 shown]
	v_cndmask_b32_e32 v27, v5, v3, vcc
	v_cndmask_b32_e32 v26, v4, v2, vcc
	v_cndmask_b32_e64 v45, v23, v3, s[16:17]
	v_cndmask_b32_e64 v44, v22, v2, s[16:17]
	;; [unrolled: 1-line block ×12, first 2 shown]
	v_pk_mov_b32 v[2:3], v[24:25], v[24:25] op_sel:[0,1]
	v_pk_mov_b32 v[4:5], v[26:27], v[26:27] op_sel:[0,1]
	;; [unrolled: 1-line block ×16, first 2 shown]
.LBB10_107:
	s_or_b64 exec, exec, s[20:21]
.LBB10_108:
	v_mov_b32_e32 v1, v3
	v_mov_b32_e32 v0, v2
	global_store_dwordx2 v[56:57], v[0:1], off
	v_mov_b32_e32 v1, v5
	v_mov_b32_e32 v0, v4
	global_store_dwordx2 v[58:59], v[0:1], off
	;; [unrolled: 3-line block ×11, first 2 shown]
	s_endpgm
	.section	.rodata,"a",@progbits
	.p2align	6, 0x0
	.amdhsa_kernel _ZN9rocsolver6v33100L18getri_kernel_smallILi11EdPdEEvT1_iilPiilS4_bb
		.amdhsa_group_segment_fixed_size 184
		.amdhsa_private_segment_fixed_size 0
		.amdhsa_kernarg_size 60
		.amdhsa_user_sgpr_count 6
		.amdhsa_user_sgpr_private_segment_buffer 1
		.amdhsa_user_sgpr_dispatch_ptr 0
		.amdhsa_user_sgpr_queue_ptr 0
		.amdhsa_user_sgpr_kernarg_segment_ptr 1
		.amdhsa_user_sgpr_dispatch_id 0
		.amdhsa_user_sgpr_flat_scratch_init 0
		.amdhsa_user_sgpr_kernarg_preload_length 0
		.amdhsa_user_sgpr_kernarg_preload_offset 0
		.amdhsa_user_sgpr_private_segment_size 0
		.amdhsa_uses_dynamic_stack 0
		.amdhsa_system_sgpr_private_segment_wavefront_offset 0
		.amdhsa_system_sgpr_workgroup_id_x 1
		.amdhsa_system_sgpr_workgroup_id_y 0
		.amdhsa_system_sgpr_workgroup_id_z 0
		.amdhsa_system_sgpr_workgroup_info 0
		.amdhsa_system_vgpr_workitem_id 0
		.amdhsa_next_free_vgpr 78
		.amdhsa_next_free_sgpr 44
		.amdhsa_accum_offset 80
		.amdhsa_reserve_vcc 1
		.amdhsa_reserve_flat_scratch 0
		.amdhsa_float_round_mode_32 0
		.amdhsa_float_round_mode_16_64 0
		.amdhsa_float_denorm_mode_32 3
		.amdhsa_float_denorm_mode_16_64 3
		.amdhsa_dx10_clamp 1
		.amdhsa_ieee_mode 1
		.amdhsa_fp16_overflow 0
		.amdhsa_tg_split 0
		.amdhsa_exception_fp_ieee_invalid_op 0
		.amdhsa_exception_fp_denorm_src 0
		.amdhsa_exception_fp_ieee_div_zero 0
		.amdhsa_exception_fp_ieee_overflow 0
		.amdhsa_exception_fp_ieee_underflow 0
		.amdhsa_exception_fp_ieee_inexact 0
		.amdhsa_exception_int_div_zero 0
	.end_amdhsa_kernel
	.section	.text._ZN9rocsolver6v33100L18getri_kernel_smallILi11EdPdEEvT1_iilPiilS4_bb,"axG",@progbits,_ZN9rocsolver6v33100L18getri_kernel_smallILi11EdPdEEvT1_iilPiilS4_bb,comdat
.Lfunc_end10:
	.size	_ZN9rocsolver6v33100L18getri_kernel_smallILi11EdPdEEvT1_iilPiilS4_bb, .Lfunc_end10-_ZN9rocsolver6v33100L18getri_kernel_smallILi11EdPdEEvT1_iilPiilS4_bb
                                        ; -- End function
	.section	.AMDGPU.csdata,"",@progbits
; Kernel info:
; codeLenInByte = 15208
; NumSgprs: 48
; NumVgprs: 78
; NumAgprs: 0
; TotalNumVgprs: 78
; ScratchSize: 0
; MemoryBound: 0
; FloatMode: 240
; IeeeMode: 1
; LDSByteSize: 184 bytes/workgroup (compile time only)
; SGPRBlocks: 5
; VGPRBlocks: 9
; NumSGPRsForWavesPerEU: 48
; NumVGPRsForWavesPerEU: 78
; AccumOffset: 80
; Occupancy: 6
; WaveLimiterHint : 0
; COMPUTE_PGM_RSRC2:SCRATCH_EN: 0
; COMPUTE_PGM_RSRC2:USER_SGPR: 6
; COMPUTE_PGM_RSRC2:TRAP_HANDLER: 0
; COMPUTE_PGM_RSRC2:TGID_X_EN: 1
; COMPUTE_PGM_RSRC2:TGID_Y_EN: 0
; COMPUTE_PGM_RSRC2:TGID_Z_EN: 0
; COMPUTE_PGM_RSRC2:TIDIG_COMP_CNT: 0
; COMPUTE_PGM_RSRC3_GFX90A:ACCUM_OFFSET: 19
; COMPUTE_PGM_RSRC3_GFX90A:TG_SPLIT: 0
	.section	.text._ZN9rocsolver6v33100L18getri_kernel_smallILi12EdPdEEvT1_iilPiilS4_bb,"axG",@progbits,_ZN9rocsolver6v33100L18getri_kernel_smallILi12EdPdEEvT1_iilPiilS4_bb,comdat
	.globl	_ZN9rocsolver6v33100L18getri_kernel_smallILi12EdPdEEvT1_iilPiilS4_bb ; -- Begin function _ZN9rocsolver6v33100L18getri_kernel_smallILi12EdPdEEvT1_iilPiilS4_bb
	.p2align	8
	.type	_ZN9rocsolver6v33100L18getri_kernel_smallILi12EdPdEEvT1_iilPiilS4_bb,@function
_ZN9rocsolver6v33100L18getri_kernel_smallILi12EdPdEEvT1_iilPiilS4_bb: ; @_ZN9rocsolver6v33100L18getri_kernel_smallILi12EdPdEEvT1_iilPiilS4_bb
; %bb.0:
	v_cmp_gt_u32_e32 vcc, 12, v0
	s_and_saveexec_b64 s[0:1], vcc
	s_cbranch_execz .LBB11_16
; %bb.1:
	s_load_dword s12, s[4:5], 0x38
	s_load_dwordx4 s[8:11], s[4:5], 0x10
	s_load_dwordx4 s[28:31], s[4:5], 0x28
                                        ; implicit-def: $sgpr34_sgpr35
	s_waitcnt lgkmcnt(0)
	s_bitcmp1_b32 s12, 8
	s_cselect_b64 s[36:37], -1, 0
	s_ashr_i32 s7, s6, 31
	s_bfe_u32 s0, s12, 0x10008
	s_cmp_eq_u32 s0, 0
	s_cbranch_scc1 .LBB11_3
; %bb.2:
	s_load_dword s0, s[4:5], 0x20
	s_mul_i32 s1, s6, s29
	s_mul_hi_u32 s2, s6, s28
	s_mul_i32 s3, s7, s28
	s_add_i32 s2, s2, s1
	s_add_i32 s3, s2, s3
	s_mul_i32 s2, s6, s28
	s_waitcnt lgkmcnt(0)
	s_ashr_i32 s1, s0, 31
	s_lshl_b64 s[2:3], s[2:3], 2
	s_add_u32 s2, s10, s2
	s_addc_u32 s3, s11, s3
	s_lshl_b64 s[0:1], s[0:1], 2
	s_add_u32 s34, s2, s0
	s_addc_u32 s35, s3, s1
.LBB11_3:
	s_load_dwordx4 s[0:3], s[4:5], 0x0
	s_mul_i32 s4, s6, s9
	s_mul_hi_u32 s5, s6, s8
	s_add_i32 s9, s5, s4
	v_lshlrev_b32_e32 v28, 3, v0
	s_waitcnt lgkmcnt(0)
	s_ashr_i32 s5, s2, 31
	s_mov_b32 s4, s2
	s_mul_i32 s2, s7, s8
	s_add_i32 s9, s9, s2
	s_mul_i32 s8, s6, s8
	s_lshl_b64 s[8:9], s[8:9], 3
	s_add_u32 s2, s0, s8
	s_addc_u32 s8, s1, s9
	s_lshl_b64 s[0:1], s[4:5], 3
	s_add_u32 s0, s2, s0
	s_addc_u32 s1, s8, s1
	v_mov_b32_e32 v1, s1
	v_add_co_u32_e32 v56, vcc, s0, v28
	s_ashr_i32 s5, s3, 31
	s_mov_b32 s4, s3
	s_add_i32 s2, s3, s3
	v_addc_co_u32_e32 v57, vcc, 0, v1, vcc
	s_lshl_b64 s[4:5], s[4:5], 3
	v_add_u32_e32 v2, s2, v0
	v_mov_b32_e32 v1, s5
	v_add_co_u32_e32 v58, vcc, s4, v56
	v_ashrrev_i32_e32 v3, 31, v2
	v_addc_co_u32_e32 v59, vcc, v57, v1, vcc
	v_lshlrev_b64 v[4:5], 3, v[2:3]
	v_add_u32_e32 v2, s3, v2
	v_mov_b32_e32 v1, s1
	v_add_co_u32_e32 v60, vcc, s0, v4
	v_ashrrev_i32_e32 v3, 31, v2
	v_addc_co_u32_e32 v61, vcc, v1, v5, vcc
	v_lshlrev_b64 v[4:5], 3, v[2:3]
	v_add_u32_e32 v2, s3, v2
	v_add_co_u32_e32 v62, vcc, s0, v4
	v_ashrrev_i32_e32 v3, 31, v2
	v_addc_co_u32_e32 v63, vcc, v1, v5, vcc
	v_lshlrev_b64 v[4:5], 3, v[2:3]
	v_add_u32_e32 v2, s3, v2
	;; [unrolled: 5-line block ×8, first 2 shown]
	v_add_co_u32_e32 v76, vcc, s0, v4
	v_ashrrev_i32_e32 v3, 31, v2
	v_addc_co_u32_e32 v77, vcc, v1, v5, vcc
	v_lshlrev_b64 v[2:3], 3, v[2:3]
	v_add_co_u32_e32 v78, vcc, s0, v2
	v_addc_co_u32_e32 v79, vcc, v1, v3, vcc
	global_load_dwordx2 v[4:5], v[58:59], off
	global_load_dwordx2 v[6:7], v[60:61], off
	;; [unrolled: 1-line block ×10, first 2 shown]
	global_load_dwordx2 v[2:3], v28, s[0:1]
	global_load_dwordx2 v[24:25], v[78:79], off
	v_mov_b32_e32 v1, 0
	s_bitcmp0_b32 s12, 0
	s_mov_b64 s[0:1], -1
	s_cbranch_scc1 .LBB11_14
; %bb.4:
	v_cmp_eq_u32_e64 s[0:1], 0, v0
	s_and_saveexec_b64 s[2:3], s[0:1]
	s_cbranch_execz .LBB11_6
; %bb.5:
	v_mov_b32_e32 v26, 0
	ds_write_b32 v26, v26 offset:192
.LBB11_6:
	s_or_b64 exec, exec, s[2:3]
	v_cmp_eq_u32_e32 vcc, 1, v0
	s_waitcnt vmcnt(1)
	v_cndmask_b32_e32 v26, v3, v5, vcc
	v_cmp_eq_u32_e64 s[2:3], 2, v0
	v_cndmask_b32_e64 v26, v26, v7, s[2:3]
	v_cmp_eq_u32_e64 s[4:5], 3, v0
	v_cndmask_b32_e64 v26, v26, v9, s[4:5]
	;; [unrolled: 2-line block ×9, first 2 shown]
	v_cmp_eq_u32_e64 s[22:23], 11, v0
	s_waitcnt vmcnt(0)
	v_cndmask_b32_e64 v27, v26, v25, s[22:23]
	v_cndmask_b32_e32 v26, v2, v4, vcc
	v_cndmask_b32_e64 v26, v26, v6, s[2:3]
	v_cndmask_b32_e64 v26, v26, v8, s[4:5]
	;; [unrolled: 1-line block ×10, first 2 shown]
	v_cmp_eq_f64_e32 vcc, 0, v[26:27]
	s_waitcnt lgkmcnt(0)
	; wave barrier
	s_waitcnt lgkmcnt(0)
	s_and_saveexec_b64 s[4:5], vcc
	s_cbranch_execz .LBB11_10
; %bb.7:
	v_mov_b32_e32 v29, 0
	ds_read_b32 v31, v29 offset:192
	v_add_u32_e32 v30, 1, v0
	s_waitcnt lgkmcnt(0)
	v_readfirstlane_b32 s2, v31
	s_cmp_eq_u32 s2, 0
	s_cselect_b64 s[8:9], -1, 0
	v_cmp_gt_i32_e32 vcc, s2, v30
	s_or_b64 s[8:9], s[8:9], vcc
	s_and_b64 exec, exec, s[8:9]
	s_cbranch_execz .LBB11_10
; %bb.8:
	s_mov_b64 s[8:9], 0
	v_mov_b32_e32 v31, s2
.LBB11_9:                               ; =>This Inner Loop Header: Depth=1
	ds_cmpst_rtn_b32 v31, v29, v31, v30 offset:192
	s_waitcnt lgkmcnt(0)
	v_cmp_ne_u32_e32 vcc, 0, v31
	v_cmp_le_i32_e64 s[2:3], v31, v30
	s_and_b64 s[2:3], vcc, s[2:3]
	s_and_b64 s[2:3], exec, s[2:3]
	s_or_b64 s[8:9], s[2:3], s[8:9]
	s_andn2_b64 exec, exec, s[8:9]
	s_cbranch_execnz .LBB11_9
.LBB11_10:
	s_or_b64 exec, exec, s[4:5]
	v_mov_b32_e32 v30, 0
	s_waitcnt lgkmcnt(0)
	; wave barrier
	ds_read_b32 v29, v30 offset:192
	s_and_saveexec_b64 s[2:3], s[0:1]
	s_cbranch_execz .LBB11_12
; %bb.11:
	s_lshl_b64 s[4:5], s[6:7], 2
	s_add_u32 s4, s30, s4
	s_addc_u32 s5, s31, s5
	s_waitcnt lgkmcnt(0)
	global_store_dword v30, v29, s[4:5]
.LBB11_12:
	s_or_b64 exec, exec, s[2:3]
	s_waitcnt lgkmcnt(0)
	v_cmp_ne_u32_e32 vcc, 0, v29
	s_cbranch_vccz .LBB11_17
; %bb.13:
	s_mov_b64 s[0:1], 0
                                        ; implicit-def: $vgpr2_vgpr3_vgpr4_vgpr5_vgpr6_vgpr7_vgpr8_vgpr9_vgpr10_vgpr11_vgpr12_vgpr13_vgpr14_vgpr15_vgpr16_vgpr17_vgpr18_vgpr19_vgpr20_vgpr21_vgpr22_vgpr23_vgpr24_vgpr25_vgpr26_vgpr27_vgpr28_vgpr29_vgpr30_vgpr31_vgpr32_vgpr33
.LBB11_14:
	s_and_b64 vcc, exec, s[0:1]
	s_cbranch_vccz .LBB11_16
.LBB11_15:
	s_lshl_b64 s[0:1], s[6:7], 2
	s_add_u32 s0, s30, s0
	s_addc_u32 s1, s31, s1
	v_mov_b32_e32 v1, 0
	global_load_dword v1, v1, s[0:1]
	s_waitcnt vmcnt(0)
	v_cmp_ne_u32_e32 vcc, 0, v1
	s_cbranch_vccz .LBB11_70
.LBB11_16:
	s_endpgm
.LBB11_17:
	v_div_scale_f64 v[30:31], s[2:3], v[26:27], v[26:27], 1.0
	v_rcp_f64_e32 v[32:33], v[30:31]
	v_div_scale_f64 v[34:35], vcc, 1.0, v[26:27], 1.0
	v_fma_f64 v[36:37], -v[30:31], v[32:33], 1.0
	v_fmac_f64_e32 v[32:33], v[32:33], v[36:37]
	v_fma_f64 v[36:37], -v[30:31], v[32:33], 1.0
	v_fmac_f64_e32 v[32:33], v[32:33], v[36:37]
	v_mul_f64 v[36:37], v[34:35], v[32:33]
	v_fma_f64 v[30:31], -v[30:31], v[36:37], v[34:35]
	v_div_fmas_f64 v[30:31], v[30:31], v[32:33], v[36:37]
	v_div_fixup_f64 v[26:27], v[30:31], v[26:27], 1.0
	v_cmp_eq_u32_e32 vcc, 11, v0
	v_cndmask_b32_e32 v25, v25, v27, vcc
	v_cndmask_b32_e32 v24, v24, v26, vcc
	v_cmp_eq_u32_e32 vcc, 10, v0
	v_cndmask_b32_e32 v23, v23, v27, vcc
	v_cndmask_b32_e32 v22, v22, v26, vcc
	;; [unrolled: 3-line block ×12, first 2 shown]
	v_xor_b32_e32 v33, 0x80000000, v27
	v_mov_b32_e32 v32, v26
	v_add_u32_e32 v30, 0x60, v28
	ds_write2_b64 v28, v[32:33], v[4:5] offset1:12
	s_waitcnt lgkmcnt(0)
	; wave barrier
	s_waitcnt lgkmcnt(0)
	s_and_saveexec_b64 s[2:3], s[0:1]
	s_cbranch_execz .LBB11_19
; %bb.18:
	v_mov_b32_e32 v28, 0
	ds_read_b64 v[4:5], v30
	ds_read_b64 v[28:29], v28 offset:8
	s_waitcnt lgkmcnt(1)
	v_fma_f64 v[4:5], v[26:27], v[4:5], 0
	s_waitcnt lgkmcnt(0)
	v_mul_f64 v[4:5], v[4:5], v[28:29]
.LBB11_19:
	s_or_b64 exec, exec, s[2:3]
	v_cmp_gt_u32_e32 vcc, 2, v0
	s_waitcnt lgkmcnt(0)
	; wave barrier
	ds_write_b64 v30, v[6:7]
	s_waitcnt lgkmcnt(0)
	; wave barrier
	s_waitcnt lgkmcnt(0)
	s_and_saveexec_b64 s[26:27], vcc
	s_cbranch_execz .LBB11_21
; %bb.20:
	v_cmp_eq_u32_e64 s[2:3], 1, v0
	v_cndmask_b32_e64 v26, v3, v5, s[2:3]
	v_cmp_eq_u32_e64 s[4:5], 2, v0
	v_cndmask_b32_e64 v7, v26, v7, s[4:5]
	v_cndmask_b32_e64 v26, v2, v4, s[2:3]
	v_cmp_eq_u32_e64 s[8:9], 3, v0
	v_cndmask_b32_e64 v6, v26, v6, s[4:5]
	v_cndmask_b32_e64 v7, v7, v9, s[8:9]
	v_cmp_eq_u32_e64 s[10:11], 4, v0
	v_cndmask_b32_e64 v6, v6, v8, s[8:9]
	v_cndmask_b32_e64 v7, v7, v11, s[10:11]
	v_cmp_eq_u32_e64 s[12:13], 5, v0
	v_cndmask_b32_e64 v6, v6, v10, s[10:11]
	v_cndmask_b32_e64 v7, v7, v13, s[12:13]
	v_cmp_eq_u32_e64 s[14:15], 6, v0
	v_cndmask_b32_e64 v6, v6, v12, s[12:13]
	v_cndmask_b32_e64 v7, v7, v15, s[14:15]
	v_cmp_eq_u32_e64 s[16:17], 7, v0
	v_cndmask_b32_e64 v6, v6, v14, s[14:15]
	v_cndmask_b32_e64 v7, v7, v17, s[16:17]
	v_cmp_eq_u32_e64 s[18:19], 8, v0
	v_cndmask_b32_e64 v6, v6, v16, s[16:17]
	ds_read_b64 v[32:33], v30
	v_mov_b32_e32 v26, 0
	v_cndmask_b32_e64 v7, v7, v19, s[18:19]
	v_cmp_eq_u32_e64 s[20:21], 9, v0
	v_cndmask_b32_e64 v6, v6, v18, s[18:19]
	ds_read2_b64 v[26:29], v26 offset0:2 offset1:13
	v_cndmask_b32_e64 v7, v7, v21, s[20:21]
	v_cmp_eq_u32_e64 s[22:23], 10, v0
	v_cndmask_b32_e64 v6, v6, v20, s[20:21]
	v_cndmask_b32_e64 v7, v7, v23, s[22:23]
	v_cmp_eq_u32_e64 s[24:25], 11, v0
	v_cndmask_b32_e64 v6, v6, v22, s[22:23]
	v_cndmask_b32_e64 v7, v7, v25, s[24:25]
	v_cndmask_b32_e64 v6, v6, v24, s[24:25]
	s_waitcnt lgkmcnt(1)
	v_fma_f64 v[6:7], v[6:7], v[32:33], 0
	s_waitcnt lgkmcnt(0)
	v_fma_f64 v[28:29], v[4:5], v[28:29], v[6:7]
	v_cndmask_b32_e64 v7, v7, v29, s[0:1]
	v_cndmask_b32_e64 v6, v6, v28, s[0:1]
	v_mul_f64 v[6:7], v[6:7], v[26:27]
.LBB11_21:
	s_or_b64 exec, exec, s[26:27]
	v_cmp_gt_u32_e64 s[2:3], 3, v0
	s_waitcnt lgkmcnt(0)
	; wave barrier
	ds_write_b64 v30, v[8:9]
	s_waitcnt lgkmcnt(0)
	; wave barrier
	s_waitcnt lgkmcnt(0)
	s_and_saveexec_b64 s[10:11], s[2:3]
	s_cbranch_execz .LBB11_25
; %bb.22:
	v_mov_b32_e32 v26, 0x60
	v_lshl_add_u32 v31, v0, 3, v26
	s_mov_b64 s[12:13], 0
	v_pk_mov_b32 v[26:27], 0, 0
	v_pk_mov_b32 v[28:29], v[0:1], v[0:1] op_sel:[0,1]
.LBB11_23:                              ; =>This Inner Loop Header: Depth=1
	v_cmp_eq_u32_e64 s[2:3], 1, v28
	v_cndmask_b32_e64 v34, v3, v5, s[2:3]
	v_cmp_eq_u32_e64 s[4:5], 2, v28
	v_cndmask_b32_e64 v34, v34, v7, s[4:5]
	v_cndmask_b32_e64 v35, v2, v4, s[2:3]
	v_cmp_eq_u32_e64 s[2:3], 3, v28
	v_cndmask_b32_e64 v34, v34, v9, s[2:3]
	;; [unrolled: 3-line block ×6, first 2 shown]
	v_cndmask_b32_e64 v35, v35, v14, s[4:5]
	v_cmp_eq_u32_e64 s[4:5], 8, v28
	ds_read_b64 v[32:33], v31
	v_cndmask_b32_e64 v34, v34, v19, s[4:5]
	v_cndmask_b32_e64 v35, v35, v16, s[2:3]
	v_cmp_eq_u32_e64 s[2:3], 9, v28
	v_cndmask_b32_e64 v34, v34, v21, s[2:3]
	v_cndmask_b32_e64 v35, v35, v18, s[4:5]
	v_cmp_eq_u32_e64 s[4:5], 10, v28
	v_cndmask_b32_e64 v34, v34, v23, s[4:5]
	v_cmp_eq_u32_e64 s[8:9], 11, v28
	v_cndmask_b32_e64 v36, v35, v20, s[2:3]
	v_add_co_u32_e64 v28, s[2:3], 1, v28
	v_addc_co_u32_e64 v29, s[2:3], 0, v29, s[2:3]
	v_cndmask_b32_e64 v35, v34, v25, s[8:9]
	v_cndmask_b32_e64 v34, v36, v22, s[4:5]
	v_add_u32_e32 v36, -1, v28
	v_cndmask_b32_e64 v34, v34, v24, s[8:9]
	v_cmp_lt_u32_e64 s[2:3], 1, v36
	v_add_u32_e32 v31, 8, v31
	s_or_b64 s[12:13], s[2:3], s[12:13]
	s_waitcnt lgkmcnt(0)
	v_fmac_f64_e32 v[26:27], v[34:35], v[32:33]
	s_andn2_b64 exec, exec, s[12:13]
	s_cbranch_execnz .LBB11_23
; %bb.24:
	s_or_b64 exec, exec, s[12:13]
	v_mov_b32_e32 v8, 0
	ds_read_b64 v[8:9], v8 offset:24
	s_waitcnt lgkmcnt(0)
	v_mul_f64 v[8:9], v[26:27], v[8:9]
.LBB11_25:
	s_or_b64 exec, exec, s[10:11]
	v_cmp_gt_u32_e64 s[2:3], 4, v0
	s_waitcnt lgkmcnt(0)
	; wave barrier
	ds_write_b64 v30, v[10:11]
	s_waitcnt lgkmcnt(0)
	; wave barrier
	s_waitcnt lgkmcnt(0)
	s_and_saveexec_b64 s[12:13], s[2:3]
	s_cbranch_execz .LBB11_29
; %bb.26:
	v_mov_b32_e32 v26, 0x60
	v_lshl_add_u32 v31, v0, 3, v26
	s_mov_b64 s[14:15], 0
	v_pk_mov_b32 v[26:27], 0, 0
	v_pk_mov_b32 v[28:29], v[0:1], v[0:1] op_sel:[0,1]
.LBB11_27:                              ; =>This Inner Loop Header: Depth=1
	v_cmp_eq_u32_e64 s[4:5], 1, v28
	v_cndmask_b32_e64 v34, v3, v5, s[4:5]
	v_cmp_eq_u32_e64 s[8:9], 2, v28
	v_cndmask_b32_e64 v34, v34, v7, s[8:9]
	v_cndmask_b32_e64 v35, v2, v4, s[4:5]
	v_cmp_eq_u32_e64 s[4:5], 3, v28
	v_cndmask_b32_e64 v34, v34, v9, s[4:5]
	;; [unrolled: 3-line block ×6, first 2 shown]
	v_cndmask_b32_e64 v35, v35, v14, s[8:9]
	v_cmp_eq_u32_e64 s[8:9], 8, v28
	ds_read_b64 v[32:33], v31
	v_cndmask_b32_e64 v34, v34, v19, s[8:9]
	v_cndmask_b32_e64 v35, v35, v16, s[4:5]
	v_cmp_eq_u32_e64 s[4:5], 9, v28
	v_cndmask_b32_e64 v34, v34, v21, s[4:5]
	v_cndmask_b32_e64 v35, v35, v18, s[8:9]
	v_cmp_eq_u32_e64 s[8:9], 10, v28
	v_cndmask_b32_e64 v34, v34, v23, s[8:9]
	v_cmp_eq_u32_e64 s[10:11], 11, v28
	v_cndmask_b32_e64 v36, v35, v20, s[4:5]
	v_add_co_u32_e64 v28, s[4:5], 1, v28
	v_addc_co_u32_e64 v29, s[4:5], 0, v29, s[4:5]
	v_cndmask_b32_e64 v35, v34, v25, s[10:11]
	v_cndmask_b32_e64 v34, v36, v22, s[8:9]
	v_add_u32_e32 v36, -1, v28
	v_cndmask_b32_e64 v34, v34, v24, s[10:11]
	v_cmp_lt_u32_e64 s[4:5], 2, v36
	v_add_u32_e32 v31, 8, v31
	s_or_b64 s[14:15], s[4:5], s[14:15]
	s_waitcnt lgkmcnt(0)
	v_fmac_f64_e32 v[26:27], v[34:35], v[32:33]
	s_andn2_b64 exec, exec, s[14:15]
	s_cbranch_execnz .LBB11_27
; %bb.28:
	s_or_b64 exec, exec, s[14:15]
	v_mov_b32_e32 v10, 0
	ds_read_b64 v[10:11], v10 offset:32
	s_waitcnt lgkmcnt(0)
	v_mul_f64 v[10:11], v[26:27], v[10:11]
.LBB11_29:
	s_or_b64 exec, exec, s[12:13]
	v_cmp_gt_u32_e64 s[4:5], 5, v0
	s_waitcnt lgkmcnt(0)
	; wave barrier
	ds_write_b64 v30, v[12:13]
	s_waitcnt lgkmcnt(0)
	; wave barrier
	s_waitcnt lgkmcnt(0)
	s_and_saveexec_b64 s[12:13], s[4:5]
	s_cbranch_execz .LBB11_33
; %bb.30:
	v_mov_b32_e32 v26, 0x60
	v_lshl_add_u32 v31, v0, 3, v26
	s_mov_b64 s[14:15], 0
	v_pk_mov_b32 v[26:27], 0, 0
	v_pk_mov_b32 v[28:29], v[0:1], v[0:1] op_sel:[0,1]
.LBB11_31:                              ; =>This Inner Loop Header: Depth=1
	v_cmp_eq_u32_e64 s[4:5], 1, v28
	v_cndmask_b32_e64 v34, v3, v5, s[4:5]
	v_cmp_eq_u32_e64 s[8:9], 2, v28
	v_cndmask_b32_e64 v34, v34, v7, s[8:9]
	v_cndmask_b32_e64 v35, v2, v4, s[4:5]
	v_cmp_eq_u32_e64 s[4:5], 3, v28
	v_cndmask_b32_e64 v34, v34, v9, s[4:5]
	;; [unrolled: 3-line block ×6, first 2 shown]
	v_cndmask_b32_e64 v35, v35, v14, s[8:9]
	v_cmp_eq_u32_e64 s[8:9], 8, v28
	ds_read_b64 v[32:33], v31
	v_cndmask_b32_e64 v34, v34, v19, s[8:9]
	v_cndmask_b32_e64 v35, v35, v16, s[4:5]
	v_cmp_eq_u32_e64 s[4:5], 9, v28
	v_cndmask_b32_e64 v34, v34, v21, s[4:5]
	v_cndmask_b32_e64 v35, v35, v18, s[8:9]
	v_cmp_eq_u32_e64 s[8:9], 10, v28
	v_cndmask_b32_e64 v34, v34, v23, s[8:9]
	v_cmp_eq_u32_e64 s[10:11], 11, v28
	v_cndmask_b32_e64 v36, v35, v20, s[4:5]
	v_add_co_u32_e64 v28, s[4:5], 1, v28
	v_addc_co_u32_e64 v29, s[4:5], 0, v29, s[4:5]
	v_cndmask_b32_e64 v35, v34, v25, s[10:11]
	v_cndmask_b32_e64 v34, v36, v22, s[8:9]
	v_add_u32_e32 v36, -1, v28
	v_cndmask_b32_e64 v34, v34, v24, s[10:11]
	v_cmp_lt_u32_e64 s[4:5], 3, v36
	v_add_u32_e32 v31, 8, v31
	s_or_b64 s[14:15], s[4:5], s[14:15]
	s_waitcnt lgkmcnt(0)
	v_fmac_f64_e32 v[26:27], v[34:35], v[32:33]
	s_andn2_b64 exec, exec, s[14:15]
	s_cbranch_execnz .LBB11_31
; %bb.32:
	s_or_b64 exec, exec, s[14:15]
	v_mov_b32_e32 v12, 0
	ds_read_b64 v[12:13], v12 offset:40
	s_waitcnt lgkmcnt(0)
	v_mul_f64 v[12:13], v[26:27], v[12:13]
.LBB11_33:
	s_or_b64 exec, exec, s[12:13]
	v_cmp_gt_u32_e64 s[4:5], 6, v0
	s_waitcnt lgkmcnt(0)
	; wave barrier
	ds_write_b64 v30, v[14:15]
	s_waitcnt lgkmcnt(0)
	; wave barrier
	s_waitcnt lgkmcnt(0)
	s_and_saveexec_b64 s[14:15], s[4:5]
	s_cbranch_execz .LBB11_37
; %bb.34:
	v_mov_b32_e32 v26, 0x60
	v_lshl_add_u32 v31, v0, 3, v26
	s_mov_b64 s[16:17], 0
	v_pk_mov_b32 v[26:27], 0, 0
	v_pk_mov_b32 v[28:29], v[0:1], v[0:1] op_sel:[0,1]
.LBB11_35:                              ; =>This Inner Loop Header: Depth=1
	v_cmp_eq_u32_e64 s[8:9], 1, v28
	v_cndmask_b32_e64 v34, v3, v5, s[8:9]
	v_cmp_eq_u32_e64 s[10:11], 2, v28
	v_cndmask_b32_e64 v34, v34, v7, s[10:11]
	v_cndmask_b32_e64 v35, v2, v4, s[8:9]
	v_cmp_eq_u32_e64 s[8:9], 3, v28
	v_cndmask_b32_e64 v34, v34, v9, s[8:9]
	v_cndmask_b32_e64 v35, v35, v6, s[10:11]
	v_cmp_eq_u32_e64 s[10:11], 4, v28
	v_cndmask_b32_e64 v34, v34, v11, s[10:11]
	v_cndmask_b32_e64 v35, v35, v8, s[8:9]
	v_cmp_eq_u32_e64 s[8:9], 5, v28
	v_cndmask_b32_e64 v34, v34, v13, s[8:9]
	v_cndmask_b32_e64 v35, v35, v10, s[10:11]
	v_cmp_eq_u32_e64 s[10:11], 6, v28
	v_cndmask_b32_e64 v34, v34, v15, s[10:11]
	v_cndmask_b32_e64 v35, v35, v12, s[8:9]
	v_cmp_eq_u32_e64 s[8:9], 7, v28
	v_cndmask_b32_e64 v34, v34, v17, s[8:9]
	v_cndmask_b32_e64 v35, v35, v14, s[10:11]
	v_cmp_eq_u32_e64 s[10:11], 8, v28
	ds_read_b64 v[32:33], v31
	v_cndmask_b32_e64 v34, v34, v19, s[10:11]
	v_cndmask_b32_e64 v35, v35, v16, s[8:9]
	v_cmp_eq_u32_e64 s[8:9], 9, v28
	v_cndmask_b32_e64 v34, v34, v21, s[8:9]
	v_cndmask_b32_e64 v35, v35, v18, s[10:11]
	v_cmp_eq_u32_e64 s[10:11], 10, v28
	v_cndmask_b32_e64 v34, v34, v23, s[10:11]
	v_cmp_eq_u32_e64 s[12:13], 11, v28
	v_cndmask_b32_e64 v36, v35, v20, s[8:9]
	v_add_co_u32_e64 v28, s[8:9], 1, v28
	v_addc_co_u32_e64 v29, s[8:9], 0, v29, s[8:9]
	v_cndmask_b32_e64 v35, v34, v25, s[12:13]
	v_cndmask_b32_e64 v34, v36, v22, s[10:11]
	v_add_u32_e32 v36, -1, v28
	v_cndmask_b32_e64 v34, v34, v24, s[12:13]
	v_cmp_lt_u32_e64 s[8:9], 4, v36
	v_add_u32_e32 v31, 8, v31
	s_or_b64 s[16:17], s[8:9], s[16:17]
	s_waitcnt lgkmcnt(0)
	v_fmac_f64_e32 v[26:27], v[34:35], v[32:33]
	s_andn2_b64 exec, exec, s[16:17]
	s_cbranch_execnz .LBB11_35
; %bb.36:
	s_or_b64 exec, exec, s[16:17]
	v_mov_b32_e32 v14, 0
	ds_read_b64 v[14:15], v14 offset:48
	s_waitcnt lgkmcnt(0)
	v_mul_f64 v[14:15], v[26:27], v[14:15]
.LBB11_37:
	s_or_b64 exec, exec, s[14:15]
	v_cmp_gt_u32_e64 s[8:9], 7, v0
	s_waitcnt lgkmcnt(0)
	; wave barrier
	ds_write_b64 v30, v[16:17]
	s_waitcnt lgkmcnt(0)
	; wave barrier
	s_waitcnt lgkmcnt(0)
	s_and_saveexec_b64 s[14:15], s[8:9]
	s_cbranch_execz .LBB11_41
; %bb.38:
	v_mov_b32_e32 v26, 0x60
	v_lshl_add_u32 v31, v0, 3, v26
	s_mov_b64 s[16:17], 0
	v_pk_mov_b32 v[26:27], 0, 0
	v_pk_mov_b32 v[28:29], v[0:1], v[0:1] op_sel:[0,1]
.LBB11_39:                              ; =>This Inner Loop Header: Depth=1
	v_cmp_eq_u32_e64 s[8:9], 1, v28
	v_cndmask_b32_e64 v34, v3, v5, s[8:9]
	v_cmp_eq_u32_e64 s[10:11], 2, v28
	v_cndmask_b32_e64 v34, v34, v7, s[10:11]
	v_cndmask_b32_e64 v35, v2, v4, s[8:9]
	v_cmp_eq_u32_e64 s[8:9], 3, v28
	v_cndmask_b32_e64 v34, v34, v9, s[8:9]
	;; [unrolled: 3-line block ×6, first 2 shown]
	v_cndmask_b32_e64 v35, v35, v14, s[10:11]
	v_cmp_eq_u32_e64 s[10:11], 8, v28
	ds_read_b64 v[32:33], v31
	v_cndmask_b32_e64 v34, v34, v19, s[10:11]
	v_cndmask_b32_e64 v35, v35, v16, s[8:9]
	v_cmp_eq_u32_e64 s[8:9], 9, v28
	v_cndmask_b32_e64 v34, v34, v21, s[8:9]
	v_cndmask_b32_e64 v35, v35, v18, s[10:11]
	v_cmp_eq_u32_e64 s[10:11], 10, v28
	v_cndmask_b32_e64 v34, v34, v23, s[10:11]
	v_cmp_eq_u32_e64 s[12:13], 11, v28
	v_cndmask_b32_e64 v36, v35, v20, s[8:9]
	v_add_co_u32_e64 v28, s[8:9], 1, v28
	v_addc_co_u32_e64 v29, s[8:9], 0, v29, s[8:9]
	v_cndmask_b32_e64 v35, v34, v25, s[12:13]
	v_cndmask_b32_e64 v34, v36, v22, s[10:11]
	v_add_u32_e32 v36, -1, v28
	v_cndmask_b32_e64 v34, v34, v24, s[12:13]
	v_cmp_lt_u32_e64 s[8:9], 5, v36
	v_add_u32_e32 v31, 8, v31
	s_or_b64 s[16:17], s[8:9], s[16:17]
	s_waitcnt lgkmcnt(0)
	v_fmac_f64_e32 v[26:27], v[34:35], v[32:33]
	s_andn2_b64 exec, exec, s[16:17]
	s_cbranch_execnz .LBB11_39
; %bb.40:
	s_or_b64 exec, exec, s[16:17]
	v_mov_b32_e32 v16, 0
	ds_read_b64 v[16:17], v16 offset:56
	s_waitcnt lgkmcnt(0)
	v_mul_f64 v[16:17], v[26:27], v[16:17]
.LBB11_41:
	s_or_b64 exec, exec, s[14:15]
	v_cmp_gt_u32_e64 s[8:9], 8, v0
	s_waitcnt lgkmcnt(0)
	; wave barrier
	ds_write_b64 v30, v[18:19]
	s_waitcnt lgkmcnt(0)
	; wave barrier
	s_waitcnt lgkmcnt(0)
	s_and_saveexec_b64 s[38:39], s[8:9]
	s_cbranch_execz .LBB11_57
; %bb.42:
	v_cmp_eq_u32_e64 s[8:9], 1, v0
	v_cndmask_b32_e64 v26, v3, v5, s[8:9]
	v_cmp_eq_u32_e64 s[10:11], 2, v0
	v_cndmask_b32_e64 v26, v26, v7, s[10:11]
	;; [unrolled: 2-line block ×11, first 2 shown]
	v_cndmask_b32_e64 v26, v2, v4, s[8:9]
	v_cndmask_b32_e64 v26, v26, v6, s[10:11]
	;; [unrolled: 1-line block ×7, first 2 shown]
	ds_read_b64 v[28:29], v30
	v_cndmask_b32_e64 v26, v26, v18, s[22:23]
	v_cndmask_b32_e64 v26, v26, v20, s[24:25]
	;; [unrolled: 1-line block ×4, first 2 shown]
	s_waitcnt lgkmcnt(0)
	v_fma_f64 v[26:27], v[26:27], v[28:29], 0
	v_cmp_ne_u32_e64 s[8:9], 7, v0
	s_and_saveexec_b64 s[40:41], s[8:9]
	s_cbranch_execz .LBB11_56
; %bb.43:
	v_add_u32_e32 v28, 1, v0
	v_cmp_eq_u32_e64 s[8:9], 1, v28
	v_cndmask_b32_e64 v29, v3, v5, s[8:9]
	v_cmp_eq_u32_e64 s[10:11], 2, v28
	v_cmp_eq_u32_e64 s[12:13], 3, v28
	;; [unrolled: 1-line block ×10, first 2 shown]
	v_cndmask_b32_e64 v28, v2, v4, s[8:9]
	v_cndmask_b32_e64 v29, v29, v7, s[10:11]
	v_cndmask_b32_e64 v28, v28, v6, s[10:11]
	v_cndmask_b32_e64 v29, v29, v9, s[12:13]
	v_cndmask_b32_e64 v28, v28, v8, s[12:13]
	v_cndmask_b32_e64 v29, v29, v11, s[14:15]
	v_cndmask_b32_e64 v28, v28, v10, s[14:15]
	v_cndmask_b32_e64 v29, v29, v13, s[16:17]
	v_cndmask_b32_e64 v28, v28, v12, s[16:17]
	v_cndmask_b32_e64 v29, v29, v15, s[18:19]
	v_cndmask_b32_e64 v28, v28, v14, s[18:19]
	v_cndmask_b32_e64 v29, v29, v17, s[20:21]
	v_cndmask_b32_e64 v28, v28, v16, s[20:21]
	ds_read_b64 v[32:33], v30 offset:8
	v_cndmask_b32_e64 v29, v29, v19, s[22:23]
	v_cndmask_b32_e64 v28, v28, v18, s[22:23]
	;; [unrolled: 1-line block ×8, first 2 shown]
	s_waitcnt lgkmcnt(0)
	v_fmac_f64_e32 v[26:27], v[28:29], v[32:33]
	s_and_saveexec_b64 s[28:29], s[4:5]
	s_cbranch_execz .LBB11_55
; %bb.44:
	v_add_u32_e32 v28, 2, v0
	v_cmp_eq_u32_e64 s[4:5], 1, v28
	v_cndmask_b32_e64 v29, v3, v5, s[4:5]
	v_cmp_eq_u32_e64 s[8:9], 2, v28
	v_cmp_eq_u32_e64 s[10:11], 3, v28
	;; [unrolled: 1-line block ×10, first 2 shown]
	v_cndmask_b32_e64 v28, v2, v4, s[4:5]
	v_cndmask_b32_e64 v29, v29, v7, s[8:9]
	;; [unrolled: 1-line block ×13, first 2 shown]
	ds_read_b64 v[32:33], v30 offset:16
	v_cndmask_b32_e64 v29, v29, v19, s[20:21]
	v_cndmask_b32_e64 v28, v28, v18, s[20:21]
	;; [unrolled: 1-line block ×8, first 2 shown]
	s_waitcnt lgkmcnt(0)
	v_fmac_f64_e32 v[26:27], v[28:29], v[32:33]
	v_cmp_ne_u32_e64 s[4:5], 5, v0
	s_and_saveexec_b64 s[42:43], s[4:5]
	s_cbranch_execz .LBB11_54
; %bb.45:
	v_add_u32_e32 v28, 3, v0
	v_cmp_eq_u32_e64 s[4:5], 1, v28
	v_cndmask_b32_e64 v29, v3, v5, s[4:5]
	v_cmp_eq_u32_e64 s[8:9], 2, v28
	v_cmp_eq_u32_e64 s[10:11], 3, v28
	;; [unrolled: 1-line block ×10, first 2 shown]
	v_cndmask_b32_e64 v28, v2, v4, s[4:5]
	v_cndmask_b32_e64 v29, v29, v7, s[8:9]
	;; [unrolled: 1-line block ×13, first 2 shown]
	ds_read_b64 v[32:33], v30 offset:24
	v_cndmask_b32_e64 v29, v29, v19, s[20:21]
	v_cndmask_b32_e64 v28, v28, v18, s[20:21]
	;; [unrolled: 1-line block ×8, first 2 shown]
	s_waitcnt lgkmcnt(0)
	v_fmac_f64_e32 v[26:27], v[28:29], v[32:33]
	s_and_saveexec_b64 s[26:27], s[2:3]
	s_cbranch_execz .LBB11_53
; %bb.46:
	v_or_b32_e32 v28, 4, v0
	v_cmp_eq_u32_e64 s[2:3], 1, v28
	v_cndmask_b32_e64 v29, v3, v5, s[2:3]
	v_cmp_eq_u32_e64 s[4:5], 2, v28
	v_cmp_eq_u32_e64 s[8:9], 3, v28
	;; [unrolled: 1-line block ×10, first 2 shown]
	v_cndmask_b32_e64 v28, v2, v4, s[2:3]
	v_cndmask_b32_e64 v29, v29, v7, s[4:5]
	;; [unrolled: 1-line block ×13, first 2 shown]
	ds_read_b64 v[32:33], v30 offset:32
	v_cndmask_b32_e64 v29, v29, v19, s[18:19]
	v_cndmask_b32_e64 v28, v28, v18, s[18:19]
	;; [unrolled: 1-line block ×8, first 2 shown]
	s_waitcnt lgkmcnt(0)
	v_fmac_f64_e32 v[26:27], v[28:29], v[32:33]
	v_cmp_ne_u32_e64 s[2:3], 3, v0
	s_and_saveexec_b64 s[44:45], s[2:3]
	s_cbranch_execz .LBB11_52
; %bb.47:
	v_add_u32_e32 v28, 5, v0
	v_cmp_eq_u32_e64 s[2:3], 1, v28
	v_cndmask_b32_e64 v29, v3, v5, s[2:3]
	v_cmp_eq_u32_e64 s[4:5], 2, v28
	v_cmp_eq_u32_e64 s[8:9], 3, v28
	;; [unrolled: 1-line block ×10, first 2 shown]
	v_cndmask_b32_e64 v28, v2, v4, s[2:3]
	v_cndmask_b32_e64 v29, v29, v7, s[4:5]
	;; [unrolled: 1-line block ×13, first 2 shown]
	ds_read_b64 v[32:33], v30 offset:40
	v_cndmask_b32_e64 v29, v29, v19, s[18:19]
	v_cndmask_b32_e64 v28, v28, v18, s[18:19]
	;; [unrolled: 1-line block ×8, first 2 shown]
	s_waitcnt lgkmcnt(0)
	v_fmac_f64_e32 v[26:27], v[28:29], v[32:33]
	s_and_saveexec_b64 s[24:25], vcc
	s_cbranch_execz .LBB11_51
; %bb.48:
	v_or_b32_e32 v28, 6, v0
	v_cmp_eq_u32_e32 vcc, 1, v28
	v_cndmask_b32_e32 v29, v3, v5, vcc
	v_cmp_eq_u32_e64 s[2:3], 2, v28
	v_cndmask_b32_e64 v29, v29, v7, s[2:3]
	v_cmp_eq_u32_e64 s[4:5], 3, v28
	v_cmp_eq_u32_e64 s[8:9], 4, v28
	;; [unrolled: 1-line block ×9, first 2 shown]
	v_cndmask_b32_e32 v28, v2, v4, vcc
	v_cndmask_b32_e64 v29, v29, v9, s[4:5]
	v_cndmask_b32_e64 v28, v28, v6, s[2:3]
	;; [unrolled: 1-line block ×12, first 2 shown]
	ds_read_b64 v[28:29], v30 offset:48
	v_cndmask_b32_e64 v18, v31, v18, s[16:17]
	v_cndmask_b32_e64 v19, v19, v21, s[18:19]
	;; [unrolled: 1-line block ×7, first 2 shown]
	s_waitcnt lgkmcnt(0)
	v_fmac_f64_e32 v[26:27], v[18:19], v[28:29]
	s_and_saveexec_b64 s[2:3], s[0:1]
	s_cbranch_execz .LBB11_50
; %bb.49:
	ds_read_b64 v[18:19], v30 offset:56
	s_waitcnt lgkmcnt(0)
	v_fmac_f64_e32 v[26:27], v[16:17], v[18:19]
.LBB11_50:
	s_or_b64 exec, exec, s[2:3]
.LBB11_51:
	s_or_b64 exec, exec, s[24:25]
.LBB11_52:
	s_or_b64 exec, exec, s[44:45]
.LBB11_53:
	s_or_b64 exec, exec, s[26:27]
.LBB11_54:
	s_or_b64 exec, exec, s[42:43]
.LBB11_55:
	s_or_b64 exec, exec, s[28:29]
.LBB11_56:
	s_or_b64 exec, exec, s[40:41]
	v_mov_b32_e32 v18, 0
	ds_read_b64 v[18:19], v18 offset:64
	s_waitcnt lgkmcnt(0)
	v_mul_f64 v[18:19], v[26:27], v[18:19]
.LBB11_57:
	s_or_b64 exec, exec, s[38:39]
	v_cmp_gt_u32_e32 vcc, 9, v0
	s_waitcnt lgkmcnt(0)
	; wave barrier
	ds_write_b64 v30, v[20:21]
	s_waitcnt lgkmcnt(0)
	; wave barrier
	s_waitcnt lgkmcnt(0)
	s_and_saveexec_b64 s[4:5], vcc
	s_cbranch_execz .LBB11_61
; %bb.58:
	v_mov_b32_e32 v26, 0x60
	v_lshl_add_u32 v31, v0, 3, v26
	s_mov_b64 s[8:9], 0
	v_pk_mov_b32 v[26:27], 0, 0
	v_pk_mov_b32 v[28:29], v[0:1], v[0:1] op_sel:[0,1]
.LBB11_59:                              ; =>This Inner Loop Header: Depth=1
	v_cmp_eq_u32_e32 vcc, 1, v28
	v_cndmask_b32_e32 v34, v3, v5, vcc
	v_cmp_eq_u32_e64 s[0:1], 2, v28
	v_cndmask_b32_e64 v34, v34, v7, s[0:1]
	v_cndmask_b32_e32 v35, v2, v4, vcc
	v_cmp_eq_u32_e32 vcc, 3, v28
	v_cndmask_b32_e32 v34, v34, v9, vcc
	v_cndmask_b32_e64 v35, v35, v6, s[0:1]
	v_cmp_eq_u32_e64 s[0:1], 4, v28
	v_cndmask_b32_e64 v34, v34, v11, s[0:1]
	v_cndmask_b32_e32 v35, v35, v8, vcc
	v_cmp_eq_u32_e32 vcc, 5, v28
	v_cndmask_b32_e32 v34, v34, v13, vcc
	v_cndmask_b32_e64 v35, v35, v10, s[0:1]
	v_cmp_eq_u32_e64 s[0:1], 6, v28
	v_cndmask_b32_e64 v34, v34, v15, s[0:1]
	v_cndmask_b32_e32 v35, v35, v12, vcc
	v_cmp_eq_u32_e32 vcc, 7, v28
	v_cndmask_b32_e32 v34, v34, v17, vcc
	v_cndmask_b32_e64 v35, v35, v14, s[0:1]
	v_cmp_eq_u32_e64 s[0:1], 8, v28
	ds_read_b64 v[32:33], v31
	v_cndmask_b32_e64 v34, v34, v19, s[0:1]
	v_cndmask_b32_e32 v35, v35, v16, vcc
	v_cmp_eq_u32_e32 vcc, 9, v28
	v_cndmask_b32_e32 v34, v34, v21, vcc
	v_cndmask_b32_e64 v35, v35, v18, s[0:1]
	v_cmp_eq_u32_e64 s[0:1], 10, v28
	v_cndmask_b32_e64 v34, v34, v23, s[0:1]
	v_cmp_eq_u32_e64 s[2:3], 11, v28
	v_cndmask_b32_e32 v36, v35, v20, vcc
	v_add_co_u32_e32 v28, vcc, 1, v28
	v_addc_co_u32_e32 v29, vcc, 0, v29, vcc
	v_cndmask_b32_e64 v35, v34, v25, s[2:3]
	v_cndmask_b32_e64 v34, v36, v22, s[0:1]
	v_add_u32_e32 v36, -1, v28
	v_cndmask_b32_e64 v34, v34, v24, s[2:3]
	v_cmp_lt_u32_e32 vcc, 7, v36
	v_add_u32_e32 v31, 8, v31
	s_or_b64 s[8:9], vcc, s[8:9]
	s_waitcnt lgkmcnt(0)
	v_fmac_f64_e32 v[26:27], v[34:35], v[32:33]
	s_andn2_b64 exec, exec, s[8:9]
	s_cbranch_execnz .LBB11_59
; %bb.60:
	s_or_b64 exec, exec, s[8:9]
	v_mov_b32_e32 v20, 0
	ds_read_b64 v[20:21], v20 offset:72
	s_waitcnt lgkmcnt(0)
	v_mul_f64 v[20:21], v[26:27], v[20:21]
.LBB11_61:
	s_or_b64 exec, exec, s[4:5]
	v_cmp_gt_u32_e32 vcc, 10, v0
	s_waitcnt lgkmcnt(0)
	; wave barrier
	ds_write_b64 v30, v[22:23]
	s_waitcnt lgkmcnt(0)
	; wave barrier
	s_waitcnt lgkmcnt(0)
	s_and_saveexec_b64 s[4:5], vcc
	s_cbranch_execz .LBB11_65
; %bb.62:
	v_mov_b32_e32 v26, 0x60
	v_lshl_add_u32 v31, v0, 3, v26
	s_mov_b64 s[8:9], 0
	v_pk_mov_b32 v[26:27], 0, 0
	v_pk_mov_b32 v[28:29], v[0:1], v[0:1] op_sel:[0,1]
.LBB11_63:                              ; =>This Inner Loop Header: Depth=1
	v_cmp_eq_u32_e32 vcc, 1, v28
	v_cndmask_b32_e32 v34, v3, v5, vcc
	v_cmp_eq_u32_e64 s[0:1], 2, v28
	v_cndmask_b32_e64 v34, v34, v7, s[0:1]
	v_cndmask_b32_e32 v35, v2, v4, vcc
	v_cmp_eq_u32_e32 vcc, 3, v28
	v_cndmask_b32_e32 v34, v34, v9, vcc
	v_cndmask_b32_e64 v35, v35, v6, s[0:1]
	v_cmp_eq_u32_e64 s[0:1], 4, v28
	v_cndmask_b32_e64 v34, v34, v11, s[0:1]
	v_cndmask_b32_e32 v35, v35, v8, vcc
	v_cmp_eq_u32_e32 vcc, 5, v28
	v_cndmask_b32_e32 v34, v34, v13, vcc
	v_cndmask_b32_e64 v35, v35, v10, s[0:1]
	;; [unrolled: 6-line block ×3, first 2 shown]
	v_cmp_eq_u32_e64 s[0:1], 8, v28
	ds_read_b64 v[32:33], v31
	v_cndmask_b32_e64 v34, v34, v19, s[0:1]
	v_cndmask_b32_e32 v35, v35, v16, vcc
	v_cmp_eq_u32_e32 vcc, 9, v28
	v_cndmask_b32_e32 v34, v34, v21, vcc
	v_cndmask_b32_e64 v35, v35, v18, s[0:1]
	v_cmp_eq_u32_e64 s[0:1], 10, v28
	v_cndmask_b32_e64 v34, v34, v23, s[0:1]
	v_cmp_eq_u32_e64 s[2:3], 11, v28
	v_cndmask_b32_e32 v36, v35, v20, vcc
	v_add_co_u32_e32 v28, vcc, 1, v28
	v_addc_co_u32_e32 v29, vcc, 0, v29, vcc
	v_cndmask_b32_e64 v35, v34, v25, s[2:3]
	v_cndmask_b32_e64 v34, v36, v22, s[0:1]
	v_add_u32_e32 v36, -1, v28
	v_cndmask_b32_e64 v34, v34, v24, s[2:3]
	v_cmp_lt_u32_e32 vcc, 8, v36
	v_add_u32_e32 v31, 8, v31
	s_or_b64 s[8:9], vcc, s[8:9]
	s_waitcnt lgkmcnt(0)
	v_fmac_f64_e32 v[26:27], v[34:35], v[32:33]
	s_andn2_b64 exec, exec, s[8:9]
	s_cbranch_execnz .LBB11_63
; %bb.64:
	s_or_b64 exec, exec, s[8:9]
	v_mov_b32_e32 v22, 0
	ds_read_b64 v[22:23], v22 offset:80
	s_waitcnt lgkmcnt(0)
	v_mul_f64 v[22:23], v[26:27], v[22:23]
.LBB11_65:
	s_or_b64 exec, exec, s[4:5]
	v_cmp_ne_u32_e32 vcc, 11, v0
	s_waitcnt lgkmcnt(0)
	; wave barrier
	ds_write_b64 v30, v[24:25]
	s_waitcnt lgkmcnt(0)
	; wave barrier
	s_waitcnt lgkmcnt(0)
	s_and_saveexec_b64 s[4:5], vcc
	s_cbranch_execz .LBB11_69
; %bb.66:
	v_mov_b32_e32 v26, 0x60
	v_lshl_add_u32 v30, v0, 3, v26
	s_mov_b64 s[8:9], 0
	v_pk_mov_b32 v[26:27], 0, 0
	v_pk_mov_b32 v[28:29], v[0:1], v[0:1] op_sel:[0,1]
.LBB11_67:                              ; =>This Inner Loop Header: Depth=1
	v_cmp_eq_u32_e32 vcc, 1, v28
	v_cndmask_b32_e32 v1, v3, v5, vcc
	v_cmp_eq_u32_e64 s[0:1], 2, v28
	v_cndmask_b32_e64 v1, v1, v7, s[0:1]
	v_cndmask_b32_e32 v31, v2, v4, vcc
	v_cmp_eq_u32_e32 vcc, 3, v28
	v_cndmask_b32_e32 v1, v1, v9, vcc
	v_cndmask_b32_e64 v31, v31, v6, s[0:1]
	v_cmp_eq_u32_e64 s[0:1], 4, v28
	v_cndmask_b32_e64 v1, v1, v11, s[0:1]
	v_cndmask_b32_e32 v31, v31, v8, vcc
	v_cmp_eq_u32_e32 vcc, 5, v28
	v_cndmask_b32_e32 v1, v1, v13, vcc
	v_cndmask_b32_e64 v31, v31, v10, s[0:1]
	v_cmp_eq_u32_e64 s[0:1], 6, v28
	v_cndmask_b32_e64 v1, v1, v15, s[0:1]
	v_cndmask_b32_e32 v31, v31, v12, vcc
	v_cmp_eq_u32_e32 vcc, 7, v28
	v_cndmask_b32_e32 v1, v1, v17, vcc
	v_cndmask_b32_e64 v31, v31, v14, s[0:1]
	v_cmp_eq_u32_e64 s[0:1], 8, v28
	ds_read_b64 v[32:33], v30
	v_cndmask_b32_e64 v1, v1, v19, s[0:1]
	v_cndmask_b32_e32 v31, v31, v16, vcc
	v_cmp_eq_u32_e32 vcc, 9, v28
	v_cndmask_b32_e32 v1, v1, v21, vcc
	v_cndmask_b32_e64 v31, v31, v18, s[0:1]
	v_cmp_eq_u32_e64 s[0:1], 10, v28
	v_cndmask_b32_e64 v1, v1, v23, s[0:1]
	v_cmp_eq_u32_e64 s[2:3], 11, v28
	v_cndmask_b32_e32 v31, v31, v20, vcc
	v_add_co_u32_e32 v28, vcc, 1, v28
	v_addc_co_u32_e32 v29, vcc, 0, v29, vcc
	v_cndmask_b32_e64 v35, v1, v25, s[2:3]
	v_cndmask_b32_e64 v1, v31, v22, s[0:1]
	v_add_u32_e32 v31, -1, v28
	v_cndmask_b32_e64 v34, v1, v24, s[2:3]
	v_cmp_lt_u32_e32 vcc, 9, v31
	v_add_u32_e32 v30, 8, v30
	s_or_b64 s[8:9], vcc, s[8:9]
	s_waitcnt lgkmcnt(0)
	v_fmac_f64_e32 v[26:27], v[34:35], v[32:33]
	s_andn2_b64 exec, exec, s[8:9]
	s_cbranch_execnz .LBB11_67
; %bb.68:
	s_or_b64 exec, exec, s[8:9]
	v_mov_b32_e32 v1, 0
	ds_read_b64 v[24:25], v1 offset:88
	s_waitcnt lgkmcnt(0)
	v_mul_f64 v[24:25], v[26:27], v[24:25]
.LBB11_69:
	s_or_b64 exec, exec, s[4:5]
	s_waitcnt lgkmcnt(0)
	; wave barrier
	s_cbranch_execnz .LBB11_15
	s_branch .LBB11_16
.LBB11_70:
	v_mov_b32_e32 v1, 0x60
	v_lshl_add_u32 v1, v0, 3, v1
	v_cmp_eq_u32_e32 vcc, 11, v0
	s_and_saveexec_b64 s[0:1], vcc
	s_cbranch_execz .LBB11_72
; %bb.71:
	ds_write_b64 v1, v[22:23]
	v_mov_b32_e32 v22, 0
	v_mov_b32_e32 v23, v22
.LBB11_72:
	s_or_b64 exec, exec, s[0:1]
	v_mov_b32_e32 v44, 0
	s_waitcnt lgkmcnt(0)
	; wave barrier
	s_waitcnt lgkmcnt(0)
	ds_read_b64 v[26:27], v44 offset:184
	v_cmp_lt_u32_e32 vcc, 9, v0
	s_waitcnt lgkmcnt(0)
	v_fma_f64 v[26:27], v[24:25], v[26:27], 0
	v_add_f64 v[22:23], v[22:23], -v[26:27]
	s_and_saveexec_b64 s[0:1], vcc
	s_cbranch_execz .LBB11_74
; %bb.73:
	v_mov_b32_e32 v26, v2
	v_mov_b32_e32 v27, v3
	;; [unrolled: 1-line block ×23, first 2 shown]
	ds_write_b64 v1, v[20:21]
	v_pk_mov_b32 v[2:3], v[26:27], v[26:27] op_sel:[0,1]
	v_pk_mov_b32 v[4:5], v[28:29], v[28:29] op_sel:[0,1]
	;; [unrolled: 1-line block ×16, first 2 shown]
.LBB11_74:
	s_or_b64 exec, exec, s[0:1]
	s_waitcnt lgkmcnt(0)
	; wave barrier
	s_waitcnt lgkmcnt(0)
	ds_read_b128 v[26:29], v44 offset:176
	v_cmp_lt_u32_e32 vcc, 8, v0
	s_waitcnt lgkmcnt(0)
	v_fma_f64 v[26:27], v[22:23], v[26:27], 0
	v_fmac_f64_e32 v[26:27], v[24:25], v[28:29]
	v_add_f64 v[20:21], v[20:21], -v[26:27]
	s_and_saveexec_b64 s[0:1], vcc
	s_cbranch_execz .LBB11_76
; %bb.75:
	v_mov_b32_e32 v42, 0
	v_mov_b32_e32 v26, v2
	;; [unrolled: 1-line block ×24, first 2 shown]
	ds_write_b64 v1, v[18:19]
	v_pk_mov_b32 v[2:3], v[26:27], v[26:27] op_sel:[0,1]
	v_pk_mov_b32 v[4:5], v[28:29], v[28:29] op_sel:[0,1]
	;; [unrolled: 1-line block ×16, first 2 shown]
.LBB11_76:
	s_or_b64 exec, exec, s[0:1]
	v_mov_b32_e32 v40, 0
	s_waitcnt lgkmcnt(0)
	; wave barrier
	s_waitcnt lgkmcnt(0)
	ds_read2_b64 v[26:29], v40 offset0:21 offset1:22
	ds_read_b64 v[30:31], v40 offset:184
	v_cmp_lt_u32_e32 vcc, 7, v0
	s_waitcnt lgkmcnt(1)
	v_fma_f64 v[26:27], v[20:21], v[26:27], 0
	v_fmac_f64_e32 v[26:27], v[22:23], v[28:29]
	s_waitcnt lgkmcnt(0)
	v_fmac_f64_e32 v[26:27], v[24:25], v[30:31]
	v_add_f64 v[18:19], v[18:19], -v[26:27]
	s_and_saveexec_b64 s[0:1], vcc
	s_cbranch_execz .LBB11_78
; %bb.77:
	v_mov_b32_e32 v26, v2
	v_mov_b32_e32 v27, v3
	v_mov_b32_e32 v28, v4
	v_mov_b32_e32 v29, v5
	v_mov_b32_e32 v30, v6
	v_mov_b32_e32 v31, v7
	v_mov_b32_e32 v32, v8
	v_mov_b32_e32 v33, v9
	v_mov_b32_e32 v34, v10
	v_mov_b32_e32 v35, v11
	v_mov_b32_e32 v36, v12
	v_mov_b32_e32 v37, v13
	v_mov_b32_e32 v38, v14
	v_mov_b32_e32 v39, v15
	v_mov_b32_e32 v41, v40
	v_mov_b32_e32 v42, v18
	v_mov_b32_e32 v43, v19
	v_mov_b32_e32 v44, v20
	v_mov_b32_e32 v45, v21
	v_mov_b32_e32 v46, v22
	v_mov_b32_e32 v47, v23
	v_mov_b32_e32 v48, v24
	v_mov_b32_e32 v49, v25
	ds_write_b64 v1, v[16:17]
	v_pk_mov_b32 v[2:3], v[26:27], v[26:27] op_sel:[0,1]
	v_pk_mov_b32 v[4:5], v[28:29], v[28:29] op_sel:[0,1]
	;; [unrolled: 1-line block ×16, first 2 shown]
.LBB11_78:
	s_or_b64 exec, exec, s[0:1]
	s_waitcnt lgkmcnt(0)
	; wave barrier
	s_waitcnt lgkmcnt(0)
	ds_read_b128 v[26:29], v40 offset:160
	ds_read_b128 v[30:33], v40 offset:176
	v_cmp_lt_u32_e32 vcc, 6, v0
	s_waitcnt lgkmcnt(1)
	v_fma_f64 v[26:27], v[18:19], v[26:27], 0
	v_fmac_f64_e32 v[26:27], v[20:21], v[28:29]
	s_waitcnt lgkmcnt(0)
	v_fmac_f64_e32 v[26:27], v[22:23], v[30:31]
	v_fmac_f64_e32 v[26:27], v[24:25], v[32:33]
	v_add_f64 v[16:17], v[16:17], -v[26:27]
	s_and_saveexec_b64 s[0:1], vcc
	s_cbranch_execz .LBB11_80
; %bb.79:
	v_mov_b32_e32 v38, 0
	v_mov_b32_e32 v26, v2
	;; [unrolled: 1-line block ×24, first 2 shown]
	ds_write_b64 v1, v[14:15]
	v_pk_mov_b32 v[2:3], v[26:27], v[26:27] op_sel:[0,1]
	v_pk_mov_b32 v[4:5], v[28:29], v[28:29] op_sel:[0,1]
	;; [unrolled: 1-line block ×16, first 2 shown]
.LBB11_80:
	s_or_b64 exec, exec, s[0:1]
	v_mov_b32_e32 v36, 0
	s_waitcnt lgkmcnt(0)
	; wave barrier
	s_waitcnt lgkmcnt(0)
	ds_read2_b64 v[26:29], v36 offset0:19 offset1:20
	ds_read2_b64 v[30:33], v36 offset0:21 offset1:22
	ds_read_b64 v[34:35], v36 offset:184
	v_cmp_lt_u32_e32 vcc, 5, v0
	s_waitcnt lgkmcnt(2)
	v_fma_f64 v[26:27], v[16:17], v[26:27], 0
	v_fmac_f64_e32 v[26:27], v[18:19], v[28:29]
	s_waitcnt lgkmcnt(1)
	v_fmac_f64_e32 v[26:27], v[20:21], v[30:31]
	v_fmac_f64_e32 v[26:27], v[22:23], v[32:33]
	s_waitcnt lgkmcnt(0)
	v_fmac_f64_e32 v[26:27], v[24:25], v[34:35]
	v_add_f64 v[14:15], v[14:15], -v[26:27]
	s_and_saveexec_b64 s[0:1], vcc
	s_cbranch_execz .LBB11_82
; %bb.81:
	v_mov_b32_e32 v26, v2
	v_mov_b32_e32 v27, v3
	;; [unrolled: 1-line block ×23, first 2 shown]
	ds_write_b64 v1, v[12:13]
	v_pk_mov_b32 v[2:3], v[26:27], v[26:27] op_sel:[0,1]
	v_pk_mov_b32 v[4:5], v[28:29], v[28:29] op_sel:[0,1]
	;; [unrolled: 1-line block ×16, first 2 shown]
.LBB11_82:
	s_or_b64 exec, exec, s[0:1]
	s_waitcnt lgkmcnt(0)
	; wave barrier
	s_waitcnt lgkmcnt(0)
	ds_read_b128 v[26:29], v36 offset:144
	ds_read_b128 v[30:33], v36 offset:160
	;; [unrolled: 1-line block ×3, first 2 shown]
	v_cmp_lt_u32_e32 vcc, 4, v0
	s_waitcnt lgkmcnt(2)
	v_fma_f64 v[26:27], v[14:15], v[26:27], 0
	v_fmac_f64_e32 v[26:27], v[16:17], v[28:29]
	s_waitcnt lgkmcnt(1)
	v_fmac_f64_e32 v[26:27], v[18:19], v[30:31]
	v_fmac_f64_e32 v[26:27], v[20:21], v[32:33]
	s_waitcnt lgkmcnt(0)
	v_fmac_f64_e32 v[26:27], v[22:23], v[34:35]
	v_fmac_f64_e32 v[26:27], v[24:25], v[36:37]
	v_add_f64 v[12:13], v[12:13], -v[26:27]
	s_and_saveexec_b64 s[0:1], vcc
	s_cbranch_execz .LBB11_84
; %bb.83:
	v_mov_b32_e32 v34, 0
	v_mov_b32_e32 v26, v2
	;; [unrolled: 1-line block ×24, first 2 shown]
	ds_write_b64 v1, v[10:11]
	v_pk_mov_b32 v[2:3], v[26:27], v[26:27] op_sel:[0,1]
	v_pk_mov_b32 v[4:5], v[28:29], v[28:29] op_sel:[0,1]
	;; [unrolled: 1-line block ×16, first 2 shown]
.LBB11_84:
	s_or_b64 exec, exec, s[0:1]
	v_mov_b32_e32 v34, 0
	s_waitcnt lgkmcnt(0)
	; wave barrier
	s_waitcnt lgkmcnt(0)
	ds_read2_b64 v[26:29], v34 offset0:17 offset1:18
	ds_read2_b64 v[30:33], v34 offset0:19 offset1:20
	;; [unrolled: 1-line block ×3, first 2 shown]
	v_cmp_lt_u32_e32 vcc, 3, v0
	s_waitcnt lgkmcnt(2)
	v_fma_f64 v[26:27], v[12:13], v[26:27], 0
	v_fmac_f64_e32 v[26:27], v[14:15], v[28:29]
	ds_read_b64 v[28:29], v34 offset:184
	s_waitcnt lgkmcnt(2)
	v_fmac_f64_e32 v[26:27], v[16:17], v[30:31]
	v_fmac_f64_e32 v[26:27], v[18:19], v[32:33]
	s_waitcnt lgkmcnt(1)
	v_fmac_f64_e32 v[26:27], v[20:21], v[36:37]
	v_fmac_f64_e32 v[26:27], v[22:23], v[38:39]
	s_waitcnt lgkmcnt(0)
	v_fmac_f64_e32 v[26:27], v[24:25], v[28:29]
	v_add_f64 v[10:11], v[10:11], -v[26:27]
	s_and_saveexec_b64 s[0:1], vcc
	s_cbranch_execz .LBB11_86
; %bb.85:
	v_mov_b32_e32 v28, v2
	v_mov_b32_e32 v29, v3
	;; [unrolled: 1-line block ×23, first 2 shown]
	ds_write_b64 v1, v[8:9]
	v_pk_mov_b32 v[2:3], v[28:29], v[28:29] op_sel:[0,1]
	v_pk_mov_b32 v[4:5], v[30:31], v[30:31] op_sel:[0,1]
	;; [unrolled: 1-line block ×16, first 2 shown]
.LBB11_86:
	s_or_b64 exec, exec, s[0:1]
	s_waitcnt lgkmcnt(0)
	; wave barrier
	s_waitcnt lgkmcnt(0)
	ds_read_b128 v[26:29], v34 offset:128
	ds_read_b128 v[30:33], v34 offset:144
	;; [unrolled: 1-line block ×4, first 2 shown]
	v_cmp_lt_u32_e32 vcc, 2, v0
	s_waitcnt lgkmcnt(3)
	v_fma_f64 v[26:27], v[10:11], v[26:27], 0
	v_fmac_f64_e32 v[26:27], v[12:13], v[28:29]
	s_waitcnt lgkmcnt(2)
	v_fmac_f64_e32 v[26:27], v[14:15], v[30:31]
	v_fmac_f64_e32 v[26:27], v[16:17], v[32:33]
	s_waitcnt lgkmcnt(1)
	v_fmac_f64_e32 v[26:27], v[18:19], v[36:37]
	;; [unrolled: 3-line block ×3, first 2 shown]
	v_fmac_f64_e32 v[26:27], v[24:25], v[42:43]
	v_add_f64 v[8:9], v[8:9], -v[26:27]
	s_and_saveexec_b64 s[0:1], vcc
	s_cbranch_execz .LBB11_88
; %bb.87:
	v_mov_b32_e32 v30, 0
	v_mov_b32_e32 v26, v2
	;; [unrolled: 1-line block ×24, first 2 shown]
	ds_write_b64 v1, v[6:7]
	v_pk_mov_b32 v[2:3], v[26:27], v[26:27] op_sel:[0,1]
	v_pk_mov_b32 v[4:5], v[28:29], v[28:29] op_sel:[0,1]
	;; [unrolled: 1-line block ×16, first 2 shown]
.LBB11_88:
	s_or_b64 exec, exec, s[0:1]
	v_mov_b32_e32 v34, 0
	s_waitcnt lgkmcnt(0)
	; wave barrier
	s_waitcnt lgkmcnt(0)
	ds_read2_b64 v[26:29], v34 offset0:15 offset1:16
	ds_read2_b64 v[30:33], v34 offset0:17 offset1:18
	v_cmp_lt_u32_e32 vcc, 1, v0
	ds_read2_b64 v[36:39], v34 offset0:21 offset1:22
	s_waitcnt lgkmcnt(2)
	v_fma_f64 v[40:41], v[8:9], v[26:27], 0
	v_fmac_f64_e32 v[40:41], v[10:11], v[28:29]
	ds_read2_b64 v[26:29], v34 offset0:19 offset1:20
	s_waitcnt lgkmcnt(2)
	v_fmac_f64_e32 v[40:41], v[12:13], v[30:31]
	v_fmac_f64_e32 v[40:41], v[14:15], v[32:33]
	ds_read_b64 v[30:31], v34 offset:184
	s_waitcnt lgkmcnt(1)
	v_fmac_f64_e32 v[40:41], v[16:17], v[26:27]
	v_fmac_f64_e32 v[40:41], v[18:19], v[28:29]
	v_fmac_f64_e32 v[40:41], v[20:21], v[36:37]
	v_fmac_f64_e32 v[40:41], v[22:23], v[38:39]
	s_waitcnt lgkmcnt(0)
	v_fmac_f64_e32 v[40:41], v[24:25], v[30:31]
	v_add_f64 v[6:7], v[6:7], -v[40:41]
	s_and_saveexec_b64 s[0:1], vcc
	s_cbranch_execz .LBB11_90
; %bb.89:
	v_mov_b32_e32 v32, v2
	v_mov_b32_e32 v33, v3
	;; [unrolled: 1-line block ×25, first 2 shown]
	ds_write_b64 v1, v[2:3]
	v_pk_mov_b32 v[2:3], v[32:33], v[32:33] op_sel:[0,1]
	v_pk_mov_b32 v[4:5], v[34:35], v[34:35] op_sel:[0,1]
	;; [unrolled: 1-line block ×16, first 2 shown]
.LBB11_90:
	s_or_b64 exec, exec, s[0:1]
	s_waitcnt lgkmcnt(0)
	; wave barrier
	s_waitcnt lgkmcnt(0)
	ds_read_b128 v[26:29], v34 offset:112
	ds_read_b128 v[30:33], v34 offset:128
	;; [unrolled: 1-line block ×4, first 2 shown]
	v_cmp_ne_u32_e32 vcc, 0, v0
	s_waitcnt lgkmcnt(3)
	v_fma_f64 v[44:45], v[6:7], v[26:27], 0
	v_fmac_f64_e32 v[44:45], v[8:9], v[28:29]
	s_waitcnt lgkmcnt(2)
	v_fmac_f64_e32 v[44:45], v[10:11], v[30:31]
	v_fmac_f64_e32 v[44:45], v[12:13], v[32:33]
	ds_read_b128 v[26:29], v34 offset:176
	s_waitcnt lgkmcnt(2)
	v_fmac_f64_e32 v[44:45], v[14:15], v[36:37]
	v_fmac_f64_e32 v[44:45], v[16:17], v[38:39]
	s_waitcnt lgkmcnt(1)
	v_fmac_f64_e32 v[44:45], v[18:19], v[40:41]
	v_fmac_f64_e32 v[44:45], v[20:21], v[42:43]
	;; [unrolled: 3-line block ×3, first 2 shown]
	v_add_f64 v[4:5], v[4:5], -v[44:45]
	s_and_saveexec_b64 s[0:1], vcc
	s_cbranch_execz .LBB11_92
; %bb.91:
	v_mov_b32_e32 v26, 0
	v_mov_b32_e32 v29, v5
	;; [unrolled: 1-line block ×24, first 2 shown]
	ds_write_b64 v1, v[2:3]
	v_pk_mov_b32 v[2:3], v[26:27], v[26:27] op_sel:[0,1]
	v_pk_mov_b32 v[4:5], v[28:29], v[28:29] op_sel:[0,1]
	;; [unrolled: 1-line block ×16, first 2 shown]
.LBB11_92:
	s_or_b64 exec, exec, s[0:1]
	v_mov_b32_e32 v38, 0
	s_waitcnt lgkmcnt(0)
	; wave barrier
	s_waitcnt lgkmcnt(0)
	ds_read2_b64 v[26:29], v38 offset0:13 offset1:14
	ds_read2_b64 v[30:33], v38 offset0:15 offset1:16
	;; [unrolled: 1-line block ×3, first 2 shown]
	s_and_b64 vcc, exec, s[36:37]
	s_waitcnt lgkmcnt(2)
	v_fma_f64 v[0:1], v[4:5], v[26:27], 0
	v_fmac_f64_e32 v[0:1], v[6:7], v[28:29]
	ds_read2_b64 v[26:29], v38 offset0:19 offset1:20
	s_waitcnt lgkmcnt(2)
	v_fmac_f64_e32 v[0:1], v[8:9], v[30:31]
	v_fmac_f64_e32 v[0:1], v[10:11], v[32:33]
	ds_read2_b64 v[30:33], v38 offset0:21 offset1:22
	s_waitcnt lgkmcnt(2)
	v_fmac_f64_e32 v[0:1], v[12:13], v[34:35]
	ds_read_b64 v[34:35], v38 offset:184
	v_fmac_f64_e32 v[0:1], v[14:15], v[36:37]
	s_waitcnt lgkmcnt(2)
	v_fmac_f64_e32 v[0:1], v[16:17], v[26:27]
	v_fmac_f64_e32 v[0:1], v[18:19], v[28:29]
	s_waitcnt lgkmcnt(1)
	v_fmac_f64_e32 v[0:1], v[20:21], v[30:31]
	;; [unrolled: 3-line block ×3, first 2 shown]
	v_add_f64 v[2:3], v[2:3], -v[0:1]
	s_cbranch_vccz .LBB11_116
; %bb.93:
	v_pk_mov_b32 v[0:1], s[34:35], s[34:35] op_sel:[0,1]
	flat_load_dword v0, v[0:1] offset:40
	s_waitcnt vmcnt(0) lgkmcnt(0)
	v_add_u32_e32 v0, -1, v0
	v_cmp_ne_u32_e32 vcc, 10, v0
	s_and_saveexec_b64 s[20:21], vcc
	s_cbranch_execz .LBB11_95
; %bb.94:
	v_cmp_eq_u32_e32 vcc, 1, v0
	v_cndmask_b32_e32 v1, v2, v4, vcc
	v_cmp_eq_u32_e64 s[0:1], 2, v0
	v_cndmask_b32_e32 v26, v3, v5, vcc
	v_cndmask_b32_e64 v1, v1, v6, s[0:1]
	v_cmp_eq_u32_e64 s[2:3], 3, v0
	v_cndmask_b32_e64 v26, v26, v7, s[0:1]
	v_cndmask_b32_e64 v1, v1, v8, s[2:3]
	v_cmp_eq_u32_e64 s[4:5], 4, v0
	v_cndmask_b32_e64 v26, v26, v9, s[2:3]
	;; [unrolled: 3-line block ×9, first 2 shown]
	v_cndmask_b32_e64 v1, v1, v24, s[18:19]
	v_cndmask_b32_e64 v26, v26, v25, s[18:19]
	;; [unrolled: 1-line block ×4, first 2 shown]
	v_cndmask_b32_e32 v25, v5, v23, vcc
	v_cndmask_b32_e32 v24, v4, v22, vcc
	v_cmp_eq_u32_e32 vcc, 0, v0
	v_cndmask_b32_e64 v43, v26, v23, s[16:17]
	v_cndmask_b32_e64 v42, v1, v22, s[16:17]
	;; [unrolled: 1-line block ×18, first 2 shown]
	v_cndmask_b32_e32 v23, v3, v23, vcc
	v_cndmask_b32_e32 v22, v2, v22, vcc
	v_pk_mov_b32 v[2:3], v[22:23], v[22:23] op_sel:[0,1]
	v_pk_mov_b32 v[4:5], v[24:25], v[24:25] op_sel:[0,1]
	;; [unrolled: 1-line block ×16, first 2 shown]
.LBB11_95:
	s_or_b64 exec, exec, s[20:21]
	v_pk_mov_b32 v[0:1], s[34:35], s[34:35] op_sel:[0,1]
	flat_load_dword v0, v[0:1] offset:36
	s_waitcnt vmcnt(0) lgkmcnt(0)
	v_add_u32_e32 v0, -1, v0
	v_cmp_ne_u32_e32 vcc, 9, v0
	s_and_saveexec_b64 s[20:21], vcc
	s_cbranch_execz .LBB11_97
; %bb.96:
	v_cmp_eq_u32_e32 vcc, 1, v0
	v_cndmask_b32_e32 v1, v2, v4, vcc
	v_cmp_eq_u32_e64 s[0:1], 2, v0
	v_cndmask_b32_e32 v26, v3, v5, vcc
	v_cndmask_b32_e64 v1, v1, v6, s[0:1]
	v_cmp_eq_u32_e64 s[2:3], 3, v0
	v_cndmask_b32_e64 v26, v26, v7, s[0:1]
	v_cndmask_b32_e64 v1, v1, v8, s[2:3]
	v_cmp_eq_u32_e64 s[4:5], 4, v0
	v_cndmask_b32_e64 v26, v26, v9, s[2:3]
	;; [unrolled: 3-line block ×9, first 2 shown]
	v_cndmask_b32_e64 v1, v1, v24, s[18:19]
	v_cndmask_b32_e64 v26, v26, v25, s[18:19]
	;; [unrolled: 1-line block ×4, first 2 shown]
	v_cndmask_b32_e32 v23, v5, v21, vcc
	v_cndmask_b32_e32 v22, v4, v20, vcc
	v_cmp_eq_u32_e32 vcc, 0, v0
	v_cndmask_b32_e64 v39, v26, v21, s[14:15]
	v_cndmask_b32_e64 v38, v1, v20, s[14:15]
	;; [unrolled: 1-line block ×18, first 2 shown]
	v_cndmask_b32_e32 v21, v3, v21, vcc
	v_cndmask_b32_e32 v20, v2, v20, vcc
	v_pk_mov_b32 v[2:3], v[20:21], v[20:21] op_sel:[0,1]
	v_pk_mov_b32 v[4:5], v[22:23], v[22:23] op_sel:[0,1]
	;; [unrolled: 1-line block ×16, first 2 shown]
.LBB11_97:
	s_or_b64 exec, exec, s[20:21]
	v_pk_mov_b32 v[0:1], s[34:35], s[34:35] op_sel:[0,1]
	flat_load_dword v0, v[0:1] offset:32
	s_waitcnt vmcnt(0) lgkmcnt(0)
	v_add_u32_e32 v0, -1, v0
	v_cmp_ne_u32_e32 vcc, 8, v0
	s_and_saveexec_b64 s[20:21], vcc
	s_cbranch_execz .LBB11_99
; %bb.98:
	v_cmp_eq_u32_e32 vcc, 1, v0
	v_cndmask_b32_e32 v1, v2, v4, vcc
	v_cmp_eq_u32_e64 s[0:1], 2, v0
	v_cndmask_b32_e32 v26, v3, v5, vcc
	v_cndmask_b32_e64 v1, v1, v6, s[0:1]
	v_cmp_eq_u32_e64 s[2:3], 3, v0
	v_cndmask_b32_e64 v26, v26, v7, s[0:1]
	v_cndmask_b32_e64 v1, v1, v8, s[2:3]
	v_cmp_eq_u32_e64 s[4:5], 4, v0
	v_cndmask_b32_e64 v26, v26, v9, s[2:3]
	v_cndmask_b32_e64 v1, v1, v10, s[4:5]
	v_cmp_eq_u32_e64 s[6:7], 5, v0
	v_cndmask_b32_e64 v26, v26, v11, s[4:5]
	v_cndmask_b32_e64 v1, v1, v12, s[6:7]
	v_cmp_eq_u32_e64 s[8:9], 6, v0
	v_cndmask_b32_e64 v26, v26, v13, s[6:7]
	v_cndmask_b32_e64 v1, v1, v14, s[8:9]
	v_cmp_eq_u32_e64 s[10:11], 7, v0
	v_cndmask_b32_e64 v26, v26, v15, s[8:9]
	v_cndmask_b32_e64 v1, v1, v16, s[10:11]
	v_cmp_eq_u32_e64 s[12:13], 8, v0
	v_cndmask_b32_e64 v26, v26, v17, s[10:11]
	v_cndmask_b32_e64 v1, v1, v18, s[12:13]
	v_cmp_eq_u32_e64 s[14:15], 9, v0
	v_cndmask_b32_e64 v26, v26, v19, s[12:13]
	v_cndmask_b32_e64 v1, v1, v20, s[14:15]
	v_cmp_eq_u32_e64 s[16:17], 10, v0
	v_cndmask_b32_e64 v26, v26, v21, s[14:15]
	v_cndmask_b32_e64 v1, v1, v22, s[16:17]
	v_cmp_eq_u32_e64 s[18:19], 11, v0
	v_cndmask_b32_e64 v26, v26, v23, s[16:17]
	v_cndmask_b32_e64 v1, v1, v24, s[18:19]
	v_cndmask_b32_e64 v26, v26, v25, s[18:19]
	v_cndmask_b32_e64 v37, v21, v19, s[14:15]
	v_cndmask_b32_e64 v36, v20, v18, s[14:15]
	v_cndmask_b32_e32 v21, v5, v19, vcc
	v_cndmask_b32_e32 v20, v4, v18, vcc
	v_cmp_eq_u32_e32 vcc, 0, v0
	v_cndmask_b32_e64 v35, v26, v19, s[12:13]
	v_cndmask_b32_e64 v34, v1, v18, s[12:13]
	v_cndmask_b32_e64 v41, v25, v19, s[18:19]
	v_cndmask_b32_e64 v40, v24, v18, s[18:19]
	v_cndmask_b32_e64 v39, v23, v19, s[16:17]
	v_cndmask_b32_e64 v38, v22, v18, s[16:17]
	v_cndmask_b32_e64 v33, v17, v19, s[10:11]
	v_cndmask_b32_e64 v32, v16, v18, s[10:11]
	v_cndmask_b32_e64 v31, v15, v19, s[8:9]
	v_cndmask_b32_e64 v30, v14, v18, s[8:9]
	v_cndmask_b32_e64 v29, v13, v19, s[6:7]
	v_cndmask_b32_e64 v28, v12, v18, s[6:7]
	v_cndmask_b32_e64 v27, v11, v19, s[4:5]
	v_cndmask_b32_e64 v26, v10, v18, s[4:5]
	v_cndmask_b32_e64 v25, v9, v19, s[2:3]
	v_cndmask_b32_e64 v24, v8, v18, s[2:3]
	v_cndmask_b32_e64 v23, v7, v19, s[0:1]
	v_cndmask_b32_e64 v22, v6, v18, s[0:1]
	v_cndmask_b32_e32 v19, v3, v19, vcc
	v_cndmask_b32_e32 v18, v2, v18, vcc
	v_pk_mov_b32 v[2:3], v[18:19], v[18:19] op_sel:[0,1]
	v_pk_mov_b32 v[4:5], v[20:21], v[20:21] op_sel:[0,1]
	;; [unrolled: 1-line block ×16, first 2 shown]
.LBB11_99:
	s_or_b64 exec, exec, s[20:21]
	v_pk_mov_b32 v[0:1], s[34:35], s[34:35] op_sel:[0,1]
	flat_load_dword v0, v[0:1] offset:28
	s_waitcnt vmcnt(0) lgkmcnt(0)
	v_add_u32_e32 v0, -1, v0
	v_cmp_ne_u32_e32 vcc, 7, v0
	s_and_saveexec_b64 s[20:21], vcc
	s_cbranch_execz .LBB11_101
; %bb.100:
	v_cmp_eq_u32_e32 vcc, 1, v0
	v_cndmask_b32_e32 v1, v2, v4, vcc
	v_cmp_eq_u32_e64 s[0:1], 2, v0
	v_cndmask_b32_e32 v26, v3, v5, vcc
	v_cndmask_b32_e64 v1, v1, v6, s[0:1]
	v_cmp_eq_u32_e64 s[2:3], 3, v0
	v_cndmask_b32_e64 v26, v26, v7, s[0:1]
	v_cndmask_b32_e64 v1, v1, v8, s[2:3]
	v_cmp_eq_u32_e64 s[4:5], 4, v0
	v_cndmask_b32_e64 v26, v26, v9, s[2:3]
	;; [unrolled: 3-line block ×9, first 2 shown]
	v_cndmask_b32_e64 v1, v1, v24, s[18:19]
	v_cndmask_b32_e64 v26, v26, v25, s[18:19]
	v_cndmask_b32_e64 v33, v19, v17, s[12:13]
	v_cndmask_b32_e64 v32, v18, v16, s[12:13]
	v_cndmask_b32_e32 v19, v5, v17, vcc
	v_cndmask_b32_e32 v18, v4, v16, vcc
	v_cmp_eq_u32_e32 vcc, 0, v0
	v_cndmask_b32_e64 v31, v26, v17, s[10:11]
	v_cndmask_b32_e64 v30, v1, v16, s[10:11]
	;; [unrolled: 1-line block ×18, first 2 shown]
	v_cndmask_b32_e32 v17, v3, v17, vcc
	v_cndmask_b32_e32 v16, v2, v16, vcc
	v_pk_mov_b32 v[2:3], v[16:17], v[16:17] op_sel:[0,1]
	v_pk_mov_b32 v[4:5], v[18:19], v[18:19] op_sel:[0,1]
	;; [unrolled: 1-line block ×16, first 2 shown]
.LBB11_101:
	s_or_b64 exec, exec, s[20:21]
	v_pk_mov_b32 v[0:1], s[34:35], s[34:35] op_sel:[0,1]
	flat_load_dword v0, v[0:1] offset:24
	s_waitcnt vmcnt(0) lgkmcnt(0)
	v_add_u32_e32 v0, -1, v0
	v_cmp_ne_u32_e32 vcc, 6, v0
	s_and_saveexec_b64 s[20:21], vcc
	s_cbranch_execz .LBB11_103
; %bb.102:
	v_cmp_eq_u32_e32 vcc, 1, v0
	v_cndmask_b32_e32 v1, v2, v4, vcc
	v_cmp_eq_u32_e64 s[0:1], 2, v0
	v_cndmask_b32_e32 v26, v3, v5, vcc
	v_cndmask_b32_e64 v1, v1, v6, s[0:1]
	v_cmp_eq_u32_e64 s[2:3], 3, v0
	v_cndmask_b32_e64 v26, v26, v7, s[0:1]
	v_cndmask_b32_e64 v1, v1, v8, s[2:3]
	v_cmp_eq_u32_e64 s[4:5], 4, v0
	v_cndmask_b32_e64 v26, v26, v9, s[2:3]
	;; [unrolled: 3-line block ×9, first 2 shown]
	v_cndmask_b32_e64 v1, v1, v24, s[18:19]
	v_cndmask_b32_e64 v26, v26, v25, s[18:19]
	;; [unrolled: 1-line block ×4, first 2 shown]
	v_cndmask_b32_e32 v17, v5, v15, vcc
	v_cndmask_b32_e32 v16, v4, v14, vcc
	v_cmp_eq_u32_e32 vcc, 0, v0
	v_cndmask_b32_e64 v27, v26, v15, s[8:9]
	v_cndmask_b32_e64 v26, v1, v14, s[8:9]
	;; [unrolled: 1-line block ×18, first 2 shown]
	v_cndmask_b32_e32 v15, v3, v15, vcc
	v_cndmask_b32_e32 v14, v2, v14, vcc
	v_pk_mov_b32 v[2:3], v[14:15], v[14:15] op_sel:[0,1]
	v_pk_mov_b32 v[4:5], v[16:17], v[16:17] op_sel:[0,1]
	;; [unrolled: 1-line block ×16, first 2 shown]
.LBB11_103:
	s_or_b64 exec, exec, s[20:21]
	v_pk_mov_b32 v[0:1], s[34:35], s[34:35] op_sel:[0,1]
	flat_load_dword v0, v[0:1] offset:20
	s_waitcnt vmcnt(0) lgkmcnt(0)
	v_add_u32_e32 v0, -1, v0
	v_cmp_ne_u32_e32 vcc, 5, v0
	s_and_saveexec_b64 s[20:21], vcc
	s_cbranch_execz .LBB11_105
; %bb.104:
	v_cmp_eq_u32_e32 vcc, 1, v0
	v_cndmask_b32_e32 v1, v2, v4, vcc
	v_cmp_eq_u32_e64 s[0:1], 2, v0
	v_cndmask_b32_e32 v26, v3, v5, vcc
	v_cndmask_b32_e64 v1, v1, v6, s[0:1]
	v_cmp_eq_u32_e64 s[2:3], 3, v0
	v_cndmask_b32_e64 v26, v26, v7, s[0:1]
	v_cndmask_b32_e64 v1, v1, v8, s[2:3]
	v_cmp_eq_u32_e64 s[4:5], 4, v0
	v_cndmask_b32_e64 v26, v26, v9, s[2:3]
	;; [unrolled: 3-line block ×9, first 2 shown]
	v_cndmask_b32_e64 v1, v1, v24, s[18:19]
	v_cndmask_b32_e64 v26, v26, v25, s[18:19]
	;; [unrolled: 1-line block ×4, first 2 shown]
	v_cndmask_b32_e32 v19, v5, v13, vcc
	v_cndmask_b32_e32 v18, v4, v12, vcc
	v_cmp_eq_u32_e32 vcc, 0, v0
	v_cndmask_b32_e64 v27, v26, v13, s[6:7]
	v_cndmask_b32_e64 v26, v1, v12, s[6:7]
	;; [unrolled: 1-line block ×18, first 2 shown]
	v_cndmask_b32_e32 v17, v3, v13, vcc
	v_cndmask_b32_e32 v16, v2, v12, vcc
	v_pk_mov_b32 v[2:3], v[16:17], v[16:17] op_sel:[0,1]
	v_pk_mov_b32 v[4:5], v[18:19], v[18:19] op_sel:[0,1]
	;; [unrolled: 1-line block ×16, first 2 shown]
.LBB11_105:
	s_or_b64 exec, exec, s[20:21]
	v_pk_mov_b32 v[0:1], s[34:35], s[34:35] op_sel:[0,1]
	flat_load_dword v0, v[0:1] offset:16
	s_waitcnt vmcnt(0) lgkmcnt(0)
	v_add_u32_e32 v0, -1, v0
	v_cmp_ne_u32_e32 vcc, 4, v0
	s_and_saveexec_b64 s[20:21], vcc
	s_cbranch_execz .LBB11_107
; %bb.106:
	v_cmp_eq_u32_e32 vcc, 1, v0
	v_cndmask_b32_e32 v1, v2, v4, vcc
	v_cmp_eq_u32_e64 s[0:1], 2, v0
	v_cndmask_b32_e32 v26, v3, v5, vcc
	v_cndmask_b32_e64 v1, v1, v6, s[0:1]
	v_cmp_eq_u32_e64 s[2:3], 3, v0
	v_cndmask_b32_e64 v26, v26, v7, s[0:1]
	v_cndmask_b32_e64 v1, v1, v8, s[2:3]
	v_cmp_eq_u32_e64 s[4:5], 4, v0
	v_cndmask_b32_e64 v26, v26, v9, s[2:3]
	;; [unrolled: 3-line block ×9, first 2 shown]
	v_cndmask_b32_e64 v1, v1, v24, s[18:19]
	v_cndmask_b32_e64 v26, v26, v25, s[18:19]
	;; [unrolled: 1-line block ×4, first 2 shown]
	v_cndmask_b32_e32 v21, v5, v11, vcc
	v_cndmask_b32_e32 v20, v4, v10, vcc
	v_cmp_eq_u32_e32 vcc, 0, v0
	v_cndmask_b32_e64 v27, v26, v11, s[4:5]
	v_cndmask_b32_e64 v26, v1, v10, s[4:5]
	;; [unrolled: 1-line block ×18, first 2 shown]
	v_cndmask_b32_e32 v19, v3, v11, vcc
	v_cndmask_b32_e32 v18, v2, v10, vcc
	v_pk_mov_b32 v[2:3], v[18:19], v[18:19] op_sel:[0,1]
	v_pk_mov_b32 v[4:5], v[20:21], v[20:21] op_sel:[0,1]
	;; [unrolled: 1-line block ×16, first 2 shown]
.LBB11_107:
	s_or_b64 exec, exec, s[20:21]
	v_pk_mov_b32 v[0:1], s[34:35], s[34:35] op_sel:[0,1]
	flat_load_dword v0, v[0:1] offset:12
	s_waitcnt vmcnt(0) lgkmcnt(0)
	v_add_u32_e32 v0, -1, v0
	v_cmp_ne_u32_e32 vcc, 3, v0
	s_and_saveexec_b64 s[20:21], vcc
	s_cbranch_execz .LBB11_109
; %bb.108:
	v_cmp_eq_u32_e32 vcc, 1, v0
	v_cndmask_b32_e32 v1, v2, v4, vcc
	v_cmp_eq_u32_e64 s[0:1], 2, v0
	v_cndmask_b32_e32 v26, v3, v5, vcc
	v_cndmask_b32_e64 v1, v1, v6, s[0:1]
	v_cmp_eq_u32_e64 s[2:3], 3, v0
	v_cndmask_b32_e64 v26, v26, v7, s[0:1]
	v_cndmask_b32_e64 v1, v1, v8, s[2:3]
	v_cmp_eq_u32_e64 s[4:5], 4, v0
	v_cndmask_b32_e64 v26, v26, v9, s[2:3]
	;; [unrolled: 3-line block ×9, first 2 shown]
	v_cndmask_b32_e64 v1, v1, v24, s[18:19]
	v_cndmask_b32_e64 v26, v26, v25, s[18:19]
	;; [unrolled: 1-line block ×4, first 2 shown]
	v_cndmask_b32_e32 v23, v5, v9, vcc
	v_cndmask_b32_e32 v22, v4, v8, vcc
	v_cmp_eq_u32_e32 vcc, 0, v0
	v_cndmask_b32_e64 v27, v26, v9, s[2:3]
	v_cndmask_b32_e64 v26, v1, v8, s[2:3]
	;; [unrolled: 1-line block ×14, first 2 shown]
	v_cndmask_b32_e32 v21, v3, v9, vcc
	v_cndmask_b32_e32 v20, v2, v8, vcc
	v_cndmask_b32_e64 v37, v19, v9, s[12:13]
	v_cndmask_b32_e64 v36, v18, v8, s[12:13]
	v_cndmask_b32_e64 v35, v17, v9, s[10:11]
	v_cndmask_b32_e64 v34, v16, v8, s[10:11]
	v_pk_mov_b32 v[2:3], v[20:21], v[20:21] op_sel:[0,1]
	v_pk_mov_b32 v[4:5], v[22:23], v[22:23] op_sel:[0,1]
	;; [unrolled: 1-line block ×16, first 2 shown]
.LBB11_109:
	s_or_b64 exec, exec, s[20:21]
	v_pk_mov_b32 v[0:1], s[34:35], s[34:35] op_sel:[0,1]
	flat_load_dword v0, v[0:1] offset:8
	s_waitcnt vmcnt(0) lgkmcnt(0)
	v_add_u32_e32 v0, -1, v0
	v_cmp_ne_u32_e32 vcc, 2, v0
	s_and_saveexec_b64 s[20:21], vcc
	s_cbranch_execz .LBB11_111
; %bb.110:
	v_cmp_eq_u32_e32 vcc, 1, v0
	v_cndmask_b32_e32 v1, v2, v4, vcc
	v_cmp_eq_u32_e64 s[0:1], 2, v0
	v_cndmask_b32_e32 v26, v3, v5, vcc
	v_cndmask_b32_e64 v1, v1, v6, s[0:1]
	v_cmp_eq_u32_e64 s[2:3], 3, v0
	v_cndmask_b32_e64 v26, v26, v7, s[0:1]
	v_cndmask_b32_e64 v1, v1, v8, s[2:3]
	v_cmp_eq_u32_e64 s[4:5], 4, v0
	v_cndmask_b32_e64 v26, v26, v9, s[2:3]
	;; [unrolled: 3-line block ×9, first 2 shown]
	v_cndmask_b32_e64 v1, v1, v24, s[18:19]
	v_cndmask_b32_e64 v26, v26, v25, s[18:19]
	;; [unrolled: 1-line block ×4, first 2 shown]
	v_cndmask_b32_e32 v25, v5, v7, vcc
	v_cndmask_b32_e32 v24, v4, v6, vcc
	v_cmp_eq_u32_e32 vcc, 0, v0
	v_cndmask_b32_e64 v27, v26, v7, s[0:1]
	v_cndmask_b32_e64 v26, v1, v6, s[0:1]
	v_cndmask_b32_e64 v43, v23, v7, s[16:17]
	v_cndmask_b32_e64 v42, v22, v6, s[16:17]
	v_cndmask_b32_e64 v33, v13, v7, s[6:7]
	v_cndmask_b32_e64 v32, v12, v6, s[6:7]
	v_cndmask_b32_e64 v31, v11, v7, s[4:5]
	v_cndmask_b32_e64 v30, v10, v6, s[4:5]
	v_cndmask_b32_e64 v29, v9, v7, s[2:3]
	v_cndmask_b32_e64 v28, v8, v6, s[2:3]
	v_cndmask_b32_e32 v23, v3, v7, vcc
	v_cndmask_b32_e32 v22, v2, v6, vcc
	v_cndmask_b32_e64 v41, v21, v7, s[14:15]
	v_cndmask_b32_e64 v40, v20, v6, s[14:15]
	;; [unrolled: 1-line block ×8, first 2 shown]
	v_pk_mov_b32 v[2:3], v[22:23], v[22:23] op_sel:[0,1]
	v_pk_mov_b32 v[4:5], v[24:25], v[24:25] op_sel:[0,1]
	;; [unrolled: 1-line block ×16, first 2 shown]
.LBB11_111:
	s_or_b64 exec, exec, s[20:21]
	v_pk_mov_b32 v[0:1], s[34:35], s[34:35] op_sel:[0,1]
	flat_load_dword v0, v[0:1] offset:4
	s_waitcnt vmcnt(0) lgkmcnt(0)
	v_add_u32_e32 v0, -1, v0
	v_cmp_ne_u32_e32 vcc, 1, v0
	s_and_saveexec_b64 s[20:21], vcc
	s_cbranch_execz .LBB11_113
; %bb.112:
	v_cmp_eq_u32_e32 vcc, 1, v0
	v_cndmask_b32_e32 v1, v2, v4, vcc
	v_cmp_eq_u32_e64 s[0:1], 2, v0
	v_cndmask_b32_e32 v26, v3, v5, vcc
	v_cndmask_b32_e64 v1, v1, v6, s[0:1]
	v_cmp_eq_u32_e64 s[2:3], 3, v0
	v_cndmask_b32_e64 v26, v26, v7, s[0:1]
	v_cndmask_b32_e64 v1, v1, v8, s[2:3]
	v_cmp_eq_u32_e64 s[4:5], 4, v0
	v_cndmask_b32_e64 v26, v26, v9, s[2:3]
	;; [unrolled: 3-line block ×9, first 2 shown]
	v_cndmask_b32_e64 v1, v1, v24, s[18:19]
	v_cndmask_b32_e64 v26, v26, v25, s[18:19]
	v_cndmask_b32_e32 v27, v26, v5, vcc
	v_cndmask_b32_e32 v26, v1, v4, vcc
	v_cmp_eq_u32_e32 vcc, 0, v0
	v_cndmask_b32_e64 v47, v25, v5, s[18:19]
	v_cndmask_b32_e64 v46, v24, v4, s[18:19]
	;; [unrolled: 1-line block ×8, first 2 shown]
	v_cndmask_b32_e32 v25, v3, v5, vcc
	v_cndmask_b32_e32 v24, v2, v4, vcc
	v_cndmask_b32_e64 v45, v23, v5, s[16:17]
	v_cndmask_b32_e64 v44, v22, v4, s[16:17]
	;; [unrolled: 1-line block ×12, first 2 shown]
	v_pk_mov_b32 v[2:3], v[24:25], v[24:25] op_sel:[0,1]
	v_pk_mov_b32 v[4:5], v[26:27], v[26:27] op_sel:[0,1]
	;; [unrolled: 1-line block ×16, first 2 shown]
.LBB11_113:
	s_or_b64 exec, exec, s[20:21]
	v_pk_mov_b32 v[0:1], s[34:35], s[34:35] op_sel:[0,1]
	flat_load_dword v0, v[0:1]
	s_waitcnt vmcnt(0) lgkmcnt(0)
	v_add_u32_e32 v0, -1, v0
	v_cmp_ne_u32_e32 vcc, 0, v0
	s_and_saveexec_b64 s[22:23], vcc
	s_cbranch_execz .LBB11_115
; %bb.114:
	v_cmp_eq_u32_e32 vcc, 1, v0
	v_cndmask_b32_e32 v1, v2, v4, vcc
	v_cmp_eq_u32_e64 s[0:1], 2, v0
	v_cndmask_b32_e32 v26, v3, v5, vcc
	v_cndmask_b32_e64 v1, v1, v6, s[0:1]
	v_cmp_eq_u32_e64 s[2:3], 3, v0
	v_cndmask_b32_e64 v26, v26, v7, s[0:1]
	v_cndmask_b32_e64 v1, v1, v8, s[2:3]
	v_cmp_eq_u32_e64 s[4:5], 4, v0
	v_cndmask_b32_e64 v26, v26, v9, s[2:3]
	v_cndmask_b32_e64 v1, v1, v10, s[4:5]
	v_cmp_eq_u32_e64 s[6:7], 5, v0
	v_cndmask_b32_e64 v26, v26, v11, s[4:5]
	v_cndmask_b32_e64 v1, v1, v12, s[6:7]
	v_cmp_eq_u32_e64 s[8:9], 6, v0
	v_cndmask_b32_e64 v26, v26, v13, s[6:7]
	v_cndmask_b32_e64 v1, v1, v14, s[8:9]
	v_cmp_eq_u32_e64 s[10:11], 7, v0
	v_cndmask_b32_e64 v26, v26, v15, s[8:9]
	v_cndmask_b32_e64 v1, v1, v16, s[10:11]
	v_cmp_eq_u32_e64 s[12:13], 8, v0
	v_cndmask_b32_e64 v26, v26, v17, s[10:11]
	v_cndmask_b32_e64 v1, v1, v18, s[12:13]
	v_cmp_eq_u32_e64 s[14:15], 9, v0
	v_cndmask_b32_e64 v26, v26, v19, s[12:13]
	v_cndmask_b32_e64 v1, v1, v20, s[14:15]
	v_cmp_eq_u32_e64 s[16:17], 10, v0
	v_cndmask_b32_e64 v26, v26, v21, s[14:15]
	v_cndmask_b32_e64 v1, v1, v22, s[16:17]
	v_cmp_eq_u32_e64 s[18:19], 11, v0
	v_cndmask_b32_e64 v26, v26, v23, s[16:17]
	v_cndmask_b32_e64 v1, v1, v24, s[18:19]
	v_cndmask_b32_e64 v26, v26, v25, s[18:19]
	v_cmp_eq_u32_e64 s[20:21], 0, v0
	v_cndmask_b32_e64 v27, v26, v3, s[20:21]
	v_cndmask_b32_e64 v26, v1, v2, s[20:21]
	;; [unrolled: 1-line block ×6, first 2 shown]
	v_cndmask_b32_e32 v29, v5, v3, vcc
	v_cndmask_b32_e32 v28, v4, v2, vcc
	v_cndmask_b32_e64 v49, v25, v3, s[18:19]
	v_cndmask_b32_e64 v48, v24, v2, s[18:19]
	;; [unrolled: 1-line block ×16, first 2 shown]
	v_pk_mov_b32 v[2:3], v[26:27], v[26:27] op_sel:[0,1]
	v_pk_mov_b32 v[4:5], v[28:29], v[28:29] op_sel:[0,1]
	v_pk_mov_b32 v[6:7], v[30:31], v[30:31] op_sel:[0,1]
	v_pk_mov_b32 v[8:9], v[32:33], v[32:33] op_sel:[0,1]
	v_pk_mov_b32 v[10:11], v[34:35], v[34:35] op_sel:[0,1]
	v_pk_mov_b32 v[12:13], v[36:37], v[36:37] op_sel:[0,1]
	v_pk_mov_b32 v[14:15], v[38:39], v[38:39] op_sel:[0,1]
	v_pk_mov_b32 v[16:17], v[40:41], v[40:41] op_sel:[0,1]
	v_pk_mov_b32 v[18:19], v[42:43], v[42:43] op_sel:[0,1]
	v_pk_mov_b32 v[20:21], v[44:45], v[44:45] op_sel:[0,1]
	v_pk_mov_b32 v[22:23], v[46:47], v[46:47] op_sel:[0,1]
	v_pk_mov_b32 v[24:25], v[48:49], v[48:49] op_sel:[0,1]
	v_pk_mov_b32 v[26:27], v[50:51], v[50:51] op_sel:[0,1]
	v_pk_mov_b32 v[28:29], v[52:53], v[52:53] op_sel:[0,1]
	v_pk_mov_b32 v[30:31], v[54:55], v[54:55] op_sel:[0,1]
	v_pk_mov_b32 v[32:33], v[56:57], v[56:57] op_sel:[0,1]
.LBB11_115:
	s_or_b64 exec, exec, s[22:23]
.LBB11_116:
	v_mov_b32_e32 v1, v3
	v_mov_b32_e32 v0, v2
	global_store_dwordx2 v[56:57], v[0:1], off
	v_mov_b32_e32 v1, v5
	v_mov_b32_e32 v0, v4
	global_store_dwordx2 v[58:59], v[0:1], off
	v_mov_b32_e32 v1, v7
	v_mov_b32_e32 v0, v6
	global_store_dwordx2 v[60:61], v[0:1], off
	v_mov_b32_e32 v1, v9
	v_mov_b32_e32 v0, v8
	global_store_dwordx2 v[62:63], v[0:1], off
	v_mov_b32_e32 v1, v11
	v_mov_b32_e32 v0, v10
	global_store_dwordx2 v[64:65], v[0:1], off
	v_mov_b32_e32 v1, v13
	v_mov_b32_e32 v0, v12
	global_store_dwordx2 v[66:67], v[0:1], off
	v_mov_b32_e32 v1, v15
	v_mov_b32_e32 v0, v14
	global_store_dwordx2 v[68:69], v[0:1], off
	v_mov_b32_e32 v1, v17
	v_mov_b32_e32 v0, v16
	global_store_dwordx2 v[70:71], v[0:1], off
	v_mov_b32_e32 v1, v19
	v_mov_b32_e32 v0, v18
	global_store_dwordx2 v[72:73], v[0:1], off
	v_mov_b32_e32 v1, v21
	v_mov_b32_e32 v0, v20
	global_store_dwordx2 v[74:75], v[0:1], off
	v_mov_b32_e32 v1, v23
	v_mov_b32_e32 v0, v22
	global_store_dwordx2 v[76:77], v[0:1], off
	v_mov_b32_e32 v1, v25
	v_mov_b32_e32 v0, v24
	global_store_dwordx2 v[78:79], v[0:1], off
	s_endpgm
	.section	.rodata,"a",@progbits
	.p2align	6, 0x0
	.amdhsa_kernel _ZN9rocsolver6v33100L18getri_kernel_smallILi12EdPdEEvT1_iilPiilS4_bb
		.amdhsa_group_segment_fixed_size 200
		.amdhsa_private_segment_fixed_size 0
		.amdhsa_kernarg_size 60
		.amdhsa_user_sgpr_count 6
		.amdhsa_user_sgpr_private_segment_buffer 1
		.amdhsa_user_sgpr_dispatch_ptr 0
		.amdhsa_user_sgpr_queue_ptr 0
		.amdhsa_user_sgpr_kernarg_segment_ptr 1
		.amdhsa_user_sgpr_dispatch_id 0
		.amdhsa_user_sgpr_flat_scratch_init 0
		.amdhsa_user_sgpr_kernarg_preload_length 0
		.amdhsa_user_sgpr_kernarg_preload_offset 0
		.amdhsa_user_sgpr_private_segment_size 0
		.amdhsa_uses_dynamic_stack 0
		.amdhsa_system_sgpr_private_segment_wavefront_offset 0
		.amdhsa_system_sgpr_workgroup_id_x 1
		.amdhsa_system_sgpr_workgroup_id_y 0
		.amdhsa_system_sgpr_workgroup_id_z 0
		.amdhsa_system_sgpr_workgroup_info 0
		.amdhsa_system_vgpr_workitem_id 0
		.amdhsa_next_free_vgpr 80
		.amdhsa_next_free_sgpr 46
		.amdhsa_accum_offset 80
		.amdhsa_reserve_vcc 1
		.amdhsa_reserve_flat_scratch 0
		.amdhsa_float_round_mode_32 0
		.amdhsa_float_round_mode_16_64 0
		.amdhsa_float_denorm_mode_32 3
		.amdhsa_float_denorm_mode_16_64 3
		.amdhsa_dx10_clamp 1
		.amdhsa_ieee_mode 1
		.amdhsa_fp16_overflow 0
		.amdhsa_tg_split 0
		.amdhsa_exception_fp_ieee_invalid_op 0
		.amdhsa_exception_fp_denorm_src 0
		.amdhsa_exception_fp_ieee_div_zero 0
		.amdhsa_exception_fp_ieee_overflow 0
		.amdhsa_exception_fp_ieee_underflow 0
		.amdhsa_exception_fp_ieee_inexact 0
		.amdhsa_exception_int_div_zero 0
	.end_amdhsa_kernel
	.section	.text._ZN9rocsolver6v33100L18getri_kernel_smallILi12EdPdEEvT1_iilPiilS4_bb,"axG",@progbits,_ZN9rocsolver6v33100L18getri_kernel_smallILi12EdPdEEvT1_iilPiilS4_bb,comdat
.Lfunc_end11:
	.size	_ZN9rocsolver6v33100L18getri_kernel_smallILi12EdPdEEvT1_iilPiilS4_bb, .Lfunc_end11-_ZN9rocsolver6v33100L18getri_kernel_smallILi12EdPdEEvT1_iilPiilS4_bb
                                        ; -- End function
	.section	.AMDGPU.csdata,"",@progbits
; Kernel info:
; codeLenInByte = 17452
; NumSgprs: 50
; NumVgprs: 80
; NumAgprs: 0
; TotalNumVgprs: 80
; ScratchSize: 0
; MemoryBound: 0
; FloatMode: 240
; IeeeMode: 1
; LDSByteSize: 200 bytes/workgroup (compile time only)
; SGPRBlocks: 6
; VGPRBlocks: 9
; NumSGPRsForWavesPerEU: 50
; NumVGPRsForWavesPerEU: 80
; AccumOffset: 80
; Occupancy: 6
; WaveLimiterHint : 0
; COMPUTE_PGM_RSRC2:SCRATCH_EN: 0
; COMPUTE_PGM_RSRC2:USER_SGPR: 6
; COMPUTE_PGM_RSRC2:TRAP_HANDLER: 0
; COMPUTE_PGM_RSRC2:TGID_X_EN: 1
; COMPUTE_PGM_RSRC2:TGID_Y_EN: 0
; COMPUTE_PGM_RSRC2:TGID_Z_EN: 0
; COMPUTE_PGM_RSRC2:TIDIG_COMP_CNT: 0
; COMPUTE_PGM_RSRC3_GFX90A:ACCUM_OFFSET: 19
; COMPUTE_PGM_RSRC3_GFX90A:TG_SPLIT: 0
	.section	.text._ZN9rocsolver6v33100L18getri_kernel_smallILi13EdPdEEvT1_iilPiilS4_bb,"axG",@progbits,_ZN9rocsolver6v33100L18getri_kernel_smallILi13EdPdEEvT1_iilPiilS4_bb,comdat
	.globl	_ZN9rocsolver6v33100L18getri_kernel_smallILi13EdPdEEvT1_iilPiilS4_bb ; -- Begin function _ZN9rocsolver6v33100L18getri_kernel_smallILi13EdPdEEvT1_iilPiilS4_bb
	.p2align	8
	.type	_ZN9rocsolver6v33100L18getri_kernel_smallILi13EdPdEEvT1_iilPiilS4_bb,@function
_ZN9rocsolver6v33100L18getri_kernel_smallILi13EdPdEEvT1_iilPiilS4_bb: ; @_ZN9rocsolver6v33100L18getri_kernel_smallILi13EdPdEEvT1_iilPiilS4_bb
; %bb.0:
	v_cmp_gt_u32_e32 vcc, 13, v0
	s_and_saveexec_b64 s[0:1], vcc
	s_cbranch_execz .LBB12_16
; %bb.1:
	s_load_dword s12, s[4:5], 0x38
	s_load_dwordx4 s[8:11], s[4:5], 0x10
	s_load_dwordx4 s[36:39], s[4:5], 0x28
                                        ; implicit-def: $sgpr34_sgpr35
	s_waitcnt lgkmcnt(0)
	s_bitcmp1_b32 s12, 8
	s_cselect_b64 s[40:41], -1, 0
	s_ashr_i32 s7, s6, 31
	s_bfe_u32 s0, s12, 0x10008
	s_cmp_eq_u32 s0, 0
	s_cbranch_scc1 .LBB12_3
; %bb.2:
	s_load_dword s0, s[4:5], 0x20
	s_mul_i32 s1, s6, s37
	s_mul_hi_u32 s2, s6, s36
	s_mul_i32 s3, s7, s36
	s_add_i32 s2, s2, s1
	s_add_i32 s3, s2, s3
	s_mul_i32 s2, s6, s36
	s_waitcnt lgkmcnt(0)
	s_ashr_i32 s1, s0, 31
	s_lshl_b64 s[2:3], s[2:3], 2
	s_add_u32 s2, s10, s2
	s_addc_u32 s3, s11, s3
	s_lshl_b64 s[0:1], s[0:1], 2
	s_add_u32 s34, s2, s0
	s_addc_u32 s35, s3, s1
.LBB12_3:
	s_load_dwordx4 s[0:3], s[4:5], 0x0
	s_mul_i32 s4, s6, s9
	s_mul_hi_u32 s5, s6, s8
	s_add_i32 s9, s5, s4
	v_lshlrev_b32_e32 v30, 3, v0
	s_waitcnt lgkmcnt(0)
	s_ashr_i32 s5, s2, 31
	s_mov_b32 s4, s2
	s_mul_i32 s2, s7, s8
	s_add_i32 s9, s9, s2
	s_mul_i32 s8, s6, s8
	s_lshl_b64 s[8:9], s[8:9], 3
	s_add_u32 s2, s0, s8
	s_addc_u32 s8, s1, s9
	s_lshl_b64 s[0:1], s[4:5], 3
	s_add_u32 s0, s2, s0
	s_addc_u32 s1, s8, s1
	v_mov_b32_e32 v1, s1
	v_add_co_u32_e32 v60, vcc, s0, v30
	s_ashr_i32 s5, s3, 31
	s_mov_b32 s4, s3
	s_add_i32 s2, s3, s3
	v_addc_co_u32_e32 v61, vcc, 0, v1, vcc
	s_lshl_b64 s[4:5], s[4:5], 3
	v_add_u32_e32 v2, s2, v0
	v_mov_b32_e32 v1, s5
	v_add_co_u32_e32 v62, vcc, s4, v60
	v_ashrrev_i32_e32 v3, 31, v2
	v_addc_co_u32_e32 v63, vcc, v61, v1, vcc
	v_lshlrev_b64 v[4:5], 3, v[2:3]
	v_add_u32_e32 v2, s3, v2
	v_mov_b32_e32 v1, s1
	v_add_co_u32_e32 v64, vcc, s0, v4
	v_ashrrev_i32_e32 v3, 31, v2
	v_addc_co_u32_e32 v65, vcc, v1, v5, vcc
	v_lshlrev_b64 v[4:5], 3, v[2:3]
	v_add_u32_e32 v2, s3, v2
	v_add_co_u32_e32 v66, vcc, s0, v4
	v_ashrrev_i32_e32 v3, 31, v2
	v_addc_co_u32_e32 v67, vcc, v1, v5, vcc
	v_lshlrev_b64 v[4:5], 3, v[2:3]
	v_add_u32_e32 v2, s3, v2
	;; [unrolled: 5-line block ×9, first 2 shown]
	v_add_co_u32_e32 v82, vcc, s0, v4
	v_ashrrev_i32_e32 v3, 31, v2
	v_addc_co_u32_e32 v83, vcc, v1, v5, vcc
	v_lshlrev_b64 v[2:3], 3, v[2:3]
	v_add_co_u32_e32 v84, vcc, s0, v2
	v_addc_co_u32_e32 v85, vcc, v1, v3, vcc
	global_load_dwordx2 v[2:3], v30, s[0:1]
	global_load_dwordx2 v[4:5], v[62:63], off
	global_load_dwordx2 v[6:7], v[64:65], off
	;; [unrolled: 1-line block ×12, first 2 shown]
	v_mov_b32_e32 v1, 0
	s_bitcmp0_b32 s12, 0
	s_mov_b64 s[0:1], -1
	s_cbranch_scc1 .LBB12_14
; %bb.4:
	v_cmp_eq_u32_e64 s[0:1], 0, v0
	s_and_saveexec_b64 s[2:3], s[0:1]
	s_cbranch_execz .LBB12_6
; %bb.5:
	v_mov_b32_e32 v28, 0
	ds_write_b32 v28, v28 offset:104
.LBB12_6:
	s_or_b64 exec, exec, s[2:3]
	v_cmp_eq_u32_e32 vcc, 1, v0
	s_waitcnt vmcnt(11)
	v_cndmask_b32_e32 v28, v3, v5, vcc
	v_cmp_eq_u32_e64 s[2:3], 2, v0
	s_waitcnt vmcnt(10)
	v_cndmask_b32_e64 v28, v28, v7, s[2:3]
	v_cmp_eq_u32_e64 s[4:5], 3, v0
	s_waitcnt vmcnt(9)
	v_cndmask_b32_e64 v28, v28, v9, s[4:5]
	;; [unrolled: 3-line block ×11, first 2 shown]
	v_cndmask_b32_e32 v28, v2, v4, vcc
	v_cndmask_b32_e64 v28, v28, v6, s[2:3]
	v_cndmask_b32_e64 v28, v28, v8, s[4:5]
	;; [unrolled: 1-line block ×11, first 2 shown]
	v_cmp_eq_f64_e32 vcc, 0, v[28:29]
	s_waitcnt lgkmcnt(0)
	; wave barrier
	s_waitcnt lgkmcnt(0)
	s_and_saveexec_b64 s[4:5], vcc
	s_cbranch_execz .LBB12_10
; %bb.7:
	v_mov_b32_e32 v31, 0
	ds_read_b32 v33, v31 offset:104
	v_add_u32_e32 v32, 1, v0
	s_waitcnt lgkmcnt(0)
	v_readfirstlane_b32 s2, v33
	s_cmp_eq_u32 s2, 0
	s_cselect_b64 s[8:9], -1, 0
	v_cmp_gt_i32_e32 vcc, s2, v32
	s_or_b64 s[8:9], s[8:9], vcc
	s_and_b64 exec, exec, s[8:9]
	s_cbranch_execz .LBB12_10
; %bb.8:
	s_mov_b64 s[8:9], 0
	v_mov_b32_e32 v33, s2
.LBB12_9:                               ; =>This Inner Loop Header: Depth=1
	ds_cmpst_rtn_b32 v33, v31, v33, v32 offset:104
	s_waitcnt lgkmcnt(0)
	v_cmp_ne_u32_e32 vcc, 0, v33
	v_cmp_le_i32_e64 s[2:3], v33, v32
	s_and_b64 s[2:3], vcc, s[2:3]
	s_and_b64 s[2:3], exec, s[2:3]
	s_or_b64 s[8:9], s[2:3], s[8:9]
	s_andn2_b64 exec, exec, s[8:9]
	s_cbranch_execnz .LBB12_9
.LBB12_10:
	s_or_b64 exec, exec, s[4:5]
	v_mov_b32_e32 v32, 0
	s_waitcnt lgkmcnt(0)
	; wave barrier
	ds_read_b32 v31, v32 offset:104
	s_and_saveexec_b64 s[2:3], s[0:1]
	s_cbranch_execz .LBB12_12
; %bb.11:
	s_lshl_b64 s[4:5], s[6:7], 2
	s_add_u32 s4, s38, s4
	s_addc_u32 s5, s39, s5
	s_waitcnt lgkmcnt(0)
	global_store_dword v32, v31, s[4:5]
.LBB12_12:
	s_or_b64 exec, exec, s[2:3]
	s_waitcnt lgkmcnt(0)
	v_cmp_ne_u32_e32 vcc, 0, v31
	s_cbranch_vccz .LBB12_17
; %bb.13:
	s_mov_b64 s[0:1], 0
                                        ; implicit-def: $vgpr2_vgpr3_vgpr4_vgpr5_vgpr6_vgpr7_vgpr8_vgpr9_vgpr10_vgpr11_vgpr12_vgpr13_vgpr14_vgpr15_vgpr16_vgpr17_vgpr18_vgpr19_vgpr20_vgpr21_vgpr22_vgpr23_vgpr24_vgpr25_vgpr26_vgpr27_vgpr28_vgpr29_vgpr30_vgpr31_vgpr32_vgpr33
.LBB12_14:
	s_and_b64 vcc, exec, s[0:1]
	s_cbranch_vccz .LBB12_16
.LBB12_15:
	s_lshl_b64 s[0:1], s[6:7], 2
	s_add_u32 s0, s38, s0
	s_addc_u32 s1, s39, s1
	v_mov_b32_e32 v1, 0
	global_load_dword v1, v1, s[0:1]
	s_waitcnt vmcnt(0)
	v_cmp_ne_u32_e32 vcc, 0, v1
	s_cbranch_vccz .LBB12_74
.LBB12_16:
	s_endpgm
.LBB12_17:
	v_div_scale_f64 v[32:33], s[2:3], v[28:29], v[28:29], 1.0
	v_rcp_f64_e32 v[34:35], v[32:33]
	v_div_scale_f64 v[36:37], vcc, 1.0, v[28:29], 1.0
	v_fma_f64 v[38:39], -v[32:33], v[34:35], 1.0
	v_fmac_f64_e32 v[34:35], v[34:35], v[38:39]
	v_fma_f64 v[38:39], -v[32:33], v[34:35], 1.0
	v_fmac_f64_e32 v[34:35], v[34:35], v[38:39]
	v_mul_f64 v[38:39], v[36:37], v[34:35]
	v_fma_f64 v[32:33], -v[32:33], v[38:39], v[36:37]
	v_div_fmas_f64 v[32:33], v[32:33], v[34:35], v[38:39]
	v_div_fixup_f64 v[28:29], v[32:33], v[28:29], 1.0
	v_cmp_eq_u32_e32 vcc, 12, v0
	v_cndmask_b32_e32 v27, v27, v29, vcc
	v_cndmask_b32_e32 v26, v26, v28, vcc
	v_cmp_eq_u32_e32 vcc, 11, v0
	v_cndmask_b32_e32 v25, v25, v29, vcc
	v_cndmask_b32_e32 v24, v24, v28, vcc
	;; [unrolled: 3-line block ×13, first 2 shown]
	v_xor_b32_e32 v35, 0x80000000, v29
	v_mov_b32_e32 v34, v28
	v_add_u32_e32 v32, 0x70, v30
	ds_write2_b64 v30, v[34:35], v[4:5] offset1:14
	s_waitcnt lgkmcnt(0)
	; wave barrier
	s_waitcnt lgkmcnt(0)
	s_and_saveexec_b64 s[2:3], s[0:1]
	s_cbranch_execz .LBB12_19
; %bb.18:
	v_mov_b32_e32 v30, 0
	ds_read_b64 v[4:5], v32
	ds_read_b64 v[30:31], v30 offset:8
	s_waitcnt lgkmcnt(1)
	v_fma_f64 v[4:5], v[28:29], v[4:5], 0
	s_waitcnt lgkmcnt(0)
	v_mul_f64 v[4:5], v[4:5], v[30:31]
.LBB12_19:
	s_or_b64 exec, exec, s[2:3]
	v_cmp_gt_u32_e32 vcc, 2, v0
	s_waitcnt lgkmcnt(0)
	; wave barrier
	ds_write_b64 v32, v[6:7]
	s_waitcnt lgkmcnt(0)
	; wave barrier
	s_waitcnt lgkmcnt(0)
	s_and_saveexec_b64 s[28:29], vcc
	s_cbranch_execz .LBB12_21
; %bb.20:
	v_cmp_eq_u32_e64 s[2:3], 1, v0
	v_cndmask_b32_e64 v28, v3, v5, s[2:3]
	v_cmp_eq_u32_e64 s[4:5], 2, v0
	v_cndmask_b32_e64 v7, v28, v7, s[4:5]
	v_cndmask_b32_e64 v28, v2, v4, s[2:3]
	v_cmp_eq_u32_e64 s[8:9], 3, v0
	v_cndmask_b32_e64 v6, v28, v6, s[4:5]
	;; [unrolled: 3-line block ×8, first 2 shown]
	ds_read_b64 v[34:35], v32
	v_mov_b32_e32 v28, 0
	v_cndmask_b32_e64 v7, v7, v21, s[20:21]
	v_cmp_eq_u32_e64 s[22:23], 10, v0
	v_cndmask_b32_e64 v6, v6, v20, s[20:21]
	ds_read2_b64 v[28:31], v28 offset0:2 offset1:15
	v_cndmask_b32_e64 v7, v7, v23, s[22:23]
	v_cmp_eq_u32_e64 s[24:25], 11, v0
	v_cndmask_b32_e64 v6, v6, v22, s[22:23]
	v_cndmask_b32_e64 v7, v7, v25, s[24:25]
	v_cmp_eq_u32_e64 s[26:27], 12, v0
	v_cndmask_b32_e64 v6, v6, v24, s[24:25]
	v_cndmask_b32_e64 v7, v7, v27, s[26:27]
	;; [unrolled: 1-line block ×3, first 2 shown]
	s_waitcnt lgkmcnt(1)
	v_fma_f64 v[6:7], v[6:7], v[34:35], 0
	s_waitcnt lgkmcnt(0)
	v_fma_f64 v[30:31], v[4:5], v[30:31], v[6:7]
	v_cndmask_b32_e64 v7, v7, v31, s[0:1]
	v_cndmask_b32_e64 v6, v6, v30, s[0:1]
	v_mul_f64 v[6:7], v[6:7], v[28:29]
.LBB12_21:
	s_or_b64 exec, exec, s[28:29]
	v_cmp_gt_u32_e64 s[2:3], 3, v0
	s_waitcnt lgkmcnt(0)
	; wave barrier
	ds_write_b64 v32, v[8:9]
	s_waitcnt lgkmcnt(0)
	; wave barrier
	s_waitcnt lgkmcnt(0)
	s_and_saveexec_b64 s[10:11], s[2:3]
	s_cbranch_execz .LBB12_25
; %bb.22:
	v_mov_b32_e32 v28, 0x70
	v_lshl_add_u32 v33, v0, 3, v28
	s_mov_b64 s[12:13], 0
	v_pk_mov_b32 v[28:29], 0, 0
	v_pk_mov_b32 v[30:31], v[0:1], v[0:1] op_sel:[0,1]
.LBB12_23:                              ; =>This Inner Loop Header: Depth=1
	v_cmp_eq_u32_e64 s[2:3], 1, v30
	v_cndmask_b32_e64 v36, v3, v5, s[2:3]
	v_cmp_eq_u32_e64 s[4:5], 2, v30
	v_cndmask_b32_e64 v36, v36, v7, s[4:5]
	v_cndmask_b32_e64 v37, v2, v4, s[2:3]
	v_cmp_eq_u32_e64 s[2:3], 3, v30
	v_cndmask_b32_e64 v36, v36, v9, s[2:3]
	;; [unrolled: 3-line block ×7, first 2 shown]
	v_cndmask_b32_e64 v37, v37, v16, s[2:3]
	v_cmp_eq_u32_e64 s[2:3], 9, v30
	ds_read_b64 v[34:35], v33
	v_cndmask_b32_e64 v36, v36, v21, s[2:3]
	v_cndmask_b32_e64 v37, v37, v18, s[4:5]
	v_cmp_eq_u32_e64 s[4:5], 10, v30
	v_cndmask_b32_e64 v36, v36, v23, s[4:5]
	v_cndmask_b32_e64 v37, v37, v20, s[2:3]
	v_cmp_eq_u32_e64 s[2:3], 11, v30
	v_cndmask_b32_e64 v36, v36, v25, s[2:3]
	v_cmp_eq_u32_e64 s[8:9], 12, v30
	v_cndmask_b32_e64 v38, v37, v22, s[4:5]
	v_add_co_u32_e64 v30, s[4:5], 1, v30
	v_cndmask_b32_e64 v37, v36, v27, s[8:9]
	v_cndmask_b32_e64 v36, v38, v24, s[2:3]
	v_add_u32_e32 v38, -1, v30
	v_cndmask_b32_e64 v36, v36, v26, s[8:9]
	v_cmp_lt_u32_e64 s[2:3], 1, v38
	v_add_u32_e32 v33, 8, v33
	v_addc_co_u32_e64 v31, s[4:5], 0, v31, s[4:5]
	s_or_b64 s[12:13], s[2:3], s[12:13]
	s_waitcnt lgkmcnt(0)
	v_fmac_f64_e32 v[28:29], v[36:37], v[34:35]
	s_andn2_b64 exec, exec, s[12:13]
	s_cbranch_execnz .LBB12_23
; %bb.24:
	s_or_b64 exec, exec, s[12:13]
	v_mov_b32_e32 v8, 0
	ds_read_b64 v[8:9], v8 offset:24
	s_waitcnt lgkmcnt(0)
	v_mul_f64 v[8:9], v[28:29], v[8:9]
.LBB12_25:
	s_or_b64 exec, exec, s[10:11]
	v_cmp_gt_u32_e64 s[2:3], 4, v0
	s_waitcnt lgkmcnt(0)
	; wave barrier
	ds_write_b64 v32, v[10:11]
	s_waitcnt lgkmcnt(0)
	; wave barrier
	s_waitcnt lgkmcnt(0)
	s_and_saveexec_b64 s[12:13], s[2:3]
	s_cbranch_execz .LBB12_29
; %bb.26:
	v_mov_b32_e32 v28, 0x70
	v_lshl_add_u32 v33, v0, 3, v28
	s_mov_b64 s[14:15], 0
	v_pk_mov_b32 v[28:29], 0, 0
	v_pk_mov_b32 v[30:31], v[0:1], v[0:1] op_sel:[0,1]
.LBB12_27:                              ; =>This Inner Loop Header: Depth=1
	v_cmp_eq_u32_e64 s[4:5], 1, v30
	v_cndmask_b32_e64 v36, v3, v5, s[4:5]
	v_cmp_eq_u32_e64 s[8:9], 2, v30
	v_cndmask_b32_e64 v36, v36, v7, s[8:9]
	v_cndmask_b32_e64 v37, v2, v4, s[4:5]
	v_cmp_eq_u32_e64 s[4:5], 3, v30
	v_cndmask_b32_e64 v36, v36, v9, s[4:5]
	;; [unrolled: 3-line block ×7, first 2 shown]
	v_cndmask_b32_e64 v37, v37, v16, s[4:5]
	v_cmp_eq_u32_e64 s[4:5], 9, v30
	ds_read_b64 v[34:35], v33
	v_cndmask_b32_e64 v36, v36, v21, s[4:5]
	v_cndmask_b32_e64 v37, v37, v18, s[8:9]
	v_cmp_eq_u32_e64 s[8:9], 10, v30
	v_cndmask_b32_e64 v36, v36, v23, s[8:9]
	v_cndmask_b32_e64 v37, v37, v20, s[4:5]
	v_cmp_eq_u32_e64 s[4:5], 11, v30
	v_cndmask_b32_e64 v36, v36, v25, s[4:5]
	v_cmp_eq_u32_e64 s[10:11], 12, v30
	v_cndmask_b32_e64 v38, v37, v22, s[8:9]
	v_add_co_u32_e64 v30, s[8:9], 1, v30
	v_cndmask_b32_e64 v37, v36, v27, s[10:11]
	v_cndmask_b32_e64 v36, v38, v24, s[4:5]
	v_add_u32_e32 v38, -1, v30
	v_cndmask_b32_e64 v36, v36, v26, s[10:11]
	v_cmp_lt_u32_e64 s[4:5], 2, v38
	v_add_u32_e32 v33, 8, v33
	v_addc_co_u32_e64 v31, s[8:9], 0, v31, s[8:9]
	s_or_b64 s[14:15], s[4:5], s[14:15]
	s_waitcnt lgkmcnt(0)
	v_fmac_f64_e32 v[28:29], v[36:37], v[34:35]
	s_andn2_b64 exec, exec, s[14:15]
	s_cbranch_execnz .LBB12_27
; %bb.28:
	s_or_b64 exec, exec, s[14:15]
	v_mov_b32_e32 v10, 0
	ds_read_b64 v[10:11], v10 offset:32
	s_waitcnt lgkmcnt(0)
	v_mul_f64 v[10:11], v[28:29], v[10:11]
.LBB12_29:
	s_or_b64 exec, exec, s[12:13]
	v_cmp_gt_u32_e64 s[4:5], 5, v0
	s_waitcnt lgkmcnt(0)
	; wave barrier
	ds_write_b64 v32, v[12:13]
	s_waitcnt lgkmcnt(0)
	; wave barrier
	s_waitcnt lgkmcnt(0)
	s_and_saveexec_b64 s[12:13], s[4:5]
	s_cbranch_execz .LBB12_33
; %bb.30:
	v_mov_b32_e32 v28, 0x70
	v_lshl_add_u32 v33, v0, 3, v28
	s_mov_b64 s[14:15], 0
	v_pk_mov_b32 v[28:29], 0, 0
	v_pk_mov_b32 v[30:31], v[0:1], v[0:1] op_sel:[0,1]
.LBB12_31:                              ; =>This Inner Loop Header: Depth=1
	v_cmp_eq_u32_e64 s[4:5], 1, v30
	v_cndmask_b32_e64 v36, v3, v5, s[4:5]
	v_cmp_eq_u32_e64 s[8:9], 2, v30
	v_cndmask_b32_e64 v36, v36, v7, s[8:9]
	v_cndmask_b32_e64 v37, v2, v4, s[4:5]
	v_cmp_eq_u32_e64 s[4:5], 3, v30
	v_cndmask_b32_e64 v36, v36, v9, s[4:5]
	;; [unrolled: 3-line block ×7, first 2 shown]
	v_cndmask_b32_e64 v37, v37, v16, s[4:5]
	v_cmp_eq_u32_e64 s[4:5], 9, v30
	ds_read_b64 v[34:35], v33
	v_cndmask_b32_e64 v36, v36, v21, s[4:5]
	v_cndmask_b32_e64 v37, v37, v18, s[8:9]
	v_cmp_eq_u32_e64 s[8:9], 10, v30
	v_cndmask_b32_e64 v36, v36, v23, s[8:9]
	v_cndmask_b32_e64 v37, v37, v20, s[4:5]
	v_cmp_eq_u32_e64 s[4:5], 11, v30
	v_cndmask_b32_e64 v36, v36, v25, s[4:5]
	v_cmp_eq_u32_e64 s[10:11], 12, v30
	v_cndmask_b32_e64 v38, v37, v22, s[8:9]
	v_add_co_u32_e64 v30, s[8:9], 1, v30
	v_cndmask_b32_e64 v37, v36, v27, s[10:11]
	v_cndmask_b32_e64 v36, v38, v24, s[4:5]
	v_add_u32_e32 v38, -1, v30
	v_cndmask_b32_e64 v36, v36, v26, s[10:11]
	v_cmp_lt_u32_e64 s[4:5], 3, v38
	v_add_u32_e32 v33, 8, v33
	v_addc_co_u32_e64 v31, s[8:9], 0, v31, s[8:9]
	s_or_b64 s[14:15], s[4:5], s[14:15]
	s_waitcnt lgkmcnt(0)
	v_fmac_f64_e32 v[28:29], v[36:37], v[34:35]
	s_andn2_b64 exec, exec, s[14:15]
	s_cbranch_execnz .LBB12_31
; %bb.32:
	s_or_b64 exec, exec, s[14:15]
	v_mov_b32_e32 v12, 0
	ds_read_b64 v[12:13], v12 offset:40
	s_waitcnt lgkmcnt(0)
	v_mul_f64 v[12:13], v[28:29], v[12:13]
.LBB12_33:
	s_or_b64 exec, exec, s[12:13]
	v_cmp_gt_u32_e64 s[4:5], 6, v0
	s_waitcnt lgkmcnt(0)
	; wave barrier
	ds_write_b64 v32, v[14:15]
	s_waitcnt lgkmcnt(0)
	; wave barrier
	s_waitcnt lgkmcnt(0)
	s_and_saveexec_b64 s[14:15], s[4:5]
	s_cbranch_execz .LBB12_37
; %bb.34:
	v_mov_b32_e32 v28, 0x70
	v_lshl_add_u32 v33, v0, 3, v28
	s_mov_b64 s[16:17], 0
	v_pk_mov_b32 v[28:29], 0, 0
	v_pk_mov_b32 v[30:31], v[0:1], v[0:1] op_sel:[0,1]
.LBB12_35:                              ; =>This Inner Loop Header: Depth=1
	v_cmp_eq_u32_e64 s[8:9], 1, v30
	v_cndmask_b32_e64 v36, v3, v5, s[8:9]
	v_cmp_eq_u32_e64 s[10:11], 2, v30
	v_cndmask_b32_e64 v36, v36, v7, s[10:11]
	v_cndmask_b32_e64 v37, v2, v4, s[8:9]
	v_cmp_eq_u32_e64 s[8:9], 3, v30
	v_cndmask_b32_e64 v36, v36, v9, s[8:9]
	;; [unrolled: 3-line block ×7, first 2 shown]
	v_cndmask_b32_e64 v37, v37, v16, s[8:9]
	v_cmp_eq_u32_e64 s[8:9], 9, v30
	ds_read_b64 v[34:35], v33
	v_cndmask_b32_e64 v36, v36, v21, s[8:9]
	v_cndmask_b32_e64 v37, v37, v18, s[10:11]
	v_cmp_eq_u32_e64 s[10:11], 10, v30
	v_cndmask_b32_e64 v36, v36, v23, s[10:11]
	v_cndmask_b32_e64 v37, v37, v20, s[8:9]
	v_cmp_eq_u32_e64 s[8:9], 11, v30
	v_cndmask_b32_e64 v36, v36, v25, s[8:9]
	v_cmp_eq_u32_e64 s[12:13], 12, v30
	v_cndmask_b32_e64 v38, v37, v22, s[10:11]
	v_add_co_u32_e64 v30, s[10:11], 1, v30
	v_cndmask_b32_e64 v37, v36, v27, s[12:13]
	v_cndmask_b32_e64 v36, v38, v24, s[8:9]
	v_add_u32_e32 v38, -1, v30
	v_cndmask_b32_e64 v36, v36, v26, s[12:13]
	v_cmp_lt_u32_e64 s[8:9], 4, v38
	v_add_u32_e32 v33, 8, v33
	v_addc_co_u32_e64 v31, s[10:11], 0, v31, s[10:11]
	s_or_b64 s[16:17], s[8:9], s[16:17]
	s_waitcnt lgkmcnt(0)
	v_fmac_f64_e32 v[28:29], v[36:37], v[34:35]
	s_andn2_b64 exec, exec, s[16:17]
	s_cbranch_execnz .LBB12_35
; %bb.36:
	s_or_b64 exec, exec, s[16:17]
	v_mov_b32_e32 v14, 0
	ds_read_b64 v[14:15], v14 offset:48
	s_waitcnt lgkmcnt(0)
	v_mul_f64 v[14:15], v[28:29], v[14:15]
.LBB12_37:
	s_or_b64 exec, exec, s[14:15]
	v_cmp_gt_u32_e64 s[8:9], 7, v0
	s_waitcnt lgkmcnt(0)
	; wave barrier
	ds_write_b64 v32, v[16:17]
	s_waitcnt lgkmcnt(0)
	; wave barrier
	s_waitcnt lgkmcnt(0)
	s_and_saveexec_b64 s[14:15], s[8:9]
	s_cbranch_execz .LBB12_41
; %bb.38:
	v_mov_b32_e32 v28, 0x70
	v_lshl_add_u32 v33, v0, 3, v28
	s_mov_b64 s[16:17], 0
	v_pk_mov_b32 v[28:29], 0, 0
	v_pk_mov_b32 v[30:31], v[0:1], v[0:1] op_sel:[0,1]
.LBB12_39:                              ; =>This Inner Loop Header: Depth=1
	v_cmp_eq_u32_e64 s[8:9], 1, v30
	v_cndmask_b32_e64 v36, v3, v5, s[8:9]
	v_cmp_eq_u32_e64 s[10:11], 2, v30
	v_cndmask_b32_e64 v36, v36, v7, s[10:11]
	v_cndmask_b32_e64 v37, v2, v4, s[8:9]
	v_cmp_eq_u32_e64 s[8:9], 3, v30
	v_cndmask_b32_e64 v36, v36, v9, s[8:9]
	;; [unrolled: 3-line block ×7, first 2 shown]
	v_cndmask_b32_e64 v37, v37, v16, s[8:9]
	v_cmp_eq_u32_e64 s[8:9], 9, v30
	ds_read_b64 v[34:35], v33
	v_cndmask_b32_e64 v36, v36, v21, s[8:9]
	v_cndmask_b32_e64 v37, v37, v18, s[10:11]
	v_cmp_eq_u32_e64 s[10:11], 10, v30
	v_cndmask_b32_e64 v36, v36, v23, s[10:11]
	v_cndmask_b32_e64 v37, v37, v20, s[8:9]
	v_cmp_eq_u32_e64 s[8:9], 11, v30
	v_cndmask_b32_e64 v36, v36, v25, s[8:9]
	v_cmp_eq_u32_e64 s[12:13], 12, v30
	v_cndmask_b32_e64 v38, v37, v22, s[10:11]
	v_add_co_u32_e64 v30, s[10:11], 1, v30
	v_cndmask_b32_e64 v37, v36, v27, s[12:13]
	v_cndmask_b32_e64 v36, v38, v24, s[8:9]
	v_add_u32_e32 v38, -1, v30
	v_cndmask_b32_e64 v36, v36, v26, s[12:13]
	v_cmp_lt_u32_e64 s[8:9], 5, v38
	v_add_u32_e32 v33, 8, v33
	v_addc_co_u32_e64 v31, s[10:11], 0, v31, s[10:11]
	s_or_b64 s[16:17], s[8:9], s[16:17]
	s_waitcnt lgkmcnt(0)
	v_fmac_f64_e32 v[28:29], v[36:37], v[34:35]
	s_andn2_b64 exec, exec, s[16:17]
	s_cbranch_execnz .LBB12_39
; %bb.40:
	s_or_b64 exec, exec, s[16:17]
	v_mov_b32_e32 v16, 0
	ds_read_b64 v[16:17], v16 offset:56
	s_waitcnt lgkmcnt(0)
	v_mul_f64 v[16:17], v[28:29], v[16:17]
.LBB12_41:
	s_or_b64 exec, exec, s[14:15]
	v_cmp_gt_u32_e64 s[8:9], 8, v0
	s_waitcnt lgkmcnt(0)
	; wave barrier
	ds_write_b64 v32, v[18:19]
	s_waitcnt lgkmcnt(0)
	; wave barrier
	s_waitcnt lgkmcnt(0)
	s_and_saveexec_b64 s[36:37], s[8:9]
	s_cbranch_execz .LBB12_57
; %bb.42:
	v_cmp_eq_u32_e64 s[8:9], 1, v0
	v_cndmask_b32_e64 v28, v3, v5, s[8:9]
	v_cmp_eq_u32_e64 s[10:11], 2, v0
	v_cndmask_b32_e64 v28, v28, v7, s[10:11]
	;; [unrolled: 2-line block ×12, first 2 shown]
	v_cndmask_b32_e64 v28, v2, v4, s[8:9]
	v_cndmask_b32_e64 v28, v28, v6, s[10:11]
	v_cndmask_b32_e64 v28, v28, v8, s[12:13]
	v_cndmask_b32_e64 v28, v28, v10, s[14:15]
	v_cndmask_b32_e64 v28, v28, v12, s[16:17]
	v_cndmask_b32_e64 v28, v28, v14, s[18:19]
	v_cndmask_b32_e64 v28, v28, v16, s[20:21]
	v_cndmask_b32_e64 v28, v28, v18, s[22:23]
	ds_read_b64 v[30:31], v32
	v_cndmask_b32_e64 v28, v28, v20, s[24:25]
	v_cndmask_b32_e64 v28, v28, v22, s[26:27]
	v_cndmask_b32_e64 v28, v28, v24, s[28:29]
	v_cndmask_b32_e64 v28, v28, v26, s[30:31]
	s_waitcnt lgkmcnt(0)
	v_fma_f64 v[28:29], v[28:29], v[30:31], 0
	v_cmp_ne_u32_e64 s[8:9], 7, v0
	s_and_saveexec_b64 s[42:43], s[8:9]
	s_cbranch_execz .LBB12_56
; %bb.43:
	v_add_u32_e32 v30, 1, v0
	v_cmp_eq_u32_e64 s[8:9], 1, v30
	v_cndmask_b32_e64 v31, v3, v5, s[8:9]
	v_cmp_eq_u32_e64 s[10:11], 2, v30
	v_cmp_eq_u32_e64 s[12:13], 3, v30
	;; [unrolled: 1-line block ×11, first 2 shown]
	v_cndmask_b32_e64 v30, v2, v4, s[8:9]
	v_cndmask_b32_e64 v31, v31, v7, s[10:11]
	;; [unrolled: 1-line block ×15, first 2 shown]
	ds_read_b64 v[34:35], v32 offset:8
	v_cndmask_b32_e64 v31, v31, v21, s[24:25]
	v_cndmask_b32_e64 v30, v30, v20, s[24:25]
	;; [unrolled: 1-line block ×8, first 2 shown]
	s_waitcnt lgkmcnt(0)
	v_fmac_f64_e32 v[28:29], v[30:31], v[34:35]
	s_and_saveexec_b64 s[30:31], s[4:5]
	s_cbranch_execz .LBB12_55
; %bb.44:
	v_add_u32_e32 v30, 2, v0
	v_cmp_eq_u32_e64 s[4:5], 1, v30
	v_cndmask_b32_e64 v31, v3, v5, s[4:5]
	v_cmp_eq_u32_e64 s[8:9], 2, v30
	v_cmp_eq_u32_e64 s[10:11], 3, v30
	;; [unrolled: 1-line block ×11, first 2 shown]
	v_cndmask_b32_e64 v30, v2, v4, s[4:5]
	v_cndmask_b32_e64 v31, v31, v7, s[8:9]
	;; [unrolled: 1-line block ×15, first 2 shown]
	ds_read_b64 v[34:35], v32 offset:16
	v_cndmask_b32_e64 v31, v31, v21, s[22:23]
	v_cndmask_b32_e64 v30, v30, v20, s[22:23]
	;; [unrolled: 1-line block ×8, first 2 shown]
	s_waitcnt lgkmcnt(0)
	v_fmac_f64_e32 v[28:29], v[30:31], v[34:35]
	v_cmp_ne_u32_e64 s[4:5], 5, v0
	s_and_saveexec_b64 s[44:45], s[4:5]
	s_cbranch_execz .LBB12_54
; %bb.45:
	v_add_u32_e32 v30, 3, v0
	v_cmp_eq_u32_e64 s[4:5], 1, v30
	v_cndmask_b32_e64 v31, v3, v5, s[4:5]
	v_cmp_eq_u32_e64 s[8:9], 2, v30
	v_cmp_eq_u32_e64 s[10:11], 3, v30
	;; [unrolled: 1-line block ×11, first 2 shown]
	v_cndmask_b32_e64 v30, v2, v4, s[4:5]
	v_cndmask_b32_e64 v31, v31, v7, s[8:9]
	;; [unrolled: 1-line block ×15, first 2 shown]
	ds_read_b64 v[34:35], v32 offset:24
	v_cndmask_b32_e64 v31, v31, v21, s[22:23]
	v_cndmask_b32_e64 v30, v30, v20, s[22:23]
	v_cndmask_b32_e64 v31, v31, v23, s[24:25]
	v_cndmask_b32_e64 v30, v30, v22, s[24:25]
	v_cndmask_b32_e64 v31, v31, v25, s[26:27]
	v_cndmask_b32_e64 v30, v30, v24, s[26:27]
	v_cndmask_b32_e64 v31, v31, v27, s[28:29]
	v_cndmask_b32_e64 v30, v30, v26, s[28:29]
	s_waitcnt lgkmcnt(0)
	v_fmac_f64_e32 v[28:29], v[30:31], v[34:35]
	s_and_saveexec_b64 s[28:29], s[2:3]
	s_cbranch_execz .LBB12_53
; %bb.46:
	v_or_b32_e32 v30, 4, v0
	v_cmp_eq_u32_e64 s[2:3], 1, v30
	v_cndmask_b32_e64 v31, v3, v5, s[2:3]
	v_cmp_eq_u32_e64 s[4:5], 2, v30
	v_cmp_eq_u32_e64 s[8:9], 3, v30
	;; [unrolled: 1-line block ×11, first 2 shown]
	v_cndmask_b32_e64 v30, v2, v4, s[2:3]
	v_cndmask_b32_e64 v31, v31, v7, s[4:5]
	;; [unrolled: 1-line block ×15, first 2 shown]
	ds_read_b64 v[34:35], v32 offset:32
	v_cndmask_b32_e64 v31, v31, v21, s[20:21]
	v_cndmask_b32_e64 v30, v30, v20, s[20:21]
	;; [unrolled: 1-line block ×8, first 2 shown]
	s_waitcnt lgkmcnt(0)
	v_fmac_f64_e32 v[28:29], v[30:31], v[34:35]
	v_cmp_ne_u32_e64 s[2:3], 3, v0
	s_and_saveexec_b64 s[46:47], s[2:3]
	s_cbranch_execz .LBB12_52
; %bb.47:
	v_add_u32_e32 v30, 5, v0
	v_cmp_eq_u32_e64 s[2:3], 1, v30
	v_cndmask_b32_e64 v31, v3, v5, s[2:3]
	v_cmp_eq_u32_e64 s[4:5], 2, v30
	v_cmp_eq_u32_e64 s[8:9], 3, v30
	;; [unrolled: 1-line block ×11, first 2 shown]
	v_cndmask_b32_e64 v30, v2, v4, s[2:3]
	v_cndmask_b32_e64 v31, v31, v7, s[4:5]
	;; [unrolled: 1-line block ×15, first 2 shown]
	ds_read_b64 v[34:35], v32 offset:40
	v_cndmask_b32_e64 v31, v31, v21, s[20:21]
	v_cndmask_b32_e64 v30, v30, v20, s[20:21]
	;; [unrolled: 1-line block ×8, first 2 shown]
	s_waitcnt lgkmcnt(0)
	v_fmac_f64_e32 v[28:29], v[30:31], v[34:35]
	s_and_saveexec_b64 s[26:27], vcc
	s_cbranch_execz .LBB12_51
; %bb.48:
	v_or_b32_e32 v30, 6, v0
	v_cmp_eq_u32_e32 vcc, 1, v30
	v_cndmask_b32_e32 v31, v3, v5, vcc
	v_cmp_eq_u32_e64 s[2:3], 2, v30
	v_cmp_eq_u32_e64 s[4:5], 3, v30
	;; [unrolled: 1-line block ×11, first 2 shown]
	v_cndmask_b32_e32 v30, v2, v4, vcc
	v_cndmask_b32_e64 v31, v31, v7, s[2:3]
	v_cndmask_b32_e64 v30, v30, v6, s[2:3]
	;; [unrolled: 1-line block ×14, first 2 shown]
	ds_read_b64 v[30:31], v32 offset:48
	v_cndmask_b32_e64 v19, v19, v21, s[18:19]
	v_cndmask_b32_e64 v18, v18, v20, s[18:19]
	;; [unrolled: 1-line block ×8, first 2 shown]
	s_waitcnt lgkmcnt(0)
	v_fmac_f64_e32 v[28:29], v[18:19], v[30:31]
	s_and_saveexec_b64 s[2:3], s[0:1]
	s_cbranch_execz .LBB12_50
; %bb.49:
	ds_read_b64 v[18:19], v32 offset:56
	s_waitcnt lgkmcnt(0)
	v_fmac_f64_e32 v[28:29], v[16:17], v[18:19]
.LBB12_50:
	s_or_b64 exec, exec, s[2:3]
.LBB12_51:
	s_or_b64 exec, exec, s[26:27]
.LBB12_52:
	s_or_b64 exec, exec, s[46:47]
.LBB12_53:
	s_or_b64 exec, exec, s[28:29]
.LBB12_54:
	s_or_b64 exec, exec, s[44:45]
.LBB12_55:
	s_or_b64 exec, exec, s[30:31]
.LBB12_56:
	s_or_b64 exec, exec, s[42:43]
	v_mov_b32_e32 v18, 0
	ds_read_b64 v[18:19], v18 offset:64
	s_waitcnt lgkmcnt(0)
	v_mul_f64 v[18:19], v[28:29], v[18:19]
.LBB12_57:
	s_or_b64 exec, exec, s[36:37]
	v_cmp_gt_u32_e32 vcc, 9, v0
	s_waitcnt lgkmcnt(0)
	; wave barrier
	ds_write_b64 v32, v[20:21]
	s_waitcnt lgkmcnt(0)
	; wave barrier
	s_waitcnt lgkmcnt(0)
	s_and_saveexec_b64 s[4:5], vcc
	s_cbranch_execz .LBB12_61
; %bb.58:
	v_mov_b32_e32 v28, 0x70
	v_lshl_add_u32 v33, v0, 3, v28
	s_mov_b64 s[8:9], 0
	v_pk_mov_b32 v[28:29], 0, 0
	v_pk_mov_b32 v[30:31], v[0:1], v[0:1] op_sel:[0,1]
.LBB12_59:                              ; =>This Inner Loop Header: Depth=1
	v_cmp_eq_u32_e32 vcc, 1, v30
	v_cndmask_b32_e32 v36, v3, v5, vcc
	v_cmp_eq_u32_e64 s[0:1], 2, v30
	v_cndmask_b32_e64 v36, v36, v7, s[0:1]
	v_cndmask_b32_e32 v37, v2, v4, vcc
	v_cmp_eq_u32_e32 vcc, 3, v30
	v_cndmask_b32_e32 v36, v36, v9, vcc
	v_cndmask_b32_e64 v37, v37, v6, s[0:1]
	v_cmp_eq_u32_e64 s[0:1], 4, v30
	v_cndmask_b32_e64 v36, v36, v11, s[0:1]
	v_cndmask_b32_e32 v37, v37, v8, vcc
	v_cmp_eq_u32_e32 vcc, 5, v30
	v_cndmask_b32_e32 v36, v36, v13, vcc
	v_cndmask_b32_e64 v37, v37, v10, s[0:1]
	;; [unrolled: 6-line block ×3, first 2 shown]
	v_cmp_eq_u32_e64 s[0:1], 8, v30
	v_cndmask_b32_e64 v36, v36, v19, s[0:1]
	v_cndmask_b32_e32 v37, v37, v16, vcc
	v_cmp_eq_u32_e32 vcc, 9, v30
	ds_read_b64 v[34:35], v33
	v_cndmask_b32_e32 v36, v36, v21, vcc
	v_cndmask_b32_e64 v37, v37, v18, s[0:1]
	v_cmp_eq_u32_e64 s[0:1], 10, v30
	v_cndmask_b32_e64 v36, v36, v23, s[0:1]
	v_cndmask_b32_e32 v37, v37, v20, vcc
	v_cmp_eq_u32_e32 vcc, 11, v30
	v_cndmask_b32_e32 v36, v36, v25, vcc
	v_cmp_eq_u32_e64 s[2:3], 12, v30
	v_cndmask_b32_e64 v38, v37, v22, s[0:1]
	v_add_co_u32_e64 v30, s[0:1], 1, v30
	v_cndmask_b32_e64 v37, v36, v27, s[2:3]
	v_cndmask_b32_e32 v36, v38, v24, vcc
	v_add_u32_e32 v38, -1, v30
	v_cndmask_b32_e64 v36, v36, v26, s[2:3]
	v_cmp_lt_u32_e32 vcc, 7, v38
	v_add_u32_e32 v33, 8, v33
	v_addc_co_u32_e64 v31, s[0:1], 0, v31, s[0:1]
	s_or_b64 s[8:9], vcc, s[8:9]
	s_waitcnt lgkmcnt(0)
	v_fmac_f64_e32 v[28:29], v[36:37], v[34:35]
	s_andn2_b64 exec, exec, s[8:9]
	s_cbranch_execnz .LBB12_59
; %bb.60:
	s_or_b64 exec, exec, s[8:9]
	v_mov_b32_e32 v20, 0
	ds_read_b64 v[20:21], v20 offset:72
	s_waitcnt lgkmcnt(0)
	v_mul_f64 v[20:21], v[28:29], v[20:21]
.LBB12_61:
	s_or_b64 exec, exec, s[4:5]
	v_cmp_gt_u32_e32 vcc, 10, v0
	s_waitcnt lgkmcnt(0)
	; wave barrier
	ds_write_b64 v32, v[22:23]
	s_waitcnt lgkmcnt(0)
	; wave barrier
	s_waitcnt lgkmcnt(0)
	s_and_saveexec_b64 s[4:5], vcc
	s_cbranch_execz .LBB12_65
; %bb.62:
	v_mov_b32_e32 v28, 0x70
	v_lshl_add_u32 v33, v0, 3, v28
	s_mov_b64 s[8:9], 0
	v_pk_mov_b32 v[28:29], 0, 0
	v_pk_mov_b32 v[30:31], v[0:1], v[0:1] op_sel:[0,1]
.LBB12_63:                              ; =>This Inner Loop Header: Depth=1
	v_cmp_eq_u32_e32 vcc, 1, v30
	v_cndmask_b32_e32 v36, v3, v5, vcc
	v_cmp_eq_u32_e64 s[0:1], 2, v30
	v_cndmask_b32_e64 v36, v36, v7, s[0:1]
	v_cndmask_b32_e32 v37, v2, v4, vcc
	v_cmp_eq_u32_e32 vcc, 3, v30
	v_cndmask_b32_e32 v36, v36, v9, vcc
	v_cndmask_b32_e64 v37, v37, v6, s[0:1]
	v_cmp_eq_u32_e64 s[0:1], 4, v30
	v_cndmask_b32_e64 v36, v36, v11, s[0:1]
	v_cndmask_b32_e32 v37, v37, v8, vcc
	v_cmp_eq_u32_e32 vcc, 5, v30
	v_cndmask_b32_e32 v36, v36, v13, vcc
	v_cndmask_b32_e64 v37, v37, v10, s[0:1]
	;; [unrolled: 6-line block ×3, first 2 shown]
	v_cmp_eq_u32_e64 s[0:1], 8, v30
	v_cndmask_b32_e64 v36, v36, v19, s[0:1]
	v_cndmask_b32_e32 v37, v37, v16, vcc
	v_cmp_eq_u32_e32 vcc, 9, v30
	ds_read_b64 v[34:35], v33
	v_cndmask_b32_e32 v36, v36, v21, vcc
	v_cndmask_b32_e64 v37, v37, v18, s[0:1]
	v_cmp_eq_u32_e64 s[0:1], 10, v30
	v_cndmask_b32_e64 v36, v36, v23, s[0:1]
	v_cndmask_b32_e32 v37, v37, v20, vcc
	v_cmp_eq_u32_e32 vcc, 11, v30
	v_cndmask_b32_e32 v36, v36, v25, vcc
	v_cmp_eq_u32_e64 s[2:3], 12, v30
	v_cndmask_b32_e64 v38, v37, v22, s[0:1]
	v_add_co_u32_e64 v30, s[0:1], 1, v30
	v_cndmask_b32_e64 v37, v36, v27, s[2:3]
	v_cndmask_b32_e32 v36, v38, v24, vcc
	v_add_u32_e32 v38, -1, v30
	v_cndmask_b32_e64 v36, v36, v26, s[2:3]
	v_cmp_lt_u32_e32 vcc, 8, v38
	v_add_u32_e32 v33, 8, v33
	v_addc_co_u32_e64 v31, s[0:1], 0, v31, s[0:1]
	s_or_b64 s[8:9], vcc, s[8:9]
	s_waitcnt lgkmcnt(0)
	v_fmac_f64_e32 v[28:29], v[36:37], v[34:35]
	s_andn2_b64 exec, exec, s[8:9]
	s_cbranch_execnz .LBB12_63
; %bb.64:
	s_or_b64 exec, exec, s[8:9]
	v_mov_b32_e32 v22, 0
	ds_read_b64 v[22:23], v22 offset:80
	s_waitcnt lgkmcnt(0)
	v_mul_f64 v[22:23], v[28:29], v[22:23]
.LBB12_65:
	s_or_b64 exec, exec, s[4:5]
	v_cmp_gt_u32_e32 vcc, 11, v0
	s_waitcnt lgkmcnt(0)
	; wave barrier
	ds_write_b64 v32, v[24:25]
	s_waitcnt lgkmcnt(0)
	; wave barrier
	s_waitcnt lgkmcnt(0)
	s_and_saveexec_b64 s[4:5], vcc
	s_cbranch_execz .LBB12_69
; %bb.66:
	v_mov_b32_e32 v28, 0x70
	v_lshl_add_u32 v33, v0, 3, v28
	s_mov_b64 s[8:9], 0
	v_pk_mov_b32 v[28:29], 0, 0
	v_pk_mov_b32 v[30:31], v[0:1], v[0:1] op_sel:[0,1]
.LBB12_67:                              ; =>This Inner Loop Header: Depth=1
	v_cmp_eq_u32_e32 vcc, 1, v30
	v_cndmask_b32_e32 v36, v3, v5, vcc
	v_cmp_eq_u32_e64 s[0:1], 2, v30
	v_cndmask_b32_e64 v36, v36, v7, s[0:1]
	v_cndmask_b32_e32 v37, v2, v4, vcc
	v_cmp_eq_u32_e32 vcc, 3, v30
	v_cndmask_b32_e32 v36, v36, v9, vcc
	v_cndmask_b32_e64 v37, v37, v6, s[0:1]
	v_cmp_eq_u32_e64 s[0:1], 4, v30
	v_cndmask_b32_e64 v36, v36, v11, s[0:1]
	v_cndmask_b32_e32 v37, v37, v8, vcc
	v_cmp_eq_u32_e32 vcc, 5, v30
	v_cndmask_b32_e32 v36, v36, v13, vcc
	v_cndmask_b32_e64 v37, v37, v10, s[0:1]
	;; [unrolled: 6-line block ×3, first 2 shown]
	v_cmp_eq_u32_e64 s[0:1], 8, v30
	v_cndmask_b32_e64 v36, v36, v19, s[0:1]
	v_cndmask_b32_e32 v37, v37, v16, vcc
	v_cmp_eq_u32_e32 vcc, 9, v30
	ds_read_b64 v[34:35], v33
	v_cndmask_b32_e32 v36, v36, v21, vcc
	v_cndmask_b32_e64 v37, v37, v18, s[0:1]
	v_cmp_eq_u32_e64 s[0:1], 10, v30
	v_cndmask_b32_e64 v36, v36, v23, s[0:1]
	v_cndmask_b32_e32 v37, v37, v20, vcc
	v_cmp_eq_u32_e32 vcc, 11, v30
	v_cndmask_b32_e32 v36, v36, v25, vcc
	v_cmp_eq_u32_e64 s[2:3], 12, v30
	v_cndmask_b32_e64 v38, v37, v22, s[0:1]
	v_add_co_u32_e64 v30, s[0:1], 1, v30
	v_cndmask_b32_e64 v37, v36, v27, s[2:3]
	v_cndmask_b32_e32 v36, v38, v24, vcc
	v_add_u32_e32 v38, -1, v30
	v_cndmask_b32_e64 v36, v36, v26, s[2:3]
	v_cmp_lt_u32_e32 vcc, 9, v38
	v_add_u32_e32 v33, 8, v33
	v_addc_co_u32_e64 v31, s[0:1], 0, v31, s[0:1]
	s_or_b64 s[8:9], vcc, s[8:9]
	s_waitcnt lgkmcnt(0)
	v_fmac_f64_e32 v[28:29], v[36:37], v[34:35]
	s_andn2_b64 exec, exec, s[8:9]
	s_cbranch_execnz .LBB12_67
; %bb.68:
	s_or_b64 exec, exec, s[8:9]
	v_mov_b32_e32 v24, 0
	ds_read_b64 v[24:25], v24 offset:88
	s_waitcnt lgkmcnt(0)
	v_mul_f64 v[24:25], v[28:29], v[24:25]
.LBB12_69:
	s_or_b64 exec, exec, s[4:5]
	v_cmp_ne_u32_e32 vcc, 12, v0
	s_waitcnt lgkmcnt(0)
	; wave barrier
	ds_write_b64 v32, v[26:27]
	s_waitcnt lgkmcnt(0)
	; wave barrier
	s_waitcnt lgkmcnt(0)
	s_and_saveexec_b64 s[4:5], vcc
	s_cbranch_execz .LBB12_73
; %bb.70:
	v_mov_b32_e32 v28, 0x70
	v_lshl_add_u32 v32, v0, 3, v28
	s_mov_b64 s[8:9], 0
	v_pk_mov_b32 v[28:29], 0, 0
	v_pk_mov_b32 v[30:31], v[0:1], v[0:1] op_sel:[0,1]
.LBB12_71:                              ; =>This Inner Loop Header: Depth=1
	v_cmp_eq_u32_e32 vcc, 1, v30
	v_cndmask_b32_e32 v1, v3, v5, vcc
	v_cmp_eq_u32_e64 s[0:1], 2, v30
	v_cndmask_b32_e64 v1, v1, v7, s[0:1]
	v_cndmask_b32_e32 v33, v2, v4, vcc
	v_cmp_eq_u32_e32 vcc, 3, v30
	v_cndmask_b32_e32 v1, v1, v9, vcc
	v_cndmask_b32_e64 v33, v33, v6, s[0:1]
	v_cmp_eq_u32_e64 s[0:1], 4, v30
	v_cndmask_b32_e64 v1, v1, v11, s[0:1]
	v_cndmask_b32_e32 v33, v33, v8, vcc
	v_cmp_eq_u32_e32 vcc, 5, v30
	v_cndmask_b32_e32 v1, v1, v13, vcc
	v_cndmask_b32_e64 v33, v33, v10, s[0:1]
	;; [unrolled: 6-line block ×3, first 2 shown]
	v_cmp_eq_u32_e64 s[0:1], 8, v30
	v_cndmask_b32_e64 v1, v1, v19, s[0:1]
	v_cndmask_b32_e32 v33, v33, v16, vcc
	v_cmp_eq_u32_e32 vcc, 9, v30
	ds_read_b64 v[34:35], v32
	v_cndmask_b32_e32 v1, v1, v21, vcc
	v_cndmask_b32_e64 v33, v33, v18, s[0:1]
	v_cmp_eq_u32_e64 s[0:1], 10, v30
	v_cndmask_b32_e64 v1, v1, v23, s[0:1]
	v_cndmask_b32_e32 v33, v33, v20, vcc
	v_cmp_eq_u32_e32 vcc, 11, v30
	v_cndmask_b32_e32 v1, v1, v25, vcc
	v_cmp_eq_u32_e64 s[2:3], 12, v30
	v_cndmask_b32_e64 v33, v33, v22, s[0:1]
	v_add_co_u32_e64 v30, s[0:1], 1, v30
	v_cndmask_b32_e64 v37, v1, v27, s[2:3]
	v_cndmask_b32_e32 v1, v33, v24, vcc
	v_add_u32_e32 v33, -1, v30
	v_cndmask_b32_e64 v36, v1, v26, s[2:3]
	v_cmp_lt_u32_e32 vcc, 10, v33
	v_add_u32_e32 v32, 8, v32
	v_addc_co_u32_e64 v31, s[0:1], 0, v31, s[0:1]
	s_or_b64 s[8:9], vcc, s[8:9]
	s_waitcnt lgkmcnt(0)
	v_fmac_f64_e32 v[28:29], v[36:37], v[34:35]
	s_andn2_b64 exec, exec, s[8:9]
	s_cbranch_execnz .LBB12_71
; %bb.72:
	s_or_b64 exec, exec, s[8:9]
	v_mov_b32_e32 v1, 0
	ds_read_b64 v[26:27], v1 offset:96
	s_waitcnt lgkmcnt(0)
	v_mul_f64 v[26:27], v[28:29], v[26:27]
.LBB12_73:
	s_or_b64 exec, exec, s[4:5]
	s_waitcnt lgkmcnt(0)
	; wave barrier
	s_cbranch_execnz .LBB12_15
	s_branch .LBB12_16
.LBB12_74:
	v_mov_b32_e32 v1, 0x70
	v_lshl_add_u32 v1, v0, 3, v1
	v_cmp_eq_u32_e32 vcc, 12, v0
	s_and_saveexec_b64 s[0:1], vcc
	s_cbranch_execz .LBB12_76
; %bb.75:
	v_mov_b32_e32 v50, 0
	v_mov_b32_e32 v28, v2
	;; [unrolled: 1-line block ×26, first 2 shown]
	ds_write_b64 v1, v[24:25]
	v_pk_mov_b32 v[2:3], v[28:29], v[28:29] op_sel:[0,1]
	v_pk_mov_b32 v[4:5], v[30:31], v[30:31] op_sel:[0,1]
	;; [unrolled: 1-line block ×16, first 2 shown]
.LBB12_76:
	s_or_b64 exec, exec, s[0:1]
	v_mov_b32_e32 v48, 0
	s_waitcnt lgkmcnt(0)
	; wave barrier
	s_waitcnt lgkmcnt(0)
	ds_read_b64 v[28:29], v48 offset:208
	v_cmp_lt_u32_e32 vcc, 10, v0
	s_waitcnt lgkmcnt(0)
	v_fma_f64 v[28:29], v[26:27], v[28:29], 0
	v_add_f64 v[24:25], v[24:25], -v[28:29]
	s_and_saveexec_b64 s[0:1], vcc
	s_cbranch_execz .LBB12_78
; %bb.77:
	v_mov_b32_e32 v28, v2
	v_mov_b32_e32 v29, v3
	;; [unrolled: 1-line block ×25, first 2 shown]
	ds_write_b64 v1, v[22:23]
	v_pk_mov_b32 v[2:3], v[28:29], v[28:29] op_sel:[0,1]
	v_pk_mov_b32 v[4:5], v[30:31], v[30:31] op_sel:[0,1]
	;; [unrolled: 1-line block ×16, first 2 shown]
.LBB12_78:
	s_or_b64 exec, exec, s[0:1]
	s_waitcnt lgkmcnt(0)
	; wave barrier
	s_waitcnt lgkmcnt(0)
	ds_read2_b64 v[28:31], v48 offset0:25 offset1:26
	v_cmp_lt_u32_e32 vcc, 9, v0
	s_waitcnt lgkmcnt(0)
	v_fma_f64 v[28:29], v[24:25], v[28:29], 0
	v_fmac_f64_e32 v[28:29], v[26:27], v[30:31]
	v_add_f64 v[22:23], v[22:23], -v[28:29]
	s_and_saveexec_b64 s[0:1], vcc
	s_cbranch_execz .LBB12_80
; %bb.79:
	v_mov_b32_e32 v46, 0
	v_mov_b32_e32 v28, v2
	v_mov_b32_e32 v29, v3
	v_mov_b32_e32 v30, v4
	v_mov_b32_e32 v31, v5
	v_mov_b32_e32 v32, v6
	v_mov_b32_e32 v33, v7
	v_mov_b32_e32 v34, v8
	v_mov_b32_e32 v35, v9
	v_mov_b32_e32 v36, v10
	v_mov_b32_e32 v37, v11
	v_mov_b32_e32 v38, v12
	v_mov_b32_e32 v39, v13
	v_mov_b32_e32 v40, v14
	v_mov_b32_e32 v41, v15
	v_mov_b32_e32 v42, v16
	v_mov_b32_e32 v43, v17
	v_mov_b32_e32 v44, v18
	v_mov_b32_e32 v45, v19
	v_mov_b32_e32 v47, v46
	v_mov_b32_e32 v48, v22
	v_mov_b32_e32 v49, v23
	v_mov_b32_e32 v50, v24
	v_mov_b32_e32 v51, v25
	v_mov_b32_e32 v52, v26
	v_mov_b32_e32 v53, v27
	ds_write_b64 v1, v[20:21]
	v_pk_mov_b32 v[2:3], v[28:29], v[28:29] op_sel:[0,1]
	v_pk_mov_b32 v[4:5], v[30:31], v[30:31] op_sel:[0,1]
	;; [unrolled: 1-line block ×16, first 2 shown]
.LBB12_80:
	s_or_b64 exec, exec, s[0:1]
	v_mov_b32_e32 v44, 0
	s_waitcnt lgkmcnt(0)
	; wave barrier
	s_waitcnt lgkmcnt(0)
	ds_read_b128 v[28:31], v44 offset:192
	ds_read_b64 v[32:33], v44 offset:208
	v_cmp_lt_u32_e32 vcc, 8, v0
	s_waitcnt lgkmcnt(1)
	v_fma_f64 v[28:29], v[22:23], v[28:29], 0
	v_fmac_f64_e32 v[28:29], v[24:25], v[30:31]
	s_waitcnt lgkmcnt(0)
	v_fmac_f64_e32 v[28:29], v[26:27], v[32:33]
	v_add_f64 v[20:21], v[20:21], -v[28:29]
	s_and_saveexec_b64 s[0:1], vcc
	s_cbranch_execz .LBB12_82
; %bb.81:
	v_mov_b32_e32 v28, v2
	v_mov_b32_e32 v29, v3
	;; [unrolled: 1-line block ×25, first 2 shown]
	ds_write_b64 v1, v[18:19]
	v_pk_mov_b32 v[2:3], v[28:29], v[28:29] op_sel:[0,1]
	v_pk_mov_b32 v[4:5], v[30:31], v[30:31] op_sel:[0,1]
	;; [unrolled: 1-line block ×16, first 2 shown]
.LBB12_82:
	s_or_b64 exec, exec, s[0:1]
	s_waitcnt lgkmcnt(0)
	; wave barrier
	s_waitcnt lgkmcnt(0)
	ds_read2_b64 v[28:31], v44 offset0:23 offset1:24
	ds_read2_b64 v[32:35], v44 offset0:25 offset1:26
	v_cmp_lt_u32_e32 vcc, 7, v0
	s_waitcnt lgkmcnt(1)
	v_fma_f64 v[28:29], v[20:21], v[28:29], 0
	v_fmac_f64_e32 v[28:29], v[22:23], v[30:31]
	s_waitcnt lgkmcnt(0)
	v_fmac_f64_e32 v[28:29], v[24:25], v[32:33]
	v_fmac_f64_e32 v[28:29], v[26:27], v[34:35]
	v_add_f64 v[18:19], v[18:19], -v[28:29]
	s_and_saveexec_b64 s[0:1], vcc
	s_cbranch_execz .LBB12_84
; %bb.83:
	v_mov_b32_e32 v42, 0
	v_mov_b32_e32 v28, v2
	;; [unrolled: 1-line block ×26, first 2 shown]
	ds_write_b64 v1, v[16:17]
	v_pk_mov_b32 v[2:3], v[28:29], v[28:29] op_sel:[0,1]
	v_pk_mov_b32 v[4:5], v[30:31], v[30:31] op_sel:[0,1]
	;; [unrolled: 1-line block ×16, first 2 shown]
.LBB12_84:
	s_or_b64 exec, exec, s[0:1]
	v_mov_b32_e32 v40, 0
	s_waitcnt lgkmcnt(0)
	; wave barrier
	s_waitcnt lgkmcnt(0)
	ds_read_b128 v[28:31], v40 offset:176
	ds_read_b128 v[32:35], v40 offset:192
	ds_read_b64 v[36:37], v40 offset:208
	v_cmp_lt_u32_e32 vcc, 6, v0
	s_waitcnt lgkmcnt(2)
	v_fma_f64 v[28:29], v[18:19], v[28:29], 0
	v_fmac_f64_e32 v[28:29], v[20:21], v[30:31]
	s_waitcnt lgkmcnt(1)
	v_fmac_f64_e32 v[28:29], v[22:23], v[32:33]
	v_fmac_f64_e32 v[28:29], v[24:25], v[34:35]
	s_waitcnt lgkmcnt(0)
	v_fmac_f64_e32 v[28:29], v[26:27], v[36:37]
	v_add_f64 v[16:17], v[16:17], -v[28:29]
	s_and_saveexec_b64 s[0:1], vcc
	s_cbranch_execz .LBB12_86
; %bb.85:
	v_mov_b32_e32 v28, v2
	v_mov_b32_e32 v29, v3
	v_mov_b32_e32 v30, v4
	v_mov_b32_e32 v31, v5
	v_mov_b32_e32 v32, v6
	v_mov_b32_e32 v33, v7
	v_mov_b32_e32 v34, v8
	v_mov_b32_e32 v35, v9
	v_mov_b32_e32 v36, v10
	v_mov_b32_e32 v37, v11
	v_mov_b32_e32 v38, v12
	v_mov_b32_e32 v39, v13
	v_mov_b32_e32 v41, v40
	v_mov_b32_e32 v42, v16
	v_mov_b32_e32 v43, v17
	v_mov_b32_e32 v44, v18
	v_mov_b32_e32 v45, v19
	v_mov_b32_e32 v46, v20
	v_mov_b32_e32 v47, v21
	v_mov_b32_e32 v48, v22
	v_mov_b32_e32 v49, v23
	v_mov_b32_e32 v50, v24
	v_mov_b32_e32 v51, v25
	v_mov_b32_e32 v52, v26
	v_mov_b32_e32 v53, v27
	ds_write_b64 v1, v[14:15]
	v_pk_mov_b32 v[2:3], v[28:29], v[28:29] op_sel:[0,1]
	v_pk_mov_b32 v[4:5], v[30:31], v[30:31] op_sel:[0,1]
	;; [unrolled: 1-line block ×16, first 2 shown]
.LBB12_86:
	s_or_b64 exec, exec, s[0:1]
	s_waitcnt lgkmcnt(0)
	; wave barrier
	s_waitcnt lgkmcnt(0)
	ds_read2_b64 v[28:31], v40 offset0:21 offset1:22
	ds_read2_b64 v[32:35], v40 offset0:23 offset1:24
	;; [unrolled: 1-line block ×3, first 2 shown]
	v_cmp_lt_u32_e32 vcc, 5, v0
	s_waitcnt lgkmcnt(2)
	v_fma_f64 v[28:29], v[16:17], v[28:29], 0
	v_fmac_f64_e32 v[28:29], v[18:19], v[30:31]
	s_waitcnt lgkmcnt(1)
	v_fmac_f64_e32 v[28:29], v[20:21], v[32:33]
	v_fmac_f64_e32 v[28:29], v[22:23], v[34:35]
	s_waitcnt lgkmcnt(0)
	v_fmac_f64_e32 v[28:29], v[24:25], v[36:37]
	v_fmac_f64_e32 v[28:29], v[26:27], v[38:39]
	v_add_f64 v[14:15], v[14:15], -v[28:29]
	s_and_saveexec_b64 s[0:1], vcc
	s_cbranch_execz .LBB12_88
; %bb.87:
	v_mov_b32_e32 v38, 0
	v_mov_b32_e32 v28, v2
	;; [unrolled: 1-line block ×26, first 2 shown]
	ds_write_b64 v1, v[12:13]
	v_pk_mov_b32 v[2:3], v[28:29], v[28:29] op_sel:[0,1]
	v_pk_mov_b32 v[4:5], v[30:31], v[30:31] op_sel:[0,1]
	;; [unrolled: 1-line block ×16, first 2 shown]
.LBB12_88:
	s_or_b64 exec, exec, s[0:1]
	v_mov_b32_e32 v36, 0
	s_waitcnt lgkmcnt(0)
	; wave barrier
	s_waitcnt lgkmcnt(0)
	ds_read_b128 v[28:31], v36 offset:160
	ds_read_b128 v[32:35], v36 offset:176
	;; [unrolled: 1-line block ×3, first 2 shown]
	ds_read_b64 v[42:43], v36 offset:208
	v_cmp_lt_u32_e32 vcc, 4, v0
	s_waitcnt lgkmcnt(3)
	v_fma_f64 v[28:29], v[14:15], v[28:29], 0
	v_fmac_f64_e32 v[28:29], v[16:17], v[30:31]
	s_waitcnt lgkmcnt(2)
	v_fmac_f64_e32 v[28:29], v[18:19], v[32:33]
	v_fmac_f64_e32 v[28:29], v[20:21], v[34:35]
	s_waitcnt lgkmcnt(1)
	v_fmac_f64_e32 v[28:29], v[22:23], v[38:39]
	v_fmac_f64_e32 v[28:29], v[24:25], v[40:41]
	s_waitcnt lgkmcnt(0)
	v_fmac_f64_e32 v[28:29], v[26:27], v[42:43]
	v_add_f64 v[12:13], v[12:13], -v[28:29]
	s_and_saveexec_b64 s[0:1], vcc
	s_cbranch_execz .LBB12_90
; %bb.89:
	v_mov_b32_e32 v28, v2
	v_mov_b32_e32 v29, v3
	;; [unrolled: 1-line block ×25, first 2 shown]
	ds_write_b64 v1, v[10:11]
	v_pk_mov_b32 v[2:3], v[28:29], v[28:29] op_sel:[0,1]
	v_pk_mov_b32 v[4:5], v[30:31], v[30:31] op_sel:[0,1]
	;; [unrolled: 1-line block ×16, first 2 shown]
.LBB12_90:
	s_or_b64 exec, exec, s[0:1]
	s_waitcnt lgkmcnt(0)
	; wave barrier
	s_waitcnt lgkmcnt(0)
	ds_read2_b64 v[28:31], v36 offset0:19 offset1:20
	ds_read2_b64 v[32:35], v36 offset0:21 offset1:22
	;; [unrolled: 1-line block ×3, first 2 shown]
	v_cmp_lt_u32_e32 vcc, 3, v0
	s_waitcnt lgkmcnt(2)
	v_fma_f64 v[42:43], v[12:13], v[28:29], 0
	v_fmac_f64_e32 v[42:43], v[14:15], v[30:31]
	ds_read2_b64 v[28:31], v36 offset0:25 offset1:26
	s_waitcnt lgkmcnt(2)
	v_fmac_f64_e32 v[42:43], v[16:17], v[32:33]
	v_fmac_f64_e32 v[42:43], v[18:19], v[34:35]
	s_waitcnt lgkmcnt(1)
	v_fmac_f64_e32 v[42:43], v[20:21], v[38:39]
	v_fmac_f64_e32 v[42:43], v[22:23], v[40:41]
	;; [unrolled: 3-line block ×3, first 2 shown]
	v_add_f64 v[10:11], v[10:11], -v[42:43]
	s_and_saveexec_b64 s[0:1], vcc
	s_cbranch_execz .LBB12_92
; %bb.91:
	v_mov_b32_e32 v34, 0
	v_mov_b32_e32 v28, v2
	;; [unrolled: 1-line block ×28, first 2 shown]
	ds_write_b64 v1, v[2:3]
	v_pk_mov_b32 v[2:3], v[28:29], v[28:29] op_sel:[0,1]
	v_pk_mov_b32 v[4:5], v[30:31], v[30:31] op_sel:[0,1]
	;; [unrolled: 1-line block ×16, first 2 shown]
.LBB12_92:
	s_or_b64 exec, exec, s[0:1]
	v_mov_b32_e32 v34, 0
	s_waitcnt lgkmcnt(0)
	; wave barrier
	s_waitcnt lgkmcnt(0)
	ds_read_b128 v[28:31], v34 offset:144
	ds_read_b128 v[36:39], v34 offset:160
	;; [unrolled: 1-line block ×4, first 2 shown]
	v_cmp_lt_u32_e32 vcc, 2, v0
	s_waitcnt lgkmcnt(3)
	v_fma_f64 v[28:29], v[10:11], v[28:29], 0
	v_fmac_f64_e32 v[28:29], v[12:13], v[30:31]
	s_waitcnt lgkmcnt(2)
	v_fmac_f64_e32 v[28:29], v[14:15], v[36:37]
	v_fmac_f64_e32 v[28:29], v[16:17], v[38:39]
	ds_read_b64 v[30:31], v34 offset:208
	s_waitcnt lgkmcnt(2)
	v_fmac_f64_e32 v[28:29], v[18:19], v[40:41]
	v_fmac_f64_e32 v[28:29], v[20:21], v[42:43]
	s_waitcnt lgkmcnt(1)
	v_fmac_f64_e32 v[28:29], v[22:23], v[44:45]
	v_fmac_f64_e32 v[28:29], v[24:25], v[46:47]
	s_waitcnt lgkmcnt(0)
	v_fmac_f64_e32 v[28:29], v[26:27], v[30:31]
	v_add_f64 v[8:9], v[8:9], -v[28:29]
	s_and_saveexec_b64 s[0:1], vcc
	s_cbranch_execz .LBB12_94
; %bb.93:
	v_mov_b32_e32 v30, v2
	v_mov_b32_e32 v31, v3
	v_mov_b32_e32 v32, v4
	v_mov_b32_e32 v33, v5
	v_mov_b32_e32 v3, v7
	v_mov_b32_e32 v2, v6
	v_mov_b32_e32 v37, v9
	v_mov_b32_e32 v36, v8
	v_mov_b32_e32 v35, v34
	v_mov_b32_e32 v38, v10
	v_mov_b32_e32 v39, v11
	v_mov_b32_e32 v40, v12
	v_mov_b32_e32 v41, v13
	v_mov_b32_e32 v42, v14
	v_mov_b32_e32 v43, v15
	v_mov_b32_e32 v44, v16
	v_mov_b32_e32 v45, v17
	v_mov_b32_e32 v46, v18
	v_mov_b32_e32 v47, v19
	v_mov_b32_e32 v48, v20
	v_mov_b32_e32 v49, v21
	v_mov_b32_e32 v50, v22
	v_mov_b32_e32 v51, v23
	v_mov_b32_e32 v52, v24
	v_mov_b32_e32 v53, v25
	v_mov_b32_e32 v54, v26
	v_mov_b32_e32 v55, v27
	ds_write_b64 v1, v[2:3]
	v_pk_mov_b32 v[2:3], v[30:31], v[30:31] op_sel:[0,1]
	v_pk_mov_b32 v[4:5], v[32:33], v[32:33] op_sel:[0,1]
	;; [unrolled: 1-line block ×16, first 2 shown]
.LBB12_94:
	s_or_b64 exec, exec, s[0:1]
	s_waitcnt lgkmcnt(0)
	; wave barrier
	s_waitcnt lgkmcnt(0)
	ds_read2_b64 v[28:31], v34 offset0:17 offset1:18
	ds_read2_b64 v[36:39], v34 offset0:19 offset1:20
	v_cmp_lt_u32_e32 vcc, 1, v0
	ds_read2_b64 v[40:43], v34 offset0:23 offset1:24
	s_waitcnt lgkmcnt(2)
	v_fma_f64 v[44:45], v[8:9], v[28:29], 0
	v_fmac_f64_e32 v[44:45], v[10:11], v[30:31]
	ds_read2_b64 v[28:31], v34 offset0:21 offset1:22
	s_waitcnt lgkmcnt(2)
	v_fmac_f64_e32 v[44:45], v[12:13], v[36:37]
	v_fmac_f64_e32 v[44:45], v[14:15], v[38:39]
	ds_read2_b64 v[32:35], v34 offset0:25 offset1:26
	s_waitcnt lgkmcnt(1)
	v_fmac_f64_e32 v[44:45], v[16:17], v[28:29]
	v_fmac_f64_e32 v[44:45], v[18:19], v[30:31]
	;; [unrolled: 1-line block ×4, first 2 shown]
	s_waitcnt lgkmcnt(0)
	v_fmac_f64_e32 v[44:45], v[24:25], v[32:33]
	v_fmac_f64_e32 v[44:45], v[26:27], v[34:35]
	v_add_f64 v[6:7], v[6:7], -v[44:45]
	s_and_saveexec_b64 s[0:1], vcc
	s_cbranch_execz .LBB12_96
; %bb.95:
	v_mov_b32_e32 v30, 0
	v_mov_b32_e32 v33, v7
	;; [unrolled: 1-line block ×28, first 2 shown]
	ds_write_b64 v1, v[2:3]
	v_pk_mov_b32 v[2:3], v[28:29], v[28:29] op_sel:[0,1]
	v_pk_mov_b32 v[4:5], v[30:31], v[30:31] op_sel:[0,1]
	;; [unrolled: 1-line block ×16, first 2 shown]
.LBB12_96:
	s_or_b64 exec, exec, s[0:1]
	v_mov_b32_e32 v34, 0
	s_waitcnt lgkmcnt(0)
	; wave barrier
	s_waitcnt lgkmcnt(0)
	ds_read_b128 v[28:31], v34 offset:128
	ds_read_b128 v[36:39], v34 offset:144
	;; [unrolled: 1-line block ×4, first 2 shown]
	v_cmp_ne_u32_e32 vcc, 0, v0
	s_waitcnt lgkmcnt(3)
	v_fma_f64 v[32:33], v[6:7], v[28:29], 0
	v_fmac_f64_e32 v[32:33], v[8:9], v[30:31]
	s_waitcnt lgkmcnt(2)
	v_fmac_f64_e32 v[32:33], v[10:11], v[36:37]
	v_fmac_f64_e32 v[32:33], v[12:13], v[38:39]
	ds_read_b128 v[28:31], v34 offset:192
	ds_read_b64 v[36:37], v34 offset:208
	s_waitcnt lgkmcnt(3)
	v_fmac_f64_e32 v[32:33], v[14:15], v[40:41]
	v_fmac_f64_e32 v[32:33], v[16:17], v[42:43]
	s_waitcnt lgkmcnt(2)
	v_fmac_f64_e32 v[32:33], v[18:19], v[44:45]
	v_fmac_f64_e32 v[32:33], v[20:21], v[46:47]
	;; [unrolled: 3-line block ×3, first 2 shown]
	s_waitcnt lgkmcnt(0)
	v_fmac_f64_e32 v[32:33], v[26:27], v[36:37]
	v_add_f64 v[4:5], v[4:5], -v[32:33]
	s_and_saveexec_b64 s[0:1], vcc
	s_cbranch_execz .LBB12_98
; %bb.97:
	v_mov_b32_e32 v35, v34
	v_mov_b32_e32 v37, v5
	;; [unrolled: 1-line block ×25, first 2 shown]
	ds_write_b64 v1, v[2:3]
	v_pk_mov_b32 v[2:3], v[34:35], v[34:35] op_sel:[0,1]
	v_pk_mov_b32 v[4:5], v[36:37], v[36:37] op_sel:[0,1]
	;; [unrolled: 1-line block ×16, first 2 shown]
.LBB12_98:
	s_or_b64 exec, exec, s[0:1]
	s_waitcnt lgkmcnt(0)
	; wave barrier
	s_waitcnt lgkmcnt(0)
	ds_read2_b64 v[28:31], v34 offset0:15 offset1:16
	ds_read2_b64 v[36:39], v34 offset0:17 offset1:18
	;; [unrolled: 1-line block ×3, first 2 shown]
	s_and_b64 vcc, exec, s[40:41]
	s_waitcnt lgkmcnt(2)
	v_fma_f64 v[0:1], v[4:5], v[28:29], 0
	v_fmac_f64_e32 v[0:1], v[6:7], v[30:31]
	ds_read2_b64 v[28:31], v34 offset0:21 offset1:22
	s_waitcnt lgkmcnt(2)
	v_fmac_f64_e32 v[0:1], v[8:9], v[36:37]
	v_fmac_f64_e32 v[0:1], v[10:11], v[38:39]
	ds_read2_b64 v[36:39], v34 offset0:23 offset1:24
	s_waitcnt lgkmcnt(2)
	v_fmac_f64_e32 v[0:1], v[12:13], v[40:41]
	;; [unrolled: 4-line block ×3, first 2 shown]
	v_fmac_f64_e32 v[0:1], v[18:19], v[30:31]
	s_waitcnt lgkmcnt(1)
	v_fmac_f64_e32 v[0:1], v[20:21], v[36:37]
	v_fmac_f64_e32 v[0:1], v[22:23], v[38:39]
	s_waitcnt lgkmcnt(0)
	v_fmac_f64_e32 v[0:1], v[24:25], v[32:33]
	v_fmac_f64_e32 v[0:1], v[26:27], v[34:35]
	v_add_f64 v[2:3], v[2:3], -v[0:1]
	s_cbranch_vccz .LBB12_124
; %bb.99:
	v_pk_mov_b32 v[0:1], s[34:35], s[34:35] op_sel:[0,1]
	flat_load_dword v0, v[0:1] offset:44
	s_waitcnt vmcnt(0) lgkmcnt(0)
	v_add_u32_e32 v0, -1, v0
	v_cmp_ne_u32_e32 vcc, 11, v0
	s_and_saveexec_b64 s[22:23], vcc
	s_cbranch_execz .LBB12_101
; %bb.100:
	v_cmp_eq_u32_e32 vcc, 1, v0
	v_cndmask_b32_e32 v1, v2, v4, vcc
	v_cmp_eq_u32_e64 s[0:1], 2, v0
	v_cndmask_b32_e32 v28, v3, v5, vcc
	v_cndmask_b32_e64 v1, v1, v6, s[0:1]
	v_cmp_eq_u32_e64 s[2:3], 3, v0
	v_cndmask_b32_e64 v28, v28, v7, s[0:1]
	v_cndmask_b32_e64 v1, v1, v8, s[2:3]
	v_cmp_eq_u32_e64 s[4:5], 4, v0
	v_cndmask_b32_e64 v28, v28, v9, s[2:3]
	;; [unrolled: 3-line block ×10, first 2 shown]
	v_cndmask_b32_e64 v1, v1, v26, s[20:21]
	v_cndmask_b32_e64 v28, v28, v27, s[20:21]
	;; [unrolled: 1-line block ×4, first 2 shown]
	v_cndmask_b32_e32 v27, v5, v25, vcc
	v_cndmask_b32_e32 v26, v4, v24, vcc
	v_cmp_eq_u32_e32 vcc, 0, v0
	v_cndmask_b32_e64 v47, v28, v25, s[18:19]
	v_cndmask_b32_e64 v46, v1, v24, s[18:19]
	v_cndmask_b32_e64 v45, v23, v25, s[16:17]
	v_cndmask_b32_e64 v44, v22, v24, s[16:17]
	v_cndmask_b32_e64 v43, v21, v25, s[14:15]
	v_cndmask_b32_e64 v42, v20, v24, s[14:15]
	v_cndmask_b32_e64 v41, v19, v25, s[12:13]
	v_cndmask_b32_e64 v40, v18, v24, s[12:13]
	v_cndmask_b32_e64 v39, v17, v25, s[10:11]
	v_cndmask_b32_e64 v38, v16, v24, s[10:11]
	v_cndmask_b32_e64 v37, v15, v25, s[8:9]
	v_cndmask_b32_e64 v36, v14, v24, s[8:9]
	v_cndmask_b32_e64 v35, v13, v25, s[6:7]
	v_cndmask_b32_e64 v34, v12, v24, s[6:7]
	v_cndmask_b32_e64 v33, v11, v25, s[4:5]
	v_cndmask_b32_e64 v32, v10, v24, s[4:5]
	v_cndmask_b32_e64 v31, v9, v25, s[2:3]
	v_cndmask_b32_e64 v30, v8, v24, s[2:3]
	v_cndmask_b32_e64 v29, v7, v25, s[0:1]
	v_cndmask_b32_e64 v28, v6, v24, s[0:1]
	v_cndmask_b32_e32 v25, v3, v25, vcc
	v_cndmask_b32_e32 v24, v2, v24, vcc
	v_pk_mov_b32 v[2:3], v[24:25], v[24:25] op_sel:[0,1]
	v_pk_mov_b32 v[4:5], v[26:27], v[26:27] op_sel:[0,1]
	;; [unrolled: 1-line block ×16, first 2 shown]
.LBB12_101:
	s_or_b64 exec, exec, s[22:23]
	v_pk_mov_b32 v[0:1], s[34:35], s[34:35] op_sel:[0,1]
	flat_load_dword v0, v[0:1] offset:40
	s_waitcnt vmcnt(0) lgkmcnt(0)
	v_add_u32_e32 v0, -1, v0
	v_cmp_ne_u32_e32 vcc, 10, v0
	s_and_saveexec_b64 s[22:23], vcc
	s_cbranch_execz .LBB12_103
; %bb.102:
	v_cmp_eq_u32_e32 vcc, 1, v0
	v_cndmask_b32_e32 v1, v2, v4, vcc
	v_cmp_eq_u32_e64 s[0:1], 2, v0
	v_cndmask_b32_e32 v28, v3, v5, vcc
	v_cndmask_b32_e64 v1, v1, v6, s[0:1]
	v_cmp_eq_u32_e64 s[2:3], 3, v0
	v_cndmask_b32_e64 v28, v28, v7, s[0:1]
	v_cndmask_b32_e64 v1, v1, v8, s[2:3]
	v_cmp_eq_u32_e64 s[4:5], 4, v0
	v_cndmask_b32_e64 v28, v28, v9, s[2:3]
	;; [unrolled: 3-line block ×10, first 2 shown]
	v_cndmask_b32_e64 v1, v1, v26, s[20:21]
	v_cndmask_b32_e64 v28, v28, v27, s[20:21]
	;; [unrolled: 1-line block ×4, first 2 shown]
	v_cndmask_b32_e32 v25, v5, v23, vcc
	v_cndmask_b32_e32 v24, v4, v22, vcc
	v_cmp_eq_u32_e32 vcc, 0, v0
	v_cndmask_b32_e64 v43, v28, v23, s[16:17]
	v_cndmask_b32_e64 v42, v1, v22, s[16:17]
	v_cndmask_b32_e64 v47, v27, v23, s[20:21]
	v_cndmask_b32_e64 v46, v26, v22, s[20:21]
	v_cndmask_b32_e64 v41, v21, v23, s[14:15]
	v_cndmask_b32_e64 v40, v20, v22, s[14:15]
	v_cndmask_b32_e64 v39, v19, v23, s[12:13]
	v_cndmask_b32_e64 v38, v18, v22, s[12:13]
	v_cndmask_b32_e64 v37, v17, v23, s[10:11]
	v_cndmask_b32_e64 v36, v16, v22, s[10:11]
	v_cndmask_b32_e64 v35, v15, v23, s[8:9]
	v_cndmask_b32_e64 v34, v14, v22, s[8:9]
	v_cndmask_b32_e64 v33, v13, v23, s[6:7]
	v_cndmask_b32_e64 v32, v12, v22, s[6:7]
	v_cndmask_b32_e64 v31, v11, v23, s[4:5]
	v_cndmask_b32_e64 v30, v10, v22, s[4:5]
	v_cndmask_b32_e64 v29, v9, v23, s[2:3]
	v_cndmask_b32_e64 v28, v8, v22, s[2:3]
	v_cndmask_b32_e64 v27, v7, v23, s[0:1]
	v_cndmask_b32_e64 v26, v6, v22, s[0:1]
	v_cndmask_b32_e32 v23, v3, v23, vcc
	v_cndmask_b32_e32 v22, v2, v22, vcc
	v_pk_mov_b32 v[2:3], v[22:23], v[22:23] op_sel:[0,1]
	v_pk_mov_b32 v[4:5], v[24:25], v[24:25] op_sel:[0,1]
	v_pk_mov_b32 v[6:7], v[26:27], v[26:27] op_sel:[0,1]
	v_pk_mov_b32 v[8:9], v[28:29], v[28:29] op_sel:[0,1]
	v_pk_mov_b32 v[10:11], v[30:31], v[30:31] op_sel:[0,1]
	v_pk_mov_b32 v[12:13], v[32:33], v[32:33] op_sel:[0,1]
	v_pk_mov_b32 v[14:15], v[34:35], v[34:35] op_sel:[0,1]
	v_pk_mov_b32 v[16:17], v[36:37], v[36:37] op_sel:[0,1]
	v_pk_mov_b32 v[18:19], v[38:39], v[38:39] op_sel:[0,1]
	v_pk_mov_b32 v[20:21], v[40:41], v[40:41] op_sel:[0,1]
	v_pk_mov_b32 v[22:23], v[42:43], v[42:43] op_sel:[0,1]
	v_pk_mov_b32 v[24:25], v[44:45], v[44:45] op_sel:[0,1]
	v_pk_mov_b32 v[26:27], v[46:47], v[46:47] op_sel:[0,1]
	v_pk_mov_b32 v[28:29], v[48:49], v[48:49] op_sel:[0,1]
	v_pk_mov_b32 v[30:31], v[50:51], v[50:51] op_sel:[0,1]
	v_pk_mov_b32 v[32:33], v[52:53], v[52:53] op_sel:[0,1]
.LBB12_103:
	s_or_b64 exec, exec, s[22:23]
	v_pk_mov_b32 v[0:1], s[34:35], s[34:35] op_sel:[0,1]
	flat_load_dword v0, v[0:1] offset:36
	s_waitcnt vmcnt(0) lgkmcnt(0)
	v_add_u32_e32 v0, -1, v0
	v_cmp_ne_u32_e32 vcc, 9, v0
	s_and_saveexec_b64 s[22:23], vcc
	s_cbranch_execz .LBB12_105
; %bb.104:
	v_cmp_eq_u32_e32 vcc, 1, v0
	v_cndmask_b32_e32 v1, v2, v4, vcc
	v_cmp_eq_u32_e64 s[0:1], 2, v0
	v_cndmask_b32_e32 v28, v3, v5, vcc
	v_cndmask_b32_e64 v1, v1, v6, s[0:1]
	v_cmp_eq_u32_e64 s[2:3], 3, v0
	v_cndmask_b32_e64 v28, v28, v7, s[0:1]
	v_cndmask_b32_e64 v1, v1, v8, s[2:3]
	v_cmp_eq_u32_e64 s[4:5], 4, v0
	v_cndmask_b32_e64 v28, v28, v9, s[2:3]
	;; [unrolled: 3-line block ×10, first 2 shown]
	v_cndmask_b32_e64 v1, v1, v26, s[20:21]
	v_cndmask_b32_e64 v28, v28, v27, s[20:21]
	;; [unrolled: 1-line block ×4, first 2 shown]
	v_cndmask_b32_e32 v23, v5, v21, vcc
	v_cndmask_b32_e32 v22, v4, v20, vcc
	v_cmp_eq_u32_e32 vcc, 0, v0
	v_cndmask_b32_e64 v39, v28, v21, s[14:15]
	v_cndmask_b32_e64 v38, v1, v20, s[14:15]
	;; [unrolled: 1-line block ×20, first 2 shown]
	v_cndmask_b32_e32 v21, v3, v21, vcc
	v_cndmask_b32_e32 v20, v2, v20, vcc
	v_pk_mov_b32 v[2:3], v[20:21], v[20:21] op_sel:[0,1]
	v_pk_mov_b32 v[4:5], v[22:23], v[22:23] op_sel:[0,1]
	;; [unrolled: 1-line block ×16, first 2 shown]
.LBB12_105:
	s_or_b64 exec, exec, s[22:23]
	v_pk_mov_b32 v[0:1], s[34:35], s[34:35] op_sel:[0,1]
	flat_load_dword v0, v[0:1] offset:32
	s_waitcnt vmcnt(0) lgkmcnt(0)
	v_add_u32_e32 v0, -1, v0
	v_cmp_ne_u32_e32 vcc, 8, v0
	s_and_saveexec_b64 s[22:23], vcc
	s_cbranch_execz .LBB12_107
; %bb.106:
	v_cmp_eq_u32_e32 vcc, 1, v0
	v_cndmask_b32_e32 v1, v2, v4, vcc
	v_cmp_eq_u32_e64 s[0:1], 2, v0
	v_cndmask_b32_e32 v28, v3, v5, vcc
	v_cndmask_b32_e64 v1, v1, v6, s[0:1]
	v_cmp_eq_u32_e64 s[2:3], 3, v0
	v_cndmask_b32_e64 v28, v28, v7, s[0:1]
	v_cndmask_b32_e64 v1, v1, v8, s[2:3]
	v_cmp_eq_u32_e64 s[4:5], 4, v0
	v_cndmask_b32_e64 v28, v28, v9, s[2:3]
	;; [unrolled: 3-line block ×10, first 2 shown]
	v_cndmask_b32_e64 v1, v1, v26, s[20:21]
	v_cndmask_b32_e64 v28, v28, v27, s[20:21]
	;; [unrolled: 1-line block ×4, first 2 shown]
	v_cndmask_b32_e32 v21, v5, v19, vcc
	v_cndmask_b32_e32 v20, v4, v18, vcc
	v_cmp_eq_u32_e32 vcc, 0, v0
	v_cndmask_b32_e64 v35, v28, v19, s[12:13]
	v_cndmask_b32_e64 v34, v1, v18, s[12:13]
	;; [unrolled: 1-line block ×20, first 2 shown]
	v_cndmask_b32_e32 v19, v3, v19, vcc
	v_cndmask_b32_e32 v18, v2, v18, vcc
	v_pk_mov_b32 v[2:3], v[18:19], v[18:19] op_sel:[0,1]
	v_pk_mov_b32 v[4:5], v[20:21], v[20:21] op_sel:[0,1]
	;; [unrolled: 1-line block ×16, first 2 shown]
.LBB12_107:
	s_or_b64 exec, exec, s[22:23]
	v_pk_mov_b32 v[0:1], s[34:35], s[34:35] op_sel:[0,1]
	flat_load_dword v0, v[0:1] offset:28
	s_waitcnt vmcnt(0) lgkmcnt(0)
	v_add_u32_e32 v0, -1, v0
	v_cmp_ne_u32_e32 vcc, 7, v0
	s_and_saveexec_b64 s[22:23], vcc
	s_cbranch_execz .LBB12_109
; %bb.108:
	v_cmp_eq_u32_e32 vcc, 1, v0
	v_cndmask_b32_e32 v1, v2, v4, vcc
	v_cmp_eq_u32_e64 s[0:1], 2, v0
	v_cndmask_b32_e32 v28, v3, v5, vcc
	v_cndmask_b32_e64 v1, v1, v6, s[0:1]
	v_cmp_eq_u32_e64 s[2:3], 3, v0
	v_cndmask_b32_e64 v28, v28, v7, s[0:1]
	v_cndmask_b32_e64 v1, v1, v8, s[2:3]
	v_cmp_eq_u32_e64 s[4:5], 4, v0
	v_cndmask_b32_e64 v28, v28, v9, s[2:3]
	;; [unrolled: 3-line block ×10, first 2 shown]
	v_cndmask_b32_e64 v1, v1, v26, s[20:21]
	v_cndmask_b32_e64 v28, v28, v27, s[20:21]
	;; [unrolled: 1-line block ×4, first 2 shown]
	v_cndmask_b32_e32 v19, v5, v17, vcc
	v_cndmask_b32_e32 v18, v4, v16, vcc
	v_cmp_eq_u32_e32 vcc, 0, v0
	v_cndmask_b32_e64 v31, v28, v17, s[10:11]
	v_cndmask_b32_e64 v30, v1, v16, s[10:11]
	;; [unrolled: 1-line block ×20, first 2 shown]
	v_cndmask_b32_e32 v17, v3, v17, vcc
	v_cndmask_b32_e32 v16, v2, v16, vcc
	v_pk_mov_b32 v[2:3], v[16:17], v[16:17] op_sel:[0,1]
	v_pk_mov_b32 v[4:5], v[18:19], v[18:19] op_sel:[0,1]
	;; [unrolled: 1-line block ×16, first 2 shown]
.LBB12_109:
	s_or_b64 exec, exec, s[22:23]
	v_pk_mov_b32 v[0:1], s[34:35], s[34:35] op_sel:[0,1]
	flat_load_dword v0, v[0:1] offset:24
	s_waitcnt vmcnt(0) lgkmcnt(0)
	v_add_u32_e32 v0, -1, v0
	v_cmp_ne_u32_e32 vcc, 6, v0
	s_and_saveexec_b64 s[22:23], vcc
	s_cbranch_execz .LBB12_111
; %bb.110:
	v_cmp_eq_u32_e32 vcc, 1, v0
	v_cndmask_b32_e32 v1, v2, v4, vcc
	v_cmp_eq_u32_e64 s[0:1], 2, v0
	v_cndmask_b32_e32 v28, v3, v5, vcc
	v_cndmask_b32_e64 v1, v1, v6, s[0:1]
	v_cmp_eq_u32_e64 s[2:3], 3, v0
	v_cndmask_b32_e64 v28, v28, v7, s[0:1]
	v_cndmask_b32_e64 v1, v1, v8, s[2:3]
	v_cmp_eq_u32_e64 s[4:5], 4, v0
	v_cndmask_b32_e64 v28, v28, v9, s[2:3]
	;; [unrolled: 3-line block ×10, first 2 shown]
	v_cndmask_b32_e64 v1, v1, v26, s[20:21]
	v_cndmask_b32_e64 v28, v28, v27, s[20:21]
	;; [unrolled: 1-line block ×4, first 2 shown]
	v_cndmask_b32_e32 v19, v5, v15, vcc
	v_cndmask_b32_e32 v18, v4, v14, vcc
	v_cmp_eq_u32_e32 vcc, 0, v0
	v_cndmask_b32_e64 v29, v28, v15, s[8:9]
	v_cndmask_b32_e64 v28, v1, v14, s[8:9]
	;; [unrolled: 1-line block ×20, first 2 shown]
	v_cndmask_b32_e32 v17, v3, v15, vcc
	v_cndmask_b32_e32 v16, v2, v14, vcc
	v_pk_mov_b32 v[2:3], v[16:17], v[16:17] op_sel:[0,1]
	v_pk_mov_b32 v[4:5], v[18:19], v[18:19] op_sel:[0,1]
	;; [unrolled: 1-line block ×16, first 2 shown]
.LBB12_111:
	s_or_b64 exec, exec, s[22:23]
	v_pk_mov_b32 v[0:1], s[34:35], s[34:35] op_sel:[0,1]
	flat_load_dword v0, v[0:1] offset:20
	s_waitcnt vmcnt(0) lgkmcnt(0)
	v_add_u32_e32 v0, -1, v0
	v_cmp_ne_u32_e32 vcc, 5, v0
	s_and_saveexec_b64 s[22:23], vcc
	s_cbranch_execz .LBB12_113
; %bb.112:
	v_cmp_eq_u32_e32 vcc, 1, v0
	v_cndmask_b32_e32 v1, v2, v4, vcc
	v_cmp_eq_u32_e64 s[0:1], 2, v0
	v_cndmask_b32_e32 v28, v3, v5, vcc
	v_cndmask_b32_e64 v1, v1, v6, s[0:1]
	v_cmp_eq_u32_e64 s[2:3], 3, v0
	v_cndmask_b32_e64 v28, v28, v7, s[0:1]
	v_cndmask_b32_e64 v1, v1, v8, s[2:3]
	v_cmp_eq_u32_e64 s[4:5], 4, v0
	v_cndmask_b32_e64 v28, v28, v9, s[2:3]
	;; [unrolled: 3-line block ×10, first 2 shown]
	v_cndmask_b32_e64 v1, v1, v26, s[20:21]
	v_cndmask_b32_e64 v28, v28, v27, s[20:21]
	;; [unrolled: 1-line block ×4, first 2 shown]
	v_cndmask_b32_e32 v21, v5, v13, vcc
	v_cndmask_b32_e32 v20, v4, v12, vcc
	v_cmp_eq_u32_e32 vcc, 0, v0
	v_cndmask_b32_e64 v29, v28, v13, s[6:7]
	v_cndmask_b32_e64 v28, v1, v12, s[6:7]
	;; [unrolled: 1-line block ×20, first 2 shown]
	v_cndmask_b32_e32 v19, v3, v13, vcc
	v_cndmask_b32_e32 v18, v2, v12, vcc
	v_pk_mov_b32 v[2:3], v[18:19], v[18:19] op_sel:[0,1]
	v_pk_mov_b32 v[4:5], v[20:21], v[20:21] op_sel:[0,1]
	;; [unrolled: 1-line block ×16, first 2 shown]
.LBB12_113:
	s_or_b64 exec, exec, s[22:23]
	v_pk_mov_b32 v[0:1], s[34:35], s[34:35] op_sel:[0,1]
	flat_load_dword v0, v[0:1] offset:16
	s_waitcnt vmcnt(0) lgkmcnt(0)
	v_add_u32_e32 v0, -1, v0
	v_cmp_ne_u32_e32 vcc, 4, v0
	s_and_saveexec_b64 s[22:23], vcc
	s_cbranch_execz .LBB12_115
; %bb.114:
	v_cmp_eq_u32_e32 vcc, 1, v0
	v_cndmask_b32_e32 v1, v2, v4, vcc
	v_cmp_eq_u32_e64 s[0:1], 2, v0
	v_cndmask_b32_e32 v28, v3, v5, vcc
	v_cndmask_b32_e64 v1, v1, v6, s[0:1]
	v_cmp_eq_u32_e64 s[2:3], 3, v0
	v_cndmask_b32_e64 v28, v28, v7, s[0:1]
	v_cndmask_b32_e64 v1, v1, v8, s[2:3]
	v_cmp_eq_u32_e64 s[4:5], 4, v0
	v_cndmask_b32_e64 v28, v28, v9, s[2:3]
	v_cndmask_b32_e64 v1, v1, v10, s[4:5]
	v_cmp_eq_u32_e64 s[6:7], 5, v0
	v_cndmask_b32_e64 v28, v28, v11, s[4:5]
	v_cndmask_b32_e64 v1, v1, v12, s[6:7]
	v_cmp_eq_u32_e64 s[8:9], 6, v0
	v_cndmask_b32_e64 v28, v28, v13, s[6:7]
	v_cndmask_b32_e64 v1, v1, v14, s[8:9]
	v_cmp_eq_u32_e64 s[10:11], 7, v0
	v_cndmask_b32_e64 v28, v28, v15, s[8:9]
	v_cndmask_b32_e64 v1, v1, v16, s[10:11]
	v_cmp_eq_u32_e64 s[12:13], 8, v0
	v_cndmask_b32_e64 v28, v28, v17, s[10:11]
	v_cndmask_b32_e64 v1, v1, v18, s[12:13]
	v_cmp_eq_u32_e64 s[14:15], 9, v0
	v_cndmask_b32_e64 v28, v28, v19, s[12:13]
	v_cndmask_b32_e64 v1, v1, v20, s[14:15]
	v_cmp_eq_u32_e64 s[16:17], 10, v0
	v_cndmask_b32_e64 v28, v28, v21, s[14:15]
	v_cndmask_b32_e64 v1, v1, v22, s[16:17]
	v_cmp_eq_u32_e64 s[18:19], 11, v0
	v_cndmask_b32_e64 v28, v28, v23, s[16:17]
	v_cndmask_b32_e64 v1, v1, v24, s[18:19]
	v_cmp_eq_u32_e64 s[20:21], 12, v0
	v_cndmask_b32_e64 v28, v28, v25, s[18:19]
	v_cndmask_b32_e64 v1, v1, v26, s[20:21]
	v_cndmask_b32_e64 v28, v28, v27, s[20:21]
	;; [unrolled: 1-line block ×4, first 2 shown]
	v_cndmask_b32_e32 v23, v5, v11, vcc
	v_cndmask_b32_e32 v22, v4, v10, vcc
	v_cmp_eq_u32_e32 vcc, 0, v0
	v_cndmask_b32_e64 v29, v28, v11, s[4:5]
	v_cndmask_b32_e64 v28, v1, v10, s[4:5]
	;; [unrolled: 1-line block ×16, first 2 shown]
	v_cndmask_b32_e32 v21, v3, v11, vcc
	v_cndmask_b32_e32 v20, v2, v10, vcc
	v_cndmask_b32_e64 v37, v19, v11, s[12:13]
	v_cndmask_b32_e64 v36, v18, v10, s[12:13]
	;; [unrolled: 1-line block ×4, first 2 shown]
	v_pk_mov_b32 v[2:3], v[20:21], v[20:21] op_sel:[0,1]
	v_pk_mov_b32 v[4:5], v[22:23], v[22:23] op_sel:[0,1]
	;; [unrolled: 1-line block ×16, first 2 shown]
.LBB12_115:
	s_or_b64 exec, exec, s[22:23]
	v_pk_mov_b32 v[0:1], s[34:35], s[34:35] op_sel:[0,1]
	flat_load_dword v0, v[0:1] offset:12
	s_waitcnt vmcnt(0) lgkmcnt(0)
	v_add_u32_e32 v0, -1, v0
	v_cmp_ne_u32_e32 vcc, 3, v0
	s_and_saveexec_b64 s[22:23], vcc
	s_cbranch_execz .LBB12_117
; %bb.116:
	v_cmp_eq_u32_e32 vcc, 1, v0
	v_cndmask_b32_e32 v1, v2, v4, vcc
	v_cmp_eq_u32_e64 s[0:1], 2, v0
	v_cndmask_b32_e32 v28, v3, v5, vcc
	v_cndmask_b32_e64 v1, v1, v6, s[0:1]
	v_cmp_eq_u32_e64 s[2:3], 3, v0
	v_cndmask_b32_e64 v28, v28, v7, s[0:1]
	v_cndmask_b32_e64 v1, v1, v8, s[2:3]
	v_cmp_eq_u32_e64 s[4:5], 4, v0
	v_cndmask_b32_e64 v28, v28, v9, s[2:3]
	;; [unrolled: 3-line block ×10, first 2 shown]
	v_cndmask_b32_e64 v1, v1, v26, s[20:21]
	v_cndmask_b32_e64 v28, v28, v27, s[20:21]
	;; [unrolled: 1-line block ×4, first 2 shown]
	v_cndmask_b32_e32 v25, v5, v9, vcc
	v_cndmask_b32_e32 v24, v4, v8, vcc
	v_cmp_eq_u32_e32 vcc, 0, v0
	v_cndmask_b32_e64 v29, v28, v9, s[2:3]
	v_cndmask_b32_e64 v28, v1, v8, s[2:3]
	;; [unrolled: 1-line block ×12, first 2 shown]
	v_cndmask_b32_e32 v23, v3, v9, vcc
	v_cndmask_b32_e32 v22, v2, v8, vcc
	v_cndmask_b32_e64 v41, v21, v9, s[14:15]
	v_cndmask_b32_e64 v40, v20, v8, s[14:15]
	;; [unrolled: 1-line block ×8, first 2 shown]
	v_pk_mov_b32 v[2:3], v[22:23], v[22:23] op_sel:[0,1]
	v_pk_mov_b32 v[4:5], v[24:25], v[24:25] op_sel:[0,1]
	v_pk_mov_b32 v[6:7], v[26:27], v[26:27] op_sel:[0,1]
	v_pk_mov_b32 v[8:9], v[28:29], v[28:29] op_sel:[0,1]
	v_pk_mov_b32 v[10:11], v[30:31], v[30:31] op_sel:[0,1]
	v_pk_mov_b32 v[12:13], v[32:33], v[32:33] op_sel:[0,1]
	v_pk_mov_b32 v[14:15], v[34:35], v[34:35] op_sel:[0,1]
	v_pk_mov_b32 v[16:17], v[36:37], v[36:37] op_sel:[0,1]
	v_pk_mov_b32 v[18:19], v[38:39], v[38:39] op_sel:[0,1]
	v_pk_mov_b32 v[20:21], v[40:41], v[40:41] op_sel:[0,1]
	v_pk_mov_b32 v[22:23], v[42:43], v[42:43] op_sel:[0,1]
	v_pk_mov_b32 v[24:25], v[44:45], v[44:45] op_sel:[0,1]
	v_pk_mov_b32 v[26:27], v[46:47], v[46:47] op_sel:[0,1]
	v_pk_mov_b32 v[28:29], v[48:49], v[48:49] op_sel:[0,1]
	v_pk_mov_b32 v[30:31], v[50:51], v[50:51] op_sel:[0,1]
	v_pk_mov_b32 v[32:33], v[52:53], v[52:53] op_sel:[0,1]
.LBB12_117:
	s_or_b64 exec, exec, s[22:23]
	v_pk_mov_b32 v[0:1], s[34:35], s[34:35] op_sel:[0,1]
	flat_load_dword v0, v[0:1] offset:8
	s_waitcnt vmcnt(0) lgkmcnt(0)
	v_add_u32_e32 v0, -1, v0
	v_cmp_ne_u32_e32 vcc, 2, v0
	s_and_saveexec_b64 s[22:23], vcc
	s_cbranch_execz .LBB12_119
; %bb.118:
	v_cmp_eq_u32_e32 vcc, 1, v0
	v_cndmask_b32_e32 v1, v2, v4, vcc
	v_cmp_eq_u32_e64 s[0:1], 2, v0
	v_cndmask_b32_e32 v28, v3, v5, vcc
	v_cndmask_b32_e64 v1, v1, v6, s[0:1]
	v_cmp_eq_u32_e64 s[2:3], 3, v0
	v_cndmask_b32_e64 v28, v28, v7, s[0:1]
	v_cndmask_b32_e64 v1, v1, v8, s[2:3]
	v_cmp_eq_u32_e64 s[4:5], 4, v0
	v_cndmask_b32_e64 v28, v28, v9, s[2:3]
	;; [unrolled: 3-line block ×10, first 2 shown]
	v_cndmask_b32_e64 v1, v1, v26, s[20:21]
	v_cndmask_b32_e64 v28, v28, v27, s[20:21]
	;; [unrolled: 1-line block ×4, first 2 shown]
	v_cndmask_b32_e32 v27, v5, v7, vcc
	v_cndmask_b32_e32 v26, v4, v6, vcc
	v_cmp_eq_u32_e32 vcc, 0, v0
	v_cndmask_b32_e64 v29, v28, v7, s[0:1]
	v_cndmask_b32_e64 v28, v1, v6, s[0:1]
	;; [unrolled: 1-line block ×8, first 2 shown]
	v_cndmask_b32_e32 v25, v3, v7, vcc
	v_cndmask_b32_e32 v24, v2, v6, vcc
	v_cndmask_b32_e64 v45, v23, v7, s[16:17]
	v_cndmask_b32_e64 v44, v22, v6, s[16:17]
	;; [unrolled: 1-line block ×12, first 2 shown]
	v_pk_mov_b32 v[2:3], v[24:25], v[24:25] op_sel:[0,1]
	v_pk_mov_b32 v[4:5], v[26:27], v[26:27] op_sel:[0,1]
	;; [unrolled: 1-line block ×16, first 2 shown]
.LBB12_119:
	s_or_b64 exec, exec, s[22:23]
	v_pk_mov_b32 v[0:1], s[34:35], s[34:35] op_sel:[0,1]
	flat_load_dword v0, v[0:1] offset:4
	s_waitcnt vmcnt(0) lgkmcnt(0)
	v_add_u32_e32 v0, -1, v0
	v_cmp_ne_u32_e32 vcc, 1, v0
	s_and_saveexec_b64 s[22:23], vcc
	s_cbranch_execz .LBB12_121
; %bb.120:
	v_cmp_eq_u32_e32 vcc, 1, v0
	v_cndmask_b32_e32 v1, v2, v4, vcc
	v_cmp_eq_u32_e64 s[0:1], 2, v0
	v_cndmask_b32_e32 v28, v3, v5, vcc
	v_cndmask_b32_e64 v1, v1, v6, s[0:1]
	v_cmp_eq_u32_e64 s[2:3], 3, v0
	v_cndmask_b32_e64 v28, v28, v7, s[0:1]
	v_cndmask_b32_e64 v1, v1, v8, s[2:3]
	v_cmp_eq_u32_e64 s[4:5], 4, v0
	v_cndmask_b32_e64 v28, v28, v9, s[2:3]
	;; [unrolled: 3-line block ×10, first 2 shown]
	v_cndmask_b32_e64 v1, v1, v26, s[20:21]
	v_cndmask_b32_e64 v28, v28, v27, s[20:21]
	v_cndmask_b32_e32 v29, v28, v5, vcc
	v_cndmask_b32_e32 v28, v1, v4, vcc
	v_cmp_eq_u32_e32 vcc, 0, v0
	v_cndmask_b32_e64 v51, v27, v5, s[20:21]
	v_cndmask_b32_e64 v50, v26, v4, s[20:21]
	;; [unrolled: 1-line block ×6, first 2 shown]
	v_cndmask_b32_e32 v27, v3, v5, vcc
	v_cndmask_b32_e32 v26, v2, v4, vcc
	v_cndmask_b32_e64 v49, v25, v5, s[18:19]
	v_cndmask_b32_e64 v48, v24, v4, s[18:19]
	v_cndmask_b32_e64 v47, v23, v5, s[16:17]
	v_cndmask_b32_e64 v46, v22, v4, s[16:17]
	v_cndmask_b32_e64 v45, v21, v5, s[14:15]
	v_cndmask_b32_e64 v44, v20, v4, s[14:15]
	v_cndmask_b32_e64 v43, v19, v5, s[12:13]
	v_cndmask_b32_e64 v42, v18, v4, s[12:13]
	v_cndmask_b32_e64 v41, v17, v5, s[10:11]
	v_cndmask_b32_e64 v40, v16, v4, s[10:11]
	v_cndmask_b32_e64 v39, v15, v5, s[8:9]
	v_cndmask_b32_e64 v38, v14, v4, s[8:9]
	v_cndmask_b32_e64 v37, v13, v5, s[6:7]
	v_cndmask_b32_e64 v36, v12, v4, s[6:7]
	v_cndmask_b32_e64 v35, v11, v5, s[4:5]
	v_cndmask_b32_e64 v34, v10, v4, s[4:5]
	v_pk_mov_b32 v[2:3], v[26:27], v[26:27] op_sel:[0,1]
	v_pk_mov_b32 v[4:5], v[28:29], v[28:29] op_sel:[0,1]
	;; [unrolled: 1-line block ×16, first 2 shown]
.LBB12_121:
	s_or_b64 exec, exec, s[22:23]
	v_pk_mov_b32 v[0:1], s[34:35], s[34:35] op_sel:[0,1]
	flat_load_dword v0, v[0:1]
	s_waitcnt vmcnt(0) lgkmcnt(0)
	v_add_u32_e32 v0, -1, v0
	v_cmp_ne_u32_e32 vcc, 0, v0
	s_and_saveexec_b64 s[24:25], vcc
	s_cbranch_execz .LBB12_123
; %bb.122:
	v_cmp_eq_u32_e32 vcc, 1, v0
	v_cndmask_b32_e32 v1, v2, v4, vcc
	v_cmp_eq_u32_e64 s[0:1], 2, v0
	v_cndmask_b32_e32 v28, v3, v5, vcc
	v_cndmask_b32_e64 v1, v1, v6, s[0:1]
	v_cmp_eq_u32_e64 s[2:3], 3, v0
	v_cndmask_b32_e64 v28, v28, v7, s[0:1]
	v_cndmask_b32_e64 v1, v1, v8, s[2:3]
	v_cmp_eq_u32_e64 s[4:5], 4, v0
	v_cndmask_b32_e64 v28, v28, v9, s[2:3]
	;; [unrolled: 3-line block ×10, first 2 shown]
	v_cndmask_b32_e64 v1, v1, v26, s[20:21]
	v_cndmask_b32_e64 v28, v28, v27, s[20:21]
	v_cmp_eq_u32_e64 s[22:23], 0, v0
	v_cndmask_b32_e64 v29, v28, v3, s[22:23]
	v_cndmask_b32_e64 v28, v1, v2, s[22:23]
	;; [unrolled: 1-line block ×4, first 2 shown]
	v_cndmask_b32_e32 v31, v5, v3, vcc
	v_cndmask_b32_e32 v30, v4, v2, vcc
	v_cndmask_b32_e64 v53, v27, v3, s[20:21]
	v_cndmask_b32_e64 v52, v26, v2, s[20:21]
	;; [unrolled: 1-line block ×20, first 2 shown]
	v_pk_mov_b32 v[2:3], v[28:29], v[28:29] op_sel:[0,1]
	v_pk_mov_b32 v[4:5], v[30:31], v[30:31] op_sel:[0,1]
	;; [unrolled: 1-line block ×16, first 2 shown]
.LBB12_123:
	s_or_b64 exec, exec, s[24:25]
.LBB12_124:
	v_mov_b32_e32 v1, v3
	v_mov_b32_e32 v0, v2
	global_store_dwordx2 v[60:61], v[0:1], off
	v_mov_b32_e32 v1, v5
	v_mov_b32_e32 v0, v4
	global_store_dwordx2 v[62:63], v[0:1], off
	;; [unrolled: 3-line block ×13, first 2 shown]
	s_endpgm
	.section	.rodata,"a",@progbits
	.p2align	6, 0x0
	.amdhsa_kernel _ZN9rocsolver6v33100L18getri_kernel_smallILi13EdPdEEvT1_iilPiilS4_bb
		.amdhsa_group_segment_fixed_size 216
		.amdhsa_private_segment_fixed_size 0
		.amdhsa_kernarg_size 60
		.amdhsa_user_sgpr_count 6
		.amdhsa_user_sgpr_private_segment_buffer 1
		.amdhsa_user_sgpr_dispatch_ptr 0
		.amdhsa_user_sgpr_queue_ptr 0
		.amdhsa_user_sgpr_kernarg_segment_ptr 1
		.amdhsa_user_sgpr_dispatch_id 0
		.amdhsa_user_sgpr_flat_scratch_init 0
		.amdhsa_user_sgpr_kernarg_preload_length 0
		.amdhsa_user_sgpr_kernarg_preload_offset 0
		.amdhsa_user_sgpr_private_segment_size 0
		.amdhsa_uses_dynamic_stack 0
		.amdhsa_system_sgpr_private_segment_wavefront_offset 0
		.amdhsa_system_sgpr_workgroup_id_x 1
		.amdhsa_system_sgpr_workgroup_id_y 0
		.amdhsa_system_sgpr_workgroup_id_z 0
		.amdhsa_system_sgpr_workgroup_info 0
		.amdhsa_system_vgpr_workitem_id 0
		.amdhsa_next_free_vgpr 86
		.amdhsa_next_free_sgpr 48
		.amdhsa_accum_offset 88
		.amdhsa_reserve_vcc 1
		.amdhsa_reserve_flat_scratch 0
		.amdhsa_float_round_mode_32 0
		.amdhsa_float_round_mode_16_64 0
		.amdhsa_float_denorm_mode_32 3
		.amdhsa_float_denorm_mode_16_64 3
		.amdhsa_dx10_clamp 1
		.amdhsa_ieee_mode 1
		.amdhsa_fp16_overflow 0
		.amdhsa_tg_split 0
		.amdhsa_exception_fp_ieee_invalid_op 0
		.amdhsa_exception_fp_denorm_src 0
		.amdhsa_exception_fp_ieee_div_zero 0
		.amdhsa_exception_fp_ieee_overflow 0
		.amdhsa_exception_fp_ieee_underflow 0
		.amdhsa_exception_fp_ieee_inexact 0
		.amdhsa_exception_int_div_zero 0
	.end_amdhsa_kernel
	.section	.text._ZN9rocsolver6v33100L18getri_kernel_smallILi13EdPdEEvT1_iilPiilS4_bb,"axG",@progbits,_ZN9rocsolver6v33100L18getri_kernel_smallILi13EdPdEEvT1_iilPiilS4_bb,comdat
.Lfunc_end12:
	.size	_ZN9rocsolver6v33100L18getri_kernel_smallILi13EdPdEEvT1_iilPiilS4_bb, .Lfunc_end12-_ZN9rocsolver6v33100L18getri_kernel_smallILi13EdPdEEvT1_iilPiilS4_bb
                                        ; -- End function
	.section	.AMDGPU.csdata,"",@progbits
; Kernel info:
; codeLenInByte = 20112
; NumSgprs: 52
; NumVgprs: 86
; NumAgprs: 0
; TotalNumVgprs: 86
; ScratchSize: 0
; MemoryBound: 0
; FloatMode: 240
; IeeeMode: 1
; LDSByteSize: 216 bytes/workgroup (compile time only)
; SGPRBlocks: 6
; VGPRBlocks: 10
; NumSGPRsForWavesPerEU: 52
; NumVGPRsForWavesPerEU: 86
; AccumOffset: 88
; Occupancy: 5
; WaveLimiterHint : 0
; COMPUTE_PGM_RSRC2:SCRATCH_EN: 0
; COMPUTE_PGM_RSRC2:USER_SGPR: 6
; COMPUTE_PGM_RSRC2:TRAP_HANDLER: 0
; COMPUTE_PGM_RSRC2:TGID_X_EN: 1
; COMPUTE_PGM_RSRC2:TGID_Y_EN: 0
; COMPUTE_PGM_RSRC2:TGID_Z_EN: 0
; COMPUTE_PGM_RSRC2:TIDIG_COMP_CNT: 0
; COMPUTE_PGM_RSRC3_GFX90A:ACCUM_OFFSET: 21
; COMPUTE_PGM_RSRC3_GFX90A:TG_SPLIT: 0
	.section	.text._ZN9rocsolver6v33100L18getri_kernel_smallILi14EdPdEEvT1_iilPiilS4_bb,"axG",@progbits,_ZN9rocsolver6v33100L18getri_kernel_smallILi14EdPdEEvT1_iilPiilS4_bb,comdat
	.globl	_ZN9rocsolver6v33100L18getri_kernel_smallILi14EdPdEEvT1_iilPiilS4_bb ; -- Begin function _ZN9rocsolver6v33100L18getri_kernel_smallILi14EdPdEEvT1_iilPiilS4_bb
	.p2align	8
	.type	_ZN9rocsolver6v33100L18getri_kernel_smallILi14EdPdEEvT1_iilPiilS4_bb,@function
_ZN9rocsolver6v33100L18getri_kernel_smallILi14EdPdEEvT1_iilPiilS4_bb: ; @_ZN9rocsolver6v33100L18getri_kernel_smallILi14EdPdEEvT1_iilPiilS4_bb
; %bb.0:
	v_cmp_gt_u32_e32 vcc, 14, v0
	s_and_saveexec_b64 s[0:1], vcc
	s_cbranch_execz .LBB13_16
; %bb.1:
	s_load_dword s12, s[4:5], 0x38
	s_load_dwordx4 s[8:11], s[4:5], 0x10
	s_load_dwordx4 s[36:39], s[4:5], 0x28
                                        ; implicit-def: $sgpr40_sgpr41
	s_waitcnt lgkmcnt(0)
	s_bitcmp1_b32 s12, 8
	s_cselect_b64 s[42:43], -1, 0
	s_ashr_i32 s7, s6, 31
	s_bfe_u32 s0, s12, 0x10008
	s_cmp_eq_u32 s0, 0
	s_cbranch_scc1 .LBB13_3
; %bb.2:
	s_load_dword s0, s[4:5], 0x20
	s_mul_i32 s1, s6, s37
	s_mul_hi_u32 s2, s6, s36
	s_mul_i32 s3, s7, s36
	s_add_i32 s2, s2, s1
	s_add_i32 s3, s2, s3
	s_mul_i32 s2, s6, s36
	s_waitcnt lgkmcnt(0)
	s_ashr_i32 s1, s0, 31
	s_lshl_b64 s[2:3], s[2:3], 2
	s_add_u32 s2, s10, s2
	s_addc_u32 s3, s11, s3
	s_lshl_b64 s[0:1], s[0:1], 2
	s_add_u32 s40, s2, s0
	s_addc_u32 s41, s3, s1
.LBB13_3:
	s_load_dwordx4 s[0:3], s[4:5], 0x0
	s_mul_i32 s4, s6, s9
	s_mul_hi_u32 s5, s6, s8
	s_add_i32 s9, s5, s4
	v_lshlrev_b32_e32 v32, 3, v0
	s_waitcnt lgkmcnt(0)
	s_ashr_i32 s5, s2, 31
	s_mov_b32 s4, s2
	s_mul_i32 s2, s7, s8
	s_add_i32 s9, s9, s2
	s_mul_i32 s8, s6, s8
	s_lshl_b64 s[8:9], s[8:9], 3
	s_add_u32 s2, s0, s8
	s_addc_u32 s8, s1, s9
	s_lshl_b64 s[0:1], s[4:5], 3
	s_add_u32 s0, s2, s0
	s_addc_u32 s1, s8, s1
	v_mov_b32_e32 v1, s1
	v_add_co_u32_e32 v60, vcc, s0, v32
	s_ashr_i32 s5, s3, 31
	s_mov_b32 s4, s3
	s_add_i32 s2, s3, s3
	v_addc_co_u32_e32 v61, vcc, 0, v1, vcc
	s_lshl_b64 s[4:5], s[4:5], 3
	v_add_u32_e32 v2, s2, v0
	v_mov_b32_e32 v1, s5
	v_add_co_u32_e32 v62, vcc, s4, v60
	v_ashrrev_i32_e32 v3, 31, v2
	v_addc_co_u32_e32 v63, vcc, v61, v1, vcc
	v_lshlrev_b64 v[4:5], 3, v[2:3]
	v_add_u32_e32 v2, s3, v2
	v_mov_b32_e32 v1, s1
	v_add_co_u32_e32 v64, vcc, s0, v4
	v_ashrrev_i32_e32 v3, 31, v2
	v_addc_co_u32_e32 v65, vcc, v1, v5, vcc
	v_lshlrev_b64 v[4:5], 3, v[2:3]
	v_add_u32_e32 v2, s3, v2
	v_add_co_u32_e32 v66, vcc, s0, v4
	v_ashrrev_i32_e32 v3, 31, v2
	v_addc_co_u32_e32 v67, vcc, v1, v5, vcc
	v_lshlrev_b64 v[4:5], 3, v[2:3]
	v_add_u32_e32 v2, s3, v2
	v_add_co_u32_e32 v68, vcc, s0, v4
	v_ashrrev_i32_e32 v3, 31, v2
	v_addc_co_u32_e32 v69, vcc, v1, v5, vcc
	v_lshlrev_b64 v[4:5], 3, v[2:3]
	v_add_u32_e32 v2, s3, v2
	v_add_co_u32_e32 v70, vcc, s0, v4
	v_ashrrev_i32_e32 v3, 31, v2
	v_addc_co_u32_e32 v71, vcc, v1, v5, vcc
	v_lshlrev_b64 v[4:5], 3, v[2:3]
	v_add_u32_e32 v2, s3, v2
	v_add_co_u32_e32 v72, vcc, s0, v4
	v_ashrrev_i32_e32 v3, 31, v2
	v_addc_co_u32_e32 v73, vcc, v1, v5, vcc
	v_lshlrev_b64 v[4:5], 3, v[2:3]
	v_add_u32_e32 v2, s3, v2
	v_add_co_u32_e32 v74, vcc, s0, v4
	v_ashrrev_i32_e32 v3, 31, v2
	v_addc_co_u32_e32 v75, vcc, v1, v5, vcc
	v_lshlrev_b64 v[4:5], 3, v[2:3]
	v_add_u32_e32 v2, s3, v2
	v_add_co_u32_e32 v76, vcc, s0, v4
	v_ashrrev_i32_e32 v3, 31, v2
	v_addc_co_u32_e32 v77, vcc, v1, v5, vcc
	v_lshlrev_b64 v[4:5], 3, v[2:3]
	v_add_u32_e32 v2, s3, v2
	v_add_co_u32_e32 v78, vcc, s0, v4
	v_ashrrev_i32_e32 v3, 31, v2
	v_addc_co_u32_e32 v79, vcc, v1, v5, vcc
	v_lshlrev_b64 v[4:5], 3, v[2:3]
	v_add_u32_e32 v2, s3, v2
	v_add_co_u32_e32 v80, vcc, s0, v4
	v_ashrrev_i32_e32 v3, 31, v2
	v_addc_co_u32_e32 v81, vcc, v1, v5, vcc
	v_lshlrev_b64 v[4:5], 3, v[2:3]
	v_add_u32_e32 v2, s3, v2
	v_add_co_u32_e32 v82, vcc, s0, v4
	v_ashrrev_i32_e32 v3, 31, v2
	v_addc_co_u32_e32 v83, vcc, v1, v5, vcc
	v_lshlrev_b64 v[4:5], 3, v[2:3]
	v_add_u32_e32 v2, s3, v2
	v_add_co_u32_e32 v84, vcc, s0, v4
	v_ashrrev_i32_e32 v3, 31, v2
	v_addc_co_u32_e32 v85, vcc, v1, v5, vcc
	v_lshlrev_b64 v[2:3], 3, v[2:3]
	v_add_co_u32_e32 v86, vcc, s0, v2
	v_addc_co_u32_e32 v87, vcc, v1, v3, vcc
	global_load_dwordx2 v[4:5], v[62:63], off
	global_load_dwordx2 v[6:7], v[64:65], off
	global_load_dwordx2 v[8:9], v[66:67], off
	global_load_dwordx2 v[10:11], v[68:69], off
	global_load_dwordx2 v[12:13], v[70:71], off
	global_load_dwordx2 v[14:15], v[72:73], off
	global_load_dwordx2 v[16:17], v[74:75], off
	global_load_dwordx2 v[18:19], v[76:77], off
	global_load_dwordx2 v[20:21], v[78:79], off
	global_load_dwordx2 v[22:23], v[80:81], off
	global_load_dwordx2 v[24:25], v[82:83], off
	global_load_dwordx2 v[26:27], v[84:85], off
	global_load_dwordx2 v[2:3], v32, s[0:1]
	global_load_dwordx2 v[28:29], v[86:87], off
	v_mov_b32_e32 v1, 0
	s_bitcmp0_b32 s12, 0
	s_mov_b64 s[0:1], -1
	s_cbranch_scc1 .LBB13_14
; %bb.4:
	v_cmp_eq_u32_e64 s[0:1], 0, v0
	s_and_saveexec_b64 s[2:3], s[0:1]
	s_cbranch_execz .LBB13_6
; %bb.5:
	v_mov_b32_e32 v30, 0
	ds_write_b32 v30, v30 offset:224
.LBB13_6:
	s_or_b64 exec, exec, s[2:3]
	v_cmp_eq_u32_e32 vcc, 1, v0
	s_waitcnt vmcnt(1)
	v_cndmask_b32_e32 v30, v3, v5, vcc
	v_cmp_eq_u32_e64 s[2:3], 2, v0
	v_cndmask_b32_e64 v30, v30, v7, s[2:3]
	v_cmp_eq_u32_e64 s[4:5], 3, v0
	v_cndmask_b32_e64 v30, v30, v9, s[4:5]
	;; [unrolled: 2-line block ×11, first 2 shown]
	v_cmp_eq_u32_e64 s[26:27], 13, v0
	s_waitcnt vmcnt(0)
	v_cndmask_b32_e64 v31, v30, v29, s[26:27]
	v_cndmask_b32_e32 v30, v2, v4, vcc
	v_cndmask_b32_e64 v30, v30, v6, s[2:3]
	v_cndmask_b32_e64 v30, v30, v8, s[4:5]
	;; [unrolled: 1-line block ×12, first 2 shown]
	v_cmp_eq_f64_e32 vcc, 0, v[30:31]
	s_waitcnt lgkmcnt(0)
	; wave barrier
	s_waitcnt lgkmcnt(0)
	s_and_saveexec_b64 s[4:5], vcc
	s_cbranch_execz .LBB13_10
; %bb.7:
	v_mov_b32_e32 v33, 0
	ds_read_b32 v35, v33 offset:224
	v_add_u32_e32 v34, 1, v0
	s_waitcnt lgkmcnt(0)
	v_readfirstlane_b32 s2, v35
	s_cmp_eq_u32 s2, 0
	s_cselect_b64 s[8:9], -1, 0
	v_cmp_gt_i32_e32 vcc, s2, v34
	s_or_b64 s[8:9], s[8:9], vcc
	s_and_b64 exec, exec, s[8:9]
	s_cbranch_execz .LBB13_10
; %bb.8:
	s_mov_b64 s[8:9], 0
	v_mov_b32_e32 v35, s2
.LBB13_9:                               ; =>This Inner Loop Header: Depth=1
	ds_cmpst_rtn_b32 v35, v33, v35, v34 offset:224
	s_waitcnt lgkmcnt(0)
	v_cmp_ne_u32_e32 vcc, 0, v35
	v_cmp_le_i32_e64 s[2:3], v35, v34
	s_and_b64 s[2:3], vcc, s[2:3]
	s_and_b64 s[2:3], exec, s[2:3]
	s_or_b64 s[8:9], s[2:3], s[8:9]
	s_andn2_b64 exec, exec, s[8:9]
	s_cbranch_execnz .LBB13_9
.LBB13_10:
	s_or_b64 exec, exec, s[4:5]
	v_mov_b32_e32 v34, 0
	s_waitcnt lgkmcnt(0)
	; wave barrier
	ds_read_b32 v33, v34 offset:224
	s_and_saveexec_b64 s[2:3], s[0:1]
	s_cbranch_execz .LBB13_12
; %bb.11:
	s_lshl_b64 s[4:5], s[6:7], 2
	s_add_u32 s4, s38, s4
	s_addc_u32 s5, s39, s5
	s_waitcnt lgkmcnt(0)
	global_store_dword v34, v33, s[4:5]
.LBB13_12:
	s_or_b64 exec, exec, s[2:3]
	s_waitcnt lgkmcnt(0)
	v_cmp_ne_u32_e32 vcc, 0, v33
	s_cbranch_vccz .LBB13_17
; %bb.13:
	s_mov_b64 s[0:1], 0
                                        ; implicit-def: $vgpr2_vgpr3_vgpr4_vgpr5_vgpr6_vgpr7_vgpr8_vgpr9_vgpr10_vgpr11_vgpr12_vgpr13_vgpr14_vgpr15_vgpr16_vgpr17_vgpr18_vgpr19_vgpr20_vgpr21_vgpr22_vgpr23_vgpr24_vgpr25_vgpr26_vgpr27_vgpr28_vgpr29_vgpr30_vgpr31_vgpr32_vgpr33
.LBB13_14:
	s_and_b64 vcc, exec, s[0:1]
	s_cbranch_vccz .LBB13_16
.LBB13_15:
	s_lshl_b64 s[0:1], s[6:7], 2
	s_add_u32 s0, s38, s0
	s_addc_u32 s1, s39, s1
	v_mov_b32_e32 v1, 0
	global_load_dword v1, v1, s[0:1]
	s_waitcnt vmcnt(0)
	v_cmp_ne_u32_e32 vcc, 0, v1
	s_cbranch_vccz .LBB13_78
.LBB13_16:
	s_endpgm
.LBB13_17:
	v_div_scale_f64 v[34:35], s[2:3], v[30:31], v[30:31], 1.0
	v_rcp_f64_e32 v[36:37], v[34:35]
	v_div_scale_f64 v[38:39], vcc, 1.0, v[30:31], 1.0
	v_fma_f64 v[40:41], -v[34:35], v[36:37], 1.0
	v_fmac_f64_e32 v[36:37], v[36:37], v[40:41]
	v_fma_f64 v[40:41], -v[34:35], v[36:37], 1.0
	v_fmac_f64_e32 v[36:37], v[36:37], v[40:41]
	v_mul_f64 v[40:41], v[38:39], v[36:37]
	v_fma_f64 v[34:35], -v[34:35], v[40:41], v[38:39]
	v_div_fmas_f64 v[34:35], v[34:35], v[36:37], v[40:41]
	v_div_fixup_f64 v[30:31], v[34:35], v[30:31], 1.0
	v_cmp_eq_u32_e32 vcc, 13, v0
	v_cndmask_b32_e32 v29, v29, v31, vcc
	v_cndmask_b32_e32 v28, v28, v30, vcc
	v_cmp_eq_u32_e32 vcc, 12, v0
	v_cndmask_b32_e32 v27, v27, v31, vcc
	v_cndmask_b32_e32 v26, v26, v30, vcc
	v_cmp_eq_u32_e32 vcc, 11, v0
	v_cndmask_b32_e32 v25, v25, v31, vcc
	v_cndmask_b32_e32 v24, v24, v30, vcc
	v_cmp_eq_u32_e32 vcc, 10, v0
	v_cndmask_b32_e32 v23, v23, v31, vcc
	v_cndmask_b32_e32 v22, v22, v30, vcc
	v_cmp_eq_u32_e32 vcc, 9, v0
	v_cndmask_b32_e32 v21, v21, v31, vcc
	v_cndmask_b32_e32 v20, v20, v30, vcc
	v_cmp_eq_u32_e32 vcc, 8, v0
	v_cndmask_b32_e32 v19, v19, v31, vcc
	v_cndmask_b32_e32 v18, v18, v30, vcc
	v_cmp_eq_u32_e32 vcc, 7, v0
	v_cndmask_b32_e32 v17, v17, v31, vcc
	v_cndmask_b32_e32 v16, v16, v30, vcc
	v_cmp_eq_u32_e32 vcc, 6, v0
	v_cndmask_b32_e32 v15, v15, v31, vcc
	v_cndmask_b32_e32 v14, v14, v30, vcc
	v_cmp_eq_u32_e32 vcc, 5, v0
	v_cndmask_b32_e32 v13, v13, v31, vcc
	v_cndmask_b32_e32 v12, v12, v30, vcc
	v_cmp_eq_u32_e32 vcc, 4, v0
	v_cndmask_b32_e32 v11, v11, v31, vcc
	v_cndmask_b32_e32 v10, v10, v30, vcc
	v_cmp_eq_u32_e32 vcc, 3, v0
	v_cndmask_b32_e32 v9, v9, v31, vcc
	v_cndmask_b32_e32 v8, v8, v30, vcc
	v_cmp_eq_u32_e32 vcc, 2, v0
	v_cndmask_b32_e32 v7, v7, v31, vcc
	v_cndmask_b32_e32 v6, v6, v30, vcc
	v_cmp_eq_u32_e32 vcc, 1, v0
	v_cndmask_b32_e32 v5, v5, v31, vcc
	v_cndmask_b32_e32 v4, v4, v30, vcc
	v_cmp_eq_u32_e32 vcc, 0, v0
	v_cndmask_b32_e32 v3, v3, v31, vcc
	v_cndmask_b32_e32 v2, v2, v30, vcc
	v_xor_b32_e32 v37, 0x80000000, v31
	v_mov_b32_e32 v36, v30
	v_add_u32_e32 v34, 0x70, v32
	ds_write2_b64 v32, v[36:37], v[4:5] offset1:14
	s_waitcnt lgkmcnt(0)
	; wave barrier
	s_waitcnt lgkmcnt(0)
	s_and_saveexec_b64 s[2:3], s[0:1]
	s_cbranch_execz .LBB13_19
; %bb.18:
	v_mov_b32_e32 v32, 0
	ds_read_b64 v[4:5], v34
	ds_read_b64 v[32:33], v32 offset:8
	s_waitcnt lgkmcnt(1)
	v_fma_f64 v[4:5], v[30:31], v[4:5], 0
	s_waitcnt lgkmcnt(0)
	v_mul_f64 v[4:5], v[4:5], v[32:33]
.LBB13_19:
	s_or_b64 exec, exec, s[2:3]
	v_cmp_gt_u32_e32 vcc, 2, v0
	s_waitcnt lgkmcnt(0)
	; wave barrier
	ds_write_b64 v34, v[6:7]
	s_waitcnt lgkmcnt(0)
	; wave barrier
	s_waitcnt lgkmcnt(0)
	s_and_saveexec_b64 s[30:31], vcc
	s_cbranch_execz .LBB13_21
; %bb.20:
	v_cmp_eq_u32_e64 s[2:3], 1, v0
	v_cndmask_b32_e64 v30, v3, v5, s[2:3]
	v_cmp_eq_u32_e64 s[4:5], 2, v0
	v_cndmask_b32_e64 v7, v30, v7, s[4:5]
	v_cndmask_b32_e64 v30, v2, v4, s[2:3]
	v_cmp_eq_u32_e64 s[8:9], 3, v0
	v_cndmask_b32_e64 v6, v30, v6, s[4:5]
	;; [unrolled: 3-line block ×9, first 2 shown]
	ds_read_b64 v[36:37], v34
	v_mov_b32_e32 v30, 0
	v_cndmask_b32_e64 v7, v7, v23, s[22:23]
	v_cmp_eq_u32_e64 s[24:25], 11, v0
	v_cndmask_b32_e64 v6, v6, v22, s[22:23]
	ds_read2_b64 v[30:33], v30 offset0:2 offset1:15
	v_cndmask_b32_e64 v7, v7, v25, s[24:25]
	v_cmp_eq_u32_e64 s[26:27], 12, v0
	v_cndmask_b32_e64 v6, v6, v24, s[24:25]
	v_cndmask_b32_e64 v7, v7, v27, s[26:27]
	v_cmp_eq_u32_e64 s[28:29], 13, v0
	v_cndmask_b32_e64 v6, v6, v26, s[26:27]
	v_cndmask_b32_e64 v7, v7, v29, s[28:29]
	v_cndmask_b32_e64 v6, v6, v28, s[28:29]
	s_waitcnt lgkmcnt(1)
	v_fma_f64 v[6:7], v[6:7], v[36:37], 0
	s_waitcnt lgkmcnt(0)
	v_fma_f64 v[32:33], v[4:5], v[32:33], v[6:7]
	v_cndmask_b32_e64 v7, v7, v33, s[0:1]
	v_cndmask_b32_e64 v6, v6, v32, s[0:1]
	v_mul_f64 v[6:7], v[6:7], v[30:31]
.LBB13_21:
	s_or_b64 exec, exec, s[30:31]
	v_cmp_gt_u32_e64 s[2:3], 3, v0
	s_waitcnt lgkmcnt(0)
	; wave barrier
	ds_write_b64 v34, v[8:9]
	s_waitcnt lgkmcnt(0)
	; wave barrier
	s_waitcnt lgkmcnt(0)
	s_and_saveexec_b64 s[10:11], s[2:3]
	s_cbranch_execz .LBB13_25
; %bb.22:
	v_mov_b32_e32 v30, 0x70
	v_lshl_add_u32 v35, v0, 3, v30
	s_mov_b64 s[12:13], 0
	v_pk_mov_b32 v[30:31], 0, 0
	v_pk_mov_b32 v[32:33], v[0:1], v[0:1] op_sel:[0,1]
.LBB13_23:                              ; =>This Inner Loop Header: Depth=1
	v_cmp_eq_u32_e64 s[2:3], 1, v32
	v_cndmask_b32_e64 v38, v3, v5, s[2:3]
	v_cmp_eq_u32_e64 s[4:5], 2, v32
	v_cndmask_b32_e64 v38, v38, v7, s[4:5]
	v_cndmask_b32_e64 v39, v2, v4, s[2:3]
	v_cmp_eq_u32_e64 s[2:3], 3, v32
	v_cndmask_b32_e64 v38, v38, v9, s[2:3]
	;; [unrolled: 3-line block ×8, first 2 shown]
	v_cndmask_b32_e64 v39, v39, v18, s[4:5]
	v_cmp_eq_u32_e64 s[4:5], 10, v32
	ds_read_b64 v[36:37], v35
	v_cndmask_b32_e64 v38, v38, v23, s[4:5]
	v_cndmask_b32_e64 v39, v39, v20, s[2:3]
	v_cmp_eq_u32_e64 s[2:3], 11, v32
	v_cndmask_b32_e64 v38, v38, v25, s[2:3]
	v_cndmask_b32_e64 v39, v39, v22, s[4:5]
	v_cmp_eq_u32_e64 s[4:5], 12, v32
	v_cndmask_b32_e64 v38, v38, v27, s[4:5]
	v_cmp_eq_u32_e64 s[8:9], 13, v32
	v_cndmask_b32_e64 v40, v39, v24, s[2:3]
	v_add_co_u32_e64 v32, s[2:3], 1, v32
	v_addc_co_u32_e64 v33, s[2:3], 0, v33, s[2:3]
	v_cndmask_b32_e64 v39, v38, v29, s[8:9]
	v_cndmask_b32_e64 v38, v40, v26, s[4:5]
	v_add_u32_e32 v40, -1, v32
	v_cndmask_b32_e64 v38, v38, v28, s[8:9]
	v_cmp_lt_u32_e64 s[2:3], 1, v40
	v_add_u32_e32 v35, 8, v35
	s_or_b64 s[12:13], s[2:3], s[12:13]
	s_waitcnt lgkmcnt(0)
	v_fmac_f64_e32 v[30:31], v[38:39], v[36:37]
	s_andn2_b64 exec, exec, s[12:13]
	s_cbranch_execnz .LBB13_23
; %bb.24:
	s_or_b64 exec, exec, s[12:13]
	v_mov_b32_e32 v8, 0
	ds_read_b64 v[8:9], v8 offset:24
	s_waitcnt lgkmcnt(0)
	v_mul_f64 v[8:9], v[30:31], v[8:9]
.LBB13_25:
	s_or_b64 exec, exec, s[10:11]
	v_cmp_gt_u32_e64 s[2:3], 4, v0
	s_waitcnt lgkmcnt(0)
	; wave barrier
	ds_write_b64 v34, v[10:11]
	s_waitcnt lgkmcnt(0)
	; wave barrier
	s_waitcnt lgkmcnt(0)
	s_and_saveexec_b64 s[12:13], s[2:3]
	s_cbranch_execz .LBB13_29
; %bb.26:
	v_mov_b32_e32 v30, 0x70
	v_lshl_add_u32 v35, v0, 3, v30
	s_mov_b64 s[14:15], 0
	v_pk_mov_b32 v[30:31], 0, 0
	v_pk_mov_b32 v[32:33], v[0:1], v[0:1] op_sel:[0,1]
.LBB13_27:                              ; =>This Inner Loop Header: Depth=1
	v_cmp_eq_u32_e64 s[4:5], 1, v32
	v_cndmask_b32_e64 v38, v3, v5, s[4:5]
	v_cmp_eq_u32_e64 s[8:9], 2, v32
	v_cndmask_b32_e64 v38, v38, v7, s[8:9]
	v_cndmask_b32_e64 v39, v2, v4, s[4:5]
	v_cmp_eq_u32_e64 s[4:5], 3, v32
	v_cndmask_b32_e64 v38, v38, v9, s[4:5]
	;; [unrolled: 3-line block ×8, first 2 shown]
	v_cndmask_b32_e64 v39, v39, v18, s[8:9]
	v_cmp_eq_u32_e64 s[8:9], 10, v32
	ds_read_b64 v[36:37], v35
	v_cndmask_b32_e64 v38, v38, v23, s[8:9]
	v_cndmask_b32_e64 v39, v39, v20, s[4:5]
	v_cmp_eq_u32_e64 s[4:5], 11, v32
	v_cndmask_b32_e64 v38, v38, v25, s[4:5]
	v_cndmask_b32_e64 v39, v39, v22, s[8:9]
	v_cmp_eq_u32_e64 s[8:9], 12, v32
	v_cndmask_b32_e64 v38, v38, v27, s[8:9]
	v_cmp_eq_u32_e64 s[10:11], 13, v32
	v_cndmask_b32_e64 v40, v39, v24, s[4:5]
	v_add_co_u32_e64 v32, s[4:5], 1, v32
	v_addc_co_u32_e64 v33, s[4:5], 0, v33, s[4:5]
	v_cndmask_b32_e64 v39, v38, v29, s[10:11]
	v_cndmask_b32_e64 v38, v40, v26, s[8:9]
	v_add_u32_e32 v40, -1, v32
	v_cndmask_b32_e64 v38, v38, v28, s[10:11]
	v_cmp_lt_u32_e64 s[4:5], 2, v40
	v_add_u32_e32 v35, 8, v35
	s_or_b64 s[14:15], s[4:5], s[14:15]
	s_waitcnt lgkmcnt(0)
	v_fmac_f64_e32 v[30:31], v[38:39], v[36:37]
	s_andn2_b64 exec, exec, s[14:15]
	s_cbranch_execnz .LBB13_27
; %bb.28:
	s_or_b64 exec, exec, s[14:15]
	v_mov_b32_e32 v10, 0
	ds_read_b64 v[10:11], v10 offset:32
	s_waitcnt lgkmcnt(0)
	v_mul_f64 v[10:11], v[30:31], v[10:11]
.LBB13_29:
	s_or_b64 exec, exec, s[12:13]
	v_cmp_gt_u32_e64 s[4:5], 5, v0
	s_waitcnt lgkmcnt(0)
	; wave barrier
	ds_write_b64 v34, v[12:13]
	s_waitcnt lgkmcnt(0)
	; wave barrier
	s_waitcnt lgkmcnt(0)
	s_and_saveexec_b64 s[12:13], s[4:5]
	s_cbranch_execz .LBB13_33
; %bb.30:
	v_mov_b32_e32 v30, 0x70
	v_lshl_add_u32 v35, v0, 3, v30
	s_mov_b64 s[14:15], 0
	v_pk_mov_b32 v[30:31], 0, 0
	v_pk_mov_b32 v[32:33], v[0:1], v[0:1] op_sel:[0,1]
.LBB13_31:                              ; =>This Inner Loop Header: Depth=1
	v_cmp_eq_u32_e64 s[4:5], 1, v32
	v_cndmask_b32_e64 v38, v3, v5, s[4:5]
	v_cmp_eq_u32_e64 s[8:9], 2, v32
	v_cndmask_b32_e64 v38, v38, v7, s[8:9]
	v_cndmask_b32_e64 v39, v2, v4, s[4:5]
	v_cmp_eq_u32_e64 s[4:5], 3, v32
	v_cndmask_b32_e64 v38, v38, v9, s[4:5]
	;; [unrolled: 3-line block ×8, first 2 shown]
	v_cndmask_b32_e64 v39, v39, v18, s[8:9]
	v_cmp_eq_u32_e64 s[8:9], 10, v32
	ds_read_b64 v[36:37], v35
	v_cndmask_b32_e64 v38, v38, v23, s[8:9]
	v_cndmask_b32_e64 v39, v39, v20, s[4:5]
	v_cmp_eq_u32_e64 s[4:5], 11, v32
	v_cndmask_b32_e64 v38, v38, v25, s[4:5]
	v_cndmask_b32_e64 v39, v39, v22, s[8:9]
	v_cmp_eq_u32_e64 s[8:9], 12, v32
	v_cndmask_b32_e64 v38, v38, v27, s[8:9]
	v_cmp_eq_u32_e64 s[10:11], 13, v32
	v_cndmask_b32_e64 v40, v39, v24, s[4:5]
	v_add_co_u32_e64 v32, s[4:5], 1, v32
	v_addc_co_u32_e64 v33, s[4:5], 0, v33, s[4:5]
	v_cndmask_b32_e64 v39, v38, v29, s[10:11]
	v_cndmask_b32_e64 v38, v40, v26, s[8:9]
	v_add_u32_e32 v40, -1, v32
	v_cndmask_b32_e64 v38, v38, v28, s[10:11]
	v_cmp_lt_u32_e64 s[4:5], 3, v40
	v_add_u32_e32 v35, 8, v35
	s_or_b64 s[14:15], s[4:5], s[14:15]
	s_waitcnt lgkmcnt(0)
	v_fmac_f64_e32 v[30:31], v[38:39], v[36:37]
	s_andn2_b64 exec, exec, s[14:15]
	s_cbranch_execnz .LBB13_31
; %bb.32:
	s_or_b64 exec, exec, s[14:15]
	v_mov_b32_e32 v12, 0
	ds_read_b64 v[12:13], v12 offset:40
	s_waitcnt lgkmcnt(0)
	v_mul_f64 v[12:13], v[30:31], v[12:13]
.LBB13_33:
	s_or_b64 exec, exec, s[12:13]
	v_cmp_gt_u32_e64 s[4:5], 6, v0
	s_waitcnt lgkmcnt(0)
	; wave barrier
	ds_write_b64 v34, v[14:15]
	s_waitcnt lgkmcnt(0)
	; wave barrier
	s_waitcnt lgkmcnt(0)
	s_and_saveexec_b64 s[14:15], s[4:5]
	s_cbranch_execz .LBB13_37
; %bb.34:
	v_mov_b32_e32 v30, 0x70
	v_lshl_add_u32 v35, v0, 3, v30
	s_mov_b64 s[16:17], 0
	v_pk_mov_b32 v[30:31], 0, 0
	v_pk_mov_b32 v[32:33], v[0:1], v[0:1] op_sel:[0,1]
.LBB13_35:                              ; =>This Inner Loop Header: Depth=1
	v_cmp_eq_u32_e64 s[8:9], 1, v32
	v_cndmask_b32_e64 v38, v3, v5, s[8:9]
	v_cmp_eq_u32_e64 s[10:11], 2, v32
	v_cndmask_b32_e64 v38, v38, v7, s[10:11]
	v_cndmask_b32_e64 v39, v2, v4, s[8:9]
	v_cmp_eq_u32_e64 s[8:9], 3, v32
	v_cndmask_b32_e64 v38, v38, v9, s[8:9]
	;; [unrolled: 3-line block ×8, first 2 shown]
	v_cndmask_b32_e64 v39, v39, v18, s[10:11]
	v_cmp_eq_u32_e64 s[10:11], 10, v32
	ds_read_b64 v[36:37], v35
	v_cndmask_b32_e64 v38, v38, v23, s[10:11]
	v_cndmask_b32_e64 v39, v39, v20, s[8:9]
	v_cmp_eq_u32_e64 s[8:9], 11, v32
	v_cndmask_b32_e64 v38, v38, v25, s[8:9]
	v_cndmask_b32_e64 v39, v39, v22, s[10:11]
	v_cmp_eq_u32_e64 s[10:11], 12, v32
	v_cndmask_b32_e64 v38, v38, v27, s[10:11]
	v_cmp_eq_u32_e64 s[12:13], 13, v32
	v_cndmask_b32_e64 v40, v39, v24, s[8:9]
	v_add_co_u32_e64 v32, s[8:9], 1, v32
	v_addc_co_u32_e64 v33, s[8:9], 0, v33, s[8:9]
	v_cndmask_b32_e64 v39, v38, v29, s[12:13]
	v_cndmask_b32_e64 v38, v40, v26, s[10:11]
	v_add_u32_e32 v40, -1, v32
	v_cndmask_b32_e64 v38, v38, v28, s[12:13]
	v_cmp_lt_u32_e64 s[8:9], 4, v40
	v_add_u32_e32 v35, 8, v35
	s_or_b64 s[16:17], s[8:9], s[16:17]
	s_waitcnt lgkmcnt(0)
	v_fmac_f64_e32 v[30:31], v[38:39], v[36:37]
	s_andn2_b64 exec, exec, s[16:17]
	s_cbranch_execnz .LBB13_35
; %bb.36:
	s_or_b64 exec, exec, s[16:17]
	v_mov_b32_e32 v14, 0
	ds_read_b64 v[14:15], v14 offset:48
	s_waitcnt lgkmcnt(0)
	v_mul_f64 v[14:15], v[30:31], v[14:15]
.LBB13_37:
	s_or_b64 exec, exec, s[14:15]
	v_cmp_gt_u32_e64 s[8:9], 7, v0
	s_waitcnt lgkmcnt(0)
	; wave barrier
	ds_write_b64 v34, v[16:17]
	s_waitcnt lgkmcnt(0)
	; wave barrier
	s_waitcnt lgkmcnt(0)
	s_and_saveexec_b64 s[14:15], s[8:9]
	s_cbranch_execz .LBB13_41
; %bb.38:
	v_mov_b32_e32 v30, 0x70
	v_lshl_add_u32 v35, v0, 3, v30
	s_mov_b64 s[16:17], 0
	v_pk_mov_b32 v[30:31], 0, 0
	v_pk_mov_b32 v[32:33], v[0:1], v[0:1] op_sel:[0,1]
.LBB13_39:                              ; =>This Inner Loop Header: Depth=1
	v_cmp_eq_u32_e64 s[8:9], 1, v32
	v_cndmask_b32_e64 v38, v3, v5, s[8:9]
	v_cmp_eq_u32_e64 s[10:11], 2, v32
	v_cndmask_b32_e64 v38, v38, v7, s[10:11]
	v_cndmask_b32_e64 v39, v2, v4, s[8:9]
	v_cmp_eq_u32_e64 s[8:9], 3, v32
	v_cndmask_b32_e64 v38, v38, v9, s[8:9]
	;; [unrolled: 3-line block ×8, first 2 shown]
	v_cndmask_b32_e64 v39, v39, v18, s[10:11]
	v_cmp_eq_u32_e64 s[10:11], 10, v32
	ds_read_b64 v[36:37], v35
	v_cndmask_b32_e64 v38, v38, v23, s[10:11]
	v_cndmask_b32_e64 v39, v39, v20, s[8:9]
	v_cmp_eq_u32_e64 s[8:9], 11, v32
	v_cndmask_b32_e64 v38, v38, v25, s[8:9]
	v_cndmask_b32_e64 v39, v39, v22, s[10:11]
	v_cmp_eq_u32_e64 s[10:11], 12, v32
	v_cndmask_b32_e64 v38, v38, v27, s[10:11]
	v_cmp_eq_u32_e64 s[12:13], 13, v32
	v_cndmask_b32_e64 v40, v39, v24, s[8:9]
	v_add_co_u32_e64 v32, s[8:9], 1, v32
	v_addc_co_u32_e64 v33, s[8:9], 0, v33, s[8:9]
	v_cndmask_b32_e64 v39, v38, v29, s[12:13]
	v_cndmask_b32_e64 v38, v40, v26, s[10:11]
	v_add_u32_e32 v40, -1, v32
	v_cndmask_b32_e64 v38, v38, v28, s[12:13]
	v_cmp_lt_u32_e64 s[8:9], 5, v40
	v_add_u32_e32 v35, 8, v35
	s_or_b64 s[16:17], s[8:9], s[16:17]
	s_waitcnt lgkmcnt(0)
	v_fmac_f64_e32 v[30:31], v[38:39], v[36:37]
	s_andn2_b64 exec, exec, s[16:17]
	s_cbranch_execnz .LBB13_39
; %bb.40:
	s_or_b64 exec, exec, s[16:17]
	v_mov_b32_e32 v16, 0
	ds_read_b64 v[16:17], v16 offset:56
	s_waitcnt lgkmcnt(0)
	v_mul_f64 v[16:17], v[30:31], v[16:17]
.LBB13_41:
	s_or_b64 exec, exec, s[14:15]
	v_cmp_gt_u32_e64 s[8:9], 8, v0
	s_waitcnt lgkmcnt(0)
	; wave barrier
	ds_write_b64 v34, v[18:19]
	s_waitcnt lgkmcnt(0)
	; wave barrier
	s_waitcnt lgkmcnt(0)
	s_and_saveexec_b64 s[36:37], s[8:9]
	s_cbranch_execz .LBB13_57
; %bb.42:
	v_cmp_eq_u32_e64 s[8:9], 1, v0
	v_cndmask_b32_e64 v30, v3, v5, s[8:9]
	v_cmp_eq_u32_e64 s[10:11], 2, v0
	v_cndmask_b32_e64 v30, v30, v7, s[10:11]
	;; [unrolled: 2-line block ×13, first 2 shown]
	v_cndmask_b32_e64 v30, v2, v4, s[8:9]
	v_cndmask_b32_e64 v30, v30, v6, s[10:11]
	;; [unrolled: 1-line block ×9, first 2 shown]
	ds_read_b64 v[32:33], v34
	v_cndmask_b32_e64 v30, v30, v22, s[26:27]
	v_cndmask_b32_e64 v30, v30, v24, s[28:29]
	;; [unrolled: 1-line block ×4, first 2 shown]
	s_waitcnt lgkmcnt(0)
	v_fma_f64 v[30:31], v[30:31], v[32:33], 0
	v_cmp_ne_u32_e64 s[8:9], 7, v0
	s_and_saveexec_b64 s[44:45], s[8:9]
	s_cbranch_execz .LBB13_56
; %bb.43:
	v_add_u32_e32 v32, 1, v0
	v_cmp_eq_u32_e64 s[8:9], 1, v32
	v_cndmask_b32_e64 v33, v3, v5, s[8:9]
	v_cmp_eq_u32_e64 s[10:11], 2, v32
	v_cmp_eq_u32_e64 s[12:13], 3, v32
	;; [unrolled: 1-line block ×12, first 2 shown]
	v_cndmask_b32_e64 v32, v2, v4, s[8:9]
	v_cndmask_b32_e64 v33, v33, v7, s[10:11]
	;; [unrolled: 1-line block ×17, first 2 shown]
	ds_read_b64 v[36:37], v34 offset:8
	v_cndmask_b32_e64 v33, v33, v23, s[26:27]
	v_cndmask_b32_e64 v32, v32, v22, s[26:27]
	;; [unrolled: 1-line block ×8, first 2 shown]
	s_waitcnt lgkmcnt(0)
	v_fmac_f64_e32 v[30:31], v[32:33], v[36:37]
	s_and_saveexec_b64 s[34:35], s[4:5]
	s_cbranch_execz .LBB13_55
; %bb.44:
	v_add_u32_e32 v32, 2, v0
	v_cmp_eq_u32_e64 s[4:5], 1, v32
	v_cndmask_b32_e64 v33, v3, v5, s[4:5]
	v_cmp_eq_u32_e64 s[8:9], 2, v32
	v_cmp_eq_u32_e64 s[10:11], 3, v32
	;; [unrolled: 1-line block ×12, first 2 shown]
	v_cndmask_b32_e64 v32, v2, v4, s[4:5]
	v_cndmask_b32_e64 v33, v33, v7, s[8:9]
	;; [unrolled: 1-line block ×17, first 2 shown]
	ds_read_b64 v[36:37], v34 offset:16
	v_cndmask_b32_e64 v33, v33, v23, s[24:25]
	v_cndmask_b32_e64 v32, v32, v22, s[24:25]
	;; [unrolled: 1-line block ×8, first 2 shown]
	s_waitcnt lgkmcnt(0)
	v_fmac_f64_e32 v[30:31], v[32:33], v[36:37]
	v_cmp_ne_u32_e64 s[4:5], 5, v0
	s_and_saveexec_b64 s[46:47], s[4:5]
	s_cbranch_execz .LBB13_54
; %bb.45:
	v_add_u32_e32 v32, 3, v0
	v_cmp_eq_u32_e64 s[4:5], 1, v32
	v_cndmask_b32_e64 v33, v3, v5, s[4:5]
	v_cmp_eq_u32_e64 s[8:9], 2, v32
	v_cmp_eq_u32_e64 s[10:11], 3, v32
	;; [unrolled: 1-line block ×12, first 2 shown]
	v_cndmask_b32_e64 v32, v2, v4, s[4:5]
	v_cndmask_b32_e64 v33, v33, v7, s[8:9]
	v_cndmask_b32_e64 v32, v32, v6, s[8:9]
	v_cndmask_b32_e64 v33, v33, v9, s[10:11]
	v_cndmask_b32_e64 v32, v32, v8, s[10:11]
	v_cndmask_b32_e64 v33, v33, v11, s[12:13]
	v_cndmask_b32_e64 v32, v32, v10, s[12:13]
	v_cndmask_b32_e64 v33, v33, v13, s[14:15]
	v_cndmask_b32_e64 v32, v32, v12, s[14:15]
	v_cndmask_b32_e64 v33, v33, v15, s[16:17]
	v_cndmask_b32_e64 v32, v32, v14, s[16:17]
	v_cndmask_b32_e64 v33, v33, v17, s[18:19]
	v_cndmask_b32_e64 v32, v32, v16, s[18:19]
	v_cndmask_b32_e64 v33, v33, v19, s[20:21]
	v_cndmask_b32_e64 v32, v32, v18, s[20:21]
	v_cndmask_b32_e64 v33, v33, v21, s[22:23]
	v_cndmask_b32_e64 v32, v32, v20, s[22:23]
	ds_read_b64 v[36:37], v34 offset:24
	v_cndmask_b32_e64 v33, v33, v23, s[24:25]
	v_cndmask_b32_e64 v32, v32, v22, s[24:25]
	;; [unrolled: 1-line block ×8, first 2 shown]
	s_waitcnt lgkmcnt(0)
	v_fmac_f64_e32 v[30:31], v[32:33], v[36:37]
	s_and_saveexec_b64 s[30:31], s[2:3]
	s_cbranch_execz .LBB13_53
; %bb.46:
	v_or_b32_e32 v32, 4, v0
	v_cmp_eq_u32_e64 s[2:3], 1, v32
	v_cndmask_b32_e64 v33, v3, v5, s[2:3]
	v_cmp_eq_u32_e64 s[4:5], 2, v32
	v_cmp_eq_u32_e64 s[8:9], 3, v32
	;; [unrolled: 1-line block ×12, first 2 shown]
	v_cndmask_b32_e64 v32, v2, v4, s[2:3]
	v_cndmask_b32_e64 v33, v33, v7, s[4:5]
	;; [unrolled: 1-line block ×17, first 2 shown]
	ds_read_b64 v[36:37], v34 offset:32
	v_cndmask_b32_e64 v33, v33, v23, s[22:23]
	v_cndmask_b32_e64 v32, v32, v22, s[22:23]
	;; [unrolled: 1-line block ×8, first 2 shown]
	s_waitcnt lgkmcnt(0)
	v_fmac_f64_e32 v[30:31], v[32:33], v[36:37]
	v_cmp_ne_u32_e64 s[2:3], 3, v0
	s_and_saveexec_b64 s[48:49], s[2:3]
	s_cbranch_execz .LBB13_52
; %bb.47:
	v_add_u32_e32 v32, 5, v0
	v_cmp_eq_u32_e64 s[2:3], 1, v32
	v_cndmask_b32_e64 v33, v3, v5, s[2:3]
	v_cmp_eq_u32_e64 s[4:5], 2, v32
	v_cmp_eq_u32_e64 s[8:9], 3, v32
	;; [unrolled: 1-line block ×12, first 2 shown]
	v_cndmask_b32_e64 v32, v2, v4, s[2:3]
	v_cndmask_b32_e64 v33, v33, v7, s[4:5]
	;; [unrolled: 1-line block ×17, first 2 shown]
	ds_read_b64 v[36:37], v34 offset:40
	v_cndmask_b32_e64 v33, v33, v23, s[22:23]
	v_cndmask_b32_e64 v32, v32, v22, s[22:23]
	;; [unrolled: 1-line block ×8, first 2 shown]
	s_waitcnt lgkmcnt(0)
	v_fmac_f64_e32 v[30:31], v[32:33], v[36:37]
	s_and_saveexec_b64 s[28:29], vcc
	s_cbranch_execz .LBB13_51
; %bb.48:
	v_or_b32_e32 v32, 6, v0
	v_cmp_eq_u32_e32 vcc, 1, v32
	v_cndmask_b32_e32 v33, v3, v5, vcc
	v_cmp_eq_u32_e64 s[2:3], 2, v32
	v_cmp_eq_u32_e64 s[4:5], 3, v32
	;; [unrolled: 1-line block ×12, first 2 shown]
	v_cndmask_b32_e32 v32, v2, v4, vcc
	v_cndmask_b32_e64 v33, v33, v7, s[2:3]
	v_cndmask_b32_e64 v32, v32, v6, s[2:3]
	;; [unrolled: 1-line block ×16, first 2 shown]
	ds_read_b64 v[32:33], v34 offset:48
	v_cndmask_b32_e64 v19, v19, v23, s[20:21]
	v_cndmask_b32_e64 v18, v18, v22, s[20:21]
	;; [unrolled: 1-line block ×8, first 2 shown]
	s_waitcnt lgkmcnt(0)
	v_fmac_f64_e32 v[30:31], v[18:19], v[32:33]
	s_and_saveexec_b64 s[2:3], s[0:1]
	s_cbranch_execz .LBB13_50
; %bb.49:
	ds_read_b64 v[18:19], v34 offset:56
	s_waitcnt lgkmcnt(0)
	v_fmac_f64_e32 v[30:31], v[16:17], v[18:19]
.LBB13_50:
	s_or_b64 exec, exec, s[2:3]
.LBB13_51:
	s_or_b64 exec, exec, s[28:29]
.LBB13_52:
	s_or_b64 exec, exec, s[48:49]
.LBB13_53:
	s_or_b64 exec, exec, s[30:31]
.LBB13_54:
	s_or_b64 exec, exec, s[46:47]
.LBB13_55:
	s_or_b64 exec, exec, s[34:35]
.LBB13_56:
	s_or_b64 exec, exec, s[44:45]
	v_mov_b32_e32 v18, 0
	ds_read_b64 v[18:19], v18 offset:64
	s_waitcnt lgkmcnt(0)
	v_mul_f64 v[18:19], v[30:31], v[18:19]
.LBB13_57:
	s_or_b64 exec, exec, s[36:37]
	v_cmp_gt_u32_e32 vcc, 9, v0
	s_waitcnt lgkmcnt(0)
	; wave barrier
	ds_write_b64 v34, v[20:21]
	s_waitcnt lgkmcnt(0)
	; wave barrier
	s_waitcnt lgkmcnt(0)
	s_and_saveexec_b64 s[4:5], vcc
	s_cbranch_execz .LBB13_61
; %bb.58:
	v_mov_b32_e32 v30, 0x70
	v_lshl_add_u32 v35, v0, 3, v30
	s_mov_b64 s[8:9], 0
	v_pk_mov_b32 v[30:31], 0, 0
	v_pk_mov_b32 v[32:33], v[0:1], v[0:1] op_sel:[0,1]
.LBB13_59:                              ; =>This Inner Loop Header: Depth=1
	v_cmp_eq_u32_e32 vcc, 1, v32
	v_cndmask_b32_e32 v38, v3, v5, vcc
	v_cmp_eq_u32_e64 s[0:1], 2, v32
	v_cndmask_b32_e64 v38, v38, v7, s[0:1]
	v_cndmask_b32_e32 v39, v2, v4, vcc
	v_cmp_eq_u32_e32 vcc, 3, v32
	v_cndmask_b32_e32 v38, v38, v9, vcc
	v_cndmask_b32_e64 v39, v39, v6, s[0:1]
	v_cmp_eq_u32_e64 s[0:1], 4, v32
	v_cndmask_b32_e64 v38, v38, v11, s[0:1]
	v_cndmask_b32_e32 v39, v39, v8, vcc
	v_cmp_eq_u32_e32 vcc, 5, v32
	v_cndmask_b32_e32 v38, v38, v13, vcc
	v_cndmask_b32_e64 v39, v39, v10, s[0:1]
	;; [unrolled: 6-line block ×4, first 2 shown]
	v_cmp_eq_u32_e64 s[0:1], 10, v32
	ds_read_b64 v[36:37], v35
	v_cndmask_b32_e64 v38, v38, v23, s[0:1]
	v_cndmask_b32_e32 v39, v39, v20, vcc
	v_cmp_eq_u32_e32 vcc, 11, v32
	v_cndmask_b32_e32 v38, v38, v25, vcc
	v_cndmask_b32_e64 v39, v39, v22, s[0:1]
	v_cmp_eq_u32_e64 s[0:1], 12, v32
	v_cndmask_b32_e64 v38, v38, v27, s[0:1]
	v_cmp_eq_u32_e64 s[2:3], 13, v32
	v_cndmask_b32_e32 v40, v39, v24, vcc
	v_add_co_u32_e32 v32, vcc, 1, v32
	v_addc_co_u32_e32 v33, vcc, 0, v33, vcc
	v_cndmask_b32_e64 v39, v38, v29, s[2:3]
	v_cndmask_b32_e64 v38, v40, v26, s[0:1]
	v_add_u32_e32 v40, -1, v32
	v_cndmask_b32_e64 v38, v38, v28, s[2:3]
	v_cmp_lt_u32_e32 vcc, 7, v40
	v_add_u32_e32 v35, 8, v35
	s_or_b64 s[8:9], vcc, s[8:9]
	s_waitcnt lgkmcnt(0)
	v_fmac_f64_e32 v[30:31], v[38:39], v[36:37]
	s_andn2_b64 exec, exec, s[8:9]
	s_cbranch_execnz .LBB13_59
; %bb.60:
	s_or_b64 exec, exec, s[8:9]
	v_mov_b32_e32 v20, 0
	ds_read_b64 v[20:21], v20 offset:72
	s_waitcnt lgkmcnt(0)
	v_mul_f64 v[20:21], v[30:31], v[20:21]
.LBB13_61:
	s_or_b64 exec, exec, s[4:5]
	v_cmp_gt_u32_e32 vcc, 10, v0
	s_waitcnt lgkmcnt(0)
	; wave barrier
	ds_write_b64 v34, v[22:23]
	s_waitcnt lgkmcnt(0)
	; wave barrier
	s_waitcnt lgkmcnt(0)
	s_and_saveexec_b64 s[4:5], vcc
	s_cbranch_execz .LBB13_65
; %bb.62:
	v_mov_b32_e32 v30, 0x70
	v_lshl_add_u32 v35, v0, 3, v30
	s_mov_b64 s[8:9], 0
	v_pk_mov_b32 v[30:31], 0, 0
	v_pk_mov_b32 v[32:33], v[0:1], v[0:1] op_sel:[0,1]
.LBB13_63:                              ; =>This Inner Loop Header: Depth=1
	v_cmp_eq_u32_e32 vcc, 1, v32
	v_cndmask_b32_e32 v38, v3, v5, vcc
	v_cmp_eq_u32_e64 s[0:1], 2, v32
	v_cndmask_b32_e64 v38, v38, v7, s[0:1]
	v_cndmask_b32_e32 v39, v2, v4, vcc
	v_cmp_eq_u32_e32 vcc, 3, v32
	v_cndmask_b32_e32 v38, v38, v9, vcc
	v_cndmask_b32_e64 v39, v39, v6, s[0:1]
	v_cmp_eq_u32_e64 s[0:1], 4, v32
	v_cndmask_b32_e64 v38, v38, v11, s[0:1]
	v_cndmask_b32_e32 v39, v39, v8, vcc
	v_cmp_eq_u32_e32 vcc, 5, v32
	v_cndmask_b32_e32 v38, v38, v13, vcc
	v_cndmask_b32_e64 v39, v39, v10, s[0:1]
	;; [unrolled: 6-line block ×4, first 2 shown]
	v_cmp_eq_u32_e64 s[0:1], 10, v32
	ds_read_b64 v[36:37], v35
	v_cndmask_b32_e64 v38, v38, v23, s[0:1]
	v_cndmask_b32_e32 v39, v39, v20, vcc
	v_cmp_eq_u32_e32 vcc, 11, v32
	v_cndmask_b32_e32 v38, v38, v25, vcc
	v_cndmask_b32_e64 v39, v39, v22, s[0:1]
	v_cmp_eq_u32_e64 s[0:1], 12, v32
	v_cndmask_b32_e64 v38, v38, v27, s[0:1]
	v_cmp_eq_u32_e64 s[2:3], 13, v32
	v_cndmask_b32_e32 v40, v39, v24, vcc
	v_add_co_u32_e32 v32, vcc, 1, v32
	v_addc_co_u32_e32 v33, vcc, 0, v33, vcc
	v_cndmask_b32_e64 v39, v38, v29, s[2:3]
	v_cndmask_b32_e64 v38, v40, v26, s[0:1]
	v_add_u32_e32 v40, -1, v32
	v_cndmask_b32_e64 v38, v38, v28, s[2:3]
	v_cmp_lt_u32_e32 vcc, 8, v40
	v_add_u32_e32 v35, 8, v35
	s_or_b64 s[8:9], vcc, s[8:9]
	s_waitcnt lgkmcnt(0)
	v_fmac_f64_e32 v[30:31], v[38:39], v[36:37]
	s_andn2_b64 exec, exec, s[8:9]
	s_cbranch_execnz .LBB13_63
; %bb.64:
	s_or_b64 exec, exec, s[8:9]
	v_mov_b32_e32 v22, 0
	ds_read_b64 v[22:23], v22 offset:80
	s_waitcnt lgkmcnt(0)
	v_mul_f64 v[22:23], v[30:31], v[22:23]
.LBB13_65:
	s_or_b64 exec, exec, s[4:5]
	v_cmp_gt_u32_e32 vcc, 11, v0
	s_waitcnt lgkmcnt(0)
	; wave barrier
	ds_write_b64 v34, v[24:25]
	s_waitcnt lgkmcnt(0)
	; wave barrier
	s_waitcnt lgkmcnt(0)
	s_and_saveexec_b64 s[4:5], vcc
	s_cbranch_execz .LBB13_69
; %bb.66:
	v_mov_b32_e32 v30, 0x70
	v_lshl_add_u32 v35, v0, 3, v30
	s_mov_b64 s[8:9], 0
	v_pk_mov_b32 v[30:31], 0, 0
	v_pk_mov_b32 v[32:33], v[0:1], v[0:1] op_sel:[0,1]
.LBB13_67:                              ; =>This Inner Loop Header: Depth=1
	v_cmp_eq_u32_e32 vcc, 1, v32
	v_cndmask_b32_e32 v38, v3, v5, vcc
	v_cmp_eq_u32_e64 s[0:1], 2, v32
	v_cndmask_b32_e64 v38, v38, v7, s[0:1]
	v_cndmask_b32_e32 v39, v2, v4, vcc
	v_cmp_eq_u32_e32 vcc, 3, v32
	v_cndmask_b32_e32 v38, v38, v9, vcc
	v_cndmask_b32_e64 v39, v39, v6, s[0:1]
	v_cmp_eq_u32_e64 s[0:1], 4, v32
	v_cndmask_b32_e64 v38, v38, v11, s[0:1]
	v_cndmask_b32_e32 v39, v39, v8, vcc
	v_cmp_eq_u32_e32 vcc, 5, v32
	v_cndmask_b32_e32 v38, v38, v13, vcc
	v_cndmask_b32_e64 v39, v39, v10, s[0:1]
	;; [unrolled: 6-line block ×4, first 2 shown]
	v_cmp_eq_u32_e64 s[0:1], 10, v32
	ds_read_b64 v[36:37], v35
	v_cndmask_b32_e64 v38, v38, v23, s[0:1]
	v_cndmask_b32_e32 v39, v39, v20, vcc
	v_cmp_eq_u32_e32 vcc, 11, v32
	v_cndmask_b32_e32 v38, v38, v25, vcc
	v_cndmask_b32_e64 v39, v39, v22, s[0:1]
	v_cmp_eq_u32_e64 s[0:1], 12, v32
	v_cndmask_b32_e64 v38, v38, v27, s[0:1]
	v_cmp_eq_u32_e64 s[2:3], 13, v32
	v_cndmask_b32_e32 v40, v39, v24, vcc
	v_add_co_u32_e32 v32, vcc, 1, v32
	v_addc_co_u32_e32 v33, vcc, 0, v33, vcc
	v_cndmask_b32_e64 v39, v38, v29, s[2:3]
	v_cndmask_b32_e64 v38, v40, v26, s[0:1]
	v_add_u32_e32 v40, -1, v32
	v_cndmask_b32_e64 v38, v38, v28, s[2:3]
	v_cmp_lt_u32_e32 vcc, 9, v40
	v_add_u32_e32 v35, 8, v35
	s_or_b64 s[8:9], vcc, s[8:9]
	s_waitcnt lgkmcnt(0)
	v_fmac_f64_e32 v[30:31], v[38:39], v[36:37]
	s_andn2_b64 exec, exec, s[8:9]
	s_cbranch_execnz .LBB13_67
; %bb.68:
	s_or_b64 exec, exec, s[8:9]
	v_mov_b32_e32 v24, 0
	ds_read_b64 v[24:25], v24 offset:88
	s_waitcnt lgkmcnt(0)
	v_mul_f64 v[24:25], v[30:31], v[24:25]
.LBB13_69:
	s_or_b64 exec, exec, s[4:5]
	v_cmp_gt_u32_e32 vcc, 12, v0
	s_waitcnt lgkmcnt(0)
	; wave barrier
	ds_write_b64 v34, v[26:27]
	s_waitcnt lgkmcnt(0)
	; wave barrier
	s_waitcnt lgkmcnt(0)
	s_and_saveexec_b64 s[4:5], vcc
	s_cbranch_execz .LBB13_73
; %bb.70:
	v_mov_b32_e32 v30, 0x70
	v_lshl_add_u32 v35, v0, 3, v30
	s_mov_b64 s[8:9], 0
	v_pk_mov_b32 v[30:31], 0, 0
	v_pk_mov_b32 v[32:33], v[0:1], v[0:1] op_sel:[0,1]
.LBB13_71:                              ; =>This Inner Loop Header: Depth=1
	v_cmp_eq_u32_e32 vcc, 1, v32
	v_cndmask_b32_e32 v38, v3, v5, vcc
	v_cmp_eq_u32_e64 s[0:1], 2, v32
	v_cndmask_b32_e64 v38, v38, v7, s[0:1]
	v_cndmask_b32_e32 v39, v2, v4, vcc
	v_cmp_eq_u32_e32 vcc, 3, v32
	v_cndmask_b32_e32 v38, v38, v9, vcc
	v_cndmask_b32_e64 v39, v39, v6, s[0:1]
	v_cmp_eq_u32_e64 s[0:1], 4, v32
	v_cndmask_b32_e64 v38, v38, v11, s[0:1]
	v_cndmask_b32_e32 v39, v39, v8, vcc
	v_cmp_eq_u32_e32 vcc, 5, v32
	v_cndmask_b32_e32 v38, v38, v13, vcc
	v_cndmask_b32_e64 v39, v39, v10, s[0:1]
	;; [unrolled: 6-line block ×4, first 2 shown]
	v_cmp_eq_u32_e64 s[0:1], 10, v32
	ds_read_b64 v[36:37], v35
	v_cndmask_b32_e64 v38, v38, v23, s[0:1]
	v_cndmask_b32_e32 v39, v39, v20, vcc
	v_cmp_eq_u32_e32 vcc, 11, v32
	v_cndmask_b32_e32 v38, v38, v25, vcc
	v_cndmask_b32_e64 v39, v39, v22, s[0:1]
	v_cmp_eq_u32_e64 s[0:1], 12, v32
	v_cndmask_b32_e64 v38, v38, v27, s[0:1]
	v_cmp_eq_u32_e64 s[2:3], 13, v32
	v_cndmask_b32_e32 v40, v39, v24, vcc
	v_add_co_u32_e32 v32, vcc, 1, v32
	v_addc_co_u32_e32 v33, vcc, 0, v33, vcc
	v_cndmask_b32_e64 v39, v38, v29, s[2:3]
	v_cndmask_b32_e64 v38, v40, v26, s[0:1]
	v_add_u32_e32 v40, -1, v32
	v_cndmask_b32_e64 v38, v38, v28, s[2:3]
	v_cmp_lt_u32_e32 vcc, 10, v40
	v_add_u32_e32 v35, 8, v35
	s_or_b64 s[8:9], vcc, s[8:9]
	s_waitcnt lgkmcnt(0)
	v_fmac_f64_e32 v[30:31], v[38:39], v[36:37]
	s_andn2_b64 exec, exec, s[8:9]
	s_cbranch_execnz .LBB13_71
; %bb.72:
	s_or_b64 exec, exec, s[8:9]
	v_mov_b32_e32 v26, 0
	ds_read_b64 v[26:27], v26 offset:96
	s_waitcnt lgkmcnt(0)
	v_mul_f64 v[26:27], v[30:31], v[26:27]
.LBB13_73:
	s_or_b64 exec, exec, s[4:5]
	v_cmp_ne_u32_e32 vcc, 13, v0
	s_waitcnt lgkmcnt(0)
	; wave barrier
	ds_write_b64 v34, v[28:29]
	s_waitcnt lgkmcnt(0)
	; wave barrier
	s_waitcnt lgkmcnt(0)
	s_and_saveexec_b64 s[4:5], vcc
	s_cbranch_execz .LBB13_77
; %bb.74:
	v_mov_b32_e32 v30, 0x70
	v_lshl_add_u32 v34, v0, 3, v30
	s_mov_b64 s[8:9], 0
	v_pk_mov_b32 v[30:31], 0, 0
	v_pk_mov_b32 v[32:33], v[0:1], v[0:1] op_sel:[0,1]
.LBB13_75:                              ; =>This Inner Loop Header: Depth=1
	v_cmp_eq_u32_e32 vcc, 1, v32
	v_cndmask_b32_e32 v1, v3, v5, vcc
	v_cmp_eq_u32_e64 s[0:1], 2, v32
	v_cndmask_b32_e64 v1, v1, v7, s[0:1]
	v_cndmask_b32_e32 v35, v2, v4, vcc
	v_cmp_eq_u32_e32 vcc, 3, v32
	v_cndmask_b32_e32 v1, v1, v9, vcc
	v_cndmask_b32_e64 v35, v35, v6, s[0:1]
	v_cmp_eq_u32_e64 s[0:1], 4, v32
	v_cndmask_b32_e64 v1, v1, v11, s[0:1]
	v_cndmask_b32_e32 v35, v35, v8, vcc
	v_cmp_eq_u32_e32 vcc, 5, v32
	v_cndmask_b32_e32 v1, v1, v13, vcc
	v_cndmask_b32_e64 v35, v35, v10, s[0:1]
	;; [unrolled: 6-line block ×4, first 2 shown]
	v_cmp_eq_u32_e64 s[0:1], 10, v32
	ds_read_b64 v[36:37], v34
	v_cndmask_b32_e64 v1, v1, v23, s[0:1]
	v_cndmask_b32_e32 v35, v35, v20, vcc
	v_cmp_eq_u32_e32 vcc, 11, v32
	v_cndmask_b32_e32 v1, v1, v25, vcc
	v_cndmask_b32_e64 v35, v35, v22, s[0:1]
	v_cmp_eq_u32_e64 s[0:1], 12, v32
	v_cndmask_b32_e64 v1, v1, v27, s[0:1]
	v_cmp_eq_u32_e64 s[2:3], 13, v32
	v_cndmask_b32_e32 v35, v35, v24, vcc
	v_add_co_u32_e32 v32, vcc, 1, v32
	v_addc_co_u32_e32 v33, vcc, 0, v33, vcc
	v_cndmask_b32_e64 v39, v1, v29, s[2:3]
	v_cndmask_b32_e64 v1, v35, v26, s[0:1]
	v_add_u32_e32 v35, -1, v32
	v_cndmask_b32_e64 v38, v1, v28, s[2:3]
	v_cmp_lt_u32_e32 vcc, 11, v35
	v_add_u32_e32 v34, 8, v34
	s_or_b64 s[8:9], vcc, s[8:9]
	s_waitcnt lgkmcnt(0)
	v_fmac_f64_e32 v[30:31], v[38:39], v[36:37]
	s_andn2_b64 exec, exec, s[8:9]
	s_cbranch_execnz .LBB13_75
; %bb.76:
	s_or_b64 exec, exec, s[8:9]
	v_mov_b32_e32 v1, 0
	ds_read_b64 v[28:29], v1 offset:104
	s_waitcnt lgkmcnt(0)
	v_mul_f64 v[28:29], v[30:31], v[28:29]
.LBB13_77:
	s_or_b64 exec, exec, s[4:5]
	s_waitcnt lgkmcnt(0)
	; wave barrier
	s_cbranch_execnz .LBB13_15
	s_branch .LBB13_16
.LBB13_78:
	v_mov_b32_e32 v1, 0x70
	v_lshl_add_u32 v1, v0, 3, v1
	v_cmp_eq_u32_e32 vcc, 13, v0
	s_and_saveexec_b64 s[0:1], vcc
	s_cbranch_execz .LBB13_80
; %bb.79:
	v_mov_b32_e32 v54, 0
	v_mov_b32_e32 v30, v2
	;; [unrolled: 1-line block ×28, first 2 shown]
	ds_write_b64 v1, v[26:27]
	v_pk_mov_b32 v[2:3], v[30:31], v[30:31] op_sel:[0,1]
	v_pk_mov_b32 v[4:5], v[32:33], v[32:33] op_sel:[0,1]
	;; [unrolled: 1-line block ×16, first 2 shown]
.LBB13_80:
	s_or_b64 exec, exec, s[0:1]
	v_mov_b32_e32 v52, 0
	s_waitcnt lgkmcnt(0)
	; wave barrier
	s_waitcnt lgkmcnt(0)
	ds_read_b64 v[30:31], v52 offset:216
	v_cmp_lt_u32_e32 vcc, 11, v0
	s_waitcnt lgkmcnt(0)
	v_fma_f64 v[30:31], v[28:29], v[30:31], 0
	v_add_f64 v[26:27], v[26:27], -v[30:31]
	s_and_saveexec_b64 s[0:1], vcc
	s_cbranch_execz .LBB13_82
; %bb.81:
	v_mov_b32_e32 v30, v2
	v_mov_b32_e32 v31, v3
	;; [unrolled: 1-line block ×27, first 2 shown]
	ds_write_b64 v1, v[24:25]
	v_pk_mov_b32 v[2:3], v[30:31], v[30:31] op_sel:[0,1]
	v_pk_mov_b32 v[4:5], v[32:33], v[32:33] op_sel:[0,1]
	;; [unrolled: 1-line block ×16, first 2 shown]
.LBB13_82:
	s_or_b64 exec, exec, s[0:1]
	s_waitcnt lgkmcnt(0)
	; wave barrier
	s_waitcnt lgkmcnt(0)
	ds_read_b128 v[30:33], v52 offset:208
	v_cmp_lt_u32_e32 vcc, 10, v0
	s_waitcnt lgkmcnt(0)
	v_fma_f64 v[30:31], v[26:27], v[30:31], 0
	v_fmac_f64_e32 v[30:31], v[28:29], v[32:33]
	v_add_f64 v[24:25], v[24:25], -v[30:31]
	s_and_saveexec_b64 s[0:1], vcc
	s_cbranch_execz .LBB13_84
; %bb.83:
	v_mov_b32_e32 v50, 0
	v_mov_b32_e32 v30, v2
	;; [unrolled: 1-line block ×28, first 2 shown]
	ds_write_b64 v1, v[22:23]
	v_pk_mov_b32 v[2:3], v[30:31], v[30:31] op_sel:[0,1]
	v_pk_mov_b32 v[4:5], v[32:33], v[32:33] op_sel:[0,1]
	;; [unrolled: 1-line block ×16, first 2 shown]
.LBB13_84:
	s_or_b64 exec, exec, s[0:1]
	v_mov_b32_e32 v48, 0
	s_waitcnt lgkmcnt(0)
	; wave barrier
	s_waitcnt lgkmcnt(0)
	ds_read2_b64 v[30:33], v48 offset0:25 offset1:26
	ds_read_b64 v[34:35], v48 offset:216
	v_cmp_lt_u32_e32 vcc, 9, v0
	s_waitcnt lgkmcnt(1)
	v_fma_f64 v[30:31], v[24:25], v[30:31], 0
	v_fmac_f64_e32 v[30:31], v[26:27], v[32:33]
	s_waitcnt lgkmcnt(0)
	v_fmac_f64_e32 v[30:31], v[28:29], v[34:35]
	v_add_f64 v[22:23], v[22:23], -v[30:31]
	s_and_saveexec_b64 s[0:1], vcc
	s_cbranch_execz .LBB13_86
; %bb.85:
	v_mov_b32_e32 v30, v2
	v_mov_b32_e32 v31, v3
	;; [unrolled: 1-line block ×27, first 2 shown]
	ds_write_b64 v1, v[20:21]
	v_pk_mov_b32 v[2:3], v[30:31], v[30:31] op_sel:[0,1]
	v_pk_mov_b32 v[4:5], v[32:33], v[32:33] op_sel:[0,1]
	;; [unrolled: 1-line block ×16, first 2 shown]
.LBB13_86:
	s_or_b64 exec, exec, s[0:1]
	s_waitcnt lgkmcnt(0)
	; wave barrier
	s_waitcnt lgkmcnt(0)
	ds_read_b128 v[30:33], v48 offset:192
	ds_read_b128 v[34:37], v48 offset:208
	v_cmp_lt_u32_e32 vcc, 8, v0
	s_waitcnt lgkmcnt(1)
	v_fma_f64 v[30:31], v[22:23], v[30:31], 0
	v_fmac_f64_e32 v[30:31], v[24:25], v[32:33]
	s_waitcnt lgkmcnt(0)
	v_fmac_f64_e32 v[30:31], v[26:27], v[34:35]
	v_fmac_f64_e32 v[30:31], v[28:29], v[36:37]
	v_add_f64 v[20:21], v[20:21], -v[30:31]
	s_and_saveexec_b64 s[0:1], vcc
	s_cbranch_execz .LBB13_88
; %bb.87:
	v_mov_b32_e32 v46, 0
	v_mov_b32_e32 v30, v2
	;; [unrolled: 1-line block ×28, first 2 shown]
	ds_write_b64 v1, v[18:19]
	v_pk_mov_b32 v[2:3], v[30:31], v[30:31] op_sel:[0,1]
	v_pk_mov_b32 v[4:5], v[32:33], v[32:33] op_sel:[0,1]
	;; [unrolled: 1-line block ×16, first 2 shown]
.LBB13_88:
	s_or_b64 exec, exec, s[0:1]
	v_mov_b32_e32 v44, 0
	s_waitcnt lgkmcnt(0)
	; wave barrier
	s_waitcnt lgkmcnt(0)
	ds_read2_b64 v[30:33], v44 offset0:23 offset1:24
	ds_read2_b64 v[34:37], v44 offset0:25 offset1:26
	ds_read_b64 v[38:39], v44 offset:216
	v_cmp_lt_u32_e32 vcc, 7, v0
	s_waitcnt lgkmcnt(2)
	v_fma_f64 v[30:31], v[20:21], v[30:31], 0
	v_fmac_f64_e32 v[30:31], v[22:23], v[32:33]
	s_waitcnt lgkmcnt(1)
	v_fmac_f64_e32 v[30:31], v[24:25], v[34:35]
	v_fmac_f64_e32 v[30:31], v[26:27], v[36:37]
	s_waitcnt lgkmcnt(0)
	v_fmac_f64_e32 v[30:31], v[28:29], v[38:39]
	v_add_f64 v[18:19], v[18:19], -v[30:31]
	s_and_saveexec_b64 s[0:1], vcc
	s_cbranch_execz .LBB13_90
; %bb.89:
	v_mov_b32_e32 v30, v2
	v_mov_b32_e32 v31, v3
	v_mov_b32_e32 v32, v4
	v_mov_b32_e32 v33, v5
	v_mov_b32_e32 v34, v6
	v_mov_b32_e32 v35, v7
	v_mov_b32_e32 v36, v8
	v_mov_b32_e32 v37, v9
	v_mov_b32_e32 v38, v10
	v_mov_b32_e32 v39, v11
	v_mov_b32_e32 v40, v12
	v_mov_b32_e32 v41, v13
	v_mov_b32_e32 v42, v14
	v_mov_b32_e32 v43, v15
	v_mov_b32_e32 v45, v44
	v_mov_b32_e32 v46, v18
	v_mov_b32_e32 v47, v19
	v_mov_b32_e32 v48, v20
	v_mov_b32_e32 v49, v21
	v_mov_b32_e32 v50, v22
	v_mov_b32_e32 v51, v23
	v_mov_b32_e32 v52, v24
	v_mov_b32_e32 v53, v25
	v_mov_b32_e32 v54, v26
	v_mov_b32_e32 v55, v27
	v_mov_b32_e32 v56, v28
	v_mov_b32_e32 v57, v29
	ds_write_b64 v1, v[16:17]
	v_pk_mov_b32 v[2:3], v[30:31], v[30:31] op_sel:[0,1]
	v_pk_mov_b32 v[4:5], v[32:33], v[32:33] op_sel:[0,1]
	;; [unrolled: 1-line block ×16, first 2 shown]
.LBB13_90:
	s_or_b64 exec, exec, s[0:1]
	s_waitcnt lgkmcnt(0)
	; wave barrier
	s_waitcnt lgkmcnt(0)
	ds_read_b128 v[30:33], v44 offset:176
	ds_read_b128 v[34:37], v44 offset:192
	;; [unrolled: 1-line block ×3, first 2 shown]
	v_cmp_lt_u32_e32 vcc, 6, v0
	s_waitcnt lgkmcnt(2)
	v_fma_f64 v[30:31], v[18:19], v[30:31], 0
	v_fmac_f64_e32 v[30:31], v[20:21], v[32:33]
	s_waitcnt lgkmcnt(1)
	v_fmac_f64_e32 v[30:31], v[22:23], v[34:35]
	v_fmac_f64_e32 v[30:31], v[24:25], v[36:37]
	s_waitcnt lgkmcnt(0)
	v_fmac_f64_e32 v[30:31], v[26:27], v[38:39]
	v_fmac_f64_e32 v[30:31], v[28:29], v[40:41]
	v_add_f64 v[16:17], v[16:17], -v[30:31]
	s_and_saveexec_b64 s[0:1], vcc
	s_cbranch_execz .LBB13_92
; %bb.91:
	v_mov_b32_e32 v42, 0
	v_mov_b32_e32 v30, v2
	;; [unrolled: 1-line block ×28, first 2 shown]
	ds_write_b64 v1, v[14:15]
	v_pk_mov_b32 v[2:3], v[30:31], v[30:31] op_sel:[0,1]
	v_pk_mov_b32 v[4:5], v[32:33], v[32:33] op_sel:[0,1]
	;; [unrolled: 1-line block ×16, first 2 shown]
.LBB13_92:
	s_or_b64 exec, exec, s[0:1]
	v_mov_b32_e32 v40, 0
	s_waitcnt lgkmcnt(0)
	; wave barrier
	s_waitcnt lgkmcnt(0)
	ds_read2_b64 v[30:33], v40 offset0:21 offset1:22
	ds_read2_b64 v[34:37], v40 offset0:23 offset1:24
	ds_read2_b64 v[42:45], v40 offset0:25 offset1:26
	v_cmp_lt_u32_e32 vcc, 5, v0
	s_waitcnt lgkmcnt(2)
	v_fma_f64 v[30:31], v[16:17], v[30:31], 0
	v_fmac_f64_e32 v[30:31], v[18:19], v[32:33]
	ds_read_b64 v[32:33], v40 offset:216
	s_waitcnt lgkmcnt(2)
	v_fmac_f64_e32 v[30:31], v[20:21], v[34:35]
	v_fmac_f64_e32 v[30:31], v[22:23], v[36:37]
	s_waitcnt lgkmcnt(1)
	v_fmac_f64_e32 v[30:31], v[24:25], v[42:43]
	v_fmac_f64_e32 v[30:31], v[26:27], v[44:45]
	s_waitcnt lgkmcnt(0)
	v_fmac_f64_e32 v[30:31], v[28:29], v[32:33]
	v_add_f64 v[14:15], v[14:15], -v[30:31]
	s_and_saveexec_b64 s[0:1], vcc
	s_cbranch_execz .LBB13_94
; %bb.93:
	v_mov_b32_e32 v30, v2
	v_mov_b32_e32 v31, v3
	;; [unrolled: 1-line block ×27, first 2 shown]
	ds_write_b64 v1, v[12:13]
	v_pk_mov_b32 v[2:3], v[30:31], v[30:31] op_sel:[0,1]
	v_pk_mov_b32 v[4:5], v[32:33], v[32:33] op_sel:[0,1]
	v_pk_mov_b32 v[6:7], v[34:35], v[34:35] op_sel:[0,1]
	v_pk_mov_b32 v[8:9], v[36:37], v[36:37] op_sel:[0,1]
	v_pk_mov_b32 v[10:11], v[38:39], v[38:39] op_sel:[0,1]
	v_pk_mov_b32 v[12:13], v[40:41], v[40:41] op_sel:[0,1]
	v_pk_mov_b32 v[14:15], v[42:43], v[42:43] op_sel:[0,1]
	v_pk_mov_b32 v[16:17], v[44:45], v[44:45] op_sel:[0,1]
	v_pk_mov_b32 v[18:19], v[46:47], v[46:47] op_sel:[0,1]
	v_pk_mov_b32 v[20:21], v[48:49], v[48:49] op_sel:[0,1]
	v_pk_mov_b32 v[22:23], v[50:51], v[50:51] op_sel:[0,1]
	v_pk_mov_b32 v[24:25], v[52:53], v[52:53] op_sel:[0,1]
	v_pk_mov_b32 v[26:27], v[54:55], v[54:55] op_sel:[0,1]
	v_pk_mov_b32 v[28:29], v[56:57], v[56:57] op_sel:[0,1]
	v_pk_mov_b32 v[30:31], v[58:59], v[58:59] op_sel:[0,1]
	v_pk_mov_b32 v[32:33], v[60:61], v[60:61] op_sel:[0,1]
.LBB13_94:
	s_or_b64 exec, exec, s[0:1]
	s_waitcnt lgkmcnt(0)
	; wave barrier
	s_waitcnt lgkmcnt(0)
	ds_read_b128 v[30:33], v40 offset:160
	ds_read_b128 v[34:37], v40 offset:176
	;; [unrolled: 1-line block ×4, first 2 shown]
	v_cmp_lt_u32_e32 vcc, 4, v0
	s_waitcnt lgkmcnt(3)
	v_fma_f64 v[30:31], v[14:15], v[30:31], 0
	v_fmac_f64_e32 v[30:31], v[16:17], v[32:33]
	s_waitcnt lgkmcnt(2)
	v_fmac_f64_e32 v[30:31], v[18:19], v[34:35]
	v_fmac_f64_e32 v[30:31], v[20:21], v[36:37]
	s_waitcnt lgkmcnt(1)
	v_fmac_f64_e32 v[30:31], v[22:23], v[42:43]
	;; [unrolled: 3-line block ×3, first 2 shown]
	v_fmac_f64_e32 v[30:31], v[28:29], v[40:41]
	v_add_f64 v[12:13], v[12:13], -v[30:31]
	s_and_saveexec_b64 s[0:1], vcc
	s_cbranch_execz .LBB13_96
; %bb.95:
	v_mov_b32_e32 v38, 0
	v_mov_b32_e32 v30, v2
	;; [unrolled: 1-line block ×30, first 2 shown]
	ds_write_b64 v1, v[2:3]
	v_pk_mov_b32 v[2:3], v[30:31], v[30:31] op_sel:[0,1]
	v_pk_mov_b32 v[4:5], v[32:33], v[32:33] op_sel:[0,1]
	;; [unrolled: 1-line block ×16, first 2 shown]
.LBB13_96:
	s_or_b64 exec, exec, s[0:1]
	v_mov_b32_e32 v36, 0
	s_waitcnt lgkmcnt(0)
	; wave barrier
	s_waitcnt lgkmcnt(0)
	ds_read2_b64 v[30:33], v36 offset0:19 offset1:20
	ds_read2_b64 v[38:41], v36 offset0:21 offset1:22
	v_cmp_lt_u32_e32 vcc, 3, v0
	ds_read2_b64 v[42:45], v36 offset0:25 offset1:26
	s_waitcnt lgkmcnt(2)
	v_fma_f64 v[34:35], v[12:13], v[30:31], 0
	v_fmac_f64_e32 v[34:35], v[14:15], v[32:33]
	ds_read2_b64 v[30:33], v36 offset0:23 offset1:24
	s_waitcnt lgkmcnt(2)
	v_fmac_f64_e32 v[34:35], v[16:17], v[38:39]
	v_fmac_f64_e32 v[34:35], v[18:19], v[40:41]
	ds_read_b64 v[38:39], v36 offset:216
	s_waitcnt lgkmcnt(1)
	v_fmac_f64_e32 v[34:35], v[20:21], v[30:31]
	v_fmac_f64_e32 v[34:35], v[22:23], v[32:33]
	;; [unrolled: 1-line block ×4, first 2 shown]
	s_waitcnt lgkmcnt(0)
	v_fmac_f64_e32 v[34:35], v[28:29], v[38:39]
	v_add_f64 v[10:11], v[10:11], -v[34:35]
	s_and_saveexec_b64 s[0:1], vcc
	s_cbranch_execz .LBB13_98
; %bb.97:
	v_mov_b32_e32 v30, v2
	v_mov_b32_e32 v31, v3
	;; [unrolled: 1-line block ×29, first 2 shown]
	ds_write_b64 v1, v[2:3]
	v_pk_mov_b32 v[2:3], v[30:31], v[30:31] op_sel:[0,1]
	v_pk_mov_b32 v[4:5], v[32:33], v[32:33] op_sel:[0,1]
	;; [unrolled: 1-line block ×16, first 2 shown]
.LBB13_98:
	s_or_b64 exec, exec, s[0:1]
	s_waitcnt lgkmcnt(0)
	; wave barrier
	s_waitcnt lgkmcnt(0)
	ds_read_b128 v[30:33], v36 offset:144
	ds_read_b128 v[38:41], v36 offset:160
	;; [unrolled: 1-line block ×4, first 2 shown]
	v_cmp_lt_u32_e32 vcc, 2, v0
	s_waitcnt lgkmcnt(3)
	v_fma_f64 v[34:35], v[10:11], v[30:31], 0
	v_fmac_f64_e32 v[34:35], v[12:13], v[32:33]
	s_waitcnt lgkmcnt(2)
	v_fmac_f64_e32 v[34:35], v[14:15], v[38:39]
	v_fmac_f64_e32 v[34:35], v[16:17], v[40:41]
	ds_read_b128 v[30:33], v36 offset:208
	s_waitcnt lgkmcnt(2)
	v_fmac_f64_e32 v[34:35], v[18:19], v[42:43]
	v_fmac_f64_e32 v[34:35], v[20:21], v[44:45]
	s_waitcnt lgkmcnt(1)
	v_fmac_f64_e32 v[34:35], v[22:23], v[46:47]
	v_fmac_f64_e32 v[34:35], v[24:25], v[48:49]
	;; [unrolled: 3-line block ×3, first 2 shown]
	v_add_f64 v[8:9], v[8:9], -v[34:35]
	s_and_saveexec_b64 s[0:1], vcc
	s_cbranch_execz .LBB13_100
; %bb.99:
	v_mov_b32_e32 v34, 0
	v_mov_b32_e32 v30, v2
	;; [unrolled: 1-line block ×30, first 2 shown]
	ds_write_b64 v1, v[2:3]
	v_pk_mov_b32 v[2:3], v[30:31], v[30:31] op_sel:[0,1]
	v_pk_mov_b32 v[4:5], v[32:33], v[32:33] op_sel:[0,1]
	;; [unrolled: 1-line block ×16, first 2 shown]
.LBB13_100:
	s_or_b64 exec, exec, s[0:1]
	v_mov_b32_e32 v34, 0
	s_waitcnt lgkmcnt(0)
	; wave barrier
	s_waitcnt lgkmcnt(0)
	ds_read2_b64 v[30:33], v34 offset0:17 offset1:18
	ds_read2_b64 v[36:39], v34 offset0:19 offset1:20
	;; [unrolled: 1-line block ×3, first 2 shown]
	v_cmp_lt_u32_e32 vcc, 1, v0
	s_waitcnt lgkmcnt(2)
	v_fma_f64 v[44:45], v[8:9], v[30:31], 0
	v_fmac_f64_e32 v[44:45], v[10:11], v[32:33]
	ds_read2_b64 v[30:33], v34 offset0:23 offset1:24
	s_waitcnt lgkmcnt(2)
	v_fmac_f64_e32 v[44:45], v[12:13], v[36:37]
	v_fmac_f64_e32 v[44:45], v[14:15], v[38:39]
	ds_read2_b64 v[36:39], v34 offset0:25 offset1:26
	s_waitcnt lgkmcnt(2)
	v_fmac_f64_e32 v[44:45], v[16:17], v[40:41]
	ds_read_b64 v[40:41], v34 offset:216
	v_fmac_f64_e32 v[44:45], v[18:19], v[42:43]
	s_waitcnt lgkmcnt(2)
	v_fmac_f64_e32 v[44:45], v[20:21], v[30:31]
	v_fmac_f64_e32 v[44:45], v[22:23], v[32:33]
	s_waitcnt lgkmcnt(1)
	v_fmac_f64_e32 v[44:45], v[24:25], v[36:37]
	;; [unrolled: 3-line block ×3, first 2 shown]
	v_add_f64 v[6:7], v[6:7], -v[44:45]
	s_and_saveexec_b64 s[0:1], vcc
	s_cbranch_execz .LBB13_102
; %bb.101:
	v_mov_b32_e32 v32, v2
	v_mov_b32_e32 v33, v3
	;; [unrolled: 1-line block ×29, first 2 shown]
	ds_write_b64 v1, v[2:3]
	v_pk_mov_b32 v[2:3], v[32:33], v[32:33] op_sel:[0,1]
	v_pk_mov_b32 v[4:5], v[34:35], v[34:35] op_sel:[0,1]
	;; [unrolled: 1-line block ×16, first 2 shown]
.LBB13_102:
	s_or_b64 exec, exec, s[0:1]
	s_waitcnt lgkmcnt(0)
	; wave barrier
	s_waitcnt lgkmcnt(0)
	ds_read_b128 v[30:33], v34 offset:128
	ds_read_b128 v[36:39], v34 offset:144
	;; [unrolled: 1-line block ×4, first 2 shown]
	v_cmp_ne_u32_e32 vcc, 0, v0
	s_waitcnt lgkmcnt(3)
	v_fma_f64 v[48:49], v[6:7], v[30:31], 0
	v_fmac_f64_e32 v[48:49], v[8:9], v[32:33]
	s_waitcnt lgkmcnt(2)
	v_fmac_f64_e32 v[48:49], v[10:11], v[36:37]
	v_fmac_f64_e32 v[48:49], v[12:13], v[38:39]
	ds_read_b128 v[30:33], v34 offset:192
	s_waitcnt lgkmcnt(2)
	v_fmac_f64_e32 v[48:49], v[14:15], v[40:41]
	v_fmac_f64_e32 v[48:49], v[16:17], v[42:43]
	ds_read_b128 v[34:37], v34 offset:208
	s_waitcnt lgkmcnt(2)
	v_fmac_f64_e32 v[48:49], v[18:19], v[44:45]
	v_fmac_f64_e32 v[48:49], v[20:21], v[46:47]
	s_waitcnt lgkmcnt(1)
	v_fmac_f64_e32 v[48:49], v[22:23], v[30:31]
	v_fmac_f64_e32 v[48:49], v[24:25], v[32:33]
	;; [unrolled: 3-line block ×3, first 2 shown]
	v_add_f64 v[4:5], v[4:5], -v[48:49]
	s_and_saveexec_b64 s[0:1], vcc
	s_cbranch_execz .LBB13_104
; %bb.103:
	v_mov_b32_e32 v30, 0
	v_mov_b32_e32 v33, v5
	;; [unrolled: 1-line block ×28, first 2 shown]
	ds_write_b64 v1, v[2:3]
	v_pk_mov_b32 v[2:3], v[30:31], v[30:31] op_sel:[0,1]
	v_pk_mov_b32 v[4:5], v[32:33], v[32:33] op_sel:[0,1]
	;; [unrolled: 1-line block ×16, first 2 shown]
.LBB13_104:
	s_or_b64 exec, exec, s[0:1]
	v_mov_b32_e32 v42, 0
	s_waitcnt lgkmcnt(0)
	; wave barrier
	s_waitcnt lgkmcnt(0)
	ds_read2_b64 v[30:33], v42 offset0:15 offset1:16
	ds_read2_b64 v[34:37], v42 offset0:17 offset1:18
	;; [unrolled: 1-line block ×3, first 2 shown]
	s_and_b64 vcc, exec, s[42:43]
	s_waitcnt lgkmcnt(2)
	v_fma_f64 v[0:1], v[4:5], v[30:31], 0
	v_fmac_f64_e32 v[0:1], v[6:7], v[32:33]
	ds_read2_b64 v[30:33], v42 offset0:21 offset1:22
	s_waitcnt lgkmcnt(2)
	v_fmac_f64_e32 v[0:1], v[8:9], v[34:35]
	v_fmac_f64_e32 v[0:1], v[10:11], v[36:37]
	ds_read2_b64 v[34:37], v42 offset0:23 offset1:24
	s_waitcnt lgkmcnt(2)
	v_fmac_f64_e32 v[0:1], v[12:13], v[38:39]
	v_fmac_f64_e32 v[0:1], v[14:15], v[40:41]
	ds_read2_b64 v[38:41], v42 offset0:25 offset1:26
	s_waitcnt lgkmcnt(2)
	v_fmac_f64_e32 v[0:1], v[16:17], v[30:31]
	v_fmac_f64_e32 v[0:1], v[18:19], v[32:33]
	ds_read_b64 v[30:31], v42 offset:216
	s_waitcnt lgkmcnt(2)
	v_fmac_f64_e32 v[0:1], v[20:21], v[34:35]
	v_fmac_f64_e32 v[0:1], v[22:23], v[36:37]
	s_waitcnt lgkmcnt(1)
	v_fmac_f64_e32 v[0:1], v[24:25], v[38:39]
	v_fmac_f64_e32 v[0:1], v[26:27], v[40:41]
	s_waitcnt lgkmcnt(0)
	v_fmac_f64_e32 v[0:1], v[28:29], v[30:31]
	v_add_f64 v[2:3], v[2:3], -v[0:1]
	s_cbranch_vccz .LBB13_132
; %bb.105:
	v_pk_mov_b32 v[0:1], s[40:41], s[40:41] op_sel:[0,1]
	flat_load_dword v0, v[0:1] offset:48
	s_waitcnt vmcnt(0) lgkmcnt(0)
	v_add_u32_e32 v0, -1, v0
	v_cmp_ne_u32_e32 vcc, 12, v0
	s_and_saveexec_b64 s[24:25], vcc
	s_cbranch_execz .LBB13_107
; %bb.106:
	v_cmp_eq_u32_e32 vcc, 1, v0
	v_cndmask_b32_e32 v1, v2, v4, vcc
	v_cmp_eq_u32_e64 s[0:1], 2, v0
	v_cndmask_b32_e32 v30, v3, v5, vcc
	v_cndmask_b32_e64 v1, v1, v6, s[0:1]
	v_cmp_eq_u32_e64 s[2:3], 3, v0
	v_cndmask_b32_e64 v30, v30, v7, s[0:1]
	v_cndmask_b32_e64 v1, v1, v8, s[2:3]
	v_cmp_eq_u32_e64 s[4:5], 4, v0
	v_cndmask_b32_e64 v30, v30, v9, s[2:3]
	;; [unrolled: 3-line block ×11, first 2 shown]
	v_cndmask_b32_e64 v1, v1, v28, s[22:23]
	v_cndmask_b32_e64 v30, v30, v29, s[22:23]
	;; [unrolled: 1-line block ×4, first 2 shown]
	v_cndmask_b32_e32 v29, v5, v27, vcc
	v_cndmask_b32_e32 v28, v4, v26, vcc
	v_cmp_eq_u32_e32 vcc, 0, v0
	v_cndmask_b32_e64 v51, v30, v27, s[20:21]
	v_cndmask_b32_e64 v50, v1, v26, s[20:21]
	v_cndmask_b32_e64 v49, v25, v27, s[18:19]
	v_cndmask_b32_e64 v48, v24, v26, s[18:19]
	v_cndmask_b32_e64 v47, v23, v27, s[16:17]
	v_cndmask_b32_e64 v46, v22, v26, s[16:17]
	v_cndmask_b32_e64 v45, v21, v27, s[14:15]
	v_cndmask_b32_e64 v44, v20, v26, s[14:15]
	v_cndmask_b32_e64 v43, v19, v27, s[12:13]
	v_cndmask_b32_e64 v42, v18, v26, s[12:13]
	v_cndmask_b32_e64 v41, v17, v27, s[10:11]
	v_cndmask_b32_e64 v40, v16, v26, s[10:11]
	v_cndmask_b32_e64 v39, v15, v27, s[8:9]
	v_cndmask_b32_e64 v38, v14, v26, s[8:9]
	v_cndmask_b32_e64 v37, v13, v27, s[6:7]
	v_cndmask_b32_e64 v36, v12, v26, s[6:7]
	v_cndmask_b32_e64 v35, v11, v27, s[4:5]
	v_cndmask_b32_e64 v34, v10, v26, s[4:5]
	v_cndmask_b32_e64 v33, v9, v27, s[2:3]
	v_cndmask_b32_e64 v32, v8, v26, s[2:3]
	v_cndmask_b32_e64 v31, v7, v27, s[0:1]
	v_cndmask_b32_e64 v30, v6, v26, s[0:1]
	v_cndmask_b32_e32 v27, v3, v27, vcc
	v_cndmask_b32_e32 v26, v2, v26, vcc
	v_pk_mov_b32 v[2:3], v[26:27], v[26:27] op_sel:[0,1]
	v_pk_mov_b32 v[4:5], v[28:29], v[28:29] op_sel:[0,1]
	;; [unrolled: 1-line block ×16, first 2 shown]
.LBB13_107:
	s_or_b64 exec, exec, s[24:25]
	v_pk_mov_b32 v[0:1], s[40:41], s[40:41] op_sel:[0,1]
	flat_load_dword v0, v[0:1] offset:44
	s_waitcnt vmcnt(0) lgkmcnt(0)
	v_add_u32_e32 v0, -1, v0
	v_cmp_ne_u32_e32 vcc, 11, v0
	s_and_saveexec_b64 s[24:25], vcc
	s_cbranch_execz .LBB13_109
; %bb.108:
	v_cmp_eq_u32_e32 vcc, 1, v0
	v_cndmask_b32_e32 v1, v2, v4, vcc
	v_cmp_eq_u32_e64 s[0:1], 2, v0
	v_cndmask_b32_e32 v30, v3, v5, vcc
	v_cndmask_b32_e64 v1, v1, v6, s[0:1]
	v_cmp_eq_u32_e64 s[2:3], 3, v0
	v_cndmask_b32_e64 v30, v30, v7, s[0:1]
	v_cndmask_b32_e64 v1, v1, v8, s[2:3]
	v_cmp_eq_u32_e64 s[4:5], 4, v0
	v_cndmask_b32_e64 v30, v30, v9, s[2:3]
	;; [unrolled: 3-line block ×11, first 2 shown]
	v_cndmask_b32_e64 v1, v1, v28, s[22:23]
	v_cndmask_b32_e64 v30, v30, v29, s[22:23]
	;; [unrolled: 1-line block ×4, first 2 shown]
	v_cndmask_b32_e32 v27, v5, v25, vcc
	v_cndmask_b32_e32 v26, v4, v24, vcc
	v_cmp_eq_u32_e32 vcc, 0, v0
	v_cndmask_b32_e64 v47, v30, v25, s[18:19]
	v_cndmask_b32_e64 v46, v1, v24, s[18:19]
	;; [unrolled: 1-line block ×22, first 2 shown]
	v_cndmask_b32_e32 v25, v3, v25, vcc
	v_cndmask_b32_e32 v24, v2, v24, vcc
	v_pk_mov_b32 v[2:3], v[24:25], v[24:25] op_sel:[0,1]
	v_pk_mov_b32 v[4:5], v[26:27], v[26:27] op_sel:[0,1]
	v_pk_mov_b32 v[6:7], v[28:29], v[28:29] op_sel:[0,1]
	v_pk_mov_b32 v[8:9], v[30:31], v[30:31] op_sel:[0,1]
	v_pk_mov_b32 v[10:11], v[32:33], v[32:33] op_sel:[0,1]
	v_pk_mov_b32 v[12:13], v[34:35], v[34:35] op_sel:[0,1]
	v_pk_mov_b32 v[14:15], v[36:37], v[36:37] op_sel:[0,1]
	v_pk_mov_b32 v[16:17], v[38:39], v[38:39] op_sel:[0,1]
	v_pk_mov_b32 v[18:19], v[40:41], v[40:41] op_sel:[0,1]
	v_pk_mov_b32 v[20:21], v[42:43], v[42:43] op_sel:[0,1]
	v_pk_mov_b32 v[22:23], v[44:45], v[44:45] op_sel:[0,1]
	v_pk_mov_b32 v[24:25], v[46:47], v[46:47] op_sel:[0,1]
	v_pk_mov_b32 v[26:27], v[48:49], v[48:49] op_sel:[0,1]
	v_pk_mov_b32 v[28:29], v[50:51], v[50:51] op_sel:[0,1]
	v_pk_mov_b32 v[30:31], v[52:53], v[52:53] op_sel:[0,1]
	v_pk_mov_b32 v[32:33], v[54:55], v[54:55] op_sel:[0,1]
.LBB13_109:
	s_or_b64 exec, exec, s[24:25]
	v_pk_mov_b32 v[0:1], s[40:41], s[40:41] op_sel:[0,1]
	flat_load_dword v0, v[0:1] offset:40
	s_waitcnt vmcnt(0) lgkmcnt(0)
	v_add_u32_e32 v0, -1, v0
	v_cmp_ne_u32_e32 vcc, 10, v0
	s_and_saveexec_b64 s[24:25], vcc
	s_cbranch_execz .LBB13_111
; %bb.110:
	v_cmp_eq_u32_e32 vcc, 1, v0
	v_cndmask_b32_e32 v1, v2, v4, vcc
	v_cmp_eq_u32_e64 s[0:1], 2, v0
	v_cndmask_b32_e32 v30, v3, v5, vcc
	v_cndmask_b32_e64 v1, v1, v6, s[0:1]
	v_cmp_eq_u32_e64 s[2:3], 3, v0
	v_cndmask_b32_e64 v30, v30, v7, s[0:1]
	v_cndmask_b32_e64 v1, v1, v8, s[2:3]
	v_cmp_eq_u32_e64 s[4:5], 4, v0
	v_cndmask_b32_e64 v30, v30, v9, s[2:3]
	;; [unrolled: 3-line block ×11, first 2 shown]
	v_cndmask_b32_e64 v1, v1, v28, s[22:23]
	v_cndmask_b32_e64 v30, v30, v29, s[22:23]
	;; [unrolled: 1-line block ×4, first 2 shown]
	v_cndmask_b32_e32 v25, v5, v23, vcc
	v_cndmask_b32_e32 v24, v4, v22, vcc
	v_cmp_eq_u32_e32 vcc, 0, v0
	v_cndmask_b32_e64 v43, v30, v23, s[16:17]
	v_cndmask_b32_e64 v42, v1, v22, s[16:17]
	;; [unrolled: 1-line block ×22, first 2 shown]
	v_cndmask_b32_e32 v23, v3, v23, vcc
	v_cndmask_b32_e32 v22, v2, v22, vcc
	v_pk_mov_b32 v[2:3], v[22:23], v[22:23] op_sel:[0,1]
	v_pk_mov_b32 v[4:5], v[24:25], v[24:25] op_sel:[0,1]
	v_pk_mov_b32 v[6:7], v[26:27], v[26:27] op_sel:[0,1]
	v_pk_mov_b32 v[8:9], v[28:29], v[28:29] op_sel:[0,1]
	v_pk_mov_b32 v[10:11], v[30:31], v[30:31] op_sel:[0,1]
	v_pk_mov_b32 v[12:13], v[32:33], v[32:33] op_sel:[0,1]
	v_pk_mov_b32 v[14:15], v[34:35], v[34:35] op_sel:[0,1]
	v_pk_mov_b32 v[16:17], v[36:37], v[36:37] op_sel:[0,1]
	v_pk_mov_b32 v[18:19], v[38:39], v[38:39] op_sel:[0,1]
	v_pk_mov_b32 v[20:21], v[40:41], v[40:41] op_sel:[0,1]
	v_pk_mov_b32 v[22:23], v[42:43], v[42:43] op_sel:[0,1]
	v_pk_mov_b32 v[24:25], v[44:45], v[44:45] op_sel:[0,1]
	v_pk_mov_b32 v[26:27], v[46:47], v[46:47] op_sel:[0,1]
	v_pk_mov_b32 v[28:29], v[48:49], v[48:49] op_sel:[0,1]
	v_pk_mov_b32 v[30:31], v[50:51], v[50:51] op_sel:[0,1]
	v_pk_mov_b32 v[32:33], v[52:53], v[52:53] op_sel:[0,1]
.LBB13_111:
	s_or_b64 exec, exec, s[24:25]
	v_pk_mov_b32 v[0:1], s[40:41], s[40:41] op_sel:[0,1]
	flat_load_dword v0, v[0:1] offset:36
	s_waitcnt vmcnt(0) lgkmcnt(0)
	v_add_u32_e32 v0, -1, v0
	v_cmp_ne_u32_e32 vcc, 9, v0
	s_and_saveexec_b64 s[24:25], vcc
	s_cbranch_execz .LBB13_113
; %bb.112:
	v_cmp_eq_u32_e32 vcc, 1, v0
	v_cndmask_b32_e32 v1, v2, v4, vcc
	v_cmp_eq_u32_e64 s[0:1], 2, v0
	v_cndmask_b32_e32 v30, v3, v5, vcc
	v_cndmask_b32_e64 v1, v1, v6, s[0:1]
	v_cmp_eq_u32_e64 s[2:3], 3, v0
	v_cndmask_b32_e64 v30, v30, v7, s[0:1]
	v_cndmask_b32_e64 v1, v1, v8, s[2:3]
	v_cmp_eq_u32_e64 s[4:5], 4, v0
	v_cndmask_b32_e64 v30, v30, v9, s[2:3]
	;; [unrolled: 3-line block ×11, first 2 shown]
	v_cndmask_b32_e64 v1, v1, v28, s[22:23]
	v_cndmask_b32_e64 v30, v30, v29, s[22:23]
	;; [unrolled: 1-line block ×4, first 2 shown]
	v_cndmask_b32_e32 v23, v5, v21, vcc
	v_cndmask_b32_e32 v22, v4, v20, vcc
	v_cmp_eq_u32_e32 vcc, 0, v0
	v_cndmask_b32_e64 v39, v30, v21, s[14:15]
	v_cndmask_b32_e64 v38, v1, v20, s[14:15]
	;; [unrolled: 1-line block ×22, first 2 shown]
	v_cndmask_b32_e32 v21, v3, v21, vcc
	v_cndmask_b32_e32 v20, v2, v20, vcc
	v_pk_mov_b32 v[2:3], v[20:21], v[20:21] op_sel:[0,1]
	v_pk_mov_b32 v[4:5], v[22:23], v[22:23] op_sel:[0,1]
	;; [unrolled: 1-line block ×16, first 2 shown]
.LBB13_113:
	s_or_b64 exec, exec, s[24:25]
	v_pk_mov_b32 v[0:1], s[40:41], s[40:41] op_sel:[0,1]
	flat_load_dword v0, v[0:1] offset:32
	s_waitcnt vmcnt(0) lgkmcnt(0)
	v_add_u32_e32 v0, -1, v0
	v_cmp_ne_u32_e32 vcc, 8, v0
	s_and_saveexec_b64 s[24:25], vcc
	s_cbranch_execz .LBB13_115
; %bb.114:
	v_cmp_eq_u32_e32 vcc, 1, v0
	v_cndmask_b32_e32 v1, v2, v4, vcc
	v_cmp_eq_u32_e64 s[0:1], 2, v0
	v_cndmask_b32_e32 v30, v3, v5, vcc
	v_cndmask_b32_e64 v1, v1, v6, s[0:1]
	v_cmp_eq_u32_e64 s[2:3], 3, v0
	v_cndmask_b32_e64 v30, v30, v7, s[0:1]
	v_cndmask_b32_e64 v1, v1, v8, s[2:3]
	v_cmp_eq_u32_e64 s[4:5], 4, v0
	v_cndmask_b32_e64 v30, v30, v9, s[2:3]
	v_cndmask_b32_e64 v1, v1, v10, s[4:5]
	v_cmp_eq_u32_e64 s[6:7], 5, v0
	v_cndmask_b32_e64 v30, v30, v11, s[4:5]
	v_cndmask_b32_e64 v1, v1, v12, s[6:7]
	v_cmp_eq_u32_e64 s[8:9], 6, v0
	v_cndmask_b32_e64 v30, v30, v13, s[6:7]
	v_cndmask_b32_e64 v1, v1, v14, s[8:9]
	v_cmp_eq_u32_e64 s[10:11], 7, v0
	v_cndmask_b32_e64 v30, v30, v15, s[8:9]
	v_cndmask_b32_e64 v1, v1, v16, s[10:11]
	v_cmp_eq_u32_e64 s[12:13], 8, v0
	v_cndmask_b32_e64 v30, v30, v17, s[10:11]
	v_cndmask_b32_e64 v1, v1, v18, s[12:13]
	v_cmp_eq_u32_e64 s[14:15], 9, v0
	v_cndmask_b32_e64 v30, v30, v19, s[12:13]
	v_cndmask_b32_e64 v1, v1, v20, s[14:15]
	v_cmp_eq_u32_e64 s[16:17], 10, v0
	v_cndmask_b32_e64 v30, v30, v21, s[14:15]
	v_cndmask_b32_e64 v1, v1, v22, s[16:17]
	v_cmp_eq_u32_e64 s[18:19], 11, v0
	v_cndmask_b32_e64 v30, v30, v23, s[16:17]
	v_cndmask_b32_e64 v1, v1, v24, s[18:19]
	v_cmp_eq_u32_e64 s[20:21], 12, v0
	v_cndmask_b32_e64 v30, v30, v25, s[18:19]
	v_cndmask_b32_e64 v1, v1, v26, s[20:21]
	v_cmp_eq_u32_e64 s[22:23], 13, v0
	v_cndmask_b32_e64 v30, v30, v27, s[20:21]
	v_cndmask_b32_e64 v1, v1, v28, s[22:23]
	v_cndmask_b32_e64 v30, v30, v29, s[22:23]
	;; [unrolled: 1-line block ×4, first 2 shown]
	v_cndmask_b32_e32 v21, v5, v19, vcc
	v_cndmask_b32_e32 v20, v4, v18, vcc
	v_cmp_eq_u32_e32 vcc, 0, v0
	v_cndmask_b32_e64 v35, v30, v19, s[12:13]
	v_cndmask_b32_e64 v34, v1, v18, s[12:13]
	;; [unrolled: 1-line block ×22, first 2 shown]
	v_cndmask_b32_e32 v19, v3, v19, vcc
	v_cndmask_b32_e32 v18, v2, v18, vcc
	v_pk_mov_b32 v[2:3], v[18:19], v[18:19] op_sel:[0,1]
	v_pk_mov_b32 v[4:5], v[20:21], v[20:21] op_sel:[0,1]
	;; [unrolled: 1-line block ×16, first 2 shown]
.LBB13_115:
	s_or_b64 exec, exec, s[24:25]
	v_pk_mov_b32 v[0:1], s[40:41], s[40:41] op_sel:[0,1]
	flat_load_dword v0, v[0:1] offset:28
	s_waitcnt vmcnt(0) lgkmcnt(0)
	v_add_u32_e32 v0, -1, v0
	v_cmp_ne_u32_e32 vcc, 7, v0
	s_and_saveexec_b64 s[24:25], vcc
	s_cbranch_execz .LBB13_117
; %bb.116:
	v_cmp_eq_u32_e32 vcc, 1, v0
	v_cndmask_b32_e32 v1, v2, v4, vcc
	v_cmp_eq_u32_e64 s[0:1], 2, v0
	v_cndmask_b32_e32 v30, v3, v5, vcc
	v_cndmask_b32_e64 v1, v1, v6, s[0:1]
	v_cmp_eq_u32_e64 s[2:3], 3, v0
	v_cndmask_b32_e64 v30, v30, v7, s[0:1]
	v_cndmask_b32_e64 v1, v1, v8, s[2:3]
	v_cmp_eq_u32_e64 s[4:5], 4, v0
	v_cndmask_b32_e64 v30, v30, v9, s[2:3]
	;; [unrolled: 3-line block ×11, first 2 shown]
	v_cndmask_b32_e64 v1, v1, v28, s[22:23]
	v_cndmask_b32_e64 v30, v30, v29, s[22:23]
	;; [unrolled: 1-line block ×4, first 2 shown]
	v_cndmask_b32_e32 v19, v5, v17, vcc
	v_cndmask_b32_e32 v18, v4, v16, vcc
	v_cmp_eq_u32_e32 vcc, 0, v0
	v_cndmask_b32_e64 v31, v30, v17, s[10:11]
	v_cndmask_b32_e64 v30, v1, v16, s[10:11]
	;; [unrolled: 1-line block ×22, first 2 shown]
	v_cndmask_b32_e32 v17, v3, v17, vcc
	v_cndmask_b32_e32 v16, v2, v16, vcc
	v_pk_mov_b32 v[2:3], v[16:17], v[16:17] op_sel:[0,1]
	v_pk_mov_b32 v[4:5], v[18:19], v[18:19] op_sel:[0,1]
	;; [unrolled: 1-line block ×16, first 2 shown]
.LBB13_117:
	s_or_b64 exec, exec, s[24:25]
	v_pk_mov_b32 v[0:1], s[40:41], s[40:41] op_sel:[0,1]
	flat_load_dword v0, v[0:1] offset:24
	s_waitcnt vmcnt(0) lgkmcnt(0)
	v_add_u32_e32 v0, -1, v0
	v_cmp_ne_u32_e32 vcc, 6, v0
	s_and_saveexec_b64 s[24:25], vcc
	s_cbranch_execz .LBB13_119
; %bb.118:
	v_cmp_eq_u32_e32 vcc, 1, v0
	v_cndmask_b32_e32 v1, v2, v4, vcc
	v_cmp_eq_u32_e64 s[0:1], 2, v0
	v_cndmask_b32_e32 v30, v3, v5, vcc
	v_cndmask_b32_e64 v1, v1, v6, s[0:1]
	v_cmp_eq_u32_e64 s[2:3], 3, v0
	v_cndmask_b32_e64 v30, v30, v7, s[0:1]
	v_cndmask_b32_e64 v1, v1, v8, s[2:3]
	v_cmp_eq_u32_e64 s[4:5], 4, v0
	v_cndmask_b32_e64 v30, v30, v9, s[2:3]
	;; [unrolled: 3-line block ×11, first 2 shown]
	v_cndmask_b32_e64 v1, v1, v28, s[22:23]
	v_cndmask_b32_e64 v30, v30, v29, s[22:23]
	;; [unrolled: 1-line block ×4, first 2 shown]
	v_cndmask_b32_e32 v21, v5, v15, vcc
	v_cndmask_b32_e32 v20, v4, v14, vcc
	v_cmp_eq_u32_e32 vcc, 0, v0
	v_cndmask_b32_e64 v31, v30, v15, s[8:9]
	v_cndmask_b32_e64 v30, v1, v14, s[8:9]
	;; [unrolled: 1-line block ×22, first 2 shown]
	v_cndmask_b32_e32 v19, v3, v15, vcc
	v_cndmask_b32_e32 v18, v2, v14, vcc
	v_pk_mov_b32 v[2:3], v[18:19], v[18:19] op_sel:[0,1]
	v_pk_mov_b32 v[4:5], v[20:21], v[20:21] op_sel:[0,1]
	;; [unrolled: 1-line block ×16, first 2 shown]
.LBB13_119:
	s_or_b64 exec, exec, s[24:25]
	v_pk_mov_b32 v[0:1], s[40:41], s[40:41] op_sel:[0,1]
	flat_load_dword v0, v[0:1] offset:20
	s_waitcnt vmcnt(0) lgkmcnt(0)
	v_add_u32_e32 v0, -1, v0
	v_cmp_ne_u32_e32 vcc, 5, v0
	s_and_saveexec_b64 s[24:25], vcc
	s_cbranch_execz .LBB13_121
; %bb.120:
	v_cmp_eq_u32_e32 vcc, 1, v0
	v_cndmask_b32_e32 v1, v2, v4, vcc
	v_cmp_eq_u32_e64 s[0:1], 2, v0
	v_cndmask_b32_e32 v30, v3, v5, vcc
	v_cndmask_b32_e64 v1, v1, v6, s[0:1]
	v_cmp_eq_u32_e64 s[2:3], 3, v0
	v_cndmask_b32_e64 v30, v30, v7, s[0:1]
	v_cndmask_b32_e64 v1, v1, v8, s[2:3]
	v_cmp_eq_u32_e64 s[4:5], 4, v0
	v_cndmask_b32_e64 v30, v30, v9, s[2:3]
	v_cndmask_b32_e64 v1, v1, v10, s[4:5]
	v_cmp_eq_u32_e64 s[6:7], 5, v0
	v_cndmask_b32_e64 v30, v30, v11, s[4:5]
	v_cndmask_b32_e64 v1, v1, v12, s[6:7]
	v_cmp_eq_u32_e64 s[8:9], 6, v0
	v_cndmask_b32_e64 v30, v30, v13, s[6:7]
	v_cndmask_b32_e64 v1, v1, v14, s[8:9]
	v_cmp_eq_u32_e64 s[10:11], 7, v0
	v_cndmask_b32_e64 v30, v30, v15, s[8:9]
	v_cndmask_b32_e64 v1, v1, v16, s[10:11]
	v_cmp_eq_u32_e64 s[12:13], 8, v0
	v_cndmask_b32_e64 v30, v30, v17, s[10:11]
	v_cndmask_b32_e64 v1, v1, v18, s[12:13]
	v_cmp_eq_u32_e64 s[14:15], 9, v0
	v_cndmask_b32_e64 v30, v30, v19, s[12:13]
	v_cndmask_b32_e64 v1, v1, v20, s[14:15]
	v_cmp_eq_u32_e64 s[16:17], 10, v0
	v_cndmask_b32_e64 v30, v30, v21, s[14:15]
	v_cndmask_b32_e64 v1, v1, v22, s[16:17]
	v_cmp_eq_u32_e64 s[18:19], 11, v0
	v_cndmask_b32_e64 v30, v30, v23, s[16:17]
	v_cndmask_b32_e64 v1, v1, v24, s[18:19]
	v_cmp_eq_u32_e64 s[20:21], 12, v0
	v_cndmask_b32_e64 v30, v30, v25, s[18:19]
	v_cndmask_b32_e64 v1, v1, v26, s[20:21]
	v_cmp_eq_u32_e64 s[22:23], 13, v0
	v_cndmask_b32_e64 v30, v30, v27, s[20:21]
	v_cndmask_b32_e64 v1, v1, v28, s[22:23]
	v_cndmask_b32_e64 v30, v30, v29, s[22:23]
	;; [unrolled: 1-line block ×4, first 2 shown]
	v_cndmask_b32_e32 v23, v5, v13, vcc
	v_cndmask_b32_e32 v22, v4, v12, vcc
	v_cmp_eq_u32_e32 vcc, 0, v0
	v_cndmask_b32_e64 v31, v30, v13, s[6:7]
	v_cndmask_b32_e64 v30, v1, v12, s[6:7]
	;; [unrolled: 1-line block ×18, first 2 shown]
	v_cndmask_b32_e32 v21, v3, v13, vcc
	v_cndmask_b32_e32 v20, v2, v12, vcc
	v_cndmask_b32_e64 v37, v19, v13, s[12:13]
	v_cndmask_b32_e64 v36, v18, v12, s[12:13]
	v_cndmask_b32_e64 v35, v17, v13, s[10:11]
	v_cndmask_b32_e64 v34, v16, v12, s[10:11]
	v_pk_mov_b32 v[2:3], v[20:21], v[20:21] op_sel:[0,1]
	v_pk_mov_b32 v[4:5], v[22:23], v[22:23] op_sel:[0,1]
	;; [unrolled: 1-line block ×16, first 2 shown]
.LBB13_121:
	s_or_b64 exec, exec, s[24:25]
	v_pk_mov_b32 v[0:1], s[40:41], s[40:41] op_sel:[0,1]
	flat_load_dword v0, v[0:1] offset:16
	s_waitcnt vmcnt(0) lgkmcnt(0)
	v_add_u32_e32 v0, -1, v0
	v_cmp_ne_u32_e32 vcc, 4, v0
	s_and_saveexec_b64 s[24:25], vcc
	s_cbranch_execz .LBB13_123
; %bb.122:
	v_cmp_eq_u32_e32 vcc, 1, v0
	v_cndmask_b32_e32 v1, v2, v4, vcc
	v_cmp_eq_u32_e64 s[0:1], 2, v0
	v_cndmask_b32_e32 v30, v3, v5, vcc
	v_cndmask_b32_e64 v1, v1, v6, s[0:1]
	v_cmp_eq_u32_e64 s[2:3], 3, v0
	v_cndmask_b32_e64 v30, v30, v7, s[0:1]
	v_cndmask_b32_e64 v1, v1, v8, s[2:3]
	v_cmp_eq_u32_e64 s[4:5], 4, v0
	v_cndmask_b32_e64 v30, v30, v9, s[2:3]
	v_cndmask_b32_e64 v1, v1, v10, s[4:5]
	v_cmp_eq_u32_e64 s[6:7], 5, v0
	v_cndmask_b32_e64 v30, v30, v11, s[4:5]
	v_cndmask_b32_e64 v1, v1, v12, s[6:7]
	v_cmp_eq_u32_e64 s[8:9], 6, v0
	v_cndmask_b32_e64 v30, v30, v13, s[6:7]
	v_cndmask_b32_e64 v1, v1, v14, s[8:9]
	v_cmp_eq_u32_e64 s[10:11], 7, v0
	v_cndmask_b32_e64 v30, v30, v15, s[8:9]
	v_cndmask_b32_e64 v1, v1, v16, s[10:11]
	v_cmp_eq_u32_e64 s[12:13], 8, v0
	v_cndmask_b32_e64 v30, v30, v17, s[10:11]
	v_cndmask_b32_e64 v1, v1, v18, s[12:13]
	v_cmp_eq_u32_e64 s[14:15], 9, v0
	v_cndmask_b32_e64 v30, v30, v19, s[12:13]
	v_cndmask_b32_e64 v1, v1, v20, s[14:15]
	v_cmp_eq_u32_e64 s[16:17], 10, v0
	v_cndmask_b32_e64 v30, v30, v21, s[14:15]
	v_cndmask_b32_e64 v1, v1, v22, s[16:17]
	v_cmp_eq_u32_e64 s[18:19], 11, v0
	v_cndmask_b32_e64 v30, v30, v23, s[16:17]
	v_cndmask_b32_e64 v1, v1, v24, s[18:19]
	v_cmp_eq_u32_e64 s[20:21], 12, v0
	v_cndmask_b32_e64 v30, v30, v25, s[18:19]
	v_cndmask_b32_e64 v1, v1, v26, s[20:21]
	v_cmp_eq_u32_e64 s[22:23], 13, v0
	v_cndmask_b32_e64 v30, v30, v27, s[20:21]
	v_cndmask_b32_e64 v1, v1, v28, s[22:23]
	v_cndmask_b32_e64 v30, v30, v29, s[22:23]
	;; [unrolled: 1-line block ×4, first 2 shown]
	v_cndmask_b32_e32 v25, v5, v11, vcc
	v_cndmask_b32_e32 v24, v4, v10, vcc
	v_cmp_eq_u32_e32 vcc, 0, v0
	v_cndmask_b32_e64 v31, v30, v11, s[4:5]
	v_cndmask_b32_e64 v30, v1, v10, s[4:5]
	v_cndmask_b32_e64 v49, v29, v11, s[22:23]
	v_cndmask_b32_e64 v48, v28, v10, s[22:23]
	v_cndmask_b32_e64 v47, v27, v11, s[20:21]
	v_cndmask_b32_e64 v46, v26, v10, s[20:21]
	v_cndmask_b32_e64 v43, v23, v11, s[16:17]
	v_cndmask_b32_e64 v42, v22, v10, s[16:17]
	v_cndmask_b32_e64 v33, v13, v11, s[6:7]
	v_cndmask_b32_e64 v32, v12, v10, s[6:7]
	v_cndmask_b32_e64 v29, v9, v11, s[2:3]
	v_cndmask_b32_e64 v28, v8, v10, s[2:3]
	v_cndmask_b32_e64 v27, v7, v11, s[0:1]
	v_cndmask_b32_e64 v26, v6, v10, s[0:1]
	v_cndmask_b32_e32 v23, v3, v11, vcc
	v_cndmask_b32_e32 v22, v2, v10, vcc
	v_cndmask_b32_e64 v41, v21, v11, s[14:15]
	v_cndmask_b32_e64 v40, v20, v10, s[14:15]
	;; [unrolled: 1-line block ×8, first 2 shown]
	v_pk_mov_b32 v[2:3], v[22:23], v[22:23] op_sel:[0,1]
	v_pk_mov_b32 v[4:5], v[24:25], v[24:25] op_sel:[0,1]
	;; [unrolled: 1-line block ×16, first 2 shown]
.LBB13_123:
	s_or_b64 exec, exec, s[24:25]
	v_pk_mov_b32 v[0:1], s[40:41], s[40:41] op_sel:[0,1]
	flat_load_dword v0, v[0:1] offset:12
	s_waitcnt vmcnt(0) lgkmcnt(0)
	v_add_u32_e32 v0, -1, v0
	v_cmp_ne_u32_e32 vcc, 3, v0
	s_and_saveexec_b64 s[24:25], vcc
	s_cbranch_execz .LBB13_125
; %bb.124:
	v_cmp_eq_u32_e32 vcc, 1, v0
	v_cndmask_b32_e32 v1, v2, v4, vcc
	v_cmp_eq_u32_e64 s[0:1], 2, v0
	v_cndmask_b32_e32 v30, v3, v5, vcc
	v_cndmask_b32_e64 v1, v1, v6, s[0:1]
	v_cmp_eq_u32_e64 s[2:3], 3, v0
	v_cndmask_b32_e64 v30, v30, v7, s[0:1]
	v_cndmask_b32_e64 v1, v1, v8, s[2:3]
	v_cmp_eq_u32_e64 s[4:5], 4, v0
	v_cndmask_b32_e64 v30, v30, v9, s[2:3]
	;; [unrolled: 3-line block ×11, first 2 shown]
	v_cndmask_b32_e64 v1, v1, v28, s[22:23]
	v_cndmask_b32_e64 v30, v30, v29, s[22:23]
	;; [unrolled: 1-line block ×4, first 2 shown]
	v_cndmask_b32_e32 v27, v5, v9, vcc
	v_cndmask_b32_e32 v26, v4, v8, vcc
	v_cmp_eq_u32_e32 vcc, 0, v0
	v_cndmask_b32_e64 v31, v30, v9, s[2:3]
	v_cndmask_b32_e64 v30, v1, v8, s[2:3]
	;; [unrolled: 1-line block ×10, first 2 shown]
	v_cndmask_b32_e32 v25, v3, v9, vcc
	v_cndmask_b32_e32 v24, v2, v8, vcc
	v_cndmask_b32_e64 v45, v23, v9, s[16:17]
	v_cndmask_b32_e64 v44, v22, v8, s[16:17]
	v_cndmask_b32_e64 v43, v21, v9, s[14:15]
	v_cndmask_b32_e64 v42, v20, v8, s[14:15]
	v_cndmask_b32_e64 v41, v19, v9, s[12:13]
	v_cndmask_b32_e64 v40, v18, v8, s[12:13]
	v_cndmask_b32_e64 v39, v17, v9, s[10:11]
	v_cndmask_b32_e64 v38, v16, v8, s[10:11]
	v_cndmask_b32_e64 v37, v15, v9, s[8:9]
	v_cndmask_b32_e64 v36, v14, v8, s[8:9]
	v_cndmask_b32_e64 v35, v13, v9, s[6:7]
	v_cndmask_b32_e64 v34, v12, v8, s[6:7]
	v_pk_mov_b32 v[2:3], v[24:25], v[24:25] op_sel:[0,1]
	v_pk_mov_b32 v[4:5], v[26:27], v[26:27] op_sel:[0,1]
	;; [unrolled: 1-line block ×16, first 2 shown]
.LBB13_125:
	s_or_b64 exec, exec, s[24:25]
	v_pk_mov_b32 v[0:1], s[40:41], s[40:41] op_sel:[0,1]
	flat_load_dword v0, v[0:1] offset:8
	s_waitcnt vmcnt(0) lgkmcnt(0)
	v_add_u32_e32 v0, -1, v0
	v_cmp_ne_u32_e32 vcc, 2, v0
	s_and_saveexec_b64 s[24:25], vcc
	s_cbranch_execz .LBB13_127
; %bb.126:
	v_cmp_eq_u32_e32 vcc, 1, v0
	v_cndmask_b32_e32 v1, v2, v4, vcc
	v_cmp_eq_u32_e64 s[0:1], 2, v0
	v_cndmask_b32_e32 v30, v3, v5, vcc
	v_cndmask_b32_e64 v1, v1, v6, s[0:1]
	v_cmp_eq_u32_e64 s[2:3], 3, v0
	v_cndmask_b32_e64 v30, v30, v7, s[0:1]
	v_cndmask_b32_e64 v1, v1, v8, s[2:3]
	v_cmp_eq_u32_e64 s[4:5], 4, v0
	v_cndmask_b32_e64 v30, v30, v9, s[2:3]
	;; [unrolled: 3-line block ×11, first 2 shown]
	v_cndmask_b32_e64 v1, v1, v28, s[22:23]
	v_cndmask_b32_e64 v30, v30, v29, s[22:23]
	;; [unrolled: 1-line block ×4, first 2 shown]
	v_cndmask_b32_e32 v29, v5, v7, vcc
	v_cndmask_b32_e32 v28, v4, v6, vcc
	v_cmp_eq_u32_e32 vcc, 0, v0
	v_cndmask_b32_e64 v31, v30, v7, s[0:1]
	v_cndmask_b32_e64 v30, v1, v6, s[0:1]
	;; [unrolled: 1-line block ×6, first 2 shown]
	v_cndmask_b32_e32 v27, v3, v7, vcc
	v_cndmask_b32_e32 v26, v2, v6, vcc
	v_cndmask_b32_e64 v49, v25, v7, s[18:19]
	v_cndmask_b32_e64 v48, v24, v6, s[18:19]
	;; [unrolled: 1-line block ×16, first 2 shown]
	v_pk_mov_b32 v[2:3], v[26:27], v[26:27] op_sel:[0,1]
	v_pk_mov_b32 v[4:5], v[28:29], v[28:29] op_sel:[0,1]
	;; [unrolled: 1-line block ×16, first 2 shown]
.LBB13_127:
	s_or_b64 exec, exec, s[24:25]
	v_pk_mov_b32 v[0:1], s[40:41], s[40:41] op_sel:[0,1]
	flat_load_dword v0, v[0:1] offset:4
	s_waitcnt vmcnt(0) lgkmcnt(0)
	v_add_u32_e32 v0, -1, v0
	v_cmp_ne_u32_e32 vcc, 1, v0
	s_and_saveexec_b64 s[24:25], vcc
	s_cbranch_execz .LBB13_129
; %bb.128:
	v_cmp_eq_u32_e32 vcc, 1, v0
	v_cndmask_b32_e32 v1, v2, v4, vcc
	v_cmp_eq_u32_e64 s[0:1], 2, v0
	v_cndmask_b32_e32 v30, v3, v5, vcc
	v_cndmask_b32_e64 v1, v1, v6, s[0:1]
	v_cmp_eq_u32_e64 s[2:3], 3, v0
	v_cndmask_b32_e64 v30, v30, v7, s[0:1]
	v_cndmask_b32_e64 v1, v1, v8, s[2:3]
	v_cmp_eq_u32_e64 s[4:5], 4, v0
	v_cndmask_b32_e64 v30, v30, v9, s[2:3]
	;; [unrolled: 3-line block ×11, first 2 shown]
	v_cndmask_b32_e64 v1, v1, v28, s[22:23]
	v_cndmask_b32_e64 v30, v30, v29, s[22:23]
	v_cndmask_b32_e32 v31, v30, v5, vcc
	v_cndmask_b32_e32 v30, v1, v4, vcc
	v_cmp_eq_u32_e32 vcc, 0, v0
	v_cndmask_b32_e64 v55, v29, v5, s[22:23]
	v_cndmask_b32_e64 v54, v28, v4, s[22:23]
	;; [unrolled: 1-line block ×4, first 2 shown]
	v_cndmask_b32_e32 v29, v3, v5, vcc
	v_cndmask_b32_e32 v28, v2, v4, vcc
	v_cndmask_b32_e64 v53, v27, v5, s[20:21]
	v_cndmask_b32_e64 v52, v26, v4, s[20:21]
	;; [unrolled: 1-line block ×20, first 2 shown]
	v_pk_mov_b32 v[2:3], v[28:29], v[28:29] op_sel:[0,1]
	v_pk_mov_b32 v[4:5], v[30:31], v[30:31] op_sel:[0,1]
	;; [unrolled: 1-line block ×16, first 2 shown]
.LBB13_129:
	s_or_b64 exec, exec, s[24:25]
	v_pk_mov_b32 v[0:1], s[40:41], s[40:41] op_sel:[0,1]
	flat_load_dword v0, v[0:1]
	s_waitcnt vmcnt(0) lgkmcnt(0)
	v_add_u32_e32 v0, -1, v0
	v_cmp_ne_u32_e32 vcc, 0, v0
	s_and_saveexec_b64 s[26:27], vcc
	s_cbranch_execz .LBB13_131
; %bb.130:
	v_cmp_eq_u32_e32 vcc, 1, v0
	v_cndmask_b32_e32 v1, v2, v4, vcc
	v_cmp_eq_u32_e64 s[0:1], 2, v0
	v_cndmask_b32_e32 v30, v3, v5, vcc
	v_cndmask_b32_e64 v1, v1, v6, s[0:1]
	v_cmp_eq_u32_e64 s[2:3], 3, v0
	v_cndmask_b32_e64 v30, v30, v7, s[0:1]
	v_cndmask_b32_e64 v1, v1, v8, s[2:3]
	v_cmp_eq_u32_e64 s[4:5], 4, v0
	v_cndmask_b32_e64 v30, v30, v9, s[2:3]
	;; [unrolled: 3-line block ×11, first 2 shown]
	v_cndmask_b32_e64 v1, v1, v28, s[22:23]
	v_cndmask_b32_e64 v30, v30, v29, s[22:23]
	v_cmp_eq_u32_e64 s[24:25], 0, v0
	v_cndmask_b32_e64 v31, v30, v3, s[24:25]
	v_cndmask_b32_e64 v30, v1, v2, s[24:25]
	v_cndmask_b32_e32 v33, v5, v3, vcc
	v_cndmask_b32_e32 v32, v4, v2, vcc
	v_cndmask_b32_e64 v57, v29, v3, s[22:23]
	v_cndmask_b32_e64 v56, v28, v2, s[22:23]
	;; [unrolled: 1-line block ×24, first 2 shown]
	v_pk_mov_b32 v[2:3], v[30:31], v[30:31] op_sel:[0,1]
	v_pk_mov_b32 v[4:5], v[32:33], v[32:33] op_sel:[0,1]
	;; [unrolled: 1-line block ×16, first 2 shown]
.LBB13_131:
	s_or_b64 exec, exec, s[26:27]
.LBB13_132:
	v_mov_b32_e32 v1, v3
	v_mov_b32_e32 v0, v2
	global_store_dwordx2 v[60:61], v[0:1], off
	v_mov_b32_e32 v1, v5
	v_mov_b32_e32 v0, v4
	global_store_dwordx2 v[62:63], v[0:1], off
	;; [unrolled: 3-line block ×14, first 2 shown]
	s_endpgm
	.section	.rodata,"a",@progbits
	.p2align	6, 0x0
	.amdhsa_kernel _ZN9rocsolver6v33100L18getri_kernel_smallILi14EdPdEEvT1_iilPiilS4_bb
		.amdhsa_group_segment_fixed_size 232
		.amdhsa_private_segment_fixed_size 0
		.amdhsa_kernarg_size 60
		.amdhsa_user_sgpr_count 6
		.amdhsa_user_sgpr_private_segment_buffer 1
		.amdhsa_user_sgpr_dispatch_ptr 0
		.amdhsa_user_sgpr_queue_ptr 0
		.amdhsa_user_sgpr_kernarg_segment_ptr 1
		.amdhsa_user_sgpr_dispatch_id 0
		.amdhsa_user_sgpr_flat_scratch_init 0
		.amdhsa_user_sgpr_kernarg_preload_length 0
		.amdhsa_user_sgpr_kernarg_preload_offset 0
		.amdhsa_user_sgpr_private_segment_size 0
		.amdhsa_uses_dynamic_stack 0
		.amdhsa_system_sgpr_private_segment_wavefront_offset 0
		.amdhsa_system_sgpr_workgroup_id_x 1
		.amdhsa_system_sgpr_workgroup_id_y 0
		.amdhsa_system_sgpr_workgroup_id_z 0
		.amdhsa_system_sgpr_workgroup_info 0
		.amdhsa_system_vgpr_workitem_id 0
		.amdhsa_next_free_vgpr 88
		.amdhsa_next_free_sgpr 50
		.amdhsa_accum_offset 88
		.amdhsa_reserve_vcc 1
		.amdhsa_reserve_flat_scratch 0
		.amdhsa_float_round_mode_32 0
		.amdhsa_float_round_mode_16_64 0
		.amdhsa_float_denorm_mode_32 3
		.amdhsa_float_denorm_mode_16_64 3
		.amdhsa_dx10_clamp 1
		.amdhsa_ieee_mode 1
		.amdhsa_fp16_overflow 0
		.amdhsa_tg_split 0
		.amdhsa_exception_fp_ieee_invalid_op 0
		.amdhsa_exception_fp_denorm_src 0
		.amdhsa_exception_fp_ieee_div_zero 0
		.amdhsa_exception_fp_ieee_overflow 0
		.amdhsa_exception_fp_ieee_underflow 0
		.amdhsa_exception_fp_ieee_inexact 0
		.amdhsa_exception_int_div_zero 0
	.end_amdhsa_kernel
	.section	.text._ZN9rocsolver6v33100L18getri_kernel_smallILi14EdPdEEvT1_iilPiilS4_bb,"axG",@progbits,_ZN9rocsolver6v33100L18getri_kernel_smallILi14EdPdEEvT1_iilPiilS4_bb,comdat
.Lfunc_end13:
	.size	_ZN9rocsolver6v33100L18getri_kernel_smallILi14EdPdEEvT1_iilPiilS4_bb, .Lfunc_end13-_ZN9rocsolver6v33100L18getri_kernel_smallILi14EdPdEEvT1_iilPiilS4_bb
                                        ; -- End function
	.section	.AMDGPU.csdata,"",@progbits
; Kernel info:
; codeLenInByte = 22608
; NumSgprs: 54
; NumVgprs: 88
; NumAgprs: 0
; TotalNumVgprs: 88
; ScratchSize: 0
; MemoryBound: 0
; FloatMode: 240
; IeeeMode: 1
; LDSByteSize: 232 bytes/workgroup (compile time only)
; SGPRBlocks: 6
; VGPRBlocks: 10
; NumSGPRsForWavesPerEU: 54
; NumVGPRsForWavesPerEU: 88
; AccumOffset: 88
; Occupancy: 5
; WaveLimiterHint : 0
; COMPUTE_PGM_RSRC2:SCRATCH_EN: 0
; COMPUTE_PGM_RSRC2:USER_SGPR: 6
; COMPUTE_PGM_RSRC2:TRAP_HANDLER: 0
; COMPUTE_PGM_RSRC2:TGID_X_EN: 1
; COMPUTE_PGM_RSRC2:TGID_Y_EN: 0
; COMPUTE_PGM_RSRC2:TGID_Z_EN: 0
; COMPUTE_PGM_RSRC2:TIDIG_COMP_CNT: 0
; COMPUTE_PGM_RSRC3_GFX90A:ACCUM_OFFSET: 21
; COMPUTE_PGM_RSRC3_GFX90A:TG_SPLIT: 0
	.section	.text._ZN9rocsolver6v33100L18getri_kernel_smallILi15EdPdEEvT1_iilPiilS4_bb,"axG",@progbits,_ZN9rocsolver6v33100L18getri_kernel_smallILi15EdPdEEvT1_iilPiilS4_bb,comdat
	.globl	_ZN9rocsolver6v33100L18getri_kernel_smallILi15EdPdEEvT1_iilPiilS4_bb ; -- Begin function _ZN9rocsolver6v33100L18getri_kernel_smallILi15EdPdEEvT1_iilPiilS4_bb
	.p2align	8
	.type	_ZN9rocsolver6v33100L18getri_kernel_smallILi15EdPdEEvT1_iilPiilS4_bb,@function
_ZN9rocsolver6v33100L18getri_kernel_smallILi15EdPdEEvT1_iilPiilS4_bb: ; @_ZN9rocsolver6v33100L18getri_kernel_smallILi15EdPdEEvT1_iilPiilS4_bb
; %bb.0:
	v_cmp_gt_u32_e32 vcc, 15, v0
	s_and_saveexec_b64 s[0:1], vcc
	s_cbranch_execz .LBB14_16
; %bb.1:
	s_load_dword s12, s[4:5], 0x38
	s_load_dwordx4 s[8:11], s[4:5], 0x10
	s_load_dwordx4 s[36:39], s[4:5], 0x28
                                        ; implicit-def: $sgpr40_sgpr41
	s_waitcnt lgkmcnt(0)
	s_bitcmp1_b32 s12, 8
	s_cselect_b64 s[42:43], -1, 0
	s_ashr_i32 s7, s6, 31
	s_bfe_u32 s0, s12, 0x10008
	s_cmp_eq_u32 s0, 0
	s_cbranch_scc1 .LBB14_3
; %bb.2:
	s_load_dword s0, s[4:5], 0x20
	s_mul_i32 s1, s6, s37
	s_mul_hi_u32 s2, s6, s36
	s_mul_i32 s3, s7, s36
	s_add_i32 s2, s2, s1
	s_add_i32 s3, s2, s3
	s_mul_i32 s2, s6, s36
	s_waitcnt lgkmcnt(0)
	s_ashr_i32 s1, s0, 31
	s_lshl_b64 s[2:3], s[2:3], 2
	s_add_u32 s2, s10, s2
	s_addc_u32 s3, s11, s3
	s_lshl_b64 s[0:1], s[0:1], 2
	s_add_u32 s40, s2, s0
	s_addc_u32 s41, s3, s1
.LBB14_3:
	s_load_dwordx4 s[0:3], s[4:5], 0x0
	s_mul_i32 s4, s6, s9
	s_mul_hi_u32 s5, s6, s8
	s_add_i32 s9, s5, s4
	v_lshlrev_b32_e32 v34, 3, v0
	s_waitcnt lgkmcnt(0)
	s_ashr_i32 s5, s2, 31
	s_mov_b32 s4, s2
	s_mul_i32 s2, s7, s8
	s_add_i32 s9, s9, s2
	s_mul_i32 s8, s6, s8
	s_lshl_b64 s[8:9], s[8:9], 3
	s_add_u32 s2, s0, s8
	s_addc_u32 s8, s1, s9
	s_lshl_b64 s[0:1], s[4:5], 3
	s_add_u32 s0, s2, s0
	s_addc_u32 s1, s8, s1
	v_mov_b32_e32 v1, s1
	v_add_co_u32_e32 v64, vcc, s0, v34
	s_ashr_i32 s5, s3, 31
	s_mov_b32 s4, s3
	s_add_i32 s2, s3, s3
	v_addc_co_u32_e32 v65, vcc, 0, v1, vcc
	s_lshl_b64 s[4:5], s[4:5], 3
	v_add_u32_e32 v2, s2, v0
	v_mov_b32_e32 v1, s5
	v_add_co_u32_e32 v66, vcc, s4, v64
	v_ashrrev_i32_e32 v3, 31, v2
	v_addc_co_u32_e32 v67, vcc, v65, v1, vcc
	v_lshlrev_b64 v[4:5], 3, v[2:3]
	v_add_u32_e32 v2, s3, v2
	v_mov_b32_e32 v1, s1
	v_add_co_u32_e32 v68, vcc, s0, v4
	v_ashrrev_i32_e32 v3, 31, v2
	v_addc_co_u32_e32 v69, vcc, v1, v5, vcc
	v_lshlrev_b64 v[4:5], 3, v[2:3]
	v_add_u32_e32 v2, s3, v2
	v_add_co_u32_e32 v70, vcc, s0, v4
	v_ashrrev_i32_e32 v3, 31, v2
	v_addc_co_u32_e32 v71, vcc, v1, v5, vcc
	v_lshlrev_b64 v[4:5], 3, v[2:3]
	v_add_u32_e32 v2, s3, v2
	;; [unrolled: 5-line block ×11, first 2 shown]
	v_add_co_u32_e32 v90, vcc, s0, v4
	v_ashrrev_i32_e32 v3, 31, v2
	v_addc_co_u32_e32 v91, vcc, v1, v5, vcc
	v_lshlrev_b64 v[2:3], 3, v[2:3]
	v_add_co_u32_e32 v92, vcc, s0, v2
	v_addc_co_u32_e32 v93, vcc, v1, v3, vcc
	global_load_dwordx2 v[4:5], v[66:67], off
	global_load_dwordx2 v[6:7], v[68:69], off
	;; [unrolled: 1-line block ×13, first 2 shown]
	global_load_dwordx2 v[2:3], v34, s[0:1]
	global_load_dwordx2 v[30:31], v[92:93], off
	v_mov_b32_e32 v1, 0
	s_bitcmp0_b32 s12, 0
	s_mov_b64 s[0:1], -1
	s_cbranch_scc1 .LBB14_14
; %bb.4:
	v_cmp_eq_u32_e64 s[0:1], 0, v0
	s_and_saveexec_b64 s[2:3], s[0:1]
	s_cbranch_execz .LBB14_6
; %bb.5:
	v_mov_b32_e32 v32, 0
	ds_write_b32 v32, v32 offset:120
.LBB14_6:
	s_or_b64 exec, exec, s[2:3]
	v_cmp_eq_u32_e32 vcc, 1, v0
	s_waitcnt vmcnt(1)
	v_cndmask_b32_e32 v32, v3, v5, vcc
	v_cmp_eq_u32_e64 s[2:3], 2, v0
	v_cndmask_b32_e64 v32, v32, v7, s[2:3]
	v_cmp_eq_u32_e64 s[4:5], 3, v0
	v_cndmask_b32_e64 v32, v32, v9, s[4:5]
	;; [unrolled: 2-line block ×12, first 2 shown]
	v_cmp_eq_u32_e64 s[28:29], 14, v0
	s_waitcnt vmcnt(0)
	v_cndmask_b32_e64 v33, v32, v31, s[28:29]
	v_cndmask_b32_e32 v32, v2, v4, vcc
	v_cndmask_b32_e64 v32, v32, v6, s[2:3]
	v_cndmask_b32_e64 v32, v32, v8, s[4:5]
	;; [unrolled: 1-line block ×13, first 2 shown]
	v_cmp_eq_f64_e32 vcc, 0, v[32:33]
	s_waitcnt lgkmcnt(0)
	; wave barrier
	s_waitcnt lgkmcnt(0)
	s_and_saveexec_b64 s[4:5], vcc
	s_cbranch_execz .LBB14_10
; %bb.7:
	v_mov_b32_e32 v35, 0
	ds_read_b32 v37, v35 offset:120
	v_add_u32_e32 v36, 1, v0
	s_waitcnt lgkmcnt(0)
	v_readfirstlane_b32 s2, v37
	s_cmp_eq_u32 s2, 0
	s_cselect_b64 s[8:9], -1, 0
	v_cmp_gt_i32_e32 vcc, s2, v36
	s_or_b64 s[8:9], s[8:9], vcc
	s_and_b64 exec, exec, s[8:9]
	s_cbranch_execz .LBB14_10
; %bb.8:
	s_mov_b64 s[8:9], 0
	v_mov_b32_e32 v37, s2
.LBB14_9:                               ; =>This Inner Loop Header: Depth=1
	ds_cmpst_rtn_b32 v37, v35, v37, v36 offset:120
	s_waitcnt lgkmcnt(0)
	v_cmp_ne_u32_e32 vcc, 0, v37
	v_cmp_le_i32_e64 s[2:3], v37, v36
	s_and_b64 s[2:3], vcc, s[2:3]
	s_and_b64 s[2:3], exec, s[2:3]
	s_or_b64 s[8:9], s[2:3], s[8:9]
	s_andn2_b64 exec, exec, s[8:9]
	s_cbranch_execnz .LBB14_9
.LBB14_10:
	s_or_b64 exec, exec, s[4:5]
	v_mov_b32_e32 v36, 0
	s_waitcnt lgkmcnt(0)
	; wave barrier
	ds_read_b32 v35, v36 offset:120
	s_and_saveexec_b64 s[2:3], s[0:1]
	s_cbranch_execz .LBB14_12
; %bb.11:
	s_lshl_b64 s[4:5], s[6:7], 2
	s_add_u32 s4, s38, s4
	s_addc_u32 s5, s39, s5
	s_waitcnt lgkmcnt(0)
	global_store_dword v36, v35, s[4:5]
.LBB14_12:
	s_or_b64 exec, exec, s[2:3]
	s_waitcnt lgkmcnt(0)
	v_cmp_ne_u32_e32 vcc, 0, v35
	s_cbranch_vccz .LBB14_17
; %bb.13:
	s_mov_b64 s[0:1], 0
                                        ; implicit-def: $vgpr2_vgpr3_vgpr4_vgpr5_vgpr6_vgpr7_vgpr8_vgpr9_vgpr10_vgpr11_vgpr12_vgpr13_vgpr14_vgpr15_vgpr16_vgpr17_vgpr18_vgpr19_vgpr20_vgpr21_vgpr22_vgpr23_vgpr24_vgpr25_vgpr26_vgpr27_vgpr28_vgpr29_vgpr30_vgpr31_vgpr32_vgpr33
.LBB14_14:
	s_and_b64 vcc, exec, s[0:1]
	s_cbranch_vccz .LBB14_16
.LBB14_15:
	s_lshl_b64 s[0:1], s[6:7], 2
	s_add_u32 s0, s38, s0
	s_addc_u32 s1, s39, s1
	v_mov_b32_e32 v1, 0
	global_load_dword v1, v1, s[0:1]
	s_waitcnt vmcnt(0)
	v_cmp_ne_u32_e32 vcc, 0, v1
	s_cbranch_vccz .LBB14_82
.LBB14_16:
	s_endpgm
.LBB14_17:
	v_div_scale_f64 v[36:37], s[2:3], v[32:33], v[32:33], 1.0
	v_rcp_f64_e32 v[38:39], v[36:37]
	v_div_scale_f64 v[40:41], vcc, 1.0, v[32:33], 1.0
	v_fma_f64 v[42:43], -v[36:37], v[38:39], 1.0
	v_fmac_f64_e32 v[38:39], v[38:39], v[42:43]
	v_fma_f64 v[42:43], -v[36:37], v[38:39], 1.0
	v_fmac_f64_e32 v[38:39], v[38:39], v[42:43]
	v_mul_f64 v[42:43], v[40:41], v[38:39]
	v_fma_f64 v[36:37], -v[36:37], v[42:43], v[40:41]
	v_div_fmas_f64 v[36:37], v[36:37], v[38:39], v[42:43]
	v_div_fixup_f64 v[32:33], v[36:37], v[32:33], 1.0
	v_cmp_eq_u32_e32 vcc, 14, v0
	v_cndmask_b32_e32 v31, v31, v33, vcc
	v_cndmask_b32_e32 v30, v30, v32, vcc
	v_cmp_eq_u32_e32 vcc, 13, v0
	v_cndmask_b32_e32 v29, v29, v33, vcc
	v_cndmask_b32_e32 v28, v28, v32, vcc
	;; [unrolled: 3-line block ×15, first 2 shown]
	v_xor_b32_e32 v39, 0x80000000, v33
	v_mov_b32_e32 v38, v32
	v_add_u32_e32 v36, 0x80, v34
	ds_write2_b64 v34, v[38:39], v[4:5] offset1:16
	s_waitcnt lgkmcnt(0)
	; wave barrier
	s_waitcnt lgkmcnt(0)
	s_and_saveexec_b64 s[2:3], s[0:1]
	s_cbranch_execz .LBB14_19
; %bb.18:
	v_mov_b32_e32 v34, 0
	ds_read_b64 v[4:5], v36
	ds_read_b64 v[34:35], v34 offset:8
	s_waitcnt lgkmcnt(1)
	v_fma_f64 v[4:5], v[32:33], v[4:5], 0
	s_waitcnt lgkmcnt(0)
	v_mul_f64 v[4:5], v[4:5], v[34:35]
.LBB14_19:
	s_or_b64 exec, exec, s[2:3]
	v_cmp_gt_u32_e32 vcc, 2, v0
	s_waitcnt lgkmcnt(0)
	; wave barrier
	ds_write_b64 v36, v[6:7]
	s_waitcnt lgkmcnt(0)
	; wave barrier
	s_waitcnt lgkmcnt(0)
	s_and_saveexec_b64 s[34:35], vcc
	s_cbranch_execz .LBB14_21
; %bb.20:
	v_cmp_eq_u32_e64 s[2:3], 1, v0
	v_cndmask_b32_e64 v32, v3, v5, s[2:3]
	v_cmp_eq_u32_e64 s[4:5], 2, v0
	v_cndmask_b32_e64 v7, v32, v7, s[4:5]
	v_cndmask_b32_e64 v32, v2, v4, s[2:3]
	v_cmp_eq_u32_e64 s[8:9], 3, v0
	v_cndmask_b32_e64 v6, v32, v6, s[4:5]
	;; [unrolled: 3-line block ×10, first 2 shown]
	ds_read_b64 v[38:39], v36
	v_mov_b32_e32 v32, 0
	v_cndmask_b32_e64 v7, v7, v25, s[24:25]
	v_cmp_eq_u32_e64 s[26:27], 12, v0
	v_cndmask_b32_e64 v6, v6, v24, s[24:25]
	ds_read2_b64 v[32:35], v32 offset0:2 offset1:17
	v_cndmask_b32_e64 v7, v7, v27, s[26:27]
	v_cmp_eq_u32_e64 s[28:29], 13, v0
	v_cndmask_b32_e64 v6, v6, v26, s[26:27]
	v_cndmask_b32_e64 v7, v7, v29, s[28:29]
	v_cmp_eq_u32_e64 s[30:31], 14, v0
	v_cndmask_b32_e64 v6, v6, v28, s[28:29]
	v_cndmask_b32_e64 v7, v7, v31, s[30:31]
	;; [unrolled: 1-line block ×3, first 2 shown]
	s_waitcnt lgkmcnt(1)
	v_fma_f64 v[6:7], v[6:7], v[38:39], 0
	s_waitcnt lgkmcnt(0)
	v_fma_f64 v[34:35], v[4:5], v[34:35], v[6:7]
	v_cndmask_b32_e64 v7, v7, v35, s[0:1]
	v_cndmask_b32_e64 v6, v6, v34, s[0:1]
	v_mul_f64 v[6:7], v[6:7], v[32:33]
.LBB14_21:
	s_or_b64 exec, exec, s[34:35]
	v_cmp_gt_u32_e64 s[2:3], 3, v0
	s_waitcnt lgkmcnt(0)
	; wave barrier
	ds_write_b64 v36, v[8:9]
	s_waitcnt lgkmcnt(0)
	; wave barrier
	s_waitcnt lgkmcnt(0)
	s_and_saveexec_b64 s[10:11], s[2:3]
	s_cbranch_execz .LBB14_25
; %bb.22:
	v_mov_b32_e32 v32, 0x80
	v_lshl_add_u32 v37, v0, 3, v32
	s_mov_b64 s[12:13], 0
	v_pk_mov_b32 v[32:33], 0, 0
	v_pk_mov_b32 v[34:35], v[0:1], v[0:1] op_sel:[0,1]
.LBB14_23:                              ; =>This Inner Loop Header: Depth=1
	v_cmp_eq_u32_e64 s[2:3], 1, v34
	v_cndmask_b32_e64 v40, v3, v5, s[2:3]
	v_cmp_eq_u32_e64 s[4:5], 2, v34
	v_cndmask_b32_e64 v40, v40, v7, s[4:5]
	v_cndmask_b32_e64 v41, v2, v4, s[2:3]
	v_cmp_eq_u32_e64 s[2:3], 3, v34
	v_cndmask_b32_e64 v40, v40, v9, s[2:3]
	;; [unrolled: 3-line block ×9, first 2 shown]
	v_cndmask_b32_e64 v41, v41, v20, s[2:3]
	v_cmp_eq_u32_e64 s[2:3], 11, v34
	ds_read_b64 v[38:39], v37
	v_cndmask_b32_e64 v40, v40, v25, s[2:3]
	v_cndmask_b32_e64 v41, v41, v22, s[4:5]
	v_cmp_eq_u32_e64 s[4:5], 12, v34
	v_cndmask_b32_e64 v40, v40, v27, s[4:5]
	v_cndmask_b32_e64 v41, v41, v24, s[2:3]
	v_cmp_eq_u32_e64 s[2:3], 13, v34
	v_cndmask_b32_e64 v40, v40, v29, s[2:3]
	v_cmp_eq_u32_e64 s[8:9], 14, v34
	v_cndmask_b32_e64 v42, v41, v26, s[4:5]
	v_add_co_u32_e64 v34, s[4:5], 1, v34
	v_cndmask_b32_e64 v41, v40, v31, s[8:9]
	v_cndmask_b32_e64 v40, v42, v28, s[2:3]
	v_add_u32_e32 v42, -1, v34
	v_cndmask_b32_e64 v40, v40, v30, s[8:9]
	v_cmp_lt_u32_e64 s[2:3], 1, v42
	v_add_u32_e32 v37, 8, v37
	v_addc_co_u32_e64 v35, s[4:5], 0, v35, s[4:5]
	s_or_b64 s[12:13], s[2:3], s[12:13]
	s_waitcnt lgkmcnt(0)
	v_fmac_f64_e32 v[32:33], v[40:41], v[38:39]
	s_andn2_b64 exec, exec, s[12:13]
	s_cbranch_execnz .LBB14_23
; %bb.24:
	s_or_b64 exec, exec, s[12:13]
	v_mov_b32_e32 v8, 0
	ds_read_b64 v[8:9], v8 offset:24
	s_waitcnt lgkmcnt(0)
	v_mul_f64 v[8:9], v[32:33], v[8:9]
.LBB14_25:
	s_or_b64 exec, exec, s[10:11]
	v_cmp_gt_u32_e64 s[2:3], 4, v0
	s_waitcnt lgkmcnt(0)
	; wave barrier
	ds_write_b64 v36, v[10:11]
	s_waitcnt lgkmcnt(0)
	; wave barrier
	s_waitcnt lgkmcnt(0)
	s_and_saveexec_b64 s[12:13], s[2:3]
	s_cbranch_execz .LBB14_29
; %bb.26:
	v_mov_b32_e32 v32, 0x80
	v_lshl_add_u32 v37, v0, 3, v32
	s_mov_b64 s[14:15], 0
	v_pk_mov_b32 v[32:33], 0, 0
	v_pk_mov_b32 v[34:35], v[0:1], v[0:1] op_sel:[0,1]
.LBB14_27:                              ; =>This Inner Loop Header: Depth=1
	v_cmp_eq_u32_e64 s[4:5], 1, v34
	v_cndmask_b32_e64 v40, v3, v5, s[4:5]
	v_cmp_eq_u32_e64 s[8:9], 2, v34
	v_cndmask_b32_e64 v40, v40, v7, s[8:9]
	v_cndmask_b32_e64 v41, v2, v4, s[4:5]
	v_cmp_eq_u32_e64 s[4:5], 3, v34
	v_cndmask_b32_e64 v40, v40, v9, s[4:5]
	;; [unrolled: 3-line block ×9, first 2 shown]
	v_cndmask_b32_e64 v41, v41, v20, s[4:5]
	v_cmp_eq_u32_e64 s[4:5], 11, v34
	ds_read_b64 v[38:39], v37
	v_cndmask_b32_e64 v40, v40, v25, s[4:5]
	v_cndmask_b32_e64 v41, v41, v22, s[8:9]
	v_cmp_eq_u32_e64 s[8:9], 12, v34
	v_cndmask_b32_e64 v40, v40, v27, s[8:9]
	v_cndmask_b32_e64 v41, v41, v24, s[4:5]
	v_cmp_eq_u32_e64 s[4:5], 13, v34
	v_cndmask_b32_e64 v40, v40, v29, s[4:5]
	v_cmp_eq_u32_e64 s[10:11], 14, v34
	v_cndmask_b32_e64 v42, v41, v26, s[8:9]
	v_add_co_u32_e64 v34, s[8:9], 1, v34
	v_cndmask_b32_e64 v41, v40, v31, s[10:11]
	v_cndmask_b32_e64 v40, v42, v28, s[4:5]
	v_add_u32_e32 v42, -1, v34
	v_cndmask_b32_e64 v40, v40, v30, s[10:11]
	v_cmp_lt_u32_e64 s[4:5], 2, v42
	v_add_u32_e32 v37, 8, v37
	v_addc_co_u32_e64 v35, s[8:9], 0, v35, s[8:9]
	s_or_b64 s[14:15], s[4:5], s[14:15]
	s_waitcnt lgkmcnt(0)
	v_fmac_f64_e32 v[32:33], v[40:41], v[38:39]
	s_andn2_b64 exec, exec, s[14:15]
	s_cbranch_execnz .LBB14_27
; %bb.28:
	s_or_b64 exec, exec, s[14:15]
	v_mov_b32_e32 v10, 0
	ds_read_b64 v[10:11], v10 offset:32
	s_waitcnt lgkmcnt(0)
	v_mul_f64 v[10:11], v[32:33], v[10:11]
.LBB14_29:
	s_or_b64 exec, exec, s[12:13]
	v_cmp_gt_u32_e64 s[4:5], 5, v0
	s_waitcnt lgkmcnt(0)
	; wave barrier
	ds_write_b64 v36, v[12:13]
	s_waitcnt lgkmcnt(0)
	; wave barrier
	s_waitcnt lgkmcnt(0)
	s_and_saveexec_b64 s[12:13], s[4:5]
	s_cbranch_execz .LBB14_33
; %bb.30:
	v_mov_b32_e32 v32, 0x80
	v_lshl_add_u32 v37, v0, 3, v32
	s_mov_b64 s[14:15], 0
	v_pk_mov_b32 v[32:33], 0, 0
	v_pk_mov_b32 v[34:35], v[0:1], v[0:1] op_sel:[0,1]
.LBB14_31:                              ; =>This Inner Loop Header: Depth=1
	v_cmp_eq_u32_e64 s[4:5], 1, v34
	v_cndmask_b32_e64 v40, v3, v5, s[4:5]
	v_cmp_eq_u32_e64 s[8:9], 2, v34
	v_cndmask_b32_e64 v40, v40, v7, s[8:9]
	v_cndmask_b32_e64 v41, v2, v4, s[4:5]
	v_cmp_eq_u32_e64 s[4:5], 3, v34
	v_cndmask_b32_e64 v40, v40, v9, s[4:5]
	;; [unrolled: 3-line block ×9, first 2 shown]
	v_cndmask_b32_e64 v41, v41, v20, s[4:5]
	v_cmp_eq_u32_e64 s[4:5], 11, v34
	ds_read_b64 v[38:39], v37
	v_cndmask_b32_e64 v40, v40, v25, s[4:5]
	v_cndmask_b32_e64 v41, v41, v22, s[8:9]
	v_cmp_eq_u32_e64 s[8:9], 12, v34
	v_cndmask_b32_e64 v40, v40, v27, s[8:9]
	v_cndmask_b32_e64 v41, v41, v24, s[4:5]
	v_cmp_eq_u32_e64 s[4:5], 13, v34
	v_cndmask_b32_e64 v40, v40, v29, s[4:5]
	v_cmp_eq_u32_e64 s[10:11], 14, v34
	v_cndmask_b32_e64 v42, v41, v26, s[8:9]
	v_add_co_u32_e64 v34, s[8:9], 1, v34
	v_cndmask_b32_e64 v41, v40, v31, s[10:11]
	v_cndmask_b32_e64 v40, v42, v28, s[4:5]
	v_add_u32_e32 v42, -1, v34
	v_cndmask_b32_e64 v40, v40, v30, s[10:11]
	v_cmp_lt_u32_e64 s[4:5], 3, v42
	v_add_u32_e32 v37, 8, v37
	v_addc_co_u32_e64 v35, s[8:9], 0, v35, s[8:9]
	s_or_b64 s[14:15], s[4:5], s[14:15]
	s_waitcnt lgkmcnt(0)
	v_fmac_f64_e32 v[32:33], v[40:41], v[38:39]
	s_andn2_b64 exec, exec, s[14:15]
	s_cbranch_execnz .LBB14_31
; %bb.32:
	s_or_b64 exec, exec, s[14:15]
	v_mov_b32_e32 v12, 0
	ds_read_b64 v[12:13], v12 offset:40
	s_waitcnt lgkmcnt(0)
	v_mul_f64 v[12:13], v[32:33], v[12:13]
.LBB14_33:
	s_or_b64 exec, exec, s[12:13]
	v_cmp_gt_u32_e64 s[4:5], 6, v0
	s_waitcnt lgkmcnt(0)
	; wave barrier
	ds_write_b64 v36, v[14:15]
	s_waitcnt lgkmcnt(0)
	; wave barrier
	s_waitcnt lgkmcnt(0)
	s_and_saveexec_b64 s[14:15], s[4:5]
	s_cbranch_execz .LBB14_37
; %bb.34:
	v_mov_b32_e32 v32, 0x80
	v_lshl_add_u32 v37, v0, 3, v32
	s_mov_b64 s[16:17], 0
	v_pk_mov_b32 v[32:33], 0, 0
	v_pk_mov_b32 v[34:35], v[0:1], v[0:1] op_sel:[0,1]
.LBB14_35:                              ; =>This Inner Loop Header: Depth=1
	v_cmp_eq_u32_e64 s[8:9], 1, v34
	v_cndmask_b32_e64 v40, v3, v5, s[8:9]
	v_cmp_eq_u32_e64 s[10:11], 2, v34
	v_cndmask_b32_e64 v40, v40, v7, s[10:11]
	v_cndmask_b32_e64 v41, v2, v4, s[8:9]
	v_cmp_eq_u32_e64 s[8:9], 3, v34
	v_cndmask_b32_e64 v40, v40, v9, s[8:9]
	;; [unrolled: 3-line block ×9, first 2 shown]
	v_cndmask_b32_e64 v41, v41, v20, s[8:9]
	v_cmp_eq_u32_e64 s[8:9], 11, v34
	ds_read_b64 v[38:39], v37
	v_cndmask_b32_e64 v40, v40, v25, s[8:9]
	v_cndmask_b32_e64 v41, v41, v22, s[10:11]
	v_cmp_eq_u32_e64 s[10:11], 12, v34
	v_cndmask_b32_e64 v40, v40, v27, s[10:11]
	v_cndmask_b32_e64 v41, v41, v24, s[8:9]
	v_cmp_eq_u32_e64 s[8:9], 13, v34
	v_cndmask_b32_e64 v40, v40, v29, s[8:9]
	v_cmp_eq_u32_e64 s[12:13], 14, v34
	v_cndmask_b32_e64 v42, v41, v26, s[10:11]
	v_add_co_u32_e64 v34, s[10:11], 1, v34
	v_cndmask_b32_e64 v41, v40, v31, s[12:13]
	v_cndmask_b32_e64 v40, v42, v28, s[8:9]
	v_add_u32_e32 v42, -1, v34
	v_cndmask_b32_e64 v40, v40, v30, s[12:13]
	v_cmp_lt_u32_e64 s[8:9], 4, v42
	v_add_u32_e32 v37, 8, v37
	v_addc_co_u32_e64 v35, s[10:11], 0, v35, s[10:11]
	s_or_b64 s[16:17], s[8:9], s[16:17]
	s_waitcnt lgkmcnt(0)
	v_fmac_f64_e32 v[32:33], v[40:41], v[38:39]
	s_andn2_b64 exec, exec, s[16:17]
	s_cbranch_execnz .LBB14_35
; %bb.36:
	s_or_b64 exec, exec, s[16:17]
	v_mov_b32_e32 v14, 0
	ds_read_b64 v[14:15], v14 offset:48
	s_waitcnt lgkmcnt(0)
	v_mul_f64 v[14:15], v[32:33], v[14:15]
.LBB14_37:
	s_or_b64 exec, exec, s[14:15]
	v_cmp_gt_u32_e64 s[8:9], 7, v0
	s_waitcnt lgkmcnt(0)
	; wave barrier
	ds_write_b64 v36, v[16:17]
	s_waitcnt lgkmcnt(0)
	; wave barrier
	s_waitcnt lgkmcnt(0)
	s_and_saveexec_b64 s[14:15], s[8:9]
	s_cbranch_execz .LBB14_41
; %bb.38:
	v_mov_b32_e32 v32, 0x80
	v_lshl_add_u32 v37, v0, 3, v32
	s_mov_b64 s[16:17], 0
	v_pk_mov_b32 v[32:33], 0, 0
	v_pk_mov_b32 v[34:35], v[0:1], v[0:1] op_sel:[0,1]
.LBB14_39:                              ; =>This Inner Loop Header: Depth=1
	v_cmp_eq_u32_e64 s[8:9], 1, v34
	v_cndmask_b32_e64 v40, v3, v5, s[8:9]
	v_cmp_eq_u32_e64 s[10:11], 2, v34
	v_cndmask_b32_e64 v40, v40, v7, s[10:11]
	v_cndmask_b32_e64 v41, v2, v4, s[8:9]
	v_cmp_eq_u32_e64 s[8:9], 3, v34
	v_cndmask_b32_e64 v40, v40, v9, s[8:9]
	v_cndmask_b32_e64 v41, v41, v6, s[10:11]
	v_cmp_eq_u32_e64 s[10:11], 4, v34
	v_cndmask_b32_e64 v40, v40, v11, s[10:11]
	v_cndmask_b32_e64 v41, v41, v8, s[8:9]
	v_cmp_eq_u32_e64 s[8:9], 5, v34
	v_cndmask_b32_e64 v40, v40, v13, s[8:9]
	v_cndmask_b32_e64 v41, v41, v10, s[10:11]
	v_cmp_eq_u32_e64 s[10:11], 6, v34
	v_cndmask_b32_e64 v40, v40, v15, s[10:11]
	v_cndmask_b32_e64 v41, v41, v12, s[8:9]
	v_cmp_eq_u32_e64 s[8:9], 7, v34
	v_cndmask_b32_e64 v40, v40, v17, s[8:9]
	v_cndmask_b32_e64 v41, v41, v14, s[10:11]
	v_cmp_eq_u32_e64 s[10:11], 8, v34
	v_cndmask_b32_e64 v40, v40, v19, s[10:11]
	v_cndmask_b32_e64 v41, v41, v16, s[8:9]
	v_cmp_eq_u32_e64 s[8:9], 9, v34
	v_cndmask_b32_e64 v40, v40, v21, s[8:9]
	v_cndmask_b32_e64 v41, v41, v18, s[10:11]
	v_cmp_eq_u32_e64 s[10:11], 10, v34
	v_cndmask_b32_e64 v40, v40, v23, s[10:11]
	v_cndmask_b32_e64 v41, v41, v20, s[8:9]
	v_cmp_eq_u32_e64 s[8:9], 11, v34
	ds_read_b64 v[38:39], v37
	v_cndmask_b32_e64 v40, v40, v25, s[8:9]
	v_cndmask_b32_e64 v41, v41, v22, s[10:11]
	v_cmp_eq_u32_e64 s[10:11], 12, v34
	v_cndmask_b32_e64 v40, v40, v27, s[10:11]
	v_cndmask_b32_e64 v41, v41, v24, s[8:9]
	v_cmp_eq_u32_e64 s[8:9], 13, v34
	v_cndmask_b32_e64 v40, v40, v29, s[8:9]
	v_cmp_eq_u32_e64 s[12:13], 14, v34
	v_cndmask_b32_e64 v42, v41, v26, s[10:11]
	v_add_co_u32_e64 v34, s[10:11], 1, v34
	v_cndmask_b32_e64 v41, v40, v31, s[12:13]
	v_cndmask_b32_e64 v40, v42, v28, s[8:9]
	v_add_u32_e32 v42, -1, v34
	v_cndmask_b32_e64 v40, v40, v30, s[12:13]
	v_cmp_lt_u32_e64 s[8:9], 5, v42
	v_add_u32_e32 v37, 8, v37
	v_addc_co_u32_e64 v35, s[10:11], 0, v35, s[10:11]
	s_or_b64 s[16:17], s[8:9], s[16:17]
	s_waitcnt lgkmcnt(0)
	v_fmac_f64_e32 v[32:33], v[40:41], v[38:39]
	s_andn2_b64 exec, exec, s[16:17]
	s_cbranch_execnz .LBB14_39
; %bb.40:
	s_or_b64 exec, exec, s[16:17]
	v_mov_b32_e32 v16, 0
	ds_read_b64 v[16:17], v16 offset:56
	s_waitcnt lgkmcnt(0)
	v_mul_f64 v[16:17], v[32:33], v[16:17]
.LBB14_41:
	s_or_b64 exec, exec, s[14:15]
	v_cmp_gt_u32_e64 s[8:9], 8, v0
	s_waitcnt lgkmcnt(0)
	; wave barrier
	ds_write_b64 v36, v[18:19]
	s_waitcnt lgkmcnt(0)
	; wave barrier
	s_waitcnt lgkmcnt(0)
	s_and_saveexec_b64 s[44:45], s[8:9]
	s_cbranch_execz .LBB14_57
; %bb.42:
	v_cmp_eq_u32_e64 s[8:9], 1, v0
	v_cndmask_b32_e64 v32, v3, v5, s[8:9]
	v_cmp_eq_u32_e64 s[10:11], 2, v0
	v_cndmask_b32_e64 v32, v32, v7, s[10:11]
	;; [unrolled: 2-line block ×14, first 2 shown]
	v_cndmask_b32_e64 v32, v2, v4, s[8:9]
	v_cndmask_b32_e64 v32, v32, v6, s[10:11]
	;; [unrolled: 1-line block ×10, first 2 shown]
	ds_read_b64 v[34:35], v36
	v_cndmask_b32_e64 v32, v32, v24, s[28:29]
	v_cndmask_b32_e64 v32, v32, v26, s[30:31]
	;; [unrolled: 1-line block ×4, first 2 shown]
	s_waitcnt lgkmcnt(0)
	v_fma_f64 v[32:33], v[32:33], v[34:35], 0
	v_cmp_ne_u32_e64 s[8:9], 7, v0
	s_and_saveexec_b64 s[46:47], s[8:9]
	s_cbranch_execz .LBB14_56
; %bb.43:
	v_add_u32_e32 v34, 1, v0
	v_cmp_eq_u32_e64 s[8:9], 1, v34
	v_cndmask_b32_e64 v35, v3, v5, s[8:9]
	v_cmp_eq_u32_e64 s[10:11], 2, v34
	v_cmp_eq_u32_e64 s[12:13], 3, v34
	;; [unrolled: 1-line block ×13, first 2 shown]
	v_cndmask_b32_e64 v34, v2, v4, s[8:9]
	v_cndmask_b32_e64 v35, v35, v7, s[10:11]
	;; [unrolled: 1-line block ×19, first 2 shown]
	ds_read_b64 v[38:39], v36 offset:8
	v_cndmask_b32_e64 v35, v35, v25, s[28:29]
	v_cndmask_b32_e64 v34, v34, v24, s[28:29]
	;; [unrolled: 1-line block ×8, first 2 shown]
	s_waitcnt lgkmcnt(0)
	v_fmac_f64_e32 v[32:33], v[34:35], v[38:39]
	s_and_saveexec_b64 s[36:37], s[4:5]
	s_cbranch_execz .LBB14_55
; %bb.44:
	v_add_u32_e32 v34, 2, v0
	v_cmp_eq_u32_e64 s[4:5], 1, v34
	v_cndmask_b32_e64 v35, v3, v5, s[4:5]
	v_cmp_eq_u32_e64 s[8:9], 2, v34
	v_cmp_eq_u32_e64 s[10:11], 3, v34
	;; [unrolled: 1-line block ×13, first 2 shown]
	v_cndmask_b32_e64 v34, v2, v4, s[4:5]
	v_cndmask_b32_e64 v35, v35, v7, s[8:9]
	v_cndmask_b32_e64 v34, v34, v6, s[8:9]
	v_cndmask_b32_e64 v35, v35, v9, s[10:11]
	v_cndmask_b32_e64 v34, v34, v8, s[10:11]
	v_cndmask_b32_e64 v35, v35, v11, s[12:13]
	v_cndmask_b32_e64 v34, v34, v10, s[12:13]
	v_cndmask_b32_e64 v35, v35, v13, s[14:15]
	v_cndmask_b32_e64 v34, v34, v12, s[14:15]
	v_cndmask_b32_e64 v35, v35, v15, s[16:17]
	v_cndmask_b32_e64 v34, v34, v14, s[16:17]
	v_cndmask_b32_e64 v35, v35, v17, s[18:19]
	v_cndmask_b32_e64 v34, v34, v16, s[18:19]
	v_cndmask_b32_e64 v35, v35, v19, s[20:21]
	v_cndmask_b32_e64 v34, v34, v18, s[20:21]
	v_cndmask_b32_e64 v35, v35, v21, s[22:23]
	v_cndmask_b32_e64 v34, v34, v20, s[22:23]
	v_cndmask_b32_e64 v35, v35, v23, s[24:25]
	v_cndmask_b32_e64 v34, v34, v22, s[24:25]
	ds_read_b64 v[38:39], v36 offset:16
	v_cndmask_b32_e64 v35, v35, v25, s[26:27]
	v_cndmask_b32_e64 v34, v34, v24, s[26:27]
	;; [unrolled: 1-line block ×8, first 2 shown]
	s_waitcnt lgkmcnt(0)
	v_fmac_f64_e32 v[32:33], v[34:35], v[38:39]
	v_cmp_ne_u32_e64 s[4:5], 5, v0
	s_and_saveexec_b64 s[48:49], s[4:5]
	s_cbranch_execz .LBB14_54
; %bb.45:
	v_add_u32_e32 v34, 3, v0
	v_cmp_eq_u32_e64 s[4:5], 1, v34
	v_cndmask_b32_e64 v35, v3, v5, s[4:5]
	v_cmp_eq_u32_e64 s[8:9], 2, v34
	v_cmp_eq_u32_e64 s[10:11], 3, v34
	;; [unrolled: 1-line block ×13, first 2 shown]
	v_cndmask_b32_e64 v34, v2, v4, s[4:5]
	v_cndmask_b32_e64 v35, v35, v7, s[8:9]
	v_cndmask_b32_e64 v34, v34, v6, s[8:9]
	v_cndmask_b32_e64 v35, v35, v9, s[10:11]
	v_cndmask_b32_e64 v34, v34, v8, s[10:11]
	v_cndmask_b32_e64 v35, v35, v11, s[12:13]
	v_cndmask_b32_e64 v34, v34, v10, s[12:13]
	v_cndmask_b32_e64 v35, v35, v13, s[14:15]
	v_cndmask_b32_e64 v34, v34, v12, s[14:15]
	v_cndmask_b32_e64 v35, v35, v15, s[16:17]
	v_cndmask_b32_e64 v34, v34, v14, s[16:17]
	v_cndmask_b32_e64 v35, v35, v17, s[18:19]
	v_cndmask_b32_e64 v34, v34, v16, s[18:19]
	v_cndmask_b32_e64 v35, v35, v19, s[20:21]
	v_cndmask_b32_e64 v34, v34, v18, s[20:21]
	v_cndmask_b32_e64 v35, v35, v21, s[22:23]
	v_cndmask_b32_e64 v34, v34, v20, s[22:23]
	v_cndmask_b32_e64 v35, v35, v23, s[24:25]
	v_cndmask_b32_e64 v34, v34, v22, s[24:25]
	ds_read_b64 v[38:39], v36 offset:24
	v_cndmask_b32_e64 v35, v35, v25, s[26:27]
	v_cndmask_b32_e64 v34, v34, v24, s[26:27]
	v_cndmask_b32_e64 v35, v35, v27, s[28:29]
	v_cndmask_b32_e64 v34, v34, v26, s[28:29]
	v_cndmask_b32_e64 v35, v35, v29, s[30:31]
	v_cndmask_b32_e64 v34, v34, v28, s[30:31]
	v_cndmask_b32_e64 v35, v35, v31, s[34:35]
	v_cndmask_b32_e64 v34, v34, v30, s[34:35]
	s_waitcnt lgkmcnt(0)
	v_fmac_f64_e32 v[32:33], v[34:35], v[38:39]
	s_and_saveexec_b64 s[34:35], s[2:3]
	s_cbranch_execz .LBB14_53
; %bb.46:
	v_or_b32_e32 v34, 4, v0
	v_cmp_eq_u32_e64 s[2:3], 1, v34
	v_cndmask_b32_e64 v35, v3, v5, s[2:3]
	v_cmp_eq_u32_e64 s[4:5], 2, v34
	v_cmp_eq_u32_e64 s[8:9], 3, v34
	;; [unrolled: 1-line block ×13, first 2 shown]
	v_cndmask_b32_e64 v34, v2, v4, s[2:3]
	v_cndmask_b32_e64 v35, v35, v7, s[4:5]
	;; [unrolled: 1-line block ×19, first 2 shown]
	ds_read_b64 v[38:39], v36 offset:32
	v_cndmask_b32_e64 v35, v35, v25, s[24:25]
	v_cndmask_b32_e64 v34, v34, v24, s[24:25]
	;; [unrolled: 1-line block ×8, first 2 shown]
	s_waitcnt lgkmcnt(0)
	v_fmac_f64_e32 v[32:33], v[34:35], v[38:39]
	v_cmp_ne_u32_e64 s[2:3], 3, v0
	s_and_saveexec_b64 s[50:51], s[2:3]
	s_cbranch_execz .LBB14_52
; %bb.47:
	v_add_u32_e32 v34, 5, v0
	v_cmp_eq_u32_e64 s[2:3], 1, v34
	v_cndmask_b32_e64 v35, v3, v5, s[2:3]
	v_cmp_eq_u32_e64 s[4:5], 2, v34
	v_cmp_eq_u32_e64 s[8:9], 3, v34
	;; [unrolled: 1-line block ×13, first 2 shown]
	v_cndmask_b32_e64 v34, v2, v4, s[2:3]
	v_cndmask_b32_e64 v35, v35, v7, s[4:5]
	;; [unrolled: 1-line block ×19, first 2 shown]
	ds_read_b64 v[38:39], v36 offset:40
	v_cndmask_b32_e64 v35, v35, v25, s[24:25]
	v_cndmask_b32_e64 v34, v34, v24, s[24:25]
	;; [unrolled: 1-line block ×8, first 2 shown]
	s_waitcnt lgkmcnt(0)
	v_fmac_f64_e32 v[32:33], v[34:35], v[38:39]
	s_and_saveexec_b64 s[30:31], vcc
	s_cbranch_execz .LBB14_51
; %bb.48:
	v_or_b32_e32 v34, 6, v0
	v_cmp_eq_u32_e32 vcc, 1, v34
	v_cndmask_b32_e32 v35, v3, v5, vcc
	v_cmp_eq_u32_e64 s[2:3], 2, v34
	v_cmp_eq_u32_e64 s[4:5], 3, v34
	;; [unrolled: 1-line block ×13, first 2 shown]
	v_cndmask_b32_e32 v34, v2, v4, vcc
	v_cndmask_b32_e64 v35, v35, v7, s[2:3]
	v_cndmask_b32_e64 v34, v34, v6, s[2:3]
	;; [unrolled: 1-line block ×18, first 2 shown]
	ds_read_b64 v[34:35], v36 offset:48
	v_cndmask_b32_e64 v19, v19, v25, s[22:23]
	v_cndmask_b32_e64 v18, v18, v24, s[22:23]
	;; [unrolled: 1-line block ×8, first 2 shown]
	s_waitcnt lgkmcnt(0)
	v_fmac_f64_e32 v[32:33], v[18:19], v[34:35]
	s_and_saveexec_b64 s[2:3], s[0:1]
	s_cbranch_execz .LBB14_50
; %bb.49:
	ds_read_b64 v[18:19], v36 offset:56
	s_waitcnt lgkmcnt(0)
	v_fmac_f64_e32 v[32:33], v[16:17], v[18:19]
.LBB14_50:
	s_or_b64 exec, exec, s[2:3]
.LBB14_51:
	s_or_b64 exec, exec, s[30:31]
.LBB14_52:
	s_or_b64 exec, exec, s[50:51]
.LBB14_53:
	s_or_b64 exec, exec, s[34:35]
.LBB14_54:
	s_or_b64 exec, exec, s[48:49]
.LBB14_55:
	s_or_b64 exec, exec, s[36:37]
.LBB14_56:
	s_or_b64 exec, exec, s[46:47]
	v_mov_b32_e32 v18, 0
	ds_read_b64 v[18:19], v18 offset:64
	s_waitcnt lgkmcnt(0)
	v_mul_f64 v[18:19], v[32:33], v[18:19]
.LBB14_57:
	s_or_b64 exec, exec, s[44:45]
	v_cmp_gt_u32_e32 vcc, 9, v0
	s_waitcnt lgkmcnt(0)
	; wave barrier
	ds_write_b64 v36, v[20:21]
	s_waitcnt lgkmcnt(0)
	; wave barrier
	s_waitcnt lgkmcnt(0)
	s_and_saveexec_b64 s[4:5], vcc
	s_cbranch_execz .LBB14_61
; %bb.58:
	v_mov_b32_e32 v32, 0x80
	v_lshl_add_u32 v37, v0, 3, v32
	s_mov_b64 s[8:9], 0
	v_pk_mov_b32 v[32:33], 0, 0
	v_pk_mov_b32 v[34:35], v[0:1], v[0:1] op_sel:[0,1]
.LBB14_59:                              ; =>This Inner Loop Header: Depth=1
	v_cmp_eq_u32_e32 vcc, 1, v34
	v_cndmask_b32_e32 v40, v3, v5, vcc
	v_cmp_eq_u32_e64 s[0:1], 2, v34
	v_cndmask_b32_e64 v40, v40, v7, s[0:1]
	v_cndmask_b32_e32 v41, v2, v4, vcc
	v_cmp_eq_u32_e32 vcc, 3, v34
	v_cndmask_b32_e32 v40, v40, v9, vcc
	v_cndmask_b32_e64 v41, v41, v6, s[0:1]
	v_cmp_eq_u32_e64 s[0:1], 4, v34
	v_cndmask_b32_e64 v40, v40, v11, s[0:1]
	v_cndmask_b32_e32 v41, v41, v8, vcc
	v_cmp_eq_u32_e32 vcc, 5, v34
	v_cndmask_b32_e32 v40, v40, v13, vcc
	v_cndmask_b32_e64 v41, v41, v10, s[0:1]
	;; [unrolled: 6-line block ×4, first 2 shown]
	v_cmp_eq_u32_e64 s[0:1], 10, v34
	v_cndmask_b32_e64 v40, v40, v23, s[0:1]
	v_cndmask_b32_e32 v41, v41, v20, vcc
	v_cmp_eq_u32_e32 vcc, 11, v34
	ds_read_b64 v[38:39], v37
	v_cndmask_b32_e32 v40, v40, v25, vcc
	v_cndmask_b32_e64 v41, v41, v22, s[0:1]
	v_cmp_eq_u32_e64 s[0:1], 12, v34
	v_cndmask_b32_e64 v40, v40, v27, s[0:1]
	v_cndmask_b32_e32 v41, v41, v24, vcc
	v_cmp_eq_u32_e32 vcc, 13, v34
	v_cndmask_b32_e32 v40, v40, v29, vcc
	v_cmp_eq_u32_e64 s[2:3], 14, v34
	v_cndmask_b32_e64 v42, v41, v26, s[0:1]
	v_add_co_u32_e64 v34, s[0:1], 1, v34
	v_cndmask_b32_e64 v41, v40, v31, s[2:3]
	v_cndmask_b32_e32 v40, v42, v28, vcc
	v_add_u32_e32 v42, -1, v34
	v_cndmask_b32_e64 v40, v40, v30, s[2:3]
	v_cmp_lt_u32_e32 vcc, 7, v42
	v_add_u32_e32 v37, 8, v37
	v_addc_co_u32_e64 v35, s[0:1], 0, v35, s[0:1]
	s_or_b64 s[8:9], vcc, s[8:9]
	s_waitcnt lgkmcnt(0)
	v_fmac_f64_e32 v[32:33], v[40:41], v[38:39]
	s_andn2_b64 exec, exec, s[8:9]
	s_cbranch_execnz .LBB14_59
; %bb.60:
	s_or_b64 exec, exec, s[8:9]
	v_mov_b32_e32 v20, 0
	ds_read_b64 v[20:21], v20 offset:72
	s_waitcnt lgkmcnt(0)
	v_mul_f64 v[20:21], v[32:33], v[20:21]
.LBB14_61:
	s_or_b64 exec, exec, s[4:5]
	v_cmp_gt_u32_e32 vcc, 10, v0
	s_waitcnt lgkmcnt(0)
	; wave barrier
	ds_write_b64 v36, v[22:23]
	s_waitcnt lgkmcnt(0)
	; wave barrier
	s_waitcnt lgkmcnt(0)
	s_and_saveexec_b64 s[4:5], vcc
	s_cbranch_execz .LBB14_65
; %bb.62:
	v_mov_b32_e32 v32, 0x80
	v_lshl_add_u32 v37, v0, 3, v32
	s_mov_b64 s[8:9], 0
	v_pk_mov_b32 v[32:33], 0, 0
	v_pk_mov_b32 v[34:35], v[0:1], v[0:1] op_sel:[0,1]
.LBB14_63:                              ; =>This Inner Loop Header: Depth=1
	v_cmp_eq_u32_e32 vcc, 1, v34
	v_cndmask_b32_e32 v40, v3, v5, vcc
	v_cmp_eq_u32_e64 s[0:1], 2, v34
	v_cndmask_b32_e64 v40, v40, v7, s[0:1]
	v_cndmask_b32_e32 v41, v2, v4, vcc
	v_cmp_eq_u32_e32 vcc, 3, v34
	v_cndmask_b32_e32 v40, v40, v9, vcc
	v_cndmask_b32_e64 v41, v41, v6, s[0:1]
	v_cmp_eq_u32_e64 s[0:1], 4, v34
	v_cndmask_b32_e64 v40, v40, v11, s[0:1]
	v_cndmask_b32_e32 v41, v41, v8, vcc
	v_cmp_eq_u32_e32 vcc, 5, v34
	v_cndmask_b32_e32 v40, v40, v13, vcc
	v_cndmask_b32_e64 v41, v41, v10, s[0:1]
	;; [unrolled: 6-line block ×4, first 2 shown]
	v_cmp_eq_u32_e64 s[0:1], 10, v34
	v_cndmask_b32_e64 v40, v40, v23, s[0:1]
	v_cndmask_b32_e32 v41, v41, v20, vcc
	v_cmp_eq_u32_e32 vcc, 11, v34
	ds_read_b64 v[38:39], v37
	v_cndmask_b32_e32 v40, v40, v25, vcc
	v_cndmask_b32_e64 v41, v41, v22, s[0:1]
	v_cmp_eq_u32_e64 s[0:1], 12, v34
	v_cndmask_b32_e64 v40, v40, v27, s[0:1]
	v_cndmask_b32_e32 v41, v41, v24, vcc
	v_cmp_eq_u32_e32 vcc, 13, v34
	v_cndmask_b32_e32 v40, v40, v29, vcc
	v_cmp_eq_u32_e64 s[2:3], 14, v34
	v_cndmask_b32_e64 v42, v41, v26, s[0:1]
	v_add_co_u32_e64 v34, s[0:1], 1, v34
	v_cndmask_b32_e64 v41, v40, v31, s[2:3]
	v_cndmask_b32_e32 v40, v42, v28, vcc
	v_add_u32_e32 v42, -1, v34
	v_cndmask_b32_e64 v40, v40, v30, s[2:3]
	v_cmp_lt_u32_e32 vcc, 8, v42
	v_add_u32_e32 v37, 8, v37
	v_addc_co_u32_e64 v35, s[0:1], 0, v35, s[0:1]
	s_or_b64 s[8:9], vcc, s[8:9]
	s_waitcnt lgkmcnt(0)
	v_fmac_f64_e32 v[32:33], v[40:41], v[38:39]
	s_andn2_b64 exec, exec, s[8:9]
	s_cbranch_execnz .LBB14_63
; %bb.64:
	s_or_b64 exec, exec, s[8:9]
	v_mov_b32_e32 v22, 0
	ds_read_b64 v[22:23], v22 offset:80
	s_waitcnt lgkmcnt(0)
	v_mul_f64 v[22:23], v[32:33], v[22:23]
.LBB14_65:
	s_or_b64 exec, exec, s[4:5]
	v_cmp_gt_u32_e32 vcc, 11, v0
	s_waitcnt lgkmcnt(0)
	; wave barrier
	ds_write_b64 v36, v[24:25]
	s_waitcnt lgkmcnt(0)
	; wave barrier
	s_waitcnt lgkmcnt(0)
	s_and_saveexec_b64 s[4:5], vcc
	s_cbranch_execz .LBB14_69
; %bb.66:
	v_mov_b32_e32 v32, 0x80
	v_lshl_add_u32 v37, v0, 3, v32
	s_mov_b64 s[8:9], 0
	v_pk_mov_b32 v[32:33], 0, 0
	v_pk_mov_b32 v[34:35], v[0:1], v[0:1] op_sel:[0,1]
.LBB14_67:                              ; =>This Inner Loop Header: Depth=1
	v_cmp_eq_u32_e32 vcc, 1, v34
	v_cndmask_b32_e32 v40, v3, v5, vcc
	v_cmp_eq_u32_e64 s[0:1], 2, v34
	v_cndmask_b32_e64 v40, v40, v7, s[0:1]
	v_cndmask_b32_e32 v41, v2, v4, vcc
	v_cmp_eq_u32_e32 vcc, 3, v34
	v_cndmask_b32_e32 v40, v40, v9, vcc
	v_cndmask_b32_e64 v41, v41, v6, s[0:1]
	v_cmp_eq_u32_e64 s[0:1], 4, v34
	v_cndmask_b32_e64 v40, v40, v11, s[0:1]
	v_cndmask_b32_e32 v41, v41, v8, vcc
	v_cmp_eq_u32_e32 vcc, 5, v34
	v_cndmask_b32_e32 v40, v40, v13, vcc
	v_cndmask_b32_e64 v41, v41, v10, s[0:1]
	;; [unrolled: 6-line block ×4, first 2 shown]
	v_cmp_eq_u32_e64 s[0:1], 10, v34
	v_cndmask_b32_e64 v40, v40, v23, s[0:1]
	v_cndmask_b32_e32 v41, v41, v20, vcc
	v_cmp_eq_u32_e32 vcc, 11, v34
	ds_read_b64 v[38:39], v37
	v_cndmask_b32_e32 v40, v40, v25, vcc
	v_cndmask_b32_e64 v41, v41, v22, s[0:1]
	v_cmp_eq_u32_e64 s[0:1], 12, v34
	v_cndmask_b32_e64 v40, v40, v27, s[0:1]
	v_cndmask_b32_e32 v41, v41, v24, vcc
	v_cmp_eq_u32_e32 vcc, 13, v34
	v_cndmask_b32_e32 v40, v40, v29, vcc
	v_cmp_eq_u32_e64 s[2:3], 14, v34
	v_cndmask_b32_e64 v42, v41, v26, s[0:1]
	v_add_co_u32_e64 v34, s[0:1], 1, v34
	v_cndmask_b32_e64 v41, v40, v31, s[2:3]
	v_cndmask_b32_e32 v40, v42, v28, vcc
	v_add_u32_e32 v42, -1, v34
	v_cndmask_b32_e64 v40, v40, v30, s[2:3]
	v_cmp_lt_u32_e32 vcc, 9, v42
	v_add_u32_e32 v37, 8, v37
	v_addc_co_u32_e64 v35, s[0:1], 0, v35, s[0:1]
	s_or_b64 s[8:9], vcc, s[8:9]
	s_waitcnt lgkmcnt(0)
	v_fmac_f64_e32 v[32:33], v[40:41], v[38:39]
	s_andn2_b64 exec, exec, s[8:9]
	s_cbranch_execnz .LBB14_67
; %bb.68:
	s_or_b64 exec, exec, s[8:9]
	v_mov_b32_e32 v24, 0
	ds_read_b64 v[24:25], v24 offset:88
	s_waitcnt lgkmcnt(0)
	v_mul_f64 v[24:25], v[32:33], v[24:25]
.LBB14_69:
	s_or_b64 exec, exec, s[4:5]
	v_cmp_gt_u32_e32 vcc, 12, v0
	s_waitcnt lgkmcnt(0)
	; wave barrier
	ds_write_b64 v36, v[26:27]
	s_waitcnt lgkmcnt(0)
	; wave barrier
	s_waitcnt lgkmcnt(0)
	s_and_saveexec_b64 s[4:5], vcc
	s_cbranch_execz .LBB14_73
; %bb.70:
	v_mov_b32_e32 v32, 0x80
	v_lshl_add_u32 v37, v0, 3, v32
	s_mov_b64 s[8:9], 0
	v_pk_mov_b32 v[32:33], 0, 0
	v_pk_mov_b32 v[34:35], v[0:1], v[0:1] op_sel:[0,1]
.LBB14_71:                              ; =>This Inner Loop Header: Depth=1
	v_cmp_eq_u32_e32 vcc, 1, v34
	v_cndmask_b32_e32 v40, v3, v5, vcc
	v_cmp_eq_u32_e64 s[0:1], 2, v34
	v_cndmask_b32_e64 v40, v40, v7, s[0:1]
	v_cndmask_b32_e32 v41, v2, v4, vcc
	v_cmp_eq_u32_e32 vcc, 3, v34
	v_cndmask_b32_e32 v40, v40, v9, vcc
	v_cndmask_b32_e64 v41, v41, v6, s[0:1]
	v_cmp_eq_u32_e64 s[0:1], 4, v34
	v_cndmask_b32_e64 v40, v40, v11, s[0:1]
	v_cndmask_b32_e32 v41, v41, v8, vcc
	v_cmp_eq_u32_e32 vcc, 5, v34
	v_cndmask_b32_e32 v40, v40, v13, vcc
	v_cndmask_b32_e64 v41, v41, v10, s[0:1]
	;; [unrolled: 6-line block ×4, first 2 shown]
	v_cmp_eq_u32_e64 s[0:1], 10, v34
	v_cndmask_b32_e64 v40, v40, v23, s[0:1]
	v_cndmask_b32_e32 v41, v41, v20, vcc
	v_cmp_eq_u32_e32 vcc, 11, v34
	ds_read_b64 v[38:39], v37
	v_cndmask_b32_e32 v40, v40, v25, vcc
	v_cndmask_b32_e64 v41, v41, v22, s[0:1]
	v_cmp_eq_u32_e64 s[0:1], 12, v34
	v_cndmask_b32_e64 v40, v40, v27, s[0:1]
	v_cndmask_b32_e32 v41, v41, v24, vcc
	v_cmp_eq_u32_e32 vcc, 13, v34
	v_cndmask_b32_e32 v40, v40, v29, vcc
	v_cmp_eq_u32_e64 s[2:3], 14, v34
	v_cndmask_b32_e64 v42, v41, v26, s[0:1]
	v_add_co_u32_e64 v34, s[0:1], 1, v34
	v_cndmask_b32_e64 v41, v40, v31, s[2:3]
	v_cndmask_b32_e32 v40, v42, v28, vcc
	v_add_u32_e32 v42, -1, v34
	v_cndmask_b32_e64 v40, v40, v30, s[2:3]
	v_cmp_lt_u32_e32 vcc, 10, v42
	v_add_u32_e32 v37, 8, v37
	v_addc_co_u32_e64 v35, s[0:1], 0, v35, s[0:1]
	s_or_b64 s[8:9], vcc, s[8:9]
	s_waitcnt lgkmcnt(0)
	v_fmac_f64_e32 v[32:33], v[40:41], v[38:39]
	s_andn2_b64 exec, exec, s[8:9]
	s_cbranch_execnz .LBB14_71
; %bb.72:
	s_or_b64 exec, exec, s[8:9]
	v_mov_b32_e32 v26, 0
	ds_read_b64 v[26:27], v26 offset:96
	s_waitcnt lgkmcnt(0)
	v_mul_f64 v[26:27], v[32:33], v[26:27]
.LBB14_73:
	s_or_b64 exec, exec, s[4:5]
	v_cmp_gt_u32_e32 vcc, 13, v0
	s_waitcnt lgkmcnt(0)
	; wave barrier
	ds_write_b64 v36, v[28:29]
	s_waitcnt lgkmcnt(0)
	; wave barrier
	s_waitcnt lgkmcnt(0)
	s_and_saveexec_b64 s[4:5], vcc
	s_cbranch_execz .LBB14_77
; %bb.74:
	v_mov_b32_e32 v32, 0x80
	v_lshl_add_u32 v37, v0, 3, v32
	s_mov_b64 s[8:9], 0
	v_pk_mov_b32 v[32:33], 0, 0
	v_pk_mov_b32 v[34:35], v[0:1], v[0:1] op_sel:[0,1]
.LBB14_75:                              ; =>This Inner Loop Header: Depth=1
	v_cmp_eq_u32_e32 vcc, 1, v34
	v_cndmask_b32_e32 v40, v3, v5, vcc
	v_cmp_eq_u32_e64 s[0:1], 2, v34
	v_cndmask_b32_e64 v40, v40, v7, s[0:1]
	v_cndmask_b32_e32 v41, v2, v4, vcc
	v_cmp_eq_u32_e32 vcc, 3, v34
	v_cndmask_b32_e32 v40, v40, v9, vcc
	v_cndmask_b32_e64 v41, v41, v6, s[0:1]
	v_cmp_eq_u32_e64 s[0:1], 4, v34
	v_cndmask_b32_e64 v40, v40, v11, s[0:1]
	v_cndmask_b32_e32 v41, v41, v8, vcc
	v_cmp_eq_u32_e32 vcc, 5, v34
	v_cndmask_b32_e32 v40, v40, v13, vcc
	v_cndmask_b32_e64 v41, v41, v10, s[0:1]
	;; [unrolled: 6-line block ×4, first 2 shown]
	v_cmp_eq_u32_e64 s[0:1], 10, v34
	v_cndmask_b32_e64 v40, v40, v23, s[0:1]
	v_cndmask_b32_e32 v41, v41, v20, vcc
	v_cmp_eq_u32_e32 vcc, 11, v34
	ds_read_b64 v[38:39], v37
	v_cndmask_b32_e32 v40, v40, v25, vcc
	v_cndmask_b32_e64 v41, v41, v22, s[0:1]
	v_cmp_eq_u32_e64 s[0:1], 12, v34
	v_cndmask_b32_e64 v40, v40, v27, s[0:1]
	v_cndmask_b32_e32 v41, v41, v24, vcc
	v_cmp_eq_u32_e32 vcc, 13, v34
	v_cndmask_b32_e32 v40, v40, v29, vcc
	v_cmp_eq_u32_e64 s[2:3], 14, v34
	v_cndmask_b32_e64 v42, v41, v26, s[0:1]
	v_add_co_u32_e64 v34, s[0:1], 1, v34
	v_cndmask_b32_e64 v41, v40, v31, s[2:3]
	v_cndmask_b32_e32 v40, v42, v28, vcc
	v_add_u32_e32 v42, -1, v34
	v_cndmask_b32_e64 v40, v40, v30, s[2:3]
	v_cmp_lt_u32_e32 vcc, 11, v42
	v_add_u32_e32 v37, 8, v37
	v_addc_co_u32_e64 v35, s[0:1], 0, v35, s[0:1]
	s_or_b64 s[8:9], vcc, s[8:9]
	s_waitcnt lgkmcnt(0)
	v_fmac_f64_e32 v[32:33], v[40:41], v[38:39]
	s_andn2_b64 exec, exec, s[8:9]
	s_cbranch_execnz .LBB14_75
; %bb.76:
	s_or_b64 exec, exec, s[8:9]
	v_mov_b32_e32 v28, 0
	ds_read_b64 v[28:29], v28 offset:104
	s_waitcnt lgkmcnt(0)
	v_mul_f64 v[28:29], v[32:33], v[28:29]
.LBB14_77:
	s_or_b64 exec, exec, s[4:5]
	v_cmp_ne_u32_e32 vcc, 14, v0
	s_waitcnt lgkmcnt(0)
	; wave barrier
	ds_write_b64 v36, v[30:31]
	s_waitcnt lgkmcnt(0)
	; wave barrier
	s_waitcnt lgkmcnt(0)
	s_and_saveexec_b64 s[4:5], vcc
	s_cbranch_execz .LBB14_81
; %bb.78:
	v_mov_b32_e32 v32, 0x80
	v_lshl_add_u32 v36, v0, 3, v32
	s_mov_b64 s[8:9], 0
	v_pk_mov_b32 v[32:33], 0, 0
	v_pk_mov_b32 v[34:35], v[0:1], v[0:1] op_sel:[0,1]
.LBB14_79:                              ; =>This Inner Loop Header: Depth=1
	v_cmp_eq_u32_e32 vcc, 1, v34
	v_cndmask_b32_e32 v1, v3, v5, vcc
	v_cmp_eq_u32_e64 s[0:1], 2, v34
	v_cndmask_b32_e64 v1, v1, v7, s[0:1]
	v_cndmask_b32_e32 v37, v2, v4, vcc
	v_cmp_eq_u32_e32 vcc, 3, v34
	v_cndmask_b32_e32 v1, v1, v9, vcc
	v_cndmask_b32_e64 v37, v37, v6, s[0:1]
	v_cmp_eq_u32_e64 s[0:1], 4, v34
	v_cndmask_b32_e64 v1, v1, v11, s[0:1]
	v_cndmask_b32_e32 v37, v37, v8, vcc
	v_cmp_eq_u32_e32 vcc, 5, v34
	v_cndmask_b32_e32 v1, v1, v13, vcc
	v_cndmask_b32_e64 v37, v37, v10, s[0:1]
	;; [unrolled: 6-line block ×4, first 2 shown]
	v_cmp_eq_u32_e64 s[0:1], 10, v34
	v_cndmask_b32_e64 v1, v1, v23, s[0:1]
	v_cndmask_b32_e32 v37, v37, v20, vcc
	v_cmp_eq_u32_e32 vcc, 11, v34
	ds_read_b64 v[38:39], v36
	v_cndmask_b32_e32 v1, v1, v25, vcc
	v_cndmask_b32_e64 v37, v37, v22, s[0:1]
	v_cmp_eq_u32_e64 s[0:1], 12, v34
	v_cndmask_b32_e64 v1, v1, v27, s[0:1]
	v_cndmask_b32_e32 v37, v37, v24, vcc
	v_cmp_eq_u32_e32 vcc, 13, v34
	v_cndmask_b32_e32 v1, v1, v29, vcc
	v_cmp_eq_u32_e64 s[2:3], 14, v34
	v_cndmask_b32_e64 v37, v37, v26, s[0:1]
	v_add_co_u32_e64 v34, s[0:1], 1, v34
	v_cndmask_b32_e64 v41, v1, v31, s[2:3]
	v_cndmask_b32_e32 v1, v37, v28, vcc
	v_add_u32_e32 v37, -1, v34
	v_cndmask_b32_e64 v40, v1, v30, s[2:3]
	v_cmp_lt_u32_e32 vcc, 12, v37
	v_add_u32_e32 v36, 8, v36
	v_addc_co_u32_e64 v35, s[0:1], 0, v35, s[0:1]
	s_or_b64 s[8:9], vcc, s[8:9]
	s_waitcnt lgkmcnt(0)
	v_fmac_f64_e32 v[32:33], v[40:41], v[38:39]
	s_andn2_b64 exec, exec, s[8:9]
	s_cbranch_execnz .LBB14_79
; %bb.80:
	s_or_b64 exec, exec, s[8:9]
	v_mov_b32_e32 v1, 0
	ds_read_b64 v[30:31], v1 offset:112
	s_waitcnt lgkmcnt(0)
	v_mul_f64 v[30:31], v[32:33], v[30:31]
.LBB14_81:
	s_or_b64 exec, exec, s[4:5]
	s_waitcnt lgkmcnt(0)
	; wave barrier
	s_cbranch_execnz .LBB14_15
	s_branch .LBB14_16
.LBB14_82:
	v_mov_b32_e32 v1, 0x80
	v_lshl_add_u32 v1, v0, 3, v1
	v_cmp_eq_u32_e32 vcc, 14, v0
	s_and_saveexec_b64 s[0:1], vcc
	s_cbranch_execz .LBB14_84
; %bb.83:
	v_mov_b32_e32 v58, 0
	v_mov_b32_e32 v32, v2
	;; [unrolled: 1-line block ×30, first 2 shown]
	ds_write_b64 v1, v[28:29]
	v_pk_mov_b32 v[2:3], v[32:33], v[32:33] op_sel:[0,1]
	v_pk_mov_b32 v[4:5], v[34:35], v[34:35] op_sel:[0,1]
	;; [unrolled: 1-line block ×16, first 2 shown]
.LBB14_84:
	s_or_b64 exec, exec, s[0:1]
	v_mov_b32_e32 v56, 0
	s_waitcnt lgkmcnt(0)
	; wave barrier
	s_waitcnt lgkmcnt(0)
	ds_read_b64 v[32:33], v56 offset:240
	v_cmp_lt_u32_e32 vcc, 12, v0
	s_waitcnt lgkmcnt(0)
	v_fma_f64 v[32:33], v[30:31], v[32:33], 0
	v_add_f64 v[28:29], v[28:29], -v[32:33]
	s_and_saveexec_b64 s[0:1], vcc
	s_cbranch_execz .LBB14_86
; %bb.85:
	v_mov_b32_e32 v32, v2
	v_mov_b32_e32 v33, v3
	;; [unrolled: 1-line block ×29, first 2 shown]
	ds_write_b64 v1, v[26:27]
	v_pk_mov_b32 v[2:3], v[32:33], v[32:33] op_sel:[0,1]
	v_pk_mov_b32 v[4:5], v[34:35], v[34:35] op_sel:[0,1]
	v_pk_mov_b32 v[6:7], v[36:37], v[36:37] op_sel:[0,1]
	v_pk_mov_b32 v[8:9], v[38:39], v[38:39] op_sel:[0,1]
	v_pk_mov_b32 v[10:11], v[40:41], v[40:41] op_sel:[0,1]
	v_pk_mov_b32 v[12:13], v[42:43], v[42:43] op_sel:[0,1]
	v_pk_mov_b32 v[14:15], v[44:45], v[44:45] op_sel:[0,1]
	v_pk_mov_b32 v[16:17], v[46:47], v[46:47] op_sel:[0,1]
	v_pk_mov_b32 v[18:19], v[48:49], v[48:49] op_sel:[0,1]
	v_pk_mov_b32 v[20:21], v[50:51], v[50:51] op_sel:[0,1]
	v_pk_mov_b32 v[22:23], v[52:53], v[52:53] op_sel:[0,1]
	v_pk_mov_b32 v[24:25], v[54:55], v[54:55] op_sel:[0,1]
	v_pk_mov_b32 v[26:27], v[56:57], v[56:57] op_sel:[0,1]
	v_pk_mov_b32 v[28:29], v[58:59], v[58:59] op_sel:[0,1]
	v_pk_mov_b32 v[30:31], v[60:61], v[60:61] op_sel:[0,1]
	v_pk_mov_b32 v[32:33], v[62:63], v[62:63] op_sel:[0,1]
.LBB14_86:
	s_or_b64 exec, exec, s[0:1]
	s_waitcnt lgkmcnt(0)
	; wave barrier
	s_waitcnt lgkmcnt(0)
	ds_read2_b64 v[32:35], v56 offset0:29 offset1:30
	v_cmp_lt_u32_e32 vcc, 11, v0
	s_waitcnt lgkmcnt(0)
	v_fma_f64 v[32:33], v[28:29], v[32:33], 0
	v_fmac_f64_e32 v[32:33], v[30:31], v[34:35]
	v_add_f64 v[26:27], v[26:27], -v[32:33]
	s_and_saveexec_b64 s[0:1], vcc
	s_cbranch_execz .LBB14_88
; %bb.87:
	v_mov_b32_e32 v54, 0
	v_mov_b32_e32 v32, v2
	;; [unrolled: 1-line block ×30, first 2 shown]
	ds_write_b64 v1, v[24:25]
	v_pk_mov_b32 v[2:3], v[32:33], v[32:33] op_sel:[0,1]
	v_pk_mov_b32 v[4:5], v[34:35], v[34:35] op_sel:[0,1]
	;; [unrolled: 1-line block ×16, first 2 shown]
.LBB14_88:
	s_or_b64 exec, exec, s[0:1]
	v_mov_b32_e32 v52, 0
	s_waitcnt lgkmcnt(0)
	; wave barrier
	s_waitcnt lgkmcnt(0)
	ds_read_b128 v[32:35], v52 offset:224
	ds_read_b64 v[36:37], v52 offset:240
	v_cmp_lt_u32_e32 vcc, 10, v0
	s_waitcnt lgkmcnt(1)
	v_fma_f64 v[32:33], v[26:27], v[32:33], 0
	v_fmac_f64_e32 v[32:33], v[28:29], v[34:35]
	s_waitcnt lgkmcnt(0)
	v_fmac_f64_e32 v[32:33], v[30:31], v[36:37]
	v_add_f64 v[24:25], v[24:25], -v[32:33]
	s_and_saveexec_b64 s[0:1], vcc
	s_cbranch_execz .LBB14_90
; %bb.89:
	v_mov_b32_e32 v32, v2
	v_mov_b32_e32 v33, v3
	;; [unrolled: 1-line block ×29, first 2 shown]
	ds_write_b64 v1, v[22:23]
	v_pk_mov_b32 v[2:3], v[32:33], v[32:33] op_sel:[0,1]
	v_pk_mov_b32 v[4:5], v[34:35], v[34:35] op_sel:[0,1]
	;; [unrolled: 1-line block ×16, first 2 shown]
.LBB14_90:
	s_or_b64 exec, exec, s[0:1]
	s_waitcnt lgkmcnt(0)
	; wave barrier
	s_waitcnt lgkmcnt(0)
	ds_read2_b64 v[32:35], v52 offset0:27 offset1:28
	ds_read2_b64 v[36:39], v52 offset0:29 offset1:30
	v_cmp_lt_u32_e32 vcc, 9, v0
	s_waitcnt lgkmcnt(1)
	v_fma_f64 v[32:33], v[24:25], v[32:33], 0
	v_fmac_f64_e32 v[32:33], v[26:27], v[34:35]
	s_waitcnt lgkmcnt(0)
	v_fmac_f64_e32 v[32:33], v[28:29], v[36:37]
	v_fmac_f64_e32 v[32:33], v[30:31], v[38:39]
	v_add_f64 v[22:23], v[22:23], -v[32:33]
	s_and_saveexec_b64 s[0:1], vcc
	s_cbranch_execz .LBB14_92
; %bb.91:
	v_mov_b32_e32 v50, 0
	v_mov_b32_e32 v32, v2
	;; [unrolled: 1-line block ×30, first 2 shown]
	ds_write_b64 v1, v[20:21]
	v_pk_mov_b32 v[2:3], v[32:33], v[32:33] op_sel:[0,1]
	v_pk_mov_b32 v[4:5], v[34:35], v[34:35] op_sel:[0,1]
	;; [unrolled: 1-line block ×16, first 2 shown]
.LBB14_92:
	s_or_b64 exec, exec, s[0:1]
	v_mov_b32_e32 v48, 0
	s_waitcnt lgkmcnt(0)
	; wave barrier
	s_waitcnt lgkmcnt(0)
	ds_read_b128 v[32:35], v48 offset:208
	ds_read_b128 v[36:39], v48 offset:224
	ds_read_b64 v[40:41], v48 offset:240
	v_cmp_lt_u32_e32 vcc, 8, v0
	s_waitcnt lgkmcnt(2)
	v_fma_f64 v[32:33], v[22:23], v[32:33], 0
	v_fmac_f64_e32 v[32:33], v[24:25], v[34:35]
	s_waitcnt lgkmcnt(1)
	v_fmac_f64_e32 v[32:33], v[26:27], v[36:37]
	v_fmac_f64_e32 v[32:33], v[28:29], v[38:39]
	s_waitcnt lgkmcnt(0)
	v_fmac_f64_e32 v[32:33], v[30:31], v[40:41]
	v_add_f64 v[20:21], v[20:21], -v[32:33]
	s_and_saveexec_b64 s[0:1], vcc
	s_cbranch_execz .LBB14_94
; %bb.93:
	v_mov_b32_e32 v32, v2
	v_mov_b32_e32 v33, v3
	;; [unrolled: 1-line block ×29, first 2 shown]
	ds_write_b64 v1, v[18:19]
	v_pk_mov_b32 v[2:3], v[32:33], v[32:33] op_sel:[0,1]
	v_pk_mov_b32 v[4:5], v[34:35], v[34:35] op_sel:[0,1]
	;; [unrolled: 1-line block ×16, first 2 shown]
.LBB14_94:
	s_or_b64 exec, exec, s[0:1]
	s_waitcnt lgkmcnt(0)
	; wave barrier
	s_waitcnt lgkmcnt(0)
	ds_read2_b64 v[32:35], v48 offset0:25 offset1:26
	ds_read2_b64 v[36:39], v48 offset0:27 offset1:28
	;; [unrolled: 1-line block ×3, first 2 shown]
	v_cmp_lt_u32_e32 vcc, 7, v0
	s_waitcnt lgkmcnt(2)
	v_fma_f64 v[32:33], v[20:21], v[32:33], 0
	v_fmac_f64_e32 v[32:33], v[22:23], v[34:35]
	s_waitcnt lgkmcnt(1)
	v_fmac_f64_e32 v[32:33], v[24:25], v[36:37]
	v_fmac_f64_e32 v[32:33], v[26:27], v[38:39]
	s_waitcnt lgkmcnt(0)
	v_fmac_f64_e32 v[32:33], v[28:29], v[40:41]
	v_fmac_f64_e32 v[32:33], v[30:31], v[42:43]
	v_add_f64 v[18:19], v[18:19], -v[32:33]
	s_and_saveexec_b64 s[0:1], vcc
	s_cbranch_execz .LBB14_96
; %bb.95:
	v_mov_b32_e32 v46, 0
	v_mov_b32_e32 v32, v2
	;; [unrolled: 1-line block ×30, first 2 shown]
	ds_write_b64 v1, v[16:17]
	v_pk_mov_b32 v[2:3], v[32:33], v[32:33] op_sel:[0,1]
	v_pk_mov_b32 v[4:5], v[34:35], v[34:35] op_sel:[0,1]
	;; [unrolled: 1-line block ×16, first 2 shown]
.LBB14_96:
	s_or_b64 exec, exec, s[0:1]
	v_mov_b32_e32 v44, 0
	s_waitcnt lgkmcnt(0)
	; wave barrier
	s_waitcnt lgkmcnt(0)
	ds_read_b128 v[32:35], v44 offset:192
	ds_read_b128 v[36:39], v44 offset:208
	;; [unrolled: 1-line block ×3, first 2 shown]
	ds_read_b64 v[46:47], v44 offset:240
	v_cmp_lt_u32_e32 vcc, 6, v0
	s_waitcnt lgkmcnt(3)
	v_fma_f64 v[32:33], v[18:19], v[32:33], 0
	v_fmac_f64_e32 v[32:33], v[20:21], v[34:35]
	s_waitcnt lgkmcnt(2)
	v_fmac_f64_e32 v[32:33], v[22:23], v[36:37]
	v_fmac_f64_e32 v[32:33], v[24:25], v[38:39]
	s_waitcnt lgkmcnt(1)
	v_fmac_f64_e32 v[32:33], v[26:27], v[40:41]
	v_fmac_f64_e32 v[32:33], v[28:29], v[42:43]
	s_waitcnt lgkmcnt(0)
	v_fmac_f64_e32 v[32:33], v[30:31], v[46:47]
	v_add_f64 v[16:17], v[16:17], -v[32:33]
	s_and_saveexec_b64 s[0:1], vcc
	s_cbranch_execz .LBB14_98
; %bb.97:
	v_mov_b32_e32 v32, v2
	v_mov_b32_e32 v33, v3
	;; [unrolled: 1-line block ×31, first 2 shown]
	ds_write_b64 v1, v[2:3]
	v_pk_mov_b32 v[2:3], v[32:33], v[32:33] op_sel:[0,1]
	v_pk_mov_b32 v[4:5], v[34:35], v[34:35] op_sel:[0,1]
	;; [unrolled: 1-line block ×16, first 2 shown]
.LBB14_98:
	s_or_b64 exec, exec, s[0:1]
	s_waitcnt lgkmcnt(0)
	; wave barrier
	s_waitcnt lgkmcnt(0)
	ds_read2_b64 v[32:35], v44 offset0:23 offset1:24
	ds_read2_b64 v[36:39], v44 offset0:25 offset1:26
	;; [unrolled: 1-line block ×3, first 2 shown]
	v_cmp_lt_u32_e32 vcc, 5, v0
	s_waitcnt lgkmcnt(2)
	v_fma_f64 v[46:47], v[16:17], v[32:33], 0
	v_fmac_f64_e32 v[46:47], v[18:19], v[34:35]
	ds_read2_b64 v[32:35], v44 offset0:29 offset1:30
	s_waitcnt lgkmcnt(2)
	v_fmac_f64_e32 v[46:47], v[20:21], v[36:37]
	v_fmac_f64_e32 v[46:47], v[22:23], v[38:39]
	s_waitcnt lgkmcnt(1)
	v_fmac_f64_e32 v[46:47], v[24:25], v[40:41]
	v_fmac_f64_e32 v[46:47], v[26:27], v[42:43]
	;; [unrolled: 3-line block ×3, first 2 shown]
	v_add_f64 v[14:15], v[14:15], -v[46:47]
	s_and_saveexec_b64 s[0:1], vcc
	s_cbranch_execz .LBB14_100
; %bb.99:
	v_mov_b32_e32 v42, 0
	v_mov_b32_e32 v32, v2
	;; [unrolled: 1-line block ×32, first 2 shown]
	ds_write_b64 v1, v[2:3]
	v_pk_mov_b32 v[2:3], v[32:33], v[32:33] op_sel:[0,1]
	v_pk_mov_b32 v[4:5], v[34:35], v[34:35] op_sel:[0,1]
	;; [unrolled: 1-line block ×16, first 2 shown]
.LBB14_100:
	s_or_b64 exec, exec, s[0:1]
	v_mov_b32_e32 v40, 0
	s_waitcnt lgkmcnt(0)
	; wave barrier
	s_waitcnt lgkmcnt(0)
	ds_read_b128 v[32:35], v40 offset:176
	ds_read_b128 v[36:39], v40 offset:192
	;; [unrolled: 1-line block ×4, first 2 shown]
	v_cmp_lt_u32_e32 vcc, 4, v0
	s_waitcnt lgkmcnt(3)
	v_fma_f64 v[32:33], v[14:15], v[32:33], 0
	v_fmac_f64_e32 v[32:33], v[16:17], v[34:35]
	s_waitcnt lgkmcnt(2)
	v_fmac_f64_e32 v[32:33], v[18:19], v[36:37]
	v_fmac_f64_e32 v[32:33], v[20:21], v[38:39]
	ds_read_b64 v[34:35], v40 offset:240
	s_waitcnt lgkmcnt(2)
	v_fmac_f64_e32 v[32:33], v[22:23], v[42:43]
	v_fmac_f64_e32 v[32:33], v[24:25], v[44:45]
	s_waitcnt lgkmcnt(1)
	v_fmac_f64_e32 v[32:33], v[26:27], v[46:47]
	v_fmac_f64_e32 v[32:33], v[28:29], v[48:49]
	s_waitcnt lgkmcnt(0)
	v_fmac_f64_e32 v[32:33], v[30:31], v[34:35]
	v_add_f64 v[12:13], v[12:13], -v[32:33]
	s_and_saveexec_b64 s[0:1], vcc
	s_cbranch_execz .LBB14_102
; %bb.101:
	v_mov_b32_e32 v32, v2
	v_mov_b32_e32 v33, v3
	v_mov_b32_e32 v3, v11
	v_mov_b32_e32 v2, v10
	v_mov_b32_e32 v43, v13
	v_mov_b32_e32 v42, v12
	v_mov_b32_e32 v34, v4
	v_mov_b32_e32 v35, v5
	v_mov_b32_e32 v36, v6
	v_mov_b32_e32 v37, v7
	v_mov_b32_e32 v38, v8
	v_mov_b32_e32 v39, v9
	v_mov_b32_e32 v41, v40
	v_mov_b32_e32 v44, v14
	v_mov_b32_e32 v45, v15
	v_mov_b32_e32 v46, v16
	v_mov_b32_e32 v47, v17
	v_mov_b32_e32 v48, v18
	v_mov_b32_e32 v49, v19
	v_mov_b32_e32 v50, v20
	v_mov_b32_e32 v51, v21
	v_mov_b32_e32 v52, v22
	v_mov_b32_e32 v53, v23
	v_mov_b32_e32 v54, v24
	v_mov_b32_e32 v55, v25
	v_mov_b32_e32 v56, v26
	v_mov_b32_e32 v57, v27
	v_mov_b32_e32 v58, v28
	v_mov_b32_e32 v59, v29
	v_mov_b32_e32 v60, v30
	v_mov_b32_e32 v61, v31
	ds_write_b64 v1, v[2:3]
	v_pk_mov_b32 v[2:3], v[32:33], v[32:33] op_sel:[0,1]
	v_pk_mov_b32 v[4:5], v[34:35], v[34:35] op_sel:[0,1]
	;; [unrolled: 1-line block ×16, first 2 shown]
.LBB14_102:
	s_or_b64 exec, exec, s[0:1]
	s_waitcnt lgkmcnt(0)
	; wave barrier
	s_waitcnt lgkmcnt(0)
	ds_read2_b64 v[32:35], v40 offset0:21 offset1:22
	ds_read2_b64 v[36:39], v40 offset0:23 offset1:24
	v_cmp_lt_u32_e32 vcc, 3, v0
	ds_read2_b64 v[42:45], v40 offset0:27 offset1:28
	s_waitcnt lgkmcnt(2)
	v_fma_f64 v[46:47], v[12:13], v[32:33], 0
	v_fmac_f64_e32 v[46:47], v[14:15], v[34:35]
	ds_read2_b64 v[32:35], v40 offset0:25 offset1:26
	s_waitcnt lgkmcnt(2)
	v_fmac_f64_e32 v[46:47], v[16:17], v[36:37]
	v_fmac_f64_e32 v[46:47], v[18:19], v[38:39]
	ds_read2_b64 v[36:39], v40 offset0:29 offset1:30
	s_waitcnt lgkmcnt(1)
	v_fmac_f64_e32 v[46:47], v[20:21], v[32:33]
	v_fmac_f64_e32 v[46:47], v[22:23], v[34:35]
	;; [unrolled: 1-line block ×4, first 2 shown]
	s_waitcnt lgkmcnt(0)
	v_fmac_f64_e32 v[46:47], v[28:29], v[36:37]
	v_fmac_f64_e32 v[46:47], v[30:31], v[38:39]
	v_add_f64 v[10:11], v[10:11], -v[46:47]
	s_and_saveexec_b64 s[0:1], vcc
	s_cbranch_execz .LBB14_104
; %bb.103:
	v_mov_b32_e32 v38, 0
	v_mov_b32_e32 v32, v2
	;; [unrolled: 1-line block ×32, first 2 shown]
	ds_write_b64 v1, v[2:3]
	v_pk_mov_b32 v[2:3], v[32:33], v[32:33] op_sel:[0,1]
	v_pk_mov_b32 v[4:5], v[34:35], v[34:35] op_sel:[0,1]
	;; [unrolled: 1-line block ×16, first 2 shown]
.LBB14_104:
	s_or_b64 exec, exec, s[0:1]
	v_mov_b32_e32 v36, 0
	s_waitcnt lgkmcnt(0)
	; wave barrier
	s_waitcnt lgkmcnt(0)
	ds_read_b128 v[32:35], v36 offset:160
	ds_read_b128 v[38:41], v36 offset:176
	;; [unrolled: 1-line block ×4, first 2 shown]
	v_cmp_lt_u32_e32 vcc, 2, v0
	s_waitcnt lgkmcnt(3)
	v_fma_f64 v[50:51], v[10:11], v[32:33], 0
	v_fmac_f64_e32 v[50:51], v[12:13], v[34:35]
	s_waitcnt lgkmcnt(2)
	v_fmac_f64_e32 v[50:51], v[14:15], v[38:39]
	v_fmac_f64_e32 v[50:51], v[16:17], v[40:41]
	ds_read_b128 v[32:35], v36 offset:224
	ds_read_b64 v[38:39], v36 offset:240
	s_waitcnt lgkmcnt(3)
	v_fmac_f64_e32 v[50:51], v[18:19], v[42:43]
	v_fmac_f64_e32 v[50:51], v[20:21], v[44:45]
	s_waitcnt lgkmcnt(2)
	v_fmac_f64_e32 v[50:51], v[22:23], v[46:47]
	v_fmac_f64_e32 v[50:51], v[24:25], v[48:49]
	;; [unrolled: 3-line block ×3, first 2 shown]
	s_waitcnt lgkmcnt(0)
	v_fmac_f64_e32 v[50:51], v[30:31], v[38:39]
	v_add_f64 v[8:9], v[8:9], -v[50:51]
	s_and_saveexec_b64 s[0:1], vcc
	s_cbranch_execz .LBB14_106
; %bb.105:
	v_mov_b32_e32 v32, v2
	v_mov_b32_e32 v33, v3
	;; [unrolled: 1-line block ×31, first 2 shown]
	ds_write_b64 v1, v[2:3]
	v_pk_mov_b32 v[2:3], v[32:33], v[32:33] op_sel:[0,1]
	v_pk_mov_b32 v[4:5], v[34:35], v[34:35] op_sel:[0,1]
	;; [unrolled: 1-line block ×16, first 2 shown]
.LBB14_106:
	s_or_b64 exec, exec, s[0:1]
	s_waitcnt lgkmcnt(0)
	; wave barrier
	s_waitcnt lgkmcnt(0)
	ds_read2_b64 v[32:35], v36 offset0:19 offset1:20
	ds_read2_b64 v[38:41], v36 offset0:21 offset1:22
	;; [unrolled: 1-line block ×3, first 2 shown]
	v_cmp_lt_u32_e32 vcc, 1, v0
	s_waitcnt lgkmcnt(2)
	v_fma_f64 v[46:47], v[8:9], v[32:33], 0
	v_fmac_f64_e32 v[46:47], v[10:11], v[34:35]
	ds_read2_b64 v[32:35], v36 offset0:25 offset1:26
	s_waitcnt lgkmcnt(2)
	v_fmac_f64_e32 v[46:47], v[12:13], v[38:39]
	v_fmac_f64_e32 v[46:47], v[14:15], v[40:41]
	ds_read2_b64 v[38:41], v36 offset0:27 offset1:28
	s_waitcnt lgkmcnt(2)
	v_fmac_f64_e32 v[46:47], v[16:17], v[42:43]
	;; [unrolled: 4-line block ×3, first 2 shown]
	v_fmac_f64_e32 v[46:47], v[22:23], v[34:35]
	s_waitcnt lgkmcnt(1)
	v_fmac_f64_e32 v[46:47], v[24:25], v[38:39]
	v_fmac_f64_e32 v[46:47], v[26:27], v[40:41]
	s_waitcnt lgkmcnt(0)
	v_fmac_f64_e32 v[46:47], v[28:29], v[42:43]
	v_fmac_f64_e32 v[46:47], v[30:31], v[44:45]
	v_add_f64 v[6:7], v[6:7], -v[46:47]
	s_and_saveexec_b64 s[0:1], vcc
	s_cbranch_execz .LBB14_108
; %bb.107:
	v_mov_b32_e32 v34, 0
	v_mov_b32_e32 v32, v2
	;; [unrolled: 1-line block ×32, first 2 shown]
	ds_write_b64 v1, v[2:3]
	v_pk_mov_b32 v[2:3], v[32:33], v[32:33] op_sel:[0,1]
	v_pk_mov_b32 v[4:5], v[34:35], v[34:35] op_sel:[0,1]
	;; [unrolled: 1-line block ×16, first 2 shown]
.LBB14_108:
	s_or_b64 exec, exec, s[0:1]
	v_mov_b32_e32 v34, 0
	s_waitcnt lgkmcnt(0)
	; wave barrier
	s_waitcnt lgkmcnt(0)
	ds_read_b128 v[36:39], v34 offset:144
	ds_read_b128 v[40:43], v34 offset:160
	;; [unrolled: 1-line block ×4, first 2 shown]
	v_cmp_ne_u32_e32 vcc, 0, v0
	s_waitcnt lgkmcnt(3)
	v_fma_f64 v[32:33], v[6:7], v[36:37], 0
	v_fmac_f64_e32 v[32:33], v[8:9], v[38:39]
	s_waitcnt lgkmcnt(2)
	v_fmac_f64_e32 v[32:33], v[10:11], v[40:41]
	v_fmac_f64_e32 v[32:33], v[12:13], v[42:43]
	ds_read_b128 v[36:39], v34 offset:208
	ds_read_b128 v[40:43], v34 offset:224
	s_waitcnt lgkmcnt(3)
	v_fmac_f64_e32 v[32:33], v[14:15], v[44:45]
	v_fmac_f64_e32 v[32:33], v[16:17], v[46:47]
	s_waitcnt lgkmcnt(2)
	v_fmac_f64_e32 v[32:33], v[18:19], v[48:49]
	v_fmac_f64_e32 v[32:33], v[20:21], v[50:51]
	ds_read_b64 v[44:45], v34 offset:240
	s_waitcnt lgkmcnt(2)
	v_fmac_f64_e32 v[32:33], v[22:23], v[36:37]
	v_fmac_f64_e32 v[32:33], v[24:25], v[38:39]
	s_waitcnt lgkmcnt(1)
	v_fmac_f64_e32 v[32:33], v[26:27], v[40:41]
	v_fmac_f64_e32 v[32:33], v[28:29], v[42:43]
	s_waitcnt lgkmcnt(0)
	v_fmac_f64_e32 v[32:33], v[30:31], v[44:45]
	v_add_f64 v[4:5], v[4:5], -v[32:33]
	s_and_saveexec_b64 s[0:1], vcc
	s_cbranch_execz .LBB14_110
; %bb.109:
	v_mov_b32_e32 v35, v34
	v_mov_b32_e32 v37, v5
	;; [unrolled: 1-line block ×29, first 2 shown]
	ds_write_b64 v1, v[2:3]
	v_pk_mov_b32 v[2:3], v[34:35], v[34:35] op_sel:[0,1]
	v_pk_mov_b32 v[4:5], v[36:37], v[36:37] op_sel:[0,1]
	;; [unrolled: 1-line block ×16, first 2 shown]
.LBB14_110:
	s_or_b64 exec, exec, s[0:1]
	s_waitcnt lgkmcnt(0)
	; wave barrier
	s_waitcnt lgkmcnt(0)
	ds_read2_b64 v[36:39], v34 offset0:17 offset1:18
	ds_read2_b64 v[40:43], v34 offset0:19 offset1:20
	ds_read2_b64 v[44:47], v34 offset0:21 offset1:22
	s_and_b64 vcc, exec, s[42:43]
	s_waitcnt lgkmcnt(2)
	v_fma_f64 v[0:1], v[4:5], v[36:37], 0
	v_fmac_f64_e32 v[0:1], v[6:7], v[38:39]
	ds_read2_b64 v[36:39], v34 offset0:23 offset1:24
	s_waitcnt lgkmcnt(2)
	v_fmac_f64_e32 v[0:1], v[8:9], v[40:41]
	v_fmac_f64_e32 v[0:1], v[10:11], v[42:43]
	ds_read2_b64 v[40:43], v34 offset0:25 offset1:26
	s_waitcnt lgkmcnt(2)
	v_fmac_f64_e32 v[0:1], v[12:13], v[44:45]
	;; [unrolled: 4-line block ×4, first 2 shown]
	v_fmac_f64_e32 v[0:1], v[22:23], v[42:43]
	s_waitcnt lgkmcnt(1)
	v_fmac_f64_e32 v[0:1], v[24:25], v[44:45]
	v_fmac_f64_e32 v[0:1], v[26:27], v[46:47]
	s_waitcnt lgkmcnt(0)
	v_fmac_f64_e32 v[0:1], v[28:29], v[32:33]
	v_fmac_f64_e32 v[0:1], v[30:31], v[34:35]
	v_add_f64 v[2:3], v[2:3], -v[0:1]
	s_cbranch_vccz .LBB14_140
; %bb.111:
	v_pk_mov_b32 v[0:1], s[40:41], s[40:41] op_sel:[0,1]
	flat_load_dword v0, v[0:1] offset:52
	s_waitcnt vmcnt(0) lgkmcnt(0)
	v_add_u32_e32 v0, -1, v0
	v_cmp_ne_u32_e32 vcc, 13, v0
	s_and_saveexec_b64 s[26:27], vcc
	s_cbranch_execz .LBB14_113
; %bb.112:
	v_cmp_eq_u32_e32 vcc, 1, v0
	v_cndmask_b32_e32 v1, v2, v4, vcc
	v_cmp_eq_u32_e64 s[0:1], 2, v0
	v_cndmask_b32_e32 v32, v3, v5, vcc
	v_cndmask_b32_e64 v1, v1, v6, s[0:1]
	v_cmp_eq_u32_e64 s[2:3], 3, v0
	v_cndmask_b32_e64 v32, v32, v7, s[0:1]
	v_cndmask_b32_e64 v1, v1, v8, s[2:3]
	v_cmp_eq_u32_e64 s[4:5], 4, v0
	v_cndmask_b32_e64 v32, v32, v9, s[2:3]
	;; [unrolled: 3-line block ×12, first 2 shown]
	v_cndmask_b32_e64 v1, v1, v30, s[24:25]
	v_cndmask_b32_e64 v32, v32, v31, s[24:25]
	;; [unrolled: 1-line block ×4, first 2 shown]
	v_cndmask_b32_e32 v31, v5, v29, vcc
	v_cndmask_b32_e32 v30, v4, v28, vcc
	v_cmp_eq_u32_e32 vcc, 0, v0
	v_cndmask_b32_e64 v55, v32, v29, s[22:23]
	v_cndmask_b32_e64 v54, v1, v28, s[22:23]
	;; [unrolled: 1-line block ×24, first 2 shown]
	v_cndmask_b32_e32 v29, v3, v29, vcc
	v_cndmask_b32_e32 v28, v2, v28, vcc
	v_pk_mov_b32 v[2:3], v[28:29], v[28:29] op_sel:[0,1]
	v_pk_mov_b32 v[4:5], v[30:31], v[30:31] op_sel:[0,1]
	;; [unrolled: 1-line block ×16, first 2 shown]
.LBB14_113:
	s_or_b64 exec, exec, s[26:27]
	v_pk_mov_b32 v[0:1], s[40:41], s[40:41] op_sel:[0,1]
	flat_load_dword v0, v[0:1] offset:48
	s_waitcnt vmcnt(0) lgkmcnt(0)
	v_add_u32_e32 v0, -1, v0
	v_cmp_ne_u32_e32 vcc, 12, v0
	s_and_saveexec_b64 s[26:27], vcc
	s_cbranch_execz .LBB14_115
; %bb.114:
	v_cmp_eq_u32_e32 vcc, 1, v0
	v_cndmask_b32_e32 v1, v2, v4, vcc
	v_cmp_eq_u32_e64 s[0:1], 2, v0
	v_cndmask_b32_e32 v32, v3, v5, vcc
	v_cndmask_b32_e64 v1, v1, v6, s[0:1]
	v_cmp_eq_u32_e64 s[2:3], 3, v0
	v_cndmask_b32_e64 v32, v32, v7, s[0:1]
	v_cndmask_b32_e64 v1, v1, v8, s[2:3]
	v_cmp_eq_u32_e64 s[4:5], 4, v0
	v_cndmask_b32_e64 v32, v32, v9, s[2:3]
	;; [unrolled: 3-line block ×12, first 2 shown]
	v_cndmask_b32_e64 v1, v1, v30, s[24:25]
	v_cndmask_b32_e64 v32, v32, v31, s[24:25]
	;; [unrolled: 1-line block ×4, first 2 shown]
	v_cndmask_b32_e32 v29, v5, v27, vcc
	v_cndmask_b32_e32 v28, v4, v26, vcc
	v_cmp_eq_u32_e32 vcc, 0, v0
	v_cndmask_b32_e64 v51, v32, v27, s[20:21]
	v_cndmask_b32_e64 v50, v1, v26, s[20:21]
	;; [unrolled: 1-line block ×24, first 2 shown]
	v_cndmask_b32_e32 v27, v3, v27, vcc
	v_cndmask_b32_e32 v26, v2, v26, vcc
	v_pk_mov_b32 v[2:3], v[26:27], v[26:27] op_sel:[0,1]
	v_pk_mov_b32 v[4:5], v[28:29], v[28:29] op_sel:[0,1]
	;; [unrolled: 1-line block ×16, first 2 shown]
.LBB14_115:
	s_or_b64 exec, exec, s[26:27]
	v_pk_mov_b32 v[0:1], s[40:41], s[40:41] op_sel:[0,1]
	flat_load_dword v0, v[0:1] offset:44
	s_waitcnt vmcnt(0) lgkmcnt(0)
	v_add_u32_e32 v0, -1, v0
	v_cmp_ne_u32_e32 vcc, 11, v0
	s_and_saveexec_b64 s[26:27], vcc
	s_cbranch_execz .LBB14_117
; %bb.116:
	v_cmp_eq_u32_e32 vcc, 1, v0
	v_cndmask_b32_e32 v1, v2, v4, vcc
	v_cmp_eq_u32_e64 s[0:1], 2, v0
	v_cndmask_b32_e32 v32, v3, v5, vcc
	v_cndmask_b32_e64 v1, v1, v6, s[0:1]
	v_cmp_eq_u32_e64 s[2:3], 3, v0
	v_cndmask_b32_e64 v32, v32, v7, s[0:1]
	v_cndmask_b32_e64 v1, v1, v8, s[2:3]
	v_cmp_eq_u32_e64 s[4:5], 4, v0
	v_cndmask_b32_e64 v32, v32, v9, s[2:3]
	;; [unrolled: 3-line block ×12, first 2 shown]
	v_cndmask_b32_e64 v1, v1, v30, s[24:25]
	v_cndmask_b32_e64 v32, v32, v31, s[24:25]
	;; [unrolled: 1-line block ×4, first 2 shown]
	v_cndmask_b32_e32 v27, v5, v25, vcc
	v_cndmask_b32_e32 v26, v4, v24, vcc
	v_cmp_eq_u32_e32 vcc, 0, v0
	v_cndmask_b32_e64 v47, v32, v25, s[18:19]
	v_cndmask_b32_e64 v46, v1, v24, s[18:19]
	;; [unrolled: 1-line block ×24, first 2 shown]
	v_cndmask_b32_e32 v25, v3, v25, vcc
	v_cndmask_b32_e32 v24, v2, v24, vcc
	v_pk_mov_b32 v[2:3], v[24:25], v[24:25] op_sel:[0,1]
	v_pk_mov_b32 v[4:5], v[26:27], v[26:27] op_sel:[0,1]
	;; [unrolled: 1-line block ×16, first 2 shown]
.LBB14_117:
	s_or_b64 exec, exec, s[26:27]
	v_pk_mov_b32 v[0:1], s[40:41], s[40:41] op_sel:[0,1]
	flat_load_dword v0, v[0:1] offset:40
	s_waitcnt vmcnt(0) lgkmcnt(0)
	v_add_u32_e32 v0, -1, v0
	v_cmp_ne_u32_e32 vcc, 10, v0
	s_and_saveexec_b64 s[26:27], vcc
	s_cbranch_execz .LBB14_119
; %bb.118:
	v_cmp_eq_u32_e32 vcc, 1, v0
	v_cndmask_b32_e32 v1, v2, v4, vcc
	v_cmp_eq_u32_e64 s[0:1], 2, v0
	v_cndmask_b32_e32 v32, v3, v5, vcc
	v_cndmask_b32_e64 v1, v1, v6, s[0:1]
	v_cmp_eq_u32_e64 s[2:3], 3, v0
	v_cndmask_b32_e64 v32, v32, v7, s[0:1]
	v_cndmask_b32_e64 v1, v1, v8, s[2:3]
	v_cmp_eq_u32_e64 s[4:5], 4, v0
	v_cndmask_b32_e64 v32, v32, v9, s[2:3]
	;; [unrolled: 3-line block ×12, first 2 shown]
	v_cndmask_b32_e64 v1, v1, v30, s[24:25]
	v_cndmask_b32_e64 v32, v32, v31, s[24:25]
	;; [unrolled: 1-line block ×4, first 2 shown]
	v_cndmask_b32_e32 v25, v5, v23, vcc
	v_cndmask_b32_e32 v24, v4, v22, vcc
	v_cmp_eq_u32_e32 vcc, 0, v0
	v_cndmask_b32_e64 v43, v32, v23, s[16:17]
	v_cndmask_b32_e64 v42, v1, v22, s[16:17]
	;; [unrolled: 1-line block ×24, first 2 shown]
	v_cndmask_b32_e32 v23, v3, v23, vcc
	v_cndmask_b32_e32 v22, v2, v22, vcc
	v_pk_mov_b32 v[2:3], v[22:23], v[22:23] op_sel:[0,1]
	v_pk_mov_b32 v[4:5], v[24:25], v[24:25] op_sel:[0,1]
	;; [unrolled: 1-line block ×16, first 2 shown]
.LBB14_119:
	s_or_b64 exec, exec, s[26:27]
	v_pk_mov_b32 v[0:1], s[40:41], s[40:41] op_sel:[0,1]
	flat_load_dword v0, v[0:1] offset:36
	s_waitcnt vmcnt(0) lgkmcnt(0)
	v_add_u32_e32 v0, -1, v0
	v_cmp_ne_u32_e32 vcc, 9, v0
	s_and_saveexec_b64 s[26:27], vcc
	s_cbranch_execz .LBB14_121
; %bb.120:
	v_cmp_eq_u32_e32 vcc, 1, v0
	v_cndmask_b32_e32 v1, v2, v4, vcc
	v_cmp_eq_u32_e64 s[0:1], 2, v0
	v_cndmask_b32_e32 v32, v3, v5, vcc
	v_cndmask_b32_e64 v1, v1, v6, s[0:1]
	v_cmp_eq_u32_e64 s[2:3], 3, v0
	v_cndmask_b32_e64 v32, v32, v7, s[0:1]
	v_cndmask_b32_e64 v1, v1, v8, s[2:3]
	v_cmp_eq_u32_e64 s[4:5], 4, v0
	v_cndmask_b32_e64 v32, v32, v9, s[2:3]
	;; [unrolled: 3-line block ×12, first 2 shown]
	v_cndmask_b32_e64 v1, v1, v30, s[24:25]
	v_cndmask_b32_e64 v32, v32, v31, s[24:25]
	v_cndmask_b32_e64 v41, v23, v21, s[16:17]
	v_cndmask_b32_e64 v40, v22, v20, s[16:17]
	v_cndmask_b32_e32 v23, v5, v21, vcc
	v_cndmask_b32_e32 v22, v4, v20, vcc
	v_cmp_eq_u32_e32 vcc, 0, v0
	v_cndmask_b32_e64 v39, v32, v21, s[14:15]
	v_cndmask_b32_e64 v38, v1, v20, s[14:15]
	;; [unrolled: 1-line block ×24, first 2 shown]
	v_cndmask_b32_e32 v21, v3, v21, vcc
	v_cndmask_b32_e32 v20, v2, v20, vcc
	v_pk_mov_b32 v[2:3], v[20:21], v[20:21] op_sel:[0,1]
	v_pk_mov_b32 v[4:5], v[22:23], v[22:23] op_sel:[0,1]
	;; [unrolled: 1-line block ×16, first 2 shown]
.LBB14_121:
	s_or_b64 exec, exec, s[26:27]
	v_pk_mov_b32 v[0:1], s[40:41], s[40:41] op_sel:[0,1]
	flat_load_dword v0, v[0:1] offset:32
	s_waitcnt vmcnt(0) lgkmcnt(0)
	v_add_u32_e32 v0, -1, v0
	v_cmp_ne_u32_e32 vcc, 8, v0
	s_and_saveexec_b64 s[26:27], vcc
	s_cbranch_execz .LBB14_123
; %bb.122:
	v_cmp_eq_u32_e32 vcc, 1, v0
	v_cndmask_b32_e32 v1, v2, v4, vcc
	v_cmp_eq_u32_e64 s[0:1], 2, v0
	v_cndmask_b32_e32 v32, v3, v5, vcc
	v_cndmask_b32_e64 v1, v1, v6, s[0:1]
	v_cmp_eq_u32_e64 s[2:3], 3, v0
	v_cndmask_b32_e64 v32, v32, v7, s[0:1]
	v_cndmask_b32_e64 v1, v1, v8, s[2:3]
	v_cmp_eq_u32_e64 s[4:5], 4, v0
	v_cndmask_b32_e64 v32, v32, v9, s[2:3]
	;; [unrolled: 3-line block ×12, first 2 shown]
	v_cndmask_b32_e64 v1, v1, v30, s[24:25]
	v_cndmask_b32_e64 v32, v32, v31, s[24:25]
	v_cndmask_b32_e64 v37, v21, v19, s[14:15]
	v_cndmask_b32_e64 v36, v20, v18, s[14:15]
	v_cndmask_b32_e32 v21, v5, v19, vcc
	v_cndmask_b32_e32 v20, v4, v18, vcc
	v_cmp_eq_u32_e32 vcc, 0, v0
	v_cndmask_b32_e64 v35, v32, v19, s[12:13]
	v_cndmask_b32_e64 v34, v1, v18, s[12:13]
	;; [unrolled: 1-line block ×24, first 2 shown]
	v_cndmask_b32_e32 v19, v3, v19, vcc
	v_cndmask_b32_e32 v18, v2, v18, vcc
	v_pk_mov_b32 v[2:3], v[18:19], v[18:19] op_sel:[0,1]
	v_pk_mov_b32 v[4:5], v[20:21], v[20:21] op_sel:[0,1]
	;; [unrolled: 1-line block ×16, first 2 shown]
.LBB14_123:
	s_or_b64 exec, exec, s[26:27]
	v_pk_mov_b32 v[0:1], s[40:41], s[40:41] op_sel:[0,1]
	flat_load_dword v0, v[0:1] offset:28
	s_waitcnt vmcnt(0) lgkmcnt(0)
	v_add_u32_e32 v0, -1, v0
	v_cmp_ne_u32_e32 vcc, 7, v0
	s_and_saveexec_b64 s[26:27], vcc
	s_cbranch_execz .LBB14_125
; %bb.124:
	v_cmp_eq_u32_e32 vcc, 1, v0
	v_cndmask_b32_e32 v1, v2, v4, vcc
	v_cmp_eq_u32_e64 s[0:1], 2, v0
	v_cndmask_b32_e32 v32, v3, v5, vcc
	v_cndmask_b32_e64 v1, v1, v6, s[0:1]
	v_cmp_eq_u32_e64 s[2:3], 3, v0
	v_cndmask_b32_e64 v32, v32, v7, s[0:1]
	v_cndmask_b32_e64 v1, v1, v8, s[2:3]
	v_cmp_eq_u32_e64 s[4:5], 4, v0
	v_cndmask_b32_e64 v32, v32, v9, s[2:3]
	;; [unrolled: 3-line block ×12, first 2 shown]
	v_cndmask_b32_e64 v1, v1, v30, s[24:25]
	v_cndmask_b32_e64 v32, v32, v31, s[24:25]
	;; [unrolled: 1-line block ×4, first 2 shown]
	v_cndmask_b32_e32 v21, v5, v17, vcc
	v_cndmask_b32_e32 v20, v4, v16, vcc
	v_cmp_eq_u32_e32 vcc, 0, v0
	v_cndmask_b32_e64 v33, v32, v17, s[10:11]
	v_cndmask_b32_e64 v32, v1, v16, s[10:11]
	v_cndmask_b32_e64 v47, v31, v17, s[24:25]
	v_cndmask_b32_e64 v46, v30, v16, s[24:25]
	v_cndmask_b32_e64 v45, v29, v17, s[22:23]
	v_cndmask_b32_e64 v44, v28, v16, s[22:23]
	v_cndmask_b32_e64 v43, v27, v17, s[20:21]
	v_cndmask_b32_e64 v42, v26, v16, s[20:21]
	v_cndmask_b32_e64 v41, v25, v17, s[18:19]
	v_cndmask_b32_e64 v40, v24, v16, s[18:19]
	v_cndmask_b32_e64 v39, v23, v17, s[16:17]
	v_cndmask_b32_e64 v38, v22, v16, s[16:17]
	v_cndmask_b32_e64 v35, v19, v17, s[12:13]
	v_cndmask_b32_e64 v34, v18, v16, s[12:13]
	v_cndmask_b32_e64 v31, v15, v17, s[8:9]
	v_cndmask_b32_e64 v30, v14, v16, s[8:9]
	v_cndmask_b32_e64 v29, v13, v17, s[6:7]
	v_cndmask_b32_e64 v28, v12, v16, s[6:7]
	v_cndmask_b32_e64 v27, v11, v17, s[4:5]
	v_cndmask_b32_e64 v26, v10, v16, s[4:5]
	v_cndmask_b32_e64 v25, v9, v17, s[2:3]
	v_cndmask_b32_e64 v24, v8, v16, s[2:3]
	v_cndmask_b32_e64 v23, v7, v17, s[0:1]
	v_cndmask_b32_e64 v22, v6, v16, s[0:1]
	v_cndmask_b32_e32 v19, v3, v17, vcc
	v_cndmask_b32_e32 v18, v2, v16, vcc
	v_pk_mov_b32 v[2:3], v[18:19], v[18:19] op_sel:[0,1]
	v_pk_mov_b32 v[4:5], v[20:21], v[20:21] op_sel:[0,1]
	;; [unrolled: 1-line block ×16, first 2 shown]
.LBB14_125:
	s_or_b64 exec, exec, s[26:27]
	v_pk_mov_b32 v[0:1], s[40:41], s[40:41] op_sel:[0,1]
	flat_load_dword v0, v[0:1] offset:24
	s_waitcnt vmcnt(0) lgkmcnt(0)
	v_add_u32_e32 v0, -1, v0
	v_cmp_ne_u32_e32 vcc, 6, v0
	s_and_saveexec_b64 s[26:27], vcc
	s_cbranch_execz .LBB14_127
; %bb.126:
	v_cmp_eq_u32_e32 vcc, 1, v0
	v_cndmask_b32_e32 v1, v2, v4, vcc
	v_cmp_eq_u32_e64 s[0:1], 2, v0
	v_cndmask_b32_e32 v32, v3, v5, vcc
	v_cndmask_b32_e64 v1, v1, v6, s[0:1]
	v_cmp_eq_u32_e64 s[2:3], 3, v0
	v_cndmask_b32_e64 v32, v32, v7, s[0:1]
	v_cndmask_b32_e64 v1, v1, v8, s[2:3]
	v_cmp_eq_u32_e64 s[4:5], 4, v0
	v_cndmask_b32_e64 v32, v32, v9, s[2:3]
	;; [unrolled: 3-line block ×12, first 2 shown]
	v_cndmask_b32_e64 v1, v1, v30, s[24:25]
	v_cndmask_b32_e64 v32, v32, v31, s[24:25]
	;; [unrolled: 1-line block ×4, first 2 shown]
	v_cndmask_b32_e32 v23, v5, v15, vcc
	v_cndmask_b32_e32 v22, v4, v14, vcc
	v_cmp_eq_u32_e32 vcc, 0, v0
	v_cndmask_b32_e64 v33, v32, v15, s[8:9]
	v_cndmask_b32_e64 v32, v1, v14, s[8:9]
	;; [unrolled: 1-line block ×20, first 2 shown]
	v_cndmask_b32_e32 v21, v3, v15, vcc
	v_cndmask_b32_e32 v20, v2, v14, vcc
	v_cndmask_b32_e64 v37, v19, v15, s[12:13]
	v_cndmask_b32_e64 v36, v18, v14, s[12:13]
	;; [unrolled: 1-line block ×4, first 2 shown]
	v_pk_mov_b32 v[2:3], v[20:21], v[20:21] op_sel:[0,1]
	v_pk_mov_b32 v[4:5], v[22:23], v[22:23] op_sel:[0,1]
	;; [unrolled: 1-line block ×16, first 2 shown]
.LBB14_127:
	s_or_b64 exec, exec, s[26:27]
	v_pk_mov_b32 v[0:1], s[40:41], s[40:41] op_sel:[0,1]
	flat_load_dword v0, v[0:1] offset:20
	s_waitcnt vmcnt(0) lgkmcnt(0)
	v_add_u32_e32 v0, -1, v0
	v_cmp_ne_u32_e32 vcc, 5, v0
	s_and_saveexec_b64 s[26:27], vcc
	s_cbranch_execz .LBB14_129
; %bb.128:
	v_cmp_eq_u32_e32 vcc, 1, v0
	v_cndmask_b32_e32 v1, v2, v4, vcc
	v_cmp_eq_u32_e64 s[0:1], 2, v0
	v_cndmask_b32_e32 v32, v3, v5, vcc
	v_cndmask_b32_e64 v1, v1, v6, s[0:1]
	v_cmp_eq_u32_e64 s[2:3], 3, v0
	v_cndmask_b32_e64 v32, v32, v7, s[0:1]
	v_cndmask_b32_e64 v1, v1, v8, s[2:3]
	v_cmp_eq_u32_e64 s[4:5], 4, v0
	v_cndmask_b32_e64 v32, v32, v9, s[2:3]
	;; [unrolled: 3-line block ×12, first 2 shown]
	v_cndmask_b32_e64 v1, v1, v30, s[24:25]
	v_cndmask_b32_e64 v32, v32, v31, s[24:25]
	;; [unrolled: 1-line block ×4, first 2 shown]
	v_cndmask_b32_e32 v25, v5, v13, vcc
	v_cndmask_b32_e32 v24, v4, v12, vcc
	v_cmp_eq_u32_e32 vcc, 0, v0
	v_cndmask_b32_e64 v33, v32, v13, s[6:7]
	v_cndmask_b32_e64 v32, v1, v12, s[6:7]
	;; [unrolled: 1-line block ×16, first 2 shown]
	v_cndmask_b32_e32 v23, v3, v13, vcc
	v_cndmask_b32_e32 v22, v2, v12, vcc
	v_cndmask_b32_e64 v41, v21, v13, s[14:15]
	v_cndmask_b32_e64 v40, v20, v12, s[14:15]
	;; [unrolled: 1-line block ×8, first 2 shown]
	v_pk_mov_b32 v[2:3], v[22:23], v[22:23] op_sel:[0,1]
	v_pk_mov_b32 v[4:5], v[24:25], v[24:25] op_sel:[0,1]
	;; [unrolled: 1-line block ×16, first 2 shown]
.LBB14_129:
	s_or_b64 exec, exec, s[26:27]
	v_pk_mov_b32 v[0:1], s[40:41], s[40:41] op_sel:[0,1]
	flat_load_dword v0, v[0:1] offset:16
	s_waitcnt vmcnt(0) lgkmcnt(0)
	v_add_u32_e32 v0, -1, v0
	v_cmp_ne_u32_e32 vcc, 4, v0
	s_and_saveexec_b64 s[26:27], vcc
	s_cbranch_execz .LBB14_131
; %bb.130:
	v_cmp_eq_u32_e32 vcc, 1, v0
	v_cndmask_b32_e32 v1, v2, v4, vcc
	v_cmp_eq_u32_e64 s[0:1], 2, v0
	v_cndmask_b32_e32 v32, v3, v5, vcc
	v_cndmask_b32_e64 v1, v1, v6, s[0:1]
	v_cmp_eq_u32_e64 s[2:3], 3, v0
	v_cndmask_b32_e64 v32, v32, v7, s[0:1]
	v_cndmask_b32_e64 v1, v1, v8, s[2:3]
	v_cmp_eq_u32_e64 s[4:5], 4, v0
	v_cndmask_b32_e64 v32, v32, v9, s[2:3]
	v_cndmask_b32_e64 v1, v1, v10, s[4:5]
	v_cmp_eq_u32_e64 s[6:7], 5, v0
	v_cndmask_b32_e64 v32, v32, v11, s[4:5]
	v_cndmask_b32_e64 v1, v1, v12, s[6:7]
	v_cmp_eq_u32_e64 s[8:9], 6, v0
	v_cndmask_b32_e64 v32, v32, v13, s[6:7]
	v_cndmask_b32_e64 v1, v1, v14, s[8:9]
	v_cmp_eq_u32_e64 s[10:11], 7, v0
	v_cndmask_b32_e64 v32, v32, v15, s[8:9]
	v_cndmask_b32_e64 v1, v1, v16, s[10:11]
	v_cmp_eq_u32_e64 s[12:13], 8, v0
	v_cndmask_b32_e64 v32, v32, v17, s[10:11]
	v_cndmask_b32_e64 v1, v1, v18, s[12:13]
	v_cmp_eq_u32_e64 s[14:15], 9, v0
	v_cndmask_b32_e64 v32, v32, v19, s[12:13]
	v_cndmask_b32_e64 v1, v1, v20, s[14:15]
	v_cmp_eq_u32_e64 s[16:17], 10, v0
	v_cndmask_b32_e64 v32, v32, v21, s[14:15]
	v_cndmask_b32_e64 v1, v1, v22, s[16:17]
	v_cmp_eq_u32_e64 s[18:19], 11, v0
	v_cndmask_b32_e64 v32, v32, v23, s[16:17]
	v_cndmask_b32_e64 v1, v1, v24, s[18:19]
	v_cmp_eq_u32_e64 s[20:21], 12, v0
	v_cndmask_b32_e64 v32, v32, v25, s[18:19]
	v_cndmask_b32_e64 v1, v1, v26, s[20:21]
	v_cmp_eq_u32_e64 s[22:23], 13, v0
	v_cndmask_b32_e64 v32, v32, v27, s[20:21]
	v_cndmask_b32_e64 v1, v1, v28, s[22:23]
	v_cmp_eq_u32_e64 s[24:25], 14, v0
	v_cndmask_b32_e64 v32, v32, v29, s[22:23]
	v_cndmask_b32_e64 v1, v1, v30, s[24:25]
	v_cndmask_b32_e64 v32, v32, v31, s[24:25]
	;; [unrolled: 1-line block ×4, first 2 shown]
	v_cndmask_b32_e32 v27, v5, v11, vcc
	v_cndmask_b32_e32 v26, v4, v10, vcc
	v_cmp_eq_u32_e32 vcc, 0, v0
	v_cndmask_b32_e64 v33, v32, v11, s[4:5]
	v_cndmask_b32_e64 v32, v1, v10, s[4:5]
	;; [unrolled: 1-line block ×12, first 2 shown]
	v_cndmask_b32_e32 v25, v3, v11, vcc
	v_cndmask_b32_e32 v24, v2, v10, vcc
	v_cndmask_b32_e64 v45, v23, v11, s[16:17]
	v_cndmask_b32_e64 v44, v22, v10, s[16:17]
	;; [unrolled: 1-line block ×12, first 2 shown]
	v_pk_mov_b32 v[2:3], v[24:25], v[24:25] op_sel:[0,1]
	v_pk_mov_b32 v[4:5], v[26:27], v[26:27] op_sel:[0,1]
	;; [unrolled: 1-line block ×16, first 2 shown]
.LBB14_131:
	s_or_b64 exec, exec, s[26:27]
	v_pk_mov_b32 v[0:1], s[40:41], s[40:41] op_sel:[0,1]
	flat_load_dword v0, v[0:1] offset:12
	s_waitcnt vmcnt(0) lgkmcnt(0)
	v_add_u32_e32 v0, -1, v0
	v_cmp_ne_u32_e32 vcc, 3, v0
	s_and_saveexec_b64 s[26:27], vcc
	s_cbranch_execz .LBB14_133
; %bb.132:
	v_cmp_eq_u32_e32 vcc, 1, v0
	v_cndmask_b32_e32 v1, v2, v4, vcc
	v_cmp_eq_u32_e64 s[0:1], 2, v0
	v_cndmask_b32_e32 v32, v3, v5, vcc
	v_cndmask_b32_e64 v1, v1, v6, s[0:1]
	v_cmp_eq_u32_e64 s[2:3], 3, v0
	v_cndmask_b32_e64 v32, v32, v7, s[0:1]
	v_cndmask_b32_e64 v1, v1, v8, s[2:3]
	v_cmp_eq_u32_e64 s[4:5], 4, v0
	v_cndmask_b32_e64 v32, v32, v9, s[2:3]
	;; [unrolled: 3-line block ×12, first 2 shown]
	v_cndmask_b32_e64 v1, v1, v30, s[24:25]
	v_cndmask_b32_e64 v32, v32, v31, s[24:25]
	;; [unrolled: 1-line block ×4, first 2 shown]
	v_cndmask_b32_e32 v29, v5, v9, vcc
	v_cndmask_b32_e32 v28, v4, v8, vcc
	v_cmp_eq_u32_e32 vcc, 0, v0
	v_cndmask_b32_e64 v33, v32, v9, s[2:3]
	v_cndmask_b32_e64 v32, v1, v8, s[2:3]
	;; [unrolled: 1-line block ×8, first 2 shown]
	v_cndmask_b32_e32 v27, v3, v9, vcc
	v_cndmask_b32_e32 v26, v2, v8, vcc
	v_cndmask_b32_e64 v49, v25, v9, s[18:19]
	v_cndmask_b32_e64 v48, v24, v8, s[18:19]
	;; [unrolled: 1-line block ×16, first 2 shown]
	v_pk_mov_b32 v[2:3], v[26:27], v[26:27] op_sel:[0,1]
	v_pk_mov_b32 v[4:5], v[28:29], v[28:29] op_sel:[0,1]
	;; [unrolled: 1-line block ×16, first 2 shown]
.LBB14_133:
	s_or_b64 exec, exec, s[26:27]
	v_pk_mov_b32 v[0:1], s[40:41], s[40:41] op_sel:[0,1]
	flat_load_dword v0, v[0:1] offset:8
	s_waitcnt vmcnt(0) lgkmcnt(0)
	v_add_u32_e32 v0, -1, v0
	v_cmp_ne_u32_e32 vcc, 2, v0
	s_and_saveexec_b64 s[26:27], vcc
	s_cbranch_execz .LBB14_135
; %bb.134:
	v_cmp_eq_u32_e32 vcc, 1, v0
	v_cndmask_b32_e32 v1, v2, v4, vcc
	v_cmp_eq_u32_e64 s[0:1], 2, v0
	v_cndmask_b32_e32 v32, v3, v5, vcc
	v_cndmask_b32_e64 v1, v1, v6, s[0:1]
	v_cmp_eq_u32_e64 s[2:3], 3, v0
	v_cndmask_b32_e64 v32, v32, v7, s[0:1]
	v_cndmask_b32_e64 v1, v1, v8, s[2:3]
	v_cmp_eq_u32_e64 s[4:5], 4, v0
	v_cndmask_b32_e64 v32, v32, v9, s[2:3]
	;; [unrolled: 3-line block ×12, first 2 shown]
	v_cndmask_b32_e64 v1, v1, v30, s[24:25]
	v_cndmask_b32_e64 v32, v32, v31, s[24:25]
	;; [unrolled: 1-line block ×4, first 2 shown]
	v_cndmask_b32_e32 v31, v5, v7, vcc
	v_cndmask_b32_e32 v30, v4, v6, vcc
	v_cmp_eq_u32_e32 vcc, 0, v0
	v_cndmask_b32_e64 v33, v32, v7, s[0:1]
	v_cndmask_b32_e64 v32, v1, v6, s[0:1]
	v_cndmask_b32_e64 v55, v29, v7, s[22:23]
	v_cndmask_b32_e64 v54, v28, v6, s[22:23]
	v_cndmask_b32_e32 v29, v3, v7, vcc
	v_cndmask_b32_e32 v28, v2, v6, vcc
	v_cndmask_b32_e64 v53, v27, v7, s[20:21]
	v_cndmask_b32_e64 v52, v26, v6, s[20:21]
	;; [unrolled: 1-line block ×20, first 2 shown]
	v_pk_mov_b32 v[2:3], v[28:29], v[28:29] op_sel:[0,1]
	v_pk_mov_b32 v[4:5], v[30:31], v[30:31] op_sel:[0,1]
	;; [unrolled: 1-line block ×16, first 2 shown]
.LBB14_135:
	s_or_b64 exec, exec, s[26:27]
	v_pk_mov_b32 v[0:1], s[40:41], s[40:41] op_sel:[0,1]
	flat_load_dword v0, v[0:1] offset:4
	s_waitcnt vmcnt(0) lgkmcnt(0)
	v_add_u32_e32 v0, -1, v0
	v_cmp_ne_u32_e32 vcc, 1, v0
	s_and_saveexec_b64 s[26:27], vcc
	s_cbranch_execz .LBB14_137
; %bb.136:
	v_cmp_eq_u32_e32 vcc, 1, v0
	v_cndmask_b32_e32 v1, v2, v4, vcc
	v_cmp_eq_u32_e64 s[0:1], 2, v0
	v_cndmask_b32_e32 v32, v3, v5, vcc
	v_cndmask_b32_e64 v1, v1, v6, s[0:1]
	v_cmp_eq_u32_e64 s[2:3], 3, v0
	v_cndmask_b32_e64 v32, v32, v7, s[0:1]
	v_cndmask_b32_e64 v1, v1, v8, s[2:3]
	v_cmp_eq_u32_e64 s[4:5], 4, v0
	v_cndmask_b32_e64 v32, v32, v9, s[2:3]
	;; [unrolled: 3-line block ×12, first 2 shown]
	v_cndmask_b32_e64 v1, v1, v30, s[24:25]
	v_cndmask_b32_e64 v32, v32, v31, s[24:25]
	v_cndmask_b32_e32 v33, v32, v5, vcc
	v_cndmask_b32_e32 v32, v1, v4, vcc
	v_cmp_eq_u32_e32 vcc, 0, v0
	v_cndmask_b32_e64 v59, v31, v5, s[24:25]
	v_cndmask_b32_e64 v58, v30, v4, s[24:25]
	v_cndmask_b32_e32 v31, v3, v5, vcc
	v_cndmask_b32_e32 v30, v2, v4, vcc
	v_cndmask_b32_e64 v57, v29, v5, s[22:23]
	v_cndmask_b32_e64 v56, v28, v4, s[22:23]
	;; [unrolled: 1-line block ×24, first 2 shown]
	v_pk_mov_b32 v[2:3], v[30:31], v[30:31] op_sel:[0,1]
	v_pk_mov_b32 v[4:5], v[32:33], v[32:33] op_sel:[0,1]
	;; [unrolled: 1-line block ×16, first 2 shown]
.LBB14_137:
	s_or_b64 exec, exec, s[26:27]
	v_pk_mov_b32 v[0:1], s[40:41], s[40:41] op_sel:[0,1]
	flat_load_dword v0, v[0:1]
	s_waitcnt vmcnt(0) lgkmcnt(0)
	v_add_u32_e32 v0, -1, v0
	v_cmp_ne_u32_e32 vcc, 0, v0
	s_and_saveexec_b64 s[28:29], vcc
	s_cbranch_execz .LBB14_139
; %bb.138:
	v_cmp_eq_u32_e32 vcc, 1, v0
	v_cndmask_b32_e32 v1, v2, v4, vcc
	v_cmp_eq_u32_e64 s[0:1], 2, v0
	v_cndmask_b32_e32 v32, v3, v5, vcc
	v_cndmask_b32_e64 v1, v1, v6, s[0:1]
	v_cmp_eq_u32_e64 s[2:3], 3, v0
	v_cndmask_b32_e64 v32, v32, v7, s[0:1]
	v_cndmask_b32_e64 v1, v1, v8, s[2:3]
	v_cmp_eq_u32_e64 s[4:5], 4, v0
	v_cndmask_b32_e64 v32, v32, v9, s[2:3]
	;; [unrolled: 3-line block ×12, first 2 shown]
	v_cndmask_b32_e64 v1, v1, v30, s[24:25]
	v_cndmask_b32_e64 v32, v32, v31, s[24:25]
	v_cmp_eq_u32_e64 s[26:27], 0, v0
	v_cndmask_b32_e64 v33, v32, v3, s[26:27]
	v_cndmask_b32_e64 v32, v1, v2, s[26:27]
	;; [unrolled: 1-line block ×28, first 2 shown]
	v_cndmask_b32_e32 v35, v5, v3, vcc
	v_cndmask_b32_e32 v34, v4, v2, vcc
	v_pk_mov_b32 v[2:3], v[32:33], v[32:33] op_sel:[0,1]
	v_pk_mov_b32 v[4:5], v[34:35], v[34:35] op_sel:[0,1]
	;; [unrolled: 1-line block ×16, first 2 shown]
.LBB14_139:
	s_or_b64 exec, exec, s[28:29]
.LBB14_140:
	v_mov_b32_e32 v1, v3
	v_mov_b32_e32 v0, v2
	global_store_dwordx2 v[64:65], v[0:1], off
	v_mov_b32_e32 v1, v5
	v_mov_b32_e32 v0, v4
	global_store_dwordx2 v[66:67], v[0:1], off
	;; [unrolled: 3-line block ×15, first 2 shown]
	s_endpgm
	.section	.rodata,"a",@progbits
	.p2align	6, 0x0
	.amdhsa_kernel _ZN9rocsolver6v33100L18getri_kernel_smallILi15EdPdEEvT1_iilPiilS4_bb
		.amdhsa_group_segment_fixed_size 248
		.amdhsa_private_segment_fixed_size 0
		.amdhsa_kernarg_size 60
		.amdhsa_user_sgpr_count 6
		.amdhsa_user_sgpr_private_segment_buffer 1
		.amdhsa_user_sgpr_dispatch_ptr 0
		.amdhsa_user_sgpr_queue_ptr 0
		.amdhsa_user_sgpr_kernarg_segment_ptr 1
		.amdhsa_user_sgpr_dispatch_id 0
		.amdhsa_user_sgpr_flat_scratch_init 0
		.amdhsa_user_sgpr_kernarg_preload_length 0
		.amdhsa_user_sgpr_kernarg_preload_offset 0
		.amdhsa_user_sgpr_private_segment_size 0
		.amdhsa_uses_dynamic_stack 0
		.amdhsa_system_sgpr_private_segment_wavefront_offset 0
		.amdhsa_system_sgpr_workgroup_id_x 1
		.amdhsa_system_sgpr_workgroup_id_y 0
		.amdhsa_system_sgpr_workgroup_id_z 0
		.amdhsa_system_sgpr_workgroup_info 0
		.amdhsa_system_vgpr_workitem_id 0
		.amdhsa_next_free_vgpr 94
		.amdhsa_next_free_sgpr 52
		.amdhsa_accum_offset 96
		.amdhsa_reserve_vcc 1
		.amdhsa_reserve_flat_scratch 0
		.amdhsa_float_round_mode_32 0
		.amdhsa_float_round_mode_16_64 0
		.amdhsa_float_denorm_mode_32 3
		.amdhsa_float_denorm_mode_16_64 3
		.amdhsa_dx10_clamp 1
		.amdhsa_ieee_mode 1
		.amdhsa_fp16_overflow 0
		.amdhsa_tg_split 0
		.amdhsa_exception_fp_ieee_invalid_op 0
		.amdhsa_exception_fp_denorm_src 0
		.amdhsa_exception_fp_ieee_div_zero 0
		.amdhsa_exception_fp_ieee_overflow 0
		.amdhsa_exception_fp_ieee_underflow 0
		.amdhsa_exception_fp_ieee_inexact 0
		.amdhsa_exception_int_div_zero 0
	.end_amdhsa_kernel
	.section	.text._ZN9rocsolver6v33100L18getri_kernel_smallILi15EdPdEEvT1_iilPiilS4_bb,"axG",@progbits,_ZN9rocsolver6v33100L18getri_kernel_smallILi15EdPdEEvT1_iilPiilS4_bb,comdat
.Lfunc_end14:
	.size	_ZN9rocsolver6v33100L18getri_kernel_smallILi15EdPdEEvT1_iilPiilS4_bb, .Lfunc_end14-_ZN9rocsolver6v33100L18getri_kernel_smallILi15EdPdEEvT1_iilPiilS4_bb
                                        ; -- End function
	.section	.AMDGPU.csdata,"",@progbits
; Kernel info:
; codeLenInByte = 25300
; NumSgprs: 56
; NumVgprs: 94
; NumAgprs: 0
; TotalNumVgprs: 94
; ScratchSize: 0
; MemoryBound: 0
; FloatMode: 240
; IeeeMode: 1
; LDSByteSize: 248 bytes/workgroup (compile time only)
; SGPRBlocks: 6
; VGPRBlocks: 11
; NumSGPRsForWavesPerEU: 56
; NumVGPRsForWavesPerEU: 94
; AccumOffset: 96
; Occupancy: 5
; WaveLimiterHint : 0
; COMPUTE_PGM_RSRC2:SCRATCH_EN: 0
; COMPUTE_PGM_RSRC2:USER_SGPR: 6
; COMPUTE_PGM_RSRC2:TRAP_HANDLER: 0
; COMPUTE_PGM_RSRC2:TGID_X_EN: 1
; COMPUTE_PGM_RSRC2:TGID_Y_EN: 0
; COMPUTE_PGM_RSRC2:TGID_Z_EN: 0
; COMPUTE_PGM_RSRC2:TIDIG_COMP_CNT: 0
; COMPUTE_PGM_RSRC3_GFX90A:ACCUM_OFFSET: 23
; COMPUTE_PGM_RSRC3_GFX90A:TG_SPLIT: 0
	.section	.text._ZN9rocsolver6v33100L18getri_kernel_smallILi16EdPdEEvT1_iilPiilS4_bb,"axG",@progbits,_ZN9rocsolver6v33100L18getri_kernel_smallILi16EdPdEEvT1_iilPiilS4_bb,comdat
	.globl	_ZN9rocsolver6v33100L18getri_kernel_smallILi16EdPdEEvT1_iilPiilS4_bb ; -- Begin function _ZN9rocsolver6v33100L18getri_kernel_smallILi16EdPdEEvT1_iilPiilS4_bb
	.p2align	8
	.type	_ZN9rocsolver6v33100L18getri_kernel_smallILi16EdPdEEvT1_iilPiilS4_bb,@function
_ZN9rocsolver6v33100L18getri_kernel_smallILi16EdPdEEvT1_iilPiilS4_bb: ; @_ZN9rocsolver6v33100L18getri_kernel_smallILi16EdPdEEvT1_iilPiilS4_bb
; %bb.0:
	v_cmp_gt_u32_e32 vcc, 16, v0
	s_and_saveexec_b64 s[0:1], vcc
	s_cbranch_execz .LBB15_16
; %bb.1:
	s_load_dword s12, s[4:5], 0x38
	s_load_dwordx4 s[8:11], s[4:5], 0x10
	s_load_dwordx4 s[40:43], s[4:5], 0x28
                                        ; implicit-def: $sgpr44_sgpr45
	s_waitcnt lgkmcnt(0)
	s_bitcmp1_b32 s12, 8
	s_cselect_b64 s[46:47], -1, 0
	s_ashr_i32 s7, s6, 31
	s_bfe_u32 s0, s12, 0x10008
	s_cmp_eq_u32 s0, 0
	s_cbranch_scc1 .LBB15_3
; %bb.2:
	s_load_dword s0, s[4:5], 0x20
	s_mul_i32 s1, s6, s41
	s_mul_hi_u32 s2, s6, s40
	s_mul_i32 s3, s7, s40
	s_add_i32 s2, s2, s1
	s_add_i32 s3, s2, s3
	s_mul_i32 s2, s6, s40
	s_waitcnt lgkmcnt(0)
	s_ashr_i32 s1, s0, 31
	s_lshl_b64 s[2:3], s[2:3], 2
	s_add_u32 s2, s10, s2
	s_addc_u32 s3, s11, s3
	s_lshl_b64 s[0:1], s[0:1], 2
	s_add_u32 s44, s2, s0
	s_addc_u32 s45, s3, s1
.LBB15_3:
	s_load_dwordx4 s[0:3], s[4:5], 0x0
	s_mul_i32 s4, s6, s9
	s_mul_hi_u32 s5, s6, s8
	s_add_i32 s9, s5, s4
	v_lshlrev_b32_e32 v36, 3, v0
	s_waitcnt lgkmcnt(0)
	s_ashr_i32 s5, s2, 31
	s_mov_b32 s4, s2
	s_mul_i32 s2, s7, s8
	s_add_i32 s9, s9, s2
	s_mul_i32 s8, s6, s8
	s_lshl_b64 s[8:9], s[8:9], 3
	s_add_u32 s2, s0, s8
	s_addc_u32 s8, s1, s9
	s_lshl_b64 s[0:1], s[4:5], 3
	s_add_u32 s0, s2, s0
	s_addc_u32 s1, s8, s1
	v_mov_b32_e32 v1, s1
	v_add_co_u32_e32 v66, vcc, s0, v36
	s_ashr_i32 s5, s3, 31
	s_mov_b32 s4, s3
	s_add_i32 s2, s3, s3
	v_addc_co_u32_e32 v67, vcc, 0, v1, vcc
	s_lshl_b64 s[4:5], s[4:5], 3
	v_add_u32_e32 v2, s2, v0
	v_mov_b32_e32 v1, s5
	v_add_co_u32_e32 v68, vcc, s4, v66
	v_ashrrev_i32_e32 v3, 31, v2
	v_addc_co_u32_e32 v69, vcc, v67, v1, vcc
	v_lshlrev_b64 v[4:5], 3, v[2:3]
	v_add_u32_e32 v2, s3, v2
	v_mov_b32_e32 v1, s1
	v_add_co_u32_e32 v70, vcc, s0, v4
	v_ashrrev_i32_e32 v3, 31, v2
	v_addc_co_u32_e32 v71, vcc, v1, v5, vcc
	v_lshlrev_b64 v[4:5], 3, v[2:3]
	v_add_u32_e32 v2, s3, v2
	v_add_co_u32_e32 v72, vcc, s0, v4
	v_ashrrev_i32_e32 v3, 31, v2
	v_addc_co_u32_e32 v73, vcc, v1, v5, vcc
	v_lshlrev_b64 v[4:5], 3, v[2:3]
	v_add_u32_e32 v2, s3, v2
	v_add_co_u32_e32 v74, vcc, s0, v4
	v_ashrrev_i32_e32 v3, 31, v2
	v_addc_co_u32_e32 v75, vcc, v1, v5, vcc
	v_lshlrev_b64 v[4:5], 3, v[2:3]
	v_add_u32_e32 v2, s3, v2
	v_add_co_u32_e32 v76, vcc, s0, v4
	v_ashrrev_i32_e32 v3, 31, v2
	v_addc_co_u32_e32 v77, vcc, v1, v5, vcc
	v_lshlrev_b64 v[4:5], 3, v[2:3]
	v_add_u32_e32 v2, s3, v2
	v_add_co_u32_e32 v78, vcc, s0, v4
	v_ashrrev_i32_e32 v3, 31, v2
	v_addc_co_u32_e32 v79, vcc, v1, v5, vcc
	v_lshlrev_b64 v[4:5], 3, v[2:3]
	v_add_u32_e32 v2, s3, v2
	v_add_co_u32_e32 v80, vcc, s0, v4
	v_ashrrev_i32_e32 v3, 31, v2
	v_addc_co_u32_e32 v81, vcc, v1, v5, vcc
	v_lshlrev_b64 v[4:5], 3, v[2:3]
	v_add_u32_e32 v2, s3, v2
	v_add_co_u32_e32 v82, vcc, s0, v4
	v_ashrrev_i32_e32 v3, 31, v2
	v_addc_co_u32_e32 v83, vcc, v1, v5, vcc
	v_lshlrev_b64 v[4:5], 3, v[2:3]
	v_add_u32_e32 v2, s3, v2
	v_add_co_u32_e32 v84, vcc, s0, v4
	v_ashrrev_i32_e32 v3, 31, v2
	v_addc_co_u32_e32 v85, vcc, v1, v5, vcc
	v_lshlrev_b64 v[4:5], 3, v[2:3]
	v_add_u32_e32 v2, s3, v2
	v_add_co_u32_e32 v86, vcc, s0, v4
	v_ashrrev_i32_e32 v3, 31, v2
	v_addc_co_u32_e32 v87, vcc, v1, v5, vcc
	v_lshlrev_b64 v[4:5], 3, v[2:3]
	v_add_u32_e32 v2, s3, v2
	v_add_co_u32_e32 v88, vcc, s0, v4
	v_ashrrev_i32_e32 v3, 31, v2
	v_addc_co_u32_e32 v89, vcc, v1, v5, vcc
	v_lshlrev_b64 v[4:5], 3, v[2:3]
	v_add_u32_e32 v2, s3, v2
	v_add_co_u32_e32 v90, vcc, s0, v4
	v_ashrrev_i32_e32 v3, 31, v2
	v_addc_co_u32_e32 v91, vcc, v1, v5, vcc
	v_lshlrev_b64 v[4:5], 3, v[2:3]
	v_add_u32_e32 v2, s3, v2
	v_add_co_u32_e32 v92, vcc, s0, v4
	v_ashrrev_i32_e32 v3, 31, v2
	v_addc_co_u32_e32 v93, vcc, v1, v5, vcc
	v_lshlrev_b64 v[4:5], 3, v[2:3]
	v_add_u32_e32 v2, s3, v2
	v_add_co_u32_e32 v94, vcc, s0, v4
	v_ashrrev_i32_e32 v3, 31, v2
	v_addc_co_u32_e32 v95, vcc, v1, v5, vcc
	v_lshlrev_b64 v[2:3], 3, v[2:3]
	v_add_co_u32_e32 v96, vcc, s0, v2
	v_addc_co_u32_e32 v97, vcc, v1, v3, vcc
	global_load_dwordx2 v[4:5], v[68:69], off
	global_load_dwordx2 v[6:7], v[70:71], off
	;; [unrolled: 1-line block ×14, first 2 shown]
	global_load_dwordx2 v[2:3], v36, s[0:1]
                                        ; kill: killed $sgpr0 killed $sgpr1
	global_load_dwordx2 v[32:33], v[96:97], off
	v_mov_b32_e32 v1, 0
	s_bitcmp0_b32 s12, 0
	s_mov_b64 s[0:1], -1
	s_cbranch_scc1 .LBB15_14
; %bb.4:
	v_cmp_eq_u32_e64 s[0:1], 0, v0
	s_and_saveexec_b64 s[2:3], s[0:1]
	s_cbranch_execz .LBB15_6
; %bb.5:
	v_mov_b32_e32 v34, 0
	ds_write_b32 v34, v34 offset:256
.LBB15_6:
	s_or_b64 exec, exec, s[2:3]
	v_cmp_eq_u32_e32 vcc, 1, v0
	s_waitcnt vmcnt(1)
	v_cndmask_b32_e32 v34, v3, v5, vcc
	v_cmp_eq_u32_e64 s[2:3], 2, v0
	v_cndmask_b32_e64 v34, v34, v7, s[2:3]
	v_cmp_eq_u32_e64 s[4:5], 3, v0
	v_cndmask_b32_e64 v34, v34, v9, s[4:5]
	;; [unrolled: 2-line block ×13, first 2 shown]
	v_cmp_eq_u32_e64 s[30:31], 15, v0
	s_waitcnt vmcnt(0)
	v_cndmask_b32_e64 v35, v34, v33, s[30:31]
	v_cndmask_b32_e32 v34, v2, v4, vcc
	v_cndmask_b32_e64 v34, v34, v6, s[2:3]
	v_cndmask_b32_e64 v34, v34, v8, s[4:5]
	;; [unrolled: 1-line block ×14, first 2 shown]
	v_cmp_eq_f64_e32 vcc, 0, v[34:35]
	s_waitcnt lgkmcnt(0)
	; wave barrier
	s_waitcnt lgkmcnt(0)
	s_and_saveexec_b64 s[4:5], vcc
	s_cbranch_execz .LBB15_10
; %bb.7:
	v_mov_b32_e32 v37, 0
	ds_read_b32 v39, v37 offset:256
	v_add_u32_e32 v38, 1, v0
	s_waitcnt lgkmcnt(0)
	v_readfirstlane_b32 s2, v39
	s_cmp_eq_u32 s2, 0
	s_cselect_b64 s[8:9], -1, 0
	v_cmp_gt_i32_e32 vcc, s2, v38
	s_or_b64 s[8:9], s[8:9], vcc
	s_and_b64 exec, exec, s[8:9]
	s_cbranch_execz .LBB15_10
; %bb.8:
	s_mov_b64 s[8:9], 0
	v_mov_b32_e32 v39, s2
.LBB15_9:                               ; =>This Inner Loop Header: Depth=1
	ds_cmpst_rtn_b32 v39, v37, v39, v38 offset:256
	s_waitcnt lgkmcnt(0)
	v_cmp_ne_u32_e32 vcc, 0, v39
	v_cmp_le_i32_e64 s[2:3], v39, v38
	s_and_b64 s[2:3], vcc, s[2:3]
	s_and_b64 s[2:3], exec, s[2:3]
	s_or_b64 s[8:9], s[2:3], s[8:9]
	s_andn2_b64 exec, exec, s[8:9]
	s_cbranch_execnz .LBB15_9
.LBB15_10:
	s_or_b64 exec, exec, s[4:5]
	v_mov_b32_e32 v38, 0
	s_waitcnt lgkmcnt(0)
	; wave barrier
	ds_read_b32 v37, v38 offset:256
	s_and_saveexec_b64 s[2:3], s[0:1]
	s_cbranch_execz .LBB15_12
; %bb.11:
	s_lshl_b64 s[4:5], s[6:7], 2
	s_add_u32 s4, s42, s4
	s_addc_u32 s5, s43, s5
	s_waitcnt lgkmcnt(0)
	global_store_dword v38, v37, s[4:5]
.LBB15_12:
	s_or_b64 exec, exec, s[2:3]
	s_waitcnt lgkmcnt(0)
	v_cmp_ne_u32_e32 vcc, 0, v37
	s_cbranch_vccz .LBB15_17
; %bb.13:
	s_mov_b64 s[0:1], 0
                                        ; implicit-def: $vgpr2_vgpr3_vgpr4_vgpr5_vgpr6_vgpr7_vgpr8_vgpr9_vgpr10_vgpr11_vgpr12_vgpr13_vgpr14_vgpr15_vgpr16_vgpr17_vgpr18_vgpr19_vgpr20_vgpr21_vgpr22_vgpr23_vgpr24_vgpr25_vgpr26_vgpr27_vgpr28_vgpr29_vgpr30_vgpr31_vgpr32_vgpr33
.LBB15_14:
	s_and_b64 vcc, exec, s[0:1]
	s_cbranch_vccz .LBB15_16
.LBB15_15:
	s_lshl_b64 s[0:1], s[6:7], 2
	s_add_u32 s0, s42, s0
	s_addc_u32 s1, s43, s1
	v_mov_b32_e32 v1, 0
	global_load_dword v1, v1, s[0:1]
	s_waitcnt vmcnt(0)
	v_cmp_ne_u32_e32 vcc, 0, v1
	s_cbranch_vccz .LBB15_86
.LBB15_16:
	s_endpgm
.LBB15_17:
	v_div_scale_f64 v[38:39], s[2:3], v[34:35], v[34:35], 1.0
	v_rcp_f64_e32 v[40:41], v[38:39]
	v_div_scale_f64 v[42:43], vcc, 1.0, v[34:35], 1.0
	v_fma_f64 v[44:45], -v[38:39], v[40:41], 1.0
	v_fmac_f64_e32 v[40:41], v[40:41], v[44:45]
	v_fma_f64 v[44:45], -v[38:39], v[40:41], 1.0
	v_fmac_f64_e32 v[40:41], v[40:41], v[44:45]
	v_mul_f64 v[44:45], v[42:43], v[40:41]
	v_fma_f64 v[38:39], -v[38:39], v[44:45], v[42:43]
	v_div_fmas_f64 v[38:39], v[38:39], v[40:41], v[44:45]
	v_div_fixup_f64 v[34:35], v[38:39], v[34:35], 1.0
	v_cmp_eq_u32_e32 vcc, 15, v0
	v_cndmask_b32_e32 v33, v33, v35, vcc
	v_cndmask_b32_e32 v32, v32, v34, vcc
	v_cmp_eq_u32_e32 vcc, 14, v0
	v_cndmask_b32_e32 v31, v31, v35, vcc
	v_cndmask_b32_e32 v30, v30, v34, vcc
	;; [unrolled: 3-line block ×16, first 2 shown]
	v_xor_b32_e32 v41, 0x80000000, v35
	v_mov_b32_e32 v40, v34
	v_add_u32_e32 v38, 0x80, v36
	ds_write2_b64 v36, v[40:41], v[4:5] offset1:16
	s_waitcnt lgkmcnt(0)
	; wave barrier
	s_waitcnt lgkmcnt(0)
	s_and_saveexec_b64 s[2:3], s[0:1]
	s_cbranch_execz .LBB15_19
; %bb.18:
	v_mov_b32_e32 v36, 0
	ds_read_b64 v[4:5], v38
	ds_read_b64 v[36:37], v36 offset:8
	s_waitcnt lgkmcnt(1)
	v_fma_f64 v[4:5], v[34:35], v[4:5], 0
	s_waitcnt lgkmcnt(0)
	v_mul_f64 v[4:5], v[4:5], v[36:37]
.LBB15_19:
	s_or_b64 exec, exec, s[2:3]
	v_cmp_gt_u32_e32 vcc, 2, v0
	s_waitcnt lgkmcnt(0)
	; wave barrier
	ds_write_b64 v38, v[6:7]
	s_waitcnt lgkmcnt(0)
	; wave barrier
	s_waitcnt lgkmcnt(0)
	s_and_saveexec_b64 s[36:37], vcc
	s_cbranch_execz .LBB15_21
; %bb.20:
	v_cmp_eq_u32_e64 s[2:3], 1, v0
	v_cndmask_b32_e64 v34, v3, v5, s[2:3]
	v_cmp_eq_u32_e64 s[4:5], 2, v0
	v_cndmask_b32_e64 v7, v34, v7, s[4:5]
	v_cndmask_b32_e64 v34, v2, v4, s[2:3]
	v_cmp_eq_u32_e64 s[8:9], 3, v0
	v_cndmask_b32_e64 v6, v34, v6, s[4:5]
	v_cndmask_b32_e64 v7, v7, v9, s[8:9]
	v_cmp_eq_u32_e64 s[10:11], 4, v0
	v_cndmask_b32_e64 v6, v6, v8, s[8:9]
	v_cndmask_b32_e64 v7, v7, v11, s[10:11]
	v_cmp_eq_u32_e64 s[12:13], 5, v0
	v_cndmask_b32_e64 v6, v6, v10, s[10:11]
	v_cndmask_b32_e64 v7, v7, v13, s[12:13]
	v_cmp_eq_u32_e64 s[14:15], 6, v0
	v_cndmask_b32_e64 v6, v6, v12, s[12:13]
	v_cndmask_b32_e64 v7, v7, v15, s[14:15]
	v_cmp_eq_u32_e64 s[16:17], 7, v0
	v_cndmask_b32_e64 v6, v6, v14, s[14:15]
	v_cndmask_b32_e64 v7, v7, v17, s[16:17]
	v_cmp_eq_u32_e64 s[18:19], 8, v0
	v_cndmask_b32_e64 v6, v6, v16, s[16:17]
	v_cndmask_b32_e64 v7, v7, v19, s[18:19]
	v_cmp_eq_u32_e64 s[20:21], 9, v0
	v_cndmask_b32_e64 v6, v6, v18, s[18:19]
	v_cndmask_b32_e64 v7, v7, v21, s[20:21]
	v_cmp_eq_u32_e64 s[22:23], 10, v0
	v_cndmask_b32_e64 v6, v6, v20, s[20:21]
	v_cndmask_b32_e64 v7, v7, v23, s[22:23]
	v_cmp_eq_u32_e64 s[24:25], 11, v0
	v_cndmask_b32_e64 v6, v6, v22, s[22:23]
	v_cndmask_b32_e64 v7, v7, v25, s[24:25]
	v_cmp_eq_u32_e64 s[26:27], 12, v0
	v_cndmask_b32_e64 v6, v6, v24, s[24:25]
	ds_read_b64 v[40:41], v38
	v_mov_b32_e32 v34, 0
	v_cndmask_b32_e64 v7, v7, v27, s[26:27]
	v_cmp_eq_u32_e64 s[28:29], 13, v0
	v_cndmask_b32_e64 v6, v6, v26, s[26:27]
	ds_read2_b64 v[34:37], v34 offset0:2 offset1:17
	v_cndmask_b32_e64 v7, v7, v29, s[28:29]
	v_cmp_eq_u32_e64 s[30:31], 14, v0
	v_cndmask_b32_e64 v6, v6, v28, s[28:29]
	v_cndmask_b32_e64 v7, v7, v31, s[30:31]
	v_cmp_eq_u32_e64 s[34:35], 15, v0
	v_cndmask_b32_e64 v6, v6, v30, s[30:31]
	v_cndmask_b32_e64 v7, v7, v33, s[34:35]
	;; [unrolled: 1-line block ×3, first 2 shown]
	s_waitcnt lgkmcnt(1)
	v_fma_f64 v[6:7], v[6:7], v[40:41], 0
	s_waitcnt lgkmcnt(0)
	v_fma_f64 v[36:37], v[4:5], v[36:37], v[6:7]
	v_cndmask_b32_e64 v7, v7, v37, s[0:1]
	v_cndmask_b32_e64 v6, v6, v36, s[0:1]
	v_mul_f64 v[6:7], v[6:7], v[34:35]
.LBB15_21:
	s_or_b64 exec, exec, s[36:37]
	v_cmp_gt_u32_e64 s[2:3], 3, v0
	s_waitcnt lgkmcnt(0)
	; wave barrier
	ds_write_b64 v38, v[8:9]
	s_waitcnt lgkmcnt(0)
	; wave barrier
	s_waitcnt lgkmcnt(0)
	s_and_saveexec_b64 s[10:11], s[2:3]
	s_cbranch_execz .LBB15_25
; %bb.22:
	v_mov_b32_e32 v34, 0x80
	v_lshl_add_u32 v39, v0, 3, v34
	s_mov_b64 s[12:13], 0
	v_pk_mov_b32 v[34:35], 0, 0
	v_pk_mov_b32 v[36:37], v[0:1], v[0:1] op_sel:[0,1]
.LBB15_23:                              ; =>This Inner Loop Header: Depth=1
	v_cmp_eq_u32_e64 s[2:3], 1, v36
	v_cndmask_b32_e64 v42, v3, v5, s[2:3]
	v_cmp_eq_u32_e64 s[4:5], 2, v36
	v_cndmask_b32_e64 v42, v42, v7, s[4:5]
	v_cndmask_b32_e64 v43, v2, v4, s[2:3]
	v_cmp_eq_u32_e64 s[2:3], 3, v36
	v_cndmask_b32_e64 v42, v42, v9, s[2:3]
	;; [unrolled: 3-line block ×10, first 2 shown]
	v_cndmask_b32_e64 v43, v43, v22, s[4:5]
	v_cmp_eq_u32_e64 s[4:5], 12, v36
	ds_read_b64 v[40:41], v39
	v_cndmask_b32_e64 v42, v42, v27, s[4:5]
	v_cndmask_b32_e64 v43, v43, v24, s[2:3]
	v_cmp_eq_u32_e64 s[2:3], 13, v36
	v_cndmask_b32_e64 v42, v42, v29, s[2:3]
	v_cndmask_b32_e64 v43, v43, v26, s[4:5]
	v_cmp_eq_u32_e64 s[4:5], 14, v36
	v_cndmask_b32_e64 v42, v42, v31, s[4:5]
	v_cmp_eq_u32_e64 s[8:9], 15, v36
	v_cndmask_b32_e64 v44, v43, v28, s[2:3]
	v_add_co_u32_e64 v36, s[2:3], 1, v36
	v_addc_co_u32_e64 v37, s[2:3], 0, v37, s[2:3]
	v_cndmask_b32_e64 v43, v42, v33, s[8:9]
	v_cndmask_b32_e64 v42, v44, v30, s[4:5]
	v_add_u32_e32 v44, -1, v36
	v_cndmask_b32_e64 v42, v42, v32, s[8:9]
	v_cmp_lt_u32_e64 s[2:3], 1, v44
	v_add_u32_e32 v39, 8, v39
	s_or_b64 s[12:13], s[2:3], s[12:13]
	s_waitcnt lgkmcnt(0)
	v_fmac_f64_e32 v[34:35], v[42:43], v[40:41]
	s_andn2_b64 exec, exec, s[12:13]
	s_cbranch_execnz .LBB15_23
; %bb.24:
	s_or_b64 exec, exec, s[12:13]
	v_mov_b32_e32 v8, 0
	ds_read_b64 v[8:9], v8 offset:24
	s_waitcnt lgkmcnt(0)
	v_mul_f64 v[8:9], v[34:35], v[8:9]
.LBB15_25:
	s_or_b64 exec, exec, s[10:11]
	v_cmp_gt_u32_e64 s[2:3], 4, v0
	s_waitcnt lgkmcnt(0)
	; wave barrier
	ds_write_b64 v38, v[10:11]
	s_waitcnt lgkmcnt(0)
	; wave barrier
	s_waitcnt lgkmcnt(0)
	s_and_saveexec_b64 s[12:13], s[2:3]
	s_cbranch_execz .LBB15_29
; %bb.26:
	v_mov_b32_e32 v34, 0x80
	v_lshl_add_u32 v39, v0, 3, v34
	s_mov_b64 s[14:15], 0
	v_pk_mov_b32 v[34:35], 0, 0
	v_pk_mov_b32 v[36:37], v[0:1], v[0:1] op_sel:[0,1]
.LBB15_27:                              ; =>This Inner Loop Header: Depth=1
	v_cmp_eq_u32_e64 s[4:5], 1, v36
	v_cndmask_b32_e64 v42, v3, v5, s[4:5]
	v_cmp_eq_u32_e64 s[8:9], 2, v36
	v_cndmask_b32_e64 v42, v42, v7, s[8:9]
	v_cndmask_b32_e64 v43, v2, v4, s[4:5]
	v_cmp_eq_u32_e64 s[4:5], 3, v36
	v_cndmask_b32_e64 v42, v42, v9, s[4:5]
	;; [unrolled: 3-line block ×10, first 2 shown]
	v_cndmask_b32_e64 v43, v43, v22, s[8:9]
	v_cmp_eq_u32_e64 s[8:9], 12, v36
	ds_read_b64 v[40:41], v39
	v_cndmask_b32_e64 v42, v42, v27, s[8:9]
	v_cndmask_b32_e64 v43, v43, v24, s[4:5]
	v_cmp_eq_u32_e64 s[4:5], 13, v36
	v_cndmask_b32_e64 v42, v42, v29, s[4:5]
	v_cndmask_b32_e64 v43, v43, v26, s[8:9]
	v_cmp_eq_u32_e64 s[8:9], 14, v36
	v_cndmask_b32_e64 v42, v42, v31, s[8:9]
	v_cmp_eq_u32_e64 s[10:11], 15, v36
	v_cndmask_b32_e64 v44, v43, v28, s[4:5]
	v_add_co_u32_e64 v36, s[4:5], 1, v36
	v_addc_co_u32_e64 v37, s[4:5], 0, v37, s[4:5]
	v_cndmask_b32_e64 v43, v42, v33, s[10:11]
	v_cndmask_b32_e64 v42, v44, v30, s[8:9]
	v_add_u32_e32 v44, -1, v36
	v_cndmask_b32_e64 v42, v42, v32, s[10:11]
	v_cmp_lt_u32_e64 s[4:5], 2, v44
	v_add_u32_e32 v39, 8, v39
	s_or_b64 s[14:15], s[4:5], s[14:15]
	s_waitcnt lgkmcnt(0)
	v_fmac_f64_e32 v[34:35], v[42:43], v[40:41]
	s_andn2_b64 exec, exec, s[14:15]
	s_cbranch_execnz .LBB15_27
; %bb.28:
	s_or_b64 exec, exec, s[14:15]
	v_mov_b32_e32 v10, 0
	ds_read_b64 v[10:11], v10 offset:32
	s_waitcnt lgkmcnt(0)
	v_mul_f64 v[10:11], v[34:35], v[10:11]
.LBB15_29:
	s_or_b64 exec, exec, s[12:13]
	v_cmp_gt_u32_e64 s[4:5], 5, v0
	s_waitcnt lgkmcnt(0)
	; wave barrier
	ds_write_b64 v38, v[12:13]
	s_waitcnt lgkmcnt(0)
	; wave barrier
	s_waitcnt lgkmcnt(0)
	s_and_saveexec_b64 s[12:13], s[4:5]
	s_cbranch_execz .LBB15_33
; %bb.30:
	v_mov_b32_e32 v34, 0x80
	v_lshl_add_u32 v39, v0, 3, v34
	s_mov_b64 s[14:15], 0
	v_pk_mov_b32 v[34:35], 0, 0
	v_pk_mov_b32 v[36:37], v[0:1], v[0:1] op_sel:[0,1]
.LBB15_31:                              ; =>This Inner Loop Header: Depth=1
	v_cmp_eq_u32_e64 s[4:5], 1, v36
	v_cndmask_b32_e64 v42, v3, v5, s[4:5]
	v_cmp_eq_u32_e64 s[8:9], 2, v36
	v_cndmask_b32_e64 v42, v42, v7, s[8:9]
	v_cndmask_b32_e64 v43, v2, v4, s[4:5]
	v_cmp_eq_u32_e64 s[4:5], 3, v36
	v_cndmask_b32_e64 v42, v42, v9, s[4:5]
	;; [unrolled: 3-line block ×10, first 2 shown]
	v_cndmask_b32_e64 v43, v43, v22, s[8:9]
	v_cmp_eq_u32_e64 s[8:9], 12, v36
	ds_read_b64 v[40:41], v39
	v_cndmask_b32_e64 v42, v42, v27, s[8:9]
	v_cndmask_b32_e64 v43, v43, v24, s[4:5]
	v_cmp_eq_u32_e64 s[4:5], 13, v36
	v_cndmask_b32_e64 v42, v42, v29, s[4:5]
	v_cndmask_b32_e64 v43, v43, v26, s[8:9]
	v_cmp_eq_u32_e64 s[8:9], 14, v36
	v_cndmask_b32_e64 v42, v42, v31, s[8:9]
	v_cmp_eq_u32_e64 s[10:11], 15, v36
	v_cndmask_b32_e64 v44, v43, v28, s[4:5]
	v_add_co_u32_e64 v36, s[4:5], 1, v36
	v_addc_co_u32_e64 v37, s[4:5], 0, v37, s[4:5]
	v_cndmask_b32_e64 v43, v42, v33, s[10:11]
	v_cndmask_b32_e64 v42, v44, v30, s[8:9]
	v_add_u32_e32 v44, -1, v36
	v_cndmask_b32_e64 v42, v42, v32, s[10:11]
	v_cmp_lt_u32_e64 s[4:5], 3, v44
	v_add_u32_e32 v39, 8, v39
	s_or_b64 s[14:15], s[4:5], s[14:15]
	s_waitcnt lgkmcnt(0)
	v_fmac_f64_e32 v[34:35], v[42:43], v[40:41]
	s_andn2_b64 exec, exec, s[14:15]
	s_cbranch_execnz .LBB15_31
; %bb.32:
	s_or_b64 exec, exec, s[14:15]
	v_mov_b32_e32 v12, 0
	ds_read_b64 v[12:13], v12 offset:40
	s_waitcnt lgkmcnt(0)
	v_mul_f64 v[12:13], v[34:35], v[12:13]
.LBB15_33:
	s_or_b64 exec, exec, s[12:13]
	v_cmp_gt_u32_e64 s[4:5], 6, v0
	s_waitcnt lgkmcnt(0)
	; wave barrier
	ds_write_b64 v38, v[14:15]
	s_waitcnt lgkmcnt(0)
	; wave barrier
	s_waitcnt lgkmcnt(0)
	s_and_saveexec_b64 s[14:15], s[4:5]
	s_cbranch_execz .LBB15_37
; %bb.34:
	v_mov_b32_e32 v34, 0x80
	v_lshl_add_u32 v39, v0, 3, v34
	s_mov_b64 s[16:17], 0
	v_pk_mov_b32 v[34:35], 0, 0
	v_pk_mov_b32 v[36:37], v[0:1], v[0:1] op_sel:[0,1]
.LBB15_35:                              ; =>This Inner Loop Header: Depth=1
	v_cmp_eq_u32_e64 s[8:9], 1, v36
	v_cndmask_b32_e64 v42, v3, v5, s[8:9]
	v_cmp_eq_u32_e64 s[10:11], 2, v36
	v_cndmask_b32_e64 v42, v42, v7, s[10:11]
	v_cndmask_b32_e64 v43, v2, v4, s[8:9]
	v_cmp_eq_u32_e64 s[8:9], 3, v36
	v_cndmask_b32_e64 v42, v42, v9, s[8:9]
	v_cndmask_b32_e64 v43, v43, v6, s[10:11]
	v_cmp_eq_u32_e64 s[10:11], 4, v36
	v_cndmask_b32_e64 v42, v42, v11, s[10:11]
	v_cndmask_b32_e64 v43, v43, v8, s[8:9]
	v_cmp_eq_u32_e64 s[8:9], 5, v36
	v_cndmask_b32_e64 v42, v42, v13, s[8:9]
	v_cndmask_b32_e64 v43, v43, v10, s[10:11]
	v_cmp_eq_u32_e64 s[10:11], 6, v36
	v_cndmask_b32_e64 v42, v42, v15, s[10:11]
	v_cndmask_b32_e64 v43, v43, v12, s[8:9]
	v_cmp_eq_u32_e64 s[8:9], 7, v36
	v_cndmask_b32_e64 v42, v42, v17, s[8:9]
	v_cndmask_b32_e64 v43, v43, v14, s[10:11]
	v_cmp_eq_u32_e64 s[10:11], 8, v36
	v_cndmask_b32_e64 v42, v42, v19, s[10:11]
	v_cndmask_b32_e64 v43, v43, v16, s[8:9]
	v_cmp_eq_u32_e64 s[8:9], 9, v36
	v_cndmask_b32_e64 v42, v42, v21, s[8:9]
	v_cndmask_b32_e64 v43, v43, v18, s[10:11]
	v_cmp_eq_u32_e64 s[10:11], 10, v36
	v_cndmask_b32_e64 v42, v42, v23, s[10:11]
	v_cndmask_b32_e64 v43, v43, v20, s[8:9]
	v_cmp_eq_u32_e64 s[8:9], 11, v36
	v_cndmask_b32_e64 v42, v42, v25, s[8:9]
	v_cndmask_b32_e64 v43, v43, v22, s[10:11]
	v_cmp_eq_u32_e64 s[10:11], 12, v36
	ds_read_b64 v[40:41], v39
	v_cndmask_b32_e64 v42, v42, v27, s[10:11]
	v_cndmask_b32_e64 v43, v43, v24, s[8:9]
	v_cmp_eq_u32_e64 s[8:9], 13, v36
	v_cndmask_b32_e64 v42, v42, v29, s[8:9]
	v_cndmask_b32_e64 v43, v43, v26, s[10:11]
	v_cmp_eq_u32_e64 s[10:11], 14, v36
	v_cndmask_b32_e64 v42, v42, v31, s[10:11]
	v_cmp_eq_u32_e64 s[12:13], 15, v36
	v_cndmask_b32_e64 v44, v43, v28, s[8:9]
	v_add_co_u32_e64 v36, s[8:9], 1, v36
	v_addc_co_u32_e64 v37, s[8:9], 0, v37, s[8:9]
	v_cndmask_b32_e64 v43, v42, v33, s[12:13]
	v_cndmask_b32_e64 v42, v44, v30, s[10:11]
	v_add_u32_e32 v44, -1, v36
	v_cndmask_b32_e64 v42, v42, v32, s[12:13]
	v_cmp_lt_u32_e64 s[8:9], 4, v44
	v_add_u32_e32 v39, 8, v39
	s_or_b64 s[16:17], s[8:9], s[16:17]
	s_waitcnt lgkmcnt(0)
	v_fmac_f64_e32 v[34:35], v[42:43], v[40:41]
	s_andn2_b64 exec, exec, s[16:17]
	s_cbranch_execnz .LBB15_35
; %bb.36:
	s_or_b64 exec, exec, s[16:17]
	v_mov_b32_e32 v14, 0
	ds_read_b64 v[14:15], v14 offset:48
	s_waitcnt lgkmcnt(0)
	v_mul_f64 v[14:15], v[34:35], v[14:15]
.LBB15_37:
	s_or_b64 exec, exec, s[14:15]
	v_cmp_gt_u32_e64 s[8:9], 7, v0
	s_waitcnt lgkmcnt(0)
	; wave barrier
	ds_write_b64 v38, v[16:17]
	s_waitcnt lgkmcnt(0)
	; wave barrier
	s_waitcnt lgkmcnt(0)
	s_and_saveexec_b64 s[14:15], s[8:9]
	s_cbranch_execz .LBB15_41
; %bb.38:
	v_mov_b32_e32 v34, 0x80
	v_lshl_add_u32 v39, v0, 3, v34
	s_mov_b64 s[16:17], 0
	v_pk_mov_b32 v[34:35], 0, 0
	v_pk_mov_b32 v[36:37], v[0:1], v[0:1] op_sel:[0,1]
.LBB15_39:                              ; =>This Inner Loop Header: Depth=1
	v_cmp_eq_u32_e64 s[8:9], 1, v36
	v_cndmask_b32_e64 v42, v3, v5, s[8:9]
	v_cmp_eq_u32_e64 s[10:11], 2, v36
	v_cndmask_b32_e64 v42, v42, v7, s[10:11]
	v_cndmask_b32_e64 v43, v2, v4, s[8:9]
	v_cmp_eq_u32_e64 s[8:9], 3, v36
	v_cndmask_b32_e64 v42, v42, v9, s[8:9]
	;; [unrolled: 3-line block ×10, first 2 shown]
	v_cndmask_b32_e64 v43, v43, v22, s[10:11]
	v_cmp_eq_u32_e64 s[10:11], 12, v36
	ds_read_b64 v[40:41], v39
	v_cndmask_b32_e64 v42, v42, v27, s[10:11]
	v_cndmask_b32_e64 v43, v43, v24, s[8:9]
	v_cmp_eq_u32_e64 s[8:9], 13, v36
	v_cndmask_b32_e64 v42, v42, v29, s[8:9]
	v_cndmask_b32_e64 v43, v43, v26, s[10:11]
	v_cmp_eq_u32_e64 s[10:11], 14, v36
	v_cndmask_b32_e64 v42, v42, v31, s[10:11]
	v_cmp_eq_u32_e64 s[12:13], 15, v36
	v_cndmask_b32_e64 v44, v43, v28, s[8:9]
	v_add_co_u32_e64 v36, s[8:9], 1, v36
	v_addc_co_u32_e64 v37, s[8:9], 0, v37, s[8:9]
	v_cndmask_b32_e64 v43, v42, v33, s[12:13]
	v_cndmask_b32_e64 v42, v44, v30, s[10:11]
	v_add_u32_e32 v44, -1, v36
	v_cndmask_b32_e64 v42, v42, v32, s[12:13]
	v_cmp_lt_u32_e64 s[8:9], 5, v44
	v_add_u32_e32 v39, 8, v39
	s_or_b64 s[16:17], s[8:9], s[16:17]
	s_waitcnt lgkmcnt(0)
	v_fmac_f64_e32 v[34:35], v[42:43], v[40:41]
	s_andn2_b64 exec, exec, s[16:17]
	s_cbranch_execnz .LBB15_39
; %bb.40:
	s_or_b64 exec, exec, s[16:17]
	v_mov_b32_e32 v16, 0
	ds_read_b64 v[16:17], v16 offset:56
	s_waitcnt lgkmcnt(0)
	v_mul_f64 v[16:17], v[34:35], v[16:17]
.LBB15_41:
	s_or_b64 exec, exec, s[14:15]
	v_cmp_gt_u32_e64 s[8:9], 8, v0
	s_waitcnt lgkmcnt(0)
	; wave barrier
	ds_write_b64 v38, v[18:19]
	s_waitcnt lgkmcnt(0)
	; wave barrier
	s_waitcnt lgkmcnt(0)
	s_and_saveexec_b64 s[40:41], s[8:9]
	s_cbranch_execz .LBB15_57
; %bb.42:
	v_cmp_eq_u32_e64 s[8:9], 1, v0
	v_cndmask_b32_e64 v34, v3, v5, s[8:9]
	v_cmp_eq_u32_e64 s[10:11], 2, v0
	v_cndmask_b32_e64 v34, v34, v7, s[10:11]
	;; [unrolled: 2-line block ×15, first 2 shown]
	v_cndmask_b32_e64 v34, v2, v4, s[8:9]
	v_cndmask_b32_e64 v34, v34, v6, s[10:11]
	;; [unrolled: 1-line block ×11, first 2 shown]
	ds_read_b64 v[36:37], v38
	v_cndmask_b32_e64 v34, v34, v26, s[30:31]
	v_cndmask_b32_e64 v34, v34, v28, s[34:35]
	;; [unrolled: 1-line block ×4, first 2 shown]
	s_waitcnt lgkmcnt(0)
	v_fma_f64 v[34:35], v[34:35], v[36:37], 0
	v_cmp_ne_u32_e64 s[8:9], 7, v0
	s_and_saveexec_b64 s[48:49], s[8:9]
	s_cbranch_execz .LBB15_56
; %bb.43:
	v_add_u32_e32 v36, 1, v0
	v_cmp_eq_u32_e64 s[8:9], 1, v36
	v_cndmask_b32_e64 v37, v3, v5, s[8:9]
	v_cmp_eq_u32_e64 s[10:11], 2, v36
	v_cmp_eq_u32_e64 s[12:13], 3, v36
	;; [unrolled: 1-line block ×14, first 2 shown]
	v_cndmask_b32_e64 v36, v2, v4, s[8:9]
	v_cndmask_b32_e64 v37, v37, v7, s[10:11]
	;; [unrolled: 1-line block ×21, first 2 shown]
	ds_read_b64 v[40:41], v38 offset:8
	v_cndmask_b32_e64 v37, v37, v27, s[30:31]
	v_cndmask_b32_e64 v36, v36, v26, s[30:31]
	;; [unrolled: 1-line block ×8, first 2 shown]
	s_waitcnt lgkmcnt(0)
	v_fmac_f64_e32 v[34:35], v[36:37], v[40:41]
	s_and_saveexec_b64 s[38:39], s[4:5]
	s_cbranch_execz .LBB15_55
; %bb.44:
	v_add_u32_e32 v36, 2, v0
	v_cmp_eq_u32_e64 s[4:5], 1, v36
	v_cndmask_b32_e64 v37, v3, v5, s[4:5]
	v_cmp_eq_u32_e64 s[8:9], 2, v36
	v_cmp_eq_u32_e64 s[10:11], 3, v36
	;; [unrolled: 1-line block ×14, first 2 shown]
	v_cndmask_b32_e64 v36, v2, v4, s[4:5]
	v_cndmask_b32_e64 v37, v37, v7, s[8:9]
	;; [unrolled: 1-line block ×21, first 2 shown]
	ds_read_b64 v[40:41], v38 offset:16
	v_cndmask_b32_e64 v37, v37, v27, s[28:29]
	v_cndmask_b32_e64 v36, v36, v26, s[28:29]
	;; [unrolled: 1-line block ×8, first 2 shown]
	s_waitcnt lgkmcnt(0)
	v_fmac_f64_e32 v[34:35], v[36:37], v[40:41]
	v_cmp_ne_u32_e64 s[4:5], 5, v0
	s_and_saveexec_b64 s[50:51], s[4:5]
	s_cbranch_execz .LBB15_54
; %bb.45:
	v_add_u32_e32 v36, 3, v0
	v_cmp_eq_u32_e64 s[4:5], 1, v36
	v_cndmask_b32_e64 v37, v3, v5, s[4:5]
	v_cmp_eq_u32_e64 s[8:9], 2, v36
	v_cmp_eq_u32_e64 s[10:11], 3, v36
	;; [unrolled: 1-line block ×14, first 2 shown]
	v_cndmask_b32_e64 v36, v2, v4, s[4:5]
	v_cndmask_b32_e64 v37, v37, v7, s[8:9]
	v_cndmask_b32_e64 v36, v36, v6, s[8:9]
	v_cndmask_b32_e64 v37, v37, v9, s[10:11]
	v_cndmask_b32_e64 v36, v36, v8, s[10:11]
	v_cndmask_b32_e64 v37, v37, v11, s[12:13]
	v_cndmask_b32_e64 v36, v36, v10, s[12:13]
	v_cndmask_b32_e64 v37, v37, v13, s[14:15]
	v_cndmask_b32_e64 v36, v36, v12, s[14:15]
	v_cndmask_b32_e64 v37, v37, v15, s[16:17]
	v_cndmask_b32_e64 v36, v36, v14, s[16:17]
	v_cndmask_b32_e64 v37, v37, v17, s[18:19]
	v_cndmask_b32_e64 v36, v36, v16, s[18:19]
	v_cndmask_b32_e64 v37, v37, v19, s[20:21]
	v_cndmask_b32_e64 v36, v36, v18, s[20:21]
	v_cndmask_b32_e64 v37, v37, v21, s[22:23]
	v_cndmask_b32_e64 v36, v36, v20, s[22:23]
	v_cndmask_b32_e64 v37, v37, v23, s[24:25]
	v_cndmask_b32_e64 v36, v36, v22, s[24:25]
	v_cndmask_b32_e64 v37, v37, v25, s[26:27]
	v_cndmask_b32_e64 v36, v36, v24, s[26:27]
	ds_read_b64 v[40:41], v38 offset:24
	v_cndmask_b32_e64 v37, v37, v27, s[28:29]
	v_cndmask_b32_e64 v36, v36, v26, s[28:29]
	;; [unrolled: 1-line block ×8, first 2 shown]
	s_waitcnt lgkmcnt(0)
	v_fmac_f64_e32 v[34:35], v[36:37], v[40:41]
	s_and_saveexec_b64 s[36:37], s[2:3]
	s_cbranch_execz .LBB15_53
; %bb.46:
	v_or_b32_e32 v36, 4, v0
	v_cmp_eq_u32_e64 s[2:3], 1, v36
	v_cndmask_b32_e64 v37, v3, v5, s[2:3]
	v_cmp_eq_u32_e64 s[4:5], 2, v36
	v_cmp_eq_u32_e64 s[8:9], 3, v36
	;; [unrolled: 1-line block ×14, first 2 shown]
	v_cndmask_b32_e64 v36, v2, v4, s[2:3]
	v_cndmask_b32_e64 v37, v37, v7, s[4:5]
	;; [unrolled: 1-line block ×21, first 2 shown]
	ds_read_b64 v[40:41], v38 offset:32
	v_cndmask_b32_e64 v37, v37, v27, s[26:27]
	v_cndmask_b32_e64 v36, v36, v26, s[26:27]
	;; [unrolled: 1-line block ×8, first 2 shown]
	s_waitcnt lgkmcnt(0)
	v_fmac_f64_e32 v[34:35], v[36:37], v[40:41]
	v_cmp_ne_u32_e64 s[2:3], 3, v0
	s_and_saveexec_b64 s[52:53], s[2:3]
	s_cbranch_execz .LBB15_52
; %bb.47:
	v_add_u32_e32 v36, 5, v0
	v_cmp_eq_u32_e64 s[2:3], 1, v36
	v_cndmask_b32_e64 v37, v3, v5, s[2:3]
	v_cmp_eq_u32_e64 s[4:5], 2, v36
	v_cmp_eq_u32_e64 s[8:9], 3, v36
	;; [unrolled: 1-line block ×14, first 2 shown]
	v_cndmask_b32_e64 v36, v2, v4, s[2:3]
	v_cndmask_b32_e64 v37, v37, v7, s[4:5]
	;; [unrolled: 1-line block ×21, first 2 shown]
	ds_read_b64 v[40:41], v38 offset:40
	v_cndmask_b32_e64 v37, v37, v27, s[26:27]
	v_cndmask_b32_e64 v36, v36, v26, s[26:27]
	;; [unrolled: 1-line block ×8, first 2 shown]
	s_waitcnt lgkmcnt(0)
	v_fmac_f64_e32 v[34:35], v[36:37], v[40:41]
	s_and_saveexec_b64 s[34:35], vcc
	s_cbranch_execz .LBB15_51
; %bb.48:
	v_or_b32_e32 v36, 6, v0
	v_cmp_eq_u32_e32 vcc, 1, v36
	v_cndmask_b32_e32 v37, v3, v5, vcc
	v_cmp_eq_u32_e64 s[2:3], 2, v36
	v_cmp_eq_u32_e64 s[4:5], 3, v36
	;; [unrolled: 1-line block ×14, first 2 shown]
	v_cndmask_b32_e32 v36, v2, v4, vcc
	v_cndmask_b32_e64 v37, v37, v7, s[2:3]
	v_cndmask_b32_e64 v36, v36, v6, s[2:3]
	;; [unrolled: 1-line block ×20, first 2 shown]
	ds_read_b64 v[36:37], v38 offset:48
	v_cndmask_b32_e64 v19, v19, v27, s[24:25]
	v_cndmask_b32_e64 v18, v18, v26, s[24:25]
	;; [unrolled: 1-line block ×8, first 2 shown]
	s_waitcnt lgkmcnt(0)
	v_fmac_f64_e32 v[34:35], v[18:19], v[36:37]
	s_and_saveexec_b64 s[2:3], s[0:1]
	s_cbranch_execz .LBB15_50
; %bb.49:
	ds_read_b64 v[18:19], v38 offset:56
	s_waitcnt lgkmcnt(0)
	v_fmac_f64_e32 v[34:35], v[16:17], v[18:19]
.LBB15_50:
	s_or_b64 exec, exec, s[2:3]
.LBB15_51:
	s_or_b64 exec, exec, s[34:35]
.LBB15_52:
	s_or_b64 exec, exec, s[52:53]
.LBB15_53:
	s_or_b64 exec, exec, s[36:37]
.LBB15_54:
	s_or_b64 exec, exec, s[50:51]
.LBB15_55:
	s_or_b64 exec, exec, s[38:39]
.LBB15_56:
	s_or_b64 exec, exec, s[48:49]
	v_mov_b32_e32 v18, 0
	ds_read_b64 v[18:19], v18 offset:64
	s_waitcnt lgkmcnt(0)
	v_mul_f64 v[18:19], v[34:35], v[18:19]
.LBB15_57:
	s_or_b64 exec, exec, s[40:41]
	v_cmp_gt_u32_e32 vcc, 9, v0
	s_waitcnt lgkmcnt(0)
	; wave barrier
	ds_write_b64 v38, v[20:21]
	s_waitcnt lgkmcnt(0)
	; wave barrier
	s_waitcnt lgkmcnt(0)
	s_and_saveexec_b64 s[4:5], vcc
	s_cbranch_execz .LBB15_61
; %bb.58:
	v_mov_b32_e32 v34, 0x80
	v_lshl_add_u32 v39, v0, 3, v34
	s_mov_b64 s[8:9], 0
	v_pk_mov_b32 v[34:35], 0, 0
	v_pk_mov_b32 v[36:37], v[0:1], v[0:1] op_sel:[0,1]
.LBB15_59:                              ; =>This Inner Loop Header: Depth=1
	v_cmp_eq_u32_e32 vcc, 1, v36
	v_cndmask_b32_e32 v42, v3, v5, vcc
	v_cmp_eq_u32_e64 s[0:1], 2, v36
	v_cndmask_b32_e64 v42, v42, v7, s[0:1]
	v_cndmask_b32_e32 v43, v2, v4, vcc
	v_cmp_eq_u32_e32 vcc, 3, v36
	v_cndmask_b32_e32 v42, v42, v9, vcc
	v_cndmask_b32_e64 v43, v43, v6, s[0:1]
	v_cmp_eq_u32_e64 s[0:1], 4, v36
	v_cndmask_b32_e64 v42, v42, v11, s[0:1]
	v_cndmask_b32_e32 v43, v43, v8, vcc
	v_cmp_eq_u32_e32 vcc, 5, v36
	v_cndmask_b32_e32 v42, v42, v13, vcc
	v_cndmask_b32_e64 v43, v43, v10, s[0:1]
	;; [unrolled: 6-line block ×5, first 2 shown]
	v_cmp_eq_u32_e64 s[0:1], 12, v36
	ds_read_b64 v[40:41], v39
	v_cndmask_b32_e64 v42, v42, v27, s[0:1]
	v_cndmask_b32_e32 v43, v43, v24, vcc
	v_cmp_eq_u32_e32 vcc, 13, v36
	v_cndmask_b32_e32 v42, v42, v29, vcc
	v_cndmask_b32_e64 v43, v43, v26, s[0:1]
	v_cmp_eq_u32_e64 s[0:1], 14, v36
	v_cndmask_b32_e64 v42, v42, v31, s[0:1]
	v_cmp_eq_u32_e64 s[2:3], 15, v36
	v_cndmask_b32_e32 v44, v43, v28, vcc
	v_add_co_u32_e32 v36, vcc, 1, v36
	v_addc_co_u32_e32 v37, vcc, 0, v37, vcc
	v_cndmask_b32_e64 v43, v42, v33, s[2:3]
	v_cndmask_b32_e64 v42, v44, v30, s[0:1]
	v_add_u32_e32 v44, -1, v36
	v_cndmask_b32_e64 v42, v42, v32, s[2:3]
	v_cmp_lt_u32_e32 vcc, 7, v44
	v_add_u32_e32 v39, 8, v39
	s_or_b64 s[8:9], vcc, s[8:9]
	s_waitcnt lgkmcnt(0)
	v_fmac_f64_e32 v[34:35], v[42:43], v[40:41]
	s_andn2_b64 exec, exec, s[8:9]
	s_cbranch_execnz .LBB15_59
; %bb.60:
	s_or_b64 exec, exec, s[8:9]
	v_mov_b32_e32 v20, 0
	ds_read_b64 v[20:21], v20 offset:72
	s_waitcnt lgkmcnt(0)
	v_mul_f64 v[20:21], v[34:35], v[20:21]
.LBB15_61:
	s_or_b64 exec, exec, s[4:5]
	v_cmp_gt_u32_e32 vcc, 10, v0
	s_waitcnt lgkmcnt(0)
	; wave barrier
	ds_write_b64 v38, v[22:23]
	s_waitcnt lgkmcnt(0)
	; wave barrier
	s_waitcnt lgkmcnt(0)
	s_and_saveexec_b64 s[4:5], vcc
	s_cbranch_execz .LBB15_65
; %bb.62:
	v_mov_b32_e32 v34, 0x80
	v_lshl_add_u32 v39, v0, 3, v34
	s_mov_b64 s[8:9], 0
	v_pk_mov_b32 v[34:35], 0, 0
	v_pk_mov_b32 v[36:37], v[0:1], v[0:1] op_sel:[0,1]
.LBB15_63:                              ; =>This Inner Loop Header: Depth=1
	v_cmp_eq_u32_e32 vcc, 1, v36
	v_cndmask_b32_e32 v42, v3, v5, vcc
	v_cmp_eq_u32_e64 s[0:1], 2, v36
	v_cndmask_b32_e64 v42, v42, v7, s[0:1]
	v_cndmask_b32_e32 v43, v2, v4, vcc
	v_cmp_eq_u32_e32 vcc, 3, v36
	v_cndmask_b32_e32 v42, v42, v9, vcc
	v_cndmask_b32_e64 v43, v43, v6, s[0:1]
	v_cmp_eq_u32_e64 s[0:1], 4, v36
	v_cndmask_b32_e64 v42, v42, v11, s[0:1]
	v_cndmask_b32_e32 v43, v43, v8, vcc
	v_cmp_eq_u32_e32 vcc, 5, v36
	v_cndmask_b32_e32 v42, v42, v13, vcc
	v_cndmask_b32_e64 v43, v43, v10, s[0:1]
	;; [unrolled: 6-line block ×5, first 2 shown]
	v_cmp_eq_u32_e64 s[0:1], 12, v36
	ds_read_b64 v[40:41], v39
	v_cndmask_b32_e64 v42, v42, v27, s[0:1]
	v_cndmask_b32_e32 v43, v43, v24, vcc
	v_cmp_eq_u32_e32 vcc, 13, v36
	v_cndmask_b32_e32 v42, v42, v29, vcc
	v_cndmask_b32_e64 v43, v43, v26, s[0:1]
	v_cmp_eq_u32_e64 s[0:1], 14, v36
	v_cndmask_b32_e64 v42, v42, v31, s[0:1]
	v_cmp_eq_u32_e64 s[2:3], 15, v36
	v_cndmask_b32_e32 v44, v43, v28, vcc
	v_add_co_u32_e32 v36, vcc, 1, v36
	v_addc_co_u32_e32 v37, vcc, 0, v37, vcc
	v_cndmask_b32_e64 v43, v42, v33, s[2:3]
	v_cndmask_b32_e64 v42, v44, v30, s[0:1]
	v_add_u32_e32 v44, -1, v36
	v_cndmask_b32_e64 v42, v42, v32, s[2:3]
	v_cmp_lt_u32_e32 vcc, 8, v44
	v_add_u32_e32 v39, 8, v39
	s_or_b64 s[8:9], vcc, s[8:9]
	s_waitcnt lgkmcnt(0)
	v_fmac_f64_e32 v[34:35], v[42:43], v[40:41]
	s_andn2_b64 exec, exec, s[8:9]
	s_cbranch_execnz .LBB15_63
; %bb.64:
	s_or_b64 exec, exec, s[8:9]
	v_mov_b32_e32 v22, 0
	ds_read_b64 v[22:23], v22 offset:80
	s_waitcnt lgkmcnt(0)
	v_mul_f64 v[22:23], v[34:35], v[22:23]
.LBB15_65:
	s_or_b64 exec, exec, s[4:5]
	v_cmp_gt_u32_e32 vcc, 11, v0
	s_waitcnt lgkmcnt(0)
	; wave barrier
	ds_write_b64 v38, v[24:25]
	s_waitcnt lgkmcnt(0)
	; wave barrier
	s_waitcnt lgkmcnt(0)
	s_and_saveexec_b64 s[4:5], vcc
	s_cbranch_execz .LBB15_69
; %bb.66:
	v_mov_b32_e32 v34, 0x80
	v_lshl_add_u32 v39, v0, 3, v34
	s_mov_b64 s[8:9], 0
	v_pk_mov_b32 v[34:35], 0, 0
	v_pk_mov_b32 v[36:37], v[0:1], v[0:1] op_sel:[0,1]
.LBB15_67:                              ; =>This Inner Loop Header: Depth=1
	v_cmp_eq_u32_e32 vcc, 1, v36
	v_cndmask_b32_e32 v42, v3, v5, vcc
	v_cmp_eq_u32_e64 s[0:1], 2, v36
	v_cndmask_b32_e64 v42, v42, v7, s[0:1]
	v_cndmask_b32_e32 v43, v2, v4, vcc
	v_cmp_eq_u32_e32 vcc, 3, v36
	v_cndmask_b32_e32 v42, v42, v9, vcc
	v_cndmask_b32_e64 v43, v43, v6, s[0:1]
	v_cmp_eq_u32_e64 s[0:1], 4, v36
	v_cndmask_b32_e64 v42, v42, v11, s[0:1]
	v_cndmask_b32_e32 v43, v43, v8, vcc
	v_cmp_eq_u32_e32 vcc, 5, v36
	v_cndmask_b32_e32 v42, v42, v13, vcc
	v_cndmask_b32_e64 v43, v43, v10, s[0:1]
	;; [unrolled: 6-line block ×5, first 2 shown]
	v_cmp_eq_u32_e64 s[0:1], 12, v36
	ds_read_b64 v[40:41], v39
	v_cndmask_b32_e64 v42, v42, v27, s[0:1]
	v_cndmask_b32_e32 v43, v43, v24, vcc
	v_cmp_eq_u32_e32 vcc, 13, v36
	v_cndmask_b32_e32 v42, v42, v29, vcc
	v_cndmask_b32_e64 v43, v43, v26, s[0:1]
	v_cmp_eq_u32_e64 s[0:1], 14, v36
	v_cndmask_b32_e64 v42, v42, v31, s[0:1]
	v_cmp_eq_u32_e64 s[2:3], 15, v36
	v_cndmask_b32_e32 v44, v43, v28, vcc
	v_add_co_u32_e32 v36, vcc, 1, v36
	v_addc_co_u32_e32 v37, vcc, 0, v37, vcc
	v_cndmask_b32_e64 v43, v42, v33, s[2:3]
	v_cndmask_b32_e64 v42, v44, v30, s[0:1]
	v_add_u32_e32 v44, -1, v36
	v_cndmask_b32_e64 v42, v42, v32, s[2:3]
	v_cmp_lt_u32_e32 vcc, 9, v44
	v_add_u32_e32 v39, 8, v39
	s_or_b64 s[8:9], vcc, s[8:9]
	s_waitcnt lgkmcnt(0)
	v_fmac_f64_e32 v[34:35], v[42:43], v[40:41]
	s_andn2_b64 exec, exec, s[8:9]
	s_cbranch_execnz .LBB15_67
; %bb.68:
	s_or_b64 exec, exec, s[8:9]
	v_mov_b32_e32 v24, 0
	ds_read_b64 v[24:25], v24 offset:88
	s_waitcnt lgkmcnt(0)
	v_mul_f64 v[24:25], v[34:35], v[24:25]
.LBB15_69:
	s_or_b64 exec, exec, s[4:5]
	v_cmp_gt_u32_e32 vcc, 12, v0
	s_waitcnt lgkmcnt(0)
	; wave barrier
	ds_write_b64 v38, v[26:27]
	s_waitcnt lgkmcnt(0)
	; wave barrier
	s_waitcnt lgkmcnt(0)
	s_and_saveexec_b64 s[4:5], vcc
	s_cbranch_execz .LBB15_73
; %bb.70:
	v_mov_b32_e32 v34, 0x80
	v_lshl_add_u32 v39, v0, 3, v34
	s_mov_b64 s[8:9], 0
	v_pk_mov_b32 v[34:35], 0, 0
	v_pk_mov_b32 v[36:37], v[0:1], v[0:1] op_sel:[0,1]
.LBB15_71:                              ; =>This Inner Loop Header: Depth=1
	v_cmp_eq_u32_e32 vcc, 1, v36
	v_cndmask_b32_e32 v42, v3, v5, vcc
	v_cmp_eq_u32_e64 s[0:1], 2, v36
	v_cndmask_b32_e64 v42, v42, v7, s[0:1]
	v_cndmask_b32_e32 v43, v2, v4, vcc
	v_cmp_eq_u32_e32 vcc, 3, v36
	v_cndmask_b32_e32 v42, v42, v9, vcc
	v_cndmask_b32_e64 v43, v43, v6, s[0:1]
	v_cmp_eq_u32_e64 s[0:1], 4, v36
	v_cndmask_b32_e64 v42, v42, v11, s[0:1]
	v_cndmask_b32_e32 v43, v43, v8, vcc
	v_cmp_eq_u32_e32 vcc, 5, v36
	v_cndmask_b32_e32 v42, v42, v13, vcc
	v_cndmask_b32_e64 v43, v43, v10, s[0:1]
	;; [unrolled: 6-line block ×5, first 2 shown]
	v_cmp_eq_u32_e64 s[0:1], 12, v36
	ds_read_b64 v[40:41], v39
	v_cndmask_b32_e64 v42, v42, v27, s[0:1]
	v_cndmask_b32_e32 v43, v43, v24, vcc
	v_cmp_eq_u32_e32 vcc, 13, v36
	v_cndmask_b32_e32 v42, v42, v29, vcc
	v_cndmask_b32_e64 v43, v43, v26, s[0:1]
	v_cmp_eq_u32_e64 s[0:1], 14, v36
	v_cndmask_b32_e64 v42, v42, v31, s[0:1]
	v_cmp_eq_u32_e64 s[2:3], 15, v36
	v_cndmask_b32_e32 v44, v43, v28, vcc
	v_add_co_u32_e32 v36, vcc, 1, v36
	v_addc_co_u32_e32 v37, vcc, 0, v37, vcc
	v_cndmask_b32_e64 v43, v42, v33, s[2:3]
	v_cndmask_b32_e64 v42, v44, v30, s[0:1]
	v_add_u32_e32 v44, -1, v36
	v_cndmask_b32_e64 v42, v42, v32, s[2:3]
	v_cmp_lt_u32_e32 vcc, 10, v44
	v_add_u32_e32 v39, 8, v39
	s_or_b64 s[8:9], vcc, s[8:9]
	s_waitcnt lgkmcnt(0)
	v_fmac_f64_e32 v[34:35], v[42:43], v[40:41]
	s_andn2_b64 exec, exec, s[8:9]
	s_cbranch_execnz .LBB15_71
; %bb.72:
	s_or_b64 exec, exec, s[8:9]
	v_mov_b32_e32 v26, 0
	ds_read_b64 v[26:27], v26 offset:96
	s_waitcnt lgkmcnt(0)
	v_mul_f64 v[26:27], v[34:35], v[26:27]
.LBB15_73:
	s_or_b64 exec, exec, s[4:5]
	v_cmp_gt_u32_e32 vcc, 13, v0
	s_waitcnt lgkmcnt(0)
	; wave barrier
	ds_write_b64 v38, v[28:29]
	s_waitcnt lgkmcnt(0)
	; wave barrier
	s_waitcnt lgkmcnt(0)
	s_and_saveexec_b64 s[4:5], vcc
	s_cbranch_execz .LBB15_77
; %bb.74:
	v_mov_b32_e32 v34, 0x80
	v_lshl_add_u32 v39, v0, 3, v34
	s_mov_b64 s[8:9], 0
	v_pk_mov_b32 v[34:35], 0, 0
	v_pk_mov_b32 v[36:37], v[0:1], v[0:1] op_sel:[0,1]
.LBB15_75:                              ; =>This Inner Loop Header: Depth=1
	v_cmp_eq_u32_e32 vcc, 1, v36
	v_cndmask_b32_e32 v42, v3, v5, vcc
	v_cmp_eq_u32_e64 s[0:1], 2, v36
	v_cndmask_b32_e64 v42, v42, v7, s[0:1]
	v_cndmask_b32_e32 v43, v2, v4, vcc
	v_cmp_eq_u32_e32 vcc, 3, v36
	v_cndmask_b32_e32 v42, v42, v9, vcc
	v_cndmask_b32_e64 v43, v43, v6, s[0:1]
	v_cmp_eq_u32_e64 s[0:1], 4, v36
	v_cndmask_b32_e64 v42, v42, v11, s[0:1]
	v_cndmask_b32_e32 v43, v43, v8, vcc
	v_cmp_eq_u32_e32 vcc, 5, v36
	v_cndmask_b32_e32 v42, v42, v13, vcc
	v_cndmask_b32_e64 v43, v43, v10, s[0:1]
	v_cmp_eq_u32_e64 s[0:1], 6, v36
	v_cndmask_b32_e64 v42, v42, v15, s[0:1]
	v_cndmask_b32_e32 v43, v43, v12, vcc
	v_cmp_eq_u32_e32 vcc, 7, v36
	v_cndmask_b32_e32 v42, v42, v17, vcc
	v_cndmask_b32_e64 v43, v43, v14, s[0:1]
	v_cmp_eq_u32_e64 s[0:1], 8, v36
	v_cndmask_b32_e64 v42, v42, v19, s[0:1]
	v_cndmask_b32_e32 v43, v43, v16, vcc
	v_cmp_eq_u32_e32 vcc, 9, v36
	v_cndmask_b32_e32 v42, v42, v21, vcc
	v_cndmask_b32_e64 v43, v43, v18, s[0:1]
	v_cmp_eq_u32_e64 s[0:1], 10, v36
	v_cndmask_b32_e64 v42, v42, v23, s[0:1]
	v_cndmask_b32_e32 v43, v43, v20, vcc
	v_cmp_eq_u32_e32 vcc, 11, v36
	v_cndmask_b32_e32 v42, v42, v25, vcc
	v_cndmask_b32_e64 v43, v43, v22, s[0:1]
	v_cmp_eq_u32_e64 s[0:1], 12, v36
	ds_read_b64 v[40:41], v39
	v_cndmask_b32_e64 v42, v42, v27, s[0:1]
	v_cndmask_b32_e32 v43, v43, v24, vcc
	v_cmp_eq_u32_e32 vcc, 13, v36
	v_cndmask_b32_e32 v42, v42, v29, vcc
	v_cndmask_b32_e64 v43, v43, v26, s[0:1]
	v_cmp_eq_u32_e64 s[0:1], 14, v36
	v_cndmask_b32_e64 v42, v42, v31, s[0:1]
	v_cmp_eq_u32_e64 s[2:3], 15, v36
	v_cndmask_b32_e32 v44, v43, v28, vcc
	v_add_co_u32_e32 v36, vcc, 1, v36
	v_addc_co_u32_e32 v37, vcc, 0, v37, vcc
	v_cndmask_b32_e64 v43, v42, v33, s[2:3]
	v_cndmask_b32_e64 v42, v44, v30, s[0:1]
	v_add_u32_e32 v44, -1, v36
	v_cndmask_b32_e64 v42, v42, v32, s[2:3]
	v_cmp_lt_u32_e32 vcc, 11, v44
	v_add_u32_e32 v39, 8, v39
	s_or_b64 s[8:9], vcc, s[8:9]
	s_waitcnt lgkmcnt(0)
	v_fmac_f64_e32 v[34:35], v[42:43], v[40:41]
	s_andn2_b64 exec, exec, s[8:9]
	s_cbranch_execnz .LBB15_75
; %bb.76:
	s_or_b64 exec, exec, s[8:9]
	v_mov_b32_e32 v28, 0
	ds_read_b64 v[28:29], v28 offset:104
	s_waitcnt lgkmcnt(0)
	v_mul_f64 v[28:29], v[34:35], v[28:29]
.LBB15_77:
	s_or_b64 exec, exec, s[4:5]
	v_cmp_gt_u32_e32 vcc, 14, v0
	s_waitcnt lgkmcnt(0)
	; wave barrier
	ds_write_b64 v38, v[30:31]
	s_waitcnt lgkmcnt(0)
	; wave barrier
	s_waitcnt lgkmcnt(0)
	s_and_saveexec_b64 s[4:5], vcc
	s_cbranch_execz .LBB15_81
; %bb.78:
	v_mov_b32_e32 v34, 0x80
	v_lshl_add_u32 v39, v0, 3, v34
	s_mov_b64 s[8:9], 0
	v_pk_mov_b32 v[34:35], 0, 0
	v_pk_mov_b32 v[36:37], v[0:1], v[0:1] op_sel:[0,1]
.LBB15_79:                              ; =>This Inner Loop Header: Depth=1
	v_cmp_eq_u32_e32 vcc, 1, v36
	v_cndmask_b32_e32 v42, v3, v5, vcc
	v_cmp_eq_u32_e64 s[0:1], 2, v36
	v_cndmask_b32_e64 v42, v42, v7, s[0:1]
	v_cndmask_b32_e32 v43, v2, v4, vcc
	v_cmp_eq_u32_e32 vcc, 3, v36
	v_cndmask_b32_e32 v42, v42, v9, vcc
	v_cndmask_b32_e64 v43, v43, v6, s[0:1]
	v_cmp_eq_u32_e64 s[0:1], 4, v36
	v_cndmask_b32_e64 v42, v42, v11, s[0:1]
	v_cndmask_b32_e32 v43, v43, v8, vcc
	v_cmp_eq_u32_e32 vcc, 5, v36
	v_cndmask_b32_e32 v42, v42, v13, vcc
	v_cndmask_b32_e64 v43, v43, v10, s[0:1]
	;; [unrolled: 6-line block ×5, first 2 shown]
	v_cmp_eq_u32_e64 s[0:1], 12, v36
	ds_read_b64 v[40:41], v39
	v_cndmask_b32_e64 v42, v42, v27, s[0:1]
	v_cndmask_b32_e32 v43, v43, v24, vcc
	v_cmp_eq_u32_e32 vcc, 13, v36
	v_cndmask_b32_e32 v42, v42, v29, vcc
	v_cndmask_b32_e64 v43, v43, v26, s[0:1]
	v_cmp_eq_u32_e64 s[0:1], 14, v36
	v_cndmask_b32_e64 v42, v42, v31, s[0:1]
	v_cmp_eq_u32_e64 s[2:3], 15, v36
	v_cndmask_b32_e32 v44, v43, v28, vcc
	v_add_co_u32_e32 v36, vcc, 1, v36
	v_addc_co_u32_e32 v37, vcc, 0, v37, vcc
	v_cndmask_b32_e64 v43, v42, v33, s[2:3]
	v_cndmask_b32_e64 v42, v44, v30, s[0:1]
	v_add_u32_e32 v44, -1, v36
	v_cndmask_b32_e64 v42, v42, v32, s[2:3]
	v_cmp_lt_u32_e32 vcc, 12, v44
	v_add_u32_e32 v39, 8, v39
	s_or_b64 s[8:9], vcc, s[8:9]
	s_waitcnt lgkmcnt(0)
	v_fmac_f64_e32 v[34:35], v[42:43], v[40:41]
	s_andn2_b64 exec, exec, s[8:9]
	s_cbranch_execnz .LBB15_79
; %bb.80:
	s_or_b64 exec, exec, s[8:9]
	v_mov_b32_e32 v30, 0
	ds_read_b64 v[30:31], v30 offset:112
	s_waitcnt lgkmcnt(0)
	v_mul_f64 v[30:31], v[34:35], v[30:31]
.LBB15_81:
	s_or_b64 exec, exec, s[4:5]
	v_cmp_ne_u32_e32 vcc, 15, v0
	s_waitcnt lgkmcnt(0)
	; wave barrier
	ds_write_b64 v38, v[32:33]
	s_waitcnt lgkmcnt(0)
	; wave barrier
	s_waitcnt lgkmcnt(0)
	s_and_saveexec_b64 s[4:5], vcc
	s_cbranch_execz .LBB15_85
; %bb.82:
	v_mov_b32_e32 v34, 0x80
	v_lshl_add_u32 v38, v0, 3, v34
	s_mov_b64 s[8:9], 0
	v_pk_mov_b32 v[34:35], 0, 0
	v_pk_mov_b32 v[36:37], v[0:1], v[0:1] op_sel:[0,1]
.LBB15_83:                              ; =>This Inner Loop Header: Depth=1
	v_cmp_eq_u32_e32 vcc, 1, v36
	v_cndmask_b32_e32 v1, v3, v5, vcc
	v_cmp_eq_u32_e64 s[0:1], 2, v36
	v_cndmask_b32_e64 v1, v1, v7, s[0:1]
	v_cndmask_b32_e32 v39, v2, v4, vcc
	v_cmp_eq_u32_e32 vcc, 3, v36
	v_cndmask_b32_e32 v1, v1, v9, vcc
	v_cndmask_b32_e64 v39, v39, v6, s[0:1]
	v_cmp_eq_u32_e64 s[0:1], 4, v36
	v_cndmask_b32_e64 v1, v1, v11, s[0:1]
	v_cndmask_b32_e32 v39, v39, v8, vcc
	v_cmp_eq_u32_e32 vcc, 5, v36
	v_cndmask_b32_e32 v1, v1, v13, vcc
	v_cndmask_b32_e64 v39, v39, v10, s[0:1]
	;; [unrolled: 6-line block ×5, first 2 shown]
	v_cmp_eq_u32_e64 s[0:1], 12, v36
	ds_read_b64 v[40:41], v38
	v_cndmask_b32_e64 v1, v1, v27, s[0:1]
	v_cndmask_b32_e32 v39, v39, v24, vcc
	v_cmp_eq_u32_e32 vcc, 13, v36
	v_cndmask_b32_e32 v1, v1, v29, vcc
	v_cndmask_b32_e64 v39, v39, v26, s[0:1]
	v_cmp_eq_u32_e64 s[0:1], 14, v36
	v_cndmask_b32_e64 v1, v1, v31, s[0:1]
	v_cmp_eq_u32_e64 s[2:3], 15, v36
	v_cndmask_b32_e32 v39, v39, v28, vcc
	v_add_co_u32_e32 v36, vcc, 1, v36
	v_addc_co_u32_e32 v37, vcc, 0, v37, vcc
	v_cndmask_b32_e64 v43, v1, v33, s[2:3]
	v_cndmask_b32_e64 v1, v39, v30, s[0:1]
	v_add_u32_e32 v39, -1, v36
	v_cndmask_b32_e64 v42, v1, v32, s[2:3]
	v_cmp_lt_u32_e32 vcc, 13, v39
	v_add_u32_e32 v38, 8, v38
	s_or_b64 s[8:9], vcc, s[8:9]
	s_waitcnt lgkmcnt(0)
	v_fmac_f64_e32 v[34:35], v[42:43], v[40:41]
	s_andn2_b64 exec, exec, s[8:9]
	s_cbranch_execnz .LBB15_83
; %bb.84:
	s_or_b64 exec, exec, s[8:9]
	v_mov_b32_e32 v1, 0
	ds_read_b64 v[32:33], v1 offset:120
	s_waitcnt lgkmcnt(0)
	v_mul_f64 v[32:33], v[34:35], v[32:33]
.LBB15_85:
	s_or_b64 exec, exec, s[4:5]
	s_waitcnt lgkmcnt(0)
	; wave barrier
	s_cbranch_execnz .LBB15_15
	s_branch .LBB15_16
.LBB15_86:
	v_mov_b32_e32 v1, 0x80
	v_lshl_add_u32 v1, v0, 3, v1
	v_cmp_eq_u32_e32 vcc, 15, v0
	s_and_saveexec_b64 s[0:1], vcc
	s_cbranch_execz .LBB15_88
; %bb.87:
	v_pk_mov_b32 v[62:63], v[32:33], v[32:33] op_sel:[0,1]
	s_mov_b32 s2, 0
	v_pk_mov_b32 v[60:61], v[30:31], v[30:31] op_sel:[0,1]
	v_pk_mov_b32 v[58:59], v[28:29], v[28:29] op_sel:[0,1]
	;; [unrolled: 1-line block ×15, first 2 shown]
	v_mov_b32_e32 v60, s2
	v_mov_b32_e32 v61, s2
	ds_write_b64 v1, v[30:31]
	v_pk_mov_b32 v[2:3], v[32:33], v[32:33] op_sel:[0,1]
	v_pk_mov_b32 v[4:5], v[34:35], v[34:35] op_sel:[0,1]
	;; [unrolled: 1-line block ×16, first 2 shown]
.LBB15_88:
	s_or_b64 exec, exec, s[0:1]
	v_mov_b32_e32 v62, 0
	s_waitcnt lgkmcnt(0)
	; wave barrier
	s_waitcnt lgkmcnt(0)
	ds_read_b64 v[34:35], v62 offset:248
	v_cmp_lt_u32_e32 vcc, 13, v0
	s_waitcnt lgkmcnt(0)
	v_fma_f64 v[34:35], v[32:33], v[34:35], 0
	v_add_f64 v[30:31], v[30:31], -v[34:35]
	s_and_saveexec_b64 s[0:1], vcc
	s_cbranch_execz .LBB15_90
; %bb.89:
	v_pk_mov_b32 v[60:61], v[32:33], v[32:33] op_sel:[0,1]
	s_mov_b32 s2, 0
	v_pk_mov_b32 v[58:59], v[30:31], v[30:31] op_sel:[0,1]
	v_pk_mov_b32 v[56:57], v[28:29], v[28:29] op_sel:[0,1]
	;; [unrolled: 1-line block ×15, first 2 shown]
	v_mov_b32_e32 v56, s2
	v_mov_b32_e32 v57, s2
	ds_write_b64 v1, v[28:29]
	v_pk_mov_b32 v[2:3], v[30:31], v[30:31] op_sel:[0,1]
	v_pk_mov_b32 v[4:5], v[32:33], v[32:33] op_sel:[0,1]
	;; [unrolled: 1-line block ×16, first 2 shown]
.LBB15_90:
	s_or_b64 exec, exec, s[0:1]
	s_waitcnt lgkmcnt(0)
	; wave barrier
	s_waitcnt lgkmcnt(0)
	ds_read_b128 v[34:37], v62 offset:240
	v_cmp_lt_u32_e32 vcc, 12, v0
	s_waitcnt lgkmcnt(0)
	v_fma_f64 v[34:35], v[30:31], v[34:35], 0
	v_fmac_f64_e32 v[34:35], v[32:33], v[36:37]
	v_add_f64 v[28:29], v[28:29], -v[34:35]
	s_and_saveexec_b64 s[0:1], vcc
	s_cbranch_execz .LBB15_92
; %bb.91:
	v_pk_mov_b32 v[58:59], v[32:33], v[32:33] op_sel:[0,1]
	s_mov_b32 s2, 0
	v_pk_mov_b32 v[56:57], v[30:31], v[30:31] op_sel:[0,1]
	v_pk_mov_b32 v[54:55], v[28:29], v[28:29] op_sel:[0,1]
	;; [unrolled: 1-line block ×15, first 2 shown]
	v_mov_b32_e32 v52, s2
	v_mov_b32_e32 v53, s2
	ds_write_b64 v1, v[26:27]
	v_pk_mov_b32 v[2:3], v[28:29], v[28:29] op_sel:[0,1]
	v_pk_mov_b32 v[4:5], v[30:31], v[30:31] op_sel:[0,1]
	;; [unrolled: 1-line block ×16, first 2 shown]
.LBB15_92:
	s_or_b64 exec, exec, s[0:1]
	v_mov_b32_e32 v58, 0
	s_waitcnt lgkmcnt(0)
	; wave barrier
	s_waitcnt lgkmcnt(0)
	ds_read2_b64 v[34:37], v58 offset0:29 offset1:30
	ds_read_b64 v[38:39], v58 offset:248
	v_cmp_lt_u32_e32 vcc, 11, v0
	s_waitcnt lgkmcnt(1)
	v_fma_f64 v[34:35], v[28:29], v[34:35], 0
	v_fmac_f64_e32 v[34:35], v[30:31], v[36:37]
	s_waitcnt lgkmcnt(0)
	v_fmac_f64_e32 v[34:35], v[32:33], v[38:39]
	v_add_f64 v[26:27], v[26:27], -v[34:35]
	s_and_saveexec_b64 s[0:1], vcc
	s_cbranch_execz .LBB15_94
; %bb.93:
	v_pk_mov_b32 v[56:57], v[32:33], v[32:33] op_sel:[0,1]
	s_mov_b32 s2, 0
	v_pk_mov_b32 v[54:55], v[30:31], v[30:31] op_sel:[0,1]
	v_pk_mov_b32 v[52:53], v[28:29], v[28:29] op_sel:[0,1]
	;; [unrolled: 1-line block ×15, first 2 shown]
	v_mov_b32_e32 v48, s2
	v_mov_b32_e32 v49, s2
	ds_write_b64 v1, v[24:25]
	v_pk_mov_b32 v[2:3], v[26:27], v[26:27] op_sel:[0,1]
	v_pk_mov_b32 v[4:5], v[28:29], v[28:29] op_sel:[0,1]
	;; [unrolled: 1-line block ×16, first 2 shown]
.LBB15_94:
	s_or_b64 exec, exec, s[0:1]
	s_waitcnt lgkmcnt(0)
	; wave barrier
	s_waitcnt lgkmcnt(0)
	ds_read_b128 v[34:37], v58 offset:224
	ds_read_b128 v[38:41], v58 offset:240
	v_cmp_lt_u32_e32 vcc, 10, v0
	s_waitcnt lgkmcnt(1)
	v_fma_f64 v[34:35], v[26:27], v[34:35], 0
	v_fmac_f64_e32 v[34:35], v[28:29], v[36:37]
	s_waitcnt lgkmcnt(0)
	v_fmac_f64_e32 v[34:35], v[30:31], v[38:39]
	v_fmac_f64_e32 v[34:35], v[32:33], v[40:41]
	v_add_f64 v[24:25], v[24:25], -v[34:35]
	s_and_saveexec_b64 s[0:1], vcc
	s_cbranch_execz .LBB15_96
; %bb.95:
	v_pk_mov_b32 v[54:55], v[32:33], v[32:33] op_sel:[0,1]
	s_mov_b32 s2, 0
	v_pk_mov_b32 v[52:53], v[30:31], v[30:31] op_sel:[0,1]
	v_pk_mov_b32 v[50:51], v[28:29], v[28:29] op_sel:[0,1]
	;; [unrolled: 1-line block ×15, first 2 shown]
	v_mov_b32_e32 v44, s2
	v_mov_b32_e32 v45, s2
	ds_write_b64 v1, v[22:23]
	v_pk_mov_b32 v[2:3], v[24:25], v[24:25] op_sel:[0,1]
	v_pk_mov_b32 v[4:5], v[26:27], v[26:27] op_sel:[0,1]
	;; [unrolled: 1-line block ×16, first 2 shown]
.LBB15_96:
	s_or_b64 exec, exec, s[0:1]
	v_mov_b32_e32 v54, 0
	s_waitcnt lgkmcnt(0)
	; wave barrier
	s_waitcnt lgkmcnt(0)
	ds_read2_b64 v[34:37], v54 offset0:27 offset1:28
	ds_read2_b64 v[38:41], v54 offset0:29 offset1:30
	ds_read_b64 v[42:43], v54 offset:248
	v_cmp_lt_u32_e32 vcc, 9, v0
	s_waitcnt lgkmcnt(2)
	v_fma_f64 v[34:35], v[24:25], v[34:35], 0
	v_fmac_f64_e32 v[34:35], v[26:27], v[36:37]
	s_waitcnt lgkmcnt(1)
	v_fmac_f64_e32 v[34:35], v[28:29], v[38:39]
	v_fmac_f64_e32 v[34:35], v[30:31], v[40:41]
	s_waitcnt lgkmcnt(0)
	v_fmac_f64_e32 v[34:35], v[32:33], v[42:43]
	v_add_f64 v[22:23], v[22:23], -v[34:35]
	s_and_saveexec_b64 s[0:1], vcc
	s_cbranch_execz .LBB15_98
; %bb.97:
	v_pk_mov_b32 v[52:53], v[32:33], v[32:33] op_sel:[0,1]
	s_mov_b32 s2, 0
	v_pk_mov_b32 v[50:51], v[30:31], v[30:31] op_sel:[0,1]
	v_pk_mov_b32 v[48:49], v[28:29], v[28:29] op_sel:[0,1]
	;; [unrolled: 1-line block ×15, first 2 shown]
	v_mov_b32_e32 v40, s2
	v_mov_b32_e32 v41, s2
	ds_write_b64 v1, v[20:21]
	v_pk_mov_b32 v[2:3], v[22:23], v[22:23] op_sel:[0,1]
	v_pk_mov_b32 v[4:5], v[24:25], v[24:25] op_sel:[0,1]
	;; [unrolled: 1-line block ×16, first 2 shown]
.LBB15_98:
	s_or_b64 exec, exec, s[0:1]
	s_waitcnt lgkmcnt(0)
	; wave barrier
	s_waitcnt lgkmcnt(0)
	ds_read_b128 v[34:37], v54 offset:208
	ds_read_b128 v[38:41], v54 offset:224
	;; [unrolled: 1-line block ×3, first 2 shown]
	v_cmp_lt_u32_e32 vcc, 8, v0
	s_waitcnt lgkmcnt(2)
	v_fma_f64 v[34:35], v[22:23], v[34:35], 0
	v_fmac_f64_e32 v[34:35], v[24:25], v[36:37]
	s_waitcnt lgkmcnt(1)
	v_fmac_f64_e32 v[34:35], v[26:27], v[38:39]
	v_fmac_f64_e32 v[34:35], v[28:29], v[40:41]
	s_waitcnt lgkmcnt(0)
	v_fmac_f64_e32 v[34:35], v[30:31], v[42:43]
	v_fmac_f64_e32 v[34:35], v[32:33], v[44:45]
	v_add_f64 v[20:21], v[20:21], -v[34:35]
	s_and_saveexec_b64 s[0:1], vcc
	s_cbranch_execz .LBB15_100
; %bb.99:
	v_pk_mov_b32 v[50:51], v[32:33], v[32:33] op_sel:[0,1]
	s_mov_b32 s2, 0
	v_pk_mov_b32 v[48:49], v[30:31], v[30:31] op_sel:[0,1]
	v_pk_mov_b32 v[46:47], v[28:29], v[28:29] op_sel:[0,1]
	v_pk_mov_b32 v[44:45], v[26:27], v[26:27] op_sel:[0,1]
	v_pk_mov_b32 v[42:43], v[24:25], v[24:25] op_sel:[0,1]
	v_pk_mov_b32 v[40:41], v[22:23], v[22:23] op_sel:[0,1]
	v_pk_mov_b32 v[38:39], v[20:21], v[20:21] op_sel:[0,1]
	v_pk_mov_b32 v[36:37], v[18:19], v[18:19] op_sel:[0,1]
	v_pk_mov_b32 v[34:35], v[16:17], v[16:17] op_sel:[0,1]
	v_pk_mov_b32 v[32:33], v[14:15], v[14:15] op_sel:[0,1]
	v_pk_mov_b32 v[30:31], v[12:13], v[12:13] op_sel:[0,1]
	v_pk_mov_b32 v[28:29], v[10:11], v[10:11] op_sel:[0,1]
	v_pk_mov_b32 v[26:27], v[8:9], v[8:9] op_sel:[0,1]
	v_pk_mov_b32 v[24:25], v[6:7], v[6:7] op_sel:[0,1]
	v_pk_mov_b32 v[22:23], v[4:5], v[4:5] op_sel:[0,1]
	v_pk_mov_b32 v[20:21], v[2:3], v[2:3] op_sel:[0,1]
	v_mov_b32_e32 v36, s2
	v_mov_b32_e32 v37, s2
	ds_write_b64 v1, v[18:19]
	v_pk_mov_b32 v[2:3], v[20:21], v[20:21] op_sel:[0,1]
	v_pk_mov_b32 v[4:5], v[22:23], v[22:23] op_sel:[0,1]
	;; [unrolled: 1-line block ×16, first 2 shown]
.LBB15_100:
	s_or_b64 exec, exec, s[0:1]
	v_mov_b32_e32 v50, 0
	s_waitcnt lgkmcnt(0)
	; wave barrier
	s_waitcnt lgkmcnt(0)
	ds_read2_b64 v[34:37], v50 offset0:25 offset1:26
	ds_read2_b64 v[38:41], v50 offset0:27 offset1:28
	;; [unrolled: 1-line block ×3, first 2 shown]
	v_cmp_lt_u32_e32 vcc, 7, v0
	s_waitcnt lgkmcnt(2)
	v_fma_f64 v[34:35], v[20:21], v[34:35], 0
	v_fmac_f64_e32 v[34:35], v[22:23], v[36:37]
	ds_read_b64 v[36:37], v50 offset:248
	s_waitcnt lgkmcnt(2)
	v_fmac_f64_e32 v[34:35], v[24:25], v[38:39]
	v_fmac_f64_e32 v[34:35], v[26:27], v[40:41]
	s_waitcnt lgkmcnt(1)
	v_fmac_f64_e32 v[34:35], v[28:29], v[42:43]
	v_fmac_f64_e32 v[34:35], v[30:31], v[44:45]
	s_waitcnt lgkmcnt(0)
	v_fmac_f64_e32 v[34:35], v[32:33], v[36:37]
	v_add_f64 v[18:19], v[18:19], -v[34:35]
	s_and_saveexec_b64 s[0:1], vcc
	s_cbranch_execz .LBB15_102
; %bb.101:
	v_pk_mov_b32 v[48:49], v[32:33], v[32:33] op_sel:[0,1]
	s_mov_b32 s2, 0
	v_pk_mov_b32 v[46:47], v[30:31], v[30:31] op_sel:[0,1]
	v_pk_mov_b32 v[44:45], v[28:29], v[28:29] op_sel:[0,1]
	;; [unrolled: 1-line block ×15, first 2 shown]
	v_mov_b32_e32 v32, s2
	v_mov_b32_e32 v33, s2
	ds_write_b64 v1, v[16:17]
	v_pk_mov_b32 v[2:3], v[18:19], v[18:19] op_sel:[0,1]
	v_pk_mov_b32 v[4:5], v[20:21], v[20:21] op_sel:[0,1]
	;; [unrolled: 1-line block ×16, first 2 shown]
.LBB15_102:
	s_or_b64 exec, exec, s[0:1]
	s_waitcnt lgkmcnt(0)
	; wave barrier
	s_waitcnt lgkmcnt(0)
	ds_read_b128 v[34:37], v50 offset:192
	ds_read_b128 v[38:41], v50 offset:208
	;; [unrolled: 1-line block ×4, first 2 shown]
	v_cmp_lt_u32_e32 vcc, 6, v0
	s_waitcnt lgkmcnt(3)
	v_fma_f64 v[34:35], v[18:19], v[34:35], 0
	v_fmac_f64_e32 v[34:35], v[20:21], v[36:37]
	s_waitcnt lgkmcnt(2)
	v_fmac_f64_e32 v[34:35], v[22:23], v[38:39]
	v_fmac_f64_e32 v[34:35], v[24:25], v[40:41]
	s_waitcnt lgkmcnt(1)
	v_fmac_f64_e32 v[34:35], v[26:27], v[42:43]
	;; [unrolled: 3-line block ×3, first 2 shown]
	v_fmac_f64_e32 v[34:35], v[32:33], v[48:49]
	v_add_f64 v[16:17], v[16:17], -v[34:35]
	s_and_saveexec_b64 s[0:1], vcc
	s_cbranch_execz .LBB15_104
; %bb.103:
	v_pk_mov_b32 v[46:47], v[32:33], v[32:33] op_sel:[0,1]
	s_mov_b32 s2, 0
	v_pk_mov_b32 v[44:45], v[30:31], v[30:31] op_sel:[0,1]
	v_pk_mov_b32 v[42:43], v[28:29], v[28:29] op_sel:[0,1]
	v_pk_mov_b32 v[40:41], v[26:27], v[26:27] op_sel:[0,1]
	v_pk_mov_b32 v[38:39], v[24:25], v[24:25] op_sel:[0,1]
	v_pk_mov_b32 v[36:37], v[22:23], v[22:23] op_sel:[0,1]
	v_pk_mov_b32 v[34:35], v[20:21], v[20:21] op_sel:[0,1]
	v_pk_mov_b32 v[32:33], v[18:19], v[18:19] op_sel:[0,1]
	v_pk_mov_b32 v[30:31], v[16:17], v[16:17] op_sel:[0,1]
	v_pk_mov_b32 v[28:29], v[14:15], v[14:15] op_sel:[0,1]
	v_pk_mov_b32 v[26:27], v[12:13], v[12:13] op_sel:[0,1]
	v_pk_mov_b32 v[24:25], v[10:11], v[10:11] op_sel:[0,1]
	v_pk_mov_b32 v[22:23], v[8:9], v[8:9] op_sel:[0,1]
	v_pk_mov_b32 v[20:21], v[6:7], v[6:7] op_sel:[0,1]
	v_pk_mov_b32 v[18:19], v[4:5], v[4:5] op_sel:[0,1]
	v_pk_mov_b32 v[16:17], v[2:3], v[2:3] op_sel:[0,1]
	v_mov_b32_e32 v28, s2
	v_mov_b32_e32 v29, s2
	ds_write_b64 v1, v[14:15]
	v_pk_mov_b32 v[2:3], v[16:17], v[16:17] op_sel:[0,1]
	v_pk_mov_b32 v[4:5], v[18:19], v[18:19] op_sel:[0,1]
	;; [unrolled: 1-line block ×16, first 2 shown]
.LBB15_104:
	s_or_b64 exec, exec, s[0:1]
	v_mov_b32_e32 v46, 0
	s_waitcnt lgkmcnt(0)
	; wave barrier
	s_waitcnt lgkmcnt(0)
	ds_read2_b64 v[34:37], v46 offset0:23 offset1:24
	ds_read2_b64 v[38:41], v46 offset0:25 offset1:26
	v_cmp_lt_u32_e32 vcc, 5, v0
	ds_read2_b64 v[42:45], v46 offset0:29 offset1:30
	s_waitcnt lgkmcnt(2)
	v_fma_f64 v[48:49], v[16:17], v[34:35], 0
	v_fmac_f64_e32 v[48:49], v[18:19], v[36:37]
	ds_read2_b64 v[34:37], v46 offset0:27 offset1:28
	s_waitcnt lgkmcnt(2)
	v_fmac_f64_e32 v[48:49], v[20:21], v[38:39]
	v_fmac_f64_e32 v[48:49], v[22:23], v[40:41]
	ds_read_b64 v[38:39], v46 offset:248
	s_waitcnt lgkmcnt(1)
	v_fmac_f64_e32 v[48:49], v[24:25], v[34:35]
	v_fmac_f64_e32 v[48:49], v[26:27], v[36:37]
	v_fmac_f64_e32 v[48:49], v[28:29], v[42:43]
	v_fmac_f64_e32 v[48:49], v[30:31], v[44:45]
	s_waitcnt lgkmcnt(0)
	v_fmac_f64_e32 v[48:49], v[32:33], v[38:39]
	v_add_f64 v[14:15], v[14:15], -v[48:49]
	s_and_saveexec_b64 s[0:1], vcc
	s_cbranch_execz .LBB15_106
; %bb.105:
	v_pk_mov_b32 v[44:45], v[32:33], v[32:33] op_sel:[0,1]
	s_mov_b32 s2, 0
	v_pk_mov_b32 v[42:43], v[30:31], v[30:31] op_sel:[0,1]
	v_pk_mov_b32 v[40:41], v[28:29], v[28:29] op_sel:[0,1]
	;; [unrolled: 1-line block ×15, first 2 shown]
	v_mov_b32_e32 v24, s2
	v_mov_b32_e32 v25, s2
	ds_write_b64 v1, v[12:13]
	v_pk_mov_b32 v[2:3], v[14:15], v[14:15] op_sel:[0,1]
	v_pk_mov_b32 v[4:5], v[16:17], v[16:17] op_sel:[0,1]
	;; [unrolled: 1-line block ×16, first 2 shown]
.LBB15_106:
	s_or_b64 exec, exec, s[0:1]
	s_waitcnt lgkmcnt(0)
	; wave barrier
	s_waitcnt lgkmcnt(0)
	ds_read_b128 v[34:37], v46 offset:176
	ds_read_b128 v[38:41], v46 offset:192
	;; [unrolled: 1-line block ×4, first 2 shown]
	v_cmp_lt_u32_e32 vcc, 4, v0
	s_waitcnt lgkmcnt(3)
	v_fma_f64 v[52:53], v[14:15], v[34:35], 0
	v_fmac_f64_e32 v[52:53], v[16:17], v[36:37]
	s_waitcnt lgkmcnt(2)
	v_fmac_f64_e32 v[52:53], v[18:19], v[38:39]
	v_fmac_f64_e32 v[52:53], v[20:21], v[40:41]
	ds_read_b128 v[34:37], v46 offset:240
	s_waitcnt lgkmcnt(2)
	v_fmac_f64_e32 v[52:53], v[22:23], v[42:43]
	v_fmac_f64_e32 v[52:53], v[24:25], v[44:45]
	s_waitcnt lgkmcnt(1)
	v_fmac_f64_e32 v[52:53], v[26:27], v[48:49]
	v_fmac_f64_e32 v[52:53], v[28:29], v[50:51]
	;; [unrolled: 3-line block ×3, first 2 shown]
	v_add_f64 v[12:13], v[12:13], -v[52:53]
	s_and_saveexec_b64 s[0:1], vcc
	s_cbranch_execz .LBB15_108
; %bb.107:
	v_pk_mov_b32 v[42:43], v[32:33], v[32:33] op_sel:[0,1]
	s_mov_b32 s2, 0
	v_pk_mov_b32 v[40:41], v[30:31], v[30:31] op_sel:[0,1]
	v_pk_mov_b32 v[38:39], v[28:29], v[28:29] op_sel:[0,1]
	;; [unrolled: 1-line block ×15, first 2 shown]
	v_mov_b32_e32 v20, s2
	v_mov_b32_e32 v21, s2
	ds_write_b64 v1, v[10:11]
	v_pk_mov_b32 v[2:3], v[12:13], v[12:13] op_sel:[0,1]
	v_pk_mov_b32 v[4:5], v[14:15], v[14:15] op_sel:[0,1]
	;; [unrolled: 1-line block ×16, first 2 shown]
.LBB15_108:
	s_or_b64 exec, exec, s[0:1]
	v_mov_b32_e32 v42, 0
	s_waitcnt lgkmcnt(0)
	; wave barrier
	s_waitcnt lgkmcnt(0)
	ds_read2_b64 v[34:37], v42 offset0:21 offset1:22
	ds_read2_b64 v[38:41], v42 offset0:23 offset1:24
	;; [unrolled: 1-line block ×3, first 2 shown]
	v_cmp_lt_u32_e32 vcc, 3, v0
	s_waitcnt lgkmcnt(2)
	v_fma_f64 v[48:49], v[12:13], v[34:35], 0
	v_fmac_f64_e32 v[48:49], v[14:15], v[36:37]
	ds_read2_b64 v[34:37], v42 offset0:27 offset1:28
	s_waitcnt lgkmcnt(2)
	v_fmac_f64_e32 v[48:49], v[16:17], v[38:39]
	v_fmac_f64_e32 v[48:49], v[18:19], v[40:41]
	ds_read2_b64 v[38:41], v42 offset0:29 offset1:30
	s_waitcnt lgkmcnt(2)
	v_fmac_f64_e32 v[48:49], v[20:21], v[44:45]
	ds_read_b64 v[44:45], v42 offset:248
	v_fmac_f64_e32 v[48:49], v[22:23], v[46:47]
	s_waitcnt lgkmcnt(2)
	v_fmac_f64_e32 v[48:49], v[24:25], v[34:35]
	v_fmac_f64_e32 v[48:49], v[26:27], v[36:37]
	s_waitcnt lgkmcnt(1)
	v_fmac_f64_e32 v[48:49], v[28:29], v[38:39]
	;; [unrolled: 3-line block ×3, first 2 shown]
	v_add_f64 v[10:11], v[10:11], -v[48:49]
	s_and_saveexec_b64 s[0:1], vcc
	s_cbranch_execz .LBB15_110
; %bb.109:
	v_pk_mov_b32 v[40:41], v[32:33], v[32:33] op_sel:[0,1]
	s_mov_b32 s2, 0
	v_pk_mov_b32 v[38:39], v[30:31], v[30:31] op_sel:[0,1]
	v_pk_mov_b32 v[36:37], v[28:29], v[28:29] op_sel:[0,1]
	;; [unrolled: 1-line block ×15, first 2 shown]
	v_mov_b32_e32 v16, s2
	v_mov_b32_e32 v17, s2
	ds_write_b64 v1, v[8:9]
	v_pk_mov_b32 v[2:3], v[10:11], v[10:11] op_sel:[0,1]
	v_pk_mov_b32 v[4:5], v[12:13], v[12:13] op_sel:[0,1]
	;; [unrolled: 1-line block ×16, first 2 shown]
.LBB15_110:
	s_or_b64 exec, exec, s[0:1]
	s_waitcnt lgkmcnt(0)
	; wave barrier
	s_waitcnt lgkmcnt(0)
	ds_read_b128 v[34:37], v42 offset:160
	ds_read_b128 v[38:41], v42 offset:176
	;; [unrolled: 1-line block ×4, first 2 shown]
	v_cmp_lt_u32_e32 vcc, 2, v0
	s_waitcnt lgkmcnt(3)
	v_fma_f64 v[52:53], v[10:11], v[34:35], 0
	v_fmac_f64_e32 v[52:53], v[12:13], v[36:37]
	s_waitcnt lgkmcnt(2)
	v_fmac_f64_e32 v[52:53], v[14:15], v[38:39]
	v_fmac_f64_e32 v[52:53], v[16:17], v[40:41]
	ds_read_b128 v[34:37], v42 offset:224
	ds_read_b128 v[38:41], v42 offset:240
	s_waitcnt lgkmcnt(3)
	v_fmac_f64_e32 v[52:53], v[18:19], v[44:45]
	v_fmac_f64_e32 v[52:53], v[20:21], v[46:47]
	s_waitcnt lgkmcnt(2)
	v_fmac_f64_e32 v[52:53], v[22:23], v[48:49]
	v_fmac_f64_e32 v[52:53], v[24:25], v[50:51]
	;; [unrolled: 3-line block ×4, first 2 shown]
	v_add_f64 v[8:9], v[8:9], -v[52:53]
	s_and_saveexec_b64 s[0:1], vcc
	s_cbranch_execz .LBB15_112
; %bb.111:
	v_pk_mov_b32 v[38:39], v[32:33], v[32:33] op_sel:[0,1]
	s_mov_b32 s2, 0
	v_pk_mov_b32 v[36:37], v[30:31], v[30:31] op_sel:[0,1]
	v_pk_mov_b32 v[34:35], v[28:29], v[28:29] op_sel:[0,1]
	v_pk_mov_b32 v[32:33], v[26:27], v[26:27] op_sel:[0,1]
	v_pk_mov_b32 v[30:31], v[24:25], v[24:25] op_sel:[0,1]
	v_pk_mov_b32 v[28:29], v[22:23], v[22:23] op_sel:[0,1]
	v_pk_mov_b32 v[26:27], v[20:21], v[20:21] op_sel:[0,1]
	v_pk_mov_b32 v[24:25], v[18:19], v[18:19] op_sel:[0,1]
	v_pk_mov_b32 v[22:23], v[16:17], v[16:17] op_sel:[0,1]
	v_pk_mov_b32 v[20:21], v[14:15], v[14:15] op_sel:[0,1]
	v_pk_mov_b32 v[18:19], v[12:13], v[12:13] op_sel:[0,1]
	v_pk_mov_b32 v[16:17], v[10:11], v[10:11] op_sel:[0,1]
	v_pk_mov_b32 v[14:15], v[8:9], v[8:9] op_sel:[0,1]
	v_pk_mov_b32 v[12:13], v[6:7], v[6:7] op_sel:[0,1]
	v_pk_mov_b32 v[10:11], v[4:5], v[4:5] op_sel:[0,1]
	v_pk_mov_b32 v[8:9], v[2:3], v[2:3] op_sel:[0,1]
	v_mov_b32_e32 v12, s2
	v_mov_b32_e32 v13, s2
	ds_write_b64 v1, v[6:7]
	v_pk_mov_b32 v[2:3], v[8:9], v[8:9] op_sel:[0,1]
	v_pk_mov_b32 v[4:5], v[10:11], v[10:11] op_sel:[0,1]
	;; [unrolled: 1-line block ×16, first 2 shown]
.LBB15_112:
	s_or_b64 exec, exec, s[0:1]
	v_mov_b32_e32 v38, 0
	s_waitcnt lgkmcnt(0)
	; wave barrier
	s_waitcnt lgkmcnt(0)
	ds_read2_b64 v[34:37], v38 offset0:19 offset1:20
	ds_read2_b64 v[40:43], v38 offset0:21 offset1:22
	;; [unrolled: 1-line block ×3, first 2 shown]
	v_cmp_lt_u32_e32 vcc, 1, v0
	s_waitcnt lgkmcnt(2)
	v_fma_f64 v[48:49], v[8:9], v[34:35], 0
	v_fmac_f64_e32 v[48:49], v[10:11], v[36:37]
	ds_read2_b64 v[34:37], v38 offset0:25 offset1:26
	s_waitcnt lgkmcnt(2)
	v_fmac_f64_e32 v[48:49], v[12:13], v[40:41]
	v_fmac_f64_e32 v[48:49], v[14:15], v[42:43]
	ds_read2_b64 v[40:43], v38 offset0:27 offset1:28
	s_waitcnt lgkmcnt(2)
	v_fmac_f64_e32 v[48:49], v[16:17], v[44:45]
	;; [unrolled: 4-line block ×3, first 2 shown]
	v_fmac_f64_e32 v[48:49], v[22:23], v[36:37]
	ds_read_b64 v[34:35], v38 offset:248
	s_waitcnt lgkmcnt(2)
	v_fmac_f64_e32 v[48:49], v[24:25], v[40:41]
	v_fmac_f64_e32 v[48:49], v[26:27], v[42:43]
	s_waitcnt lgkmcnt(1)
	v_fmac_f64_e32 v[48:49], v[28:29], v[44:45]
	v_fmac_f64_e32 v[48:49], v[30:31], v[46:47]
	s_waitcnt lgkmcnt(0)
	v_fmac_f64_e32 v[48:49], v[32:33], v[34:35]
	v_add_f64 v[6:7], v[6:7], -v[48:49]
	s_and_saveexec_b64 s[0:1], vcc
	s_cbranch_execz .LBB15_114
; %bb.113:
	v_pk_mov_b32 v[36:37], v[32:33], v[32:33] op_sel:[0,1]
	s_mov_b32 s2, 0
	v_pk_mov_b32 v[34:35], v[30:31], v[30:31] op_sel:[0,1]
	v_pk_mov_b32 v[32:33], v[28:29], v[28:29] op_sel:[0,1]
	;; [unrolled: 1-line block ×15, first 2 shown]
	v_mov_b32_e32 v8, s2
	v_mov_b32_e32 v9, s2
	ds_write_b64 v1, v[4:5]
	v_pk_mov_b32 v[2:3], v[6:7], v[6:7] op_sel:[0,1]
	v_pk_mov_b32 v[4:5], v[8:9], v[8:9] op_sel:[0,1]
	;; [unrolled: 1-line block ×16, first 2 shown]
.LBB15_114:
	s_or_b64 exec, exec, s[0:1]
	s_waitcnt lgkmcnt(0)
	; wave barrier
	s_waitcnt lgkmcnt(0)
	ds_read_b128 v[34:37], v38 offset:144
	ds_read_b128 v[40:43], v38 offset:160
	;; [unrolled: 1-line block ×4, first 2 shown]
	s_mov_b32 s2, 0
	s_waitcnt lgkmcnt(3)
	v_fma_f64 v[52:53], v[6:7], v[34:35], 0
	v_fmac_f64_e32 v[52:53], v[8:9], v[36:37]
	s_waitcnt lgkmcnt(2)
	v_fmac_f64_e32 v[52:53], v[10:11], v[40:41]
	v_fmac_f64_e32 v[52:53], v[12:13], v[42:43]
	ds_read_b128 v[34:37], v38 offset:208
	ds_read_b128 v[40:43], v38 offset:224
	s_waitcnt lgkmcnt(3)
	v_fmac_f64_e32 v[52:53], v[14:15], v[44:45]
	v_fmac_f64_e32 v[52:53], v[16:17], v[46:47]
	s_waitcnt lgkmcnt(2)
	v_fmac_f64_e32 v[52:53], v[18:19], v[48:49]
	v_fmac_f64_e32 v[52:53], v[20:21], v[50:51]
	ds_read_b128 v[44:47], v38 offset:240
	s_waitcnt lgkmcnt(2)
	v_fmac_f64_e32 v[52:53], v[22:23], v[34:35]
	v_fmac_f64_e32 v[52:53], v[24:25], v[36:37]
	s_waitcnt lgkmcnt(1)
	v_fmac_f64_e32 v[52:53], v[26:27], v[40:41]
	v_fmac_f64_e32 v[52:53], v[28:29], v[42:43]
	s_waitcnt lgkmcnt(0)
	v_fmac_f64_e32 v[52:53], v[30:31], v[44:45]
	v_fmac_f64_e32 v[52:53], v[32:33], v[46:47]
	v_add_f64 v[4:5], v[4:5], -v[52:53]
	v_cmp_ne_u32_e32 vcc, 0, v0
	s_and_saveexec_b64 s[0:1], vcc
	s_cbranch_execz .LBB15_116
; %bb.115:
	v_pk_mov_b32 v[34:35], v[32:33], v[32:33] op_sel:[0,1]
	v_pk_mov_b32 v[32:33], v[30:31], v[30:31] op_sel:[0,1]
	;; [unrolled: 1-line block ×16, first 2 shown]
	v_mov_b32_e32 v4, s2
	v_mov_b32_e32 v5, s2
	ds_write_b64 v1, v[2:3]
	v_pk_mov_b32 v[2:3], v[4:5], v[4:5] op_sel:[0,1]
	v_pk_mov_b32 v[4:5], v[6:7], v[6:7] op_sel:[0,1]
	;; [unrolled: 1-line block ×16, first 2 shown]
.LBB15_116:
	s_or_b64 exec, exec, s[0:1]
	v_mov_b32_e32 v46, 0
	s_waitcnt lgkmcnt(0)
	; wave barrier
	s_waitcnt lgkmcnt(0)
	ds_read2_b64 v[34:37], v46 offset0:17 offset1:18
	ds_read2_b64 v[38:41], v46 offset0:19 offset1:20
	;; [unrolled: 1-line block ×3, first 2 shown]
	s_and_b64 vcc, exec, s[46:47]
	s_waitcnt lgkmcnt(2)
	v_fma_f64 v[0:1], v[4:5], v[34:35], 0
	v_fmac_f64_e32 v[0:1], v[6:7], v[36:37]
	ds_read2_b64 v[34:37], v46 offset0:23 offset1:24
	s_waitcnt lgkmcnt(2)
	v_fmac_f64_e32 v[0:1], v[8:9], v[38:39]
	v_fmac_f64_e32 v[0:1], v[10:11], v[40:41]
	s_waitcnt lgkmcnt(1)
	v_fmac_f64_e32 v[0:1], v[12:13], v[42:43]
	ds_read2_b64 v[38:41], v46 offset0:25 offset1:26
	v_fmac_f64_e32 v[0:1], v[14:15], v[44:45]
	s_waitcnt lgkmcnt(1)
	v_fmac_f64_e32 v[0:1], v[16:17], v[34:35]
	v_fmac_f64_e32 v[0:1], v[18:19], v[36:37]
	ds_read2_b64 v[34:37], v46 offset0:27 offset1:28
	ds_read2_b64 v[42:45], v46 offset0:29 offset1:30
	s_waitcnt lgkmcnt(2)
	v_fmac_f64_e32 v[0:1], v[20:21], v[38:39]
	ds_read_b64 v[38:39], v46 offset:248
	v_fmac_f64_e32 v[0:1], v[22:23], v[40:41]
	s_waitcnt lgkmcnt(2)
	v_fmac_f64_e32 v[0:1], v[24:25], v[34:35]
	v_fmac_f64_e32 v[0:1], v[26:27], v[36:37]
	s_waitcnt lgkmcnt(1)
	v_fmac_f64_e32 v[0:1], v[28:29], v[42:43]
	;; [unrolled: 3-line block ×3, first 2 shown]
	v_add_f64 v[2:3], v[2:3], -v[0:1]
	s_cbranch_vccz .LBB15_148
; %bb.117:
	v_pk_mov_b32 v[0:1], s[44:45], s[44:45] op_sel:[0,1]
	flat_load_dword v0, v[0:1] offset:56
	s_waitcnt vmcnt(0) lgkmcnt(0)
	v_add_u32_e32 v0, -1, v0
	v_cmp_ne_u32_e32 vcc, 14, v0
	s_and_saveexec_b64 s[28:29], vcc
	s_cbranch_execz .LBB15_119
; %bb.118:
	v_cmp_eq_u32_e32 vcc, 1, v0
	v_cndmask_b32_e32 v1, v2, v4, vcc
	v_cmp_eq_u32_e64 s[0:1], 2, v0
	v_cndmask_b32_e32 v34, v3, v5, vcc
	v_cndmask_b32_e64 v1, v1, v6, s[0:1]
	v_cmp_eq_u32_e64 s[2:3], 3, v0
	v_cndmask_b32_e64 v34, v34, v7, s[0:1]
	v_cndmask_b32_e64 v1, v1, v8, s[2:3]
	v_cmp_eq_u32_e64 s[4:5], 4, v0
	v_cndmask_b32_e64 v34, v34, v9, s[2:3]
	;; [unrolled: 3-line block ×13, first 2 shown]
	v_cndmask_b32_e64 v1, v1, v32, s[26:27]
	v_cndmask_b32_e64 v34, v34, v33, s[26:27]
	;; [unrolled: 1-line block ×4, first 2 shown]
	v_cndmask_b32_e32 v33, v5, v31, vcc
	v_cndmask_b32_e32 v32, v4, v30, vcc
	v_cmp_eq_u32_e32 vcc, 0, v0
	v_cndmask_b32_e64 v59, v34, v31, s[24:25]
	v_cndmask_b32_e64 v58, v1, v30, s[24:25]
	v_cndmask_b32_e64 v57, v29, v31, s[22:23]
	v_cndmask_b32_e64 v56, v28, v30, s[22:23]
	v_cndmask_b32_e64 v55, v27, v31, s[20:21]
	v_cndmask_b32_e64 v54, v26, v30, s[20:21]
	v_cndmask_b32_e64 v53, v25, v31, s[18:19]
	v_cndmask_b32_e64 v52, v24, v30, s[18:19]
	v_cndmask_b32_e64 v51, v23, v31, s[16:17]
	v_cndmask_b32_e64 v50, v22, v30, s[16:17]
	v_cndmask_b32_e64 v49, v21, v31, s[14:15]
	v_cndmask_b32_e64 v48, v20, v30, s[14:15]
	v_cndmask_b32_e64 v47, v19, v31, s[12:13]
	v_cndmask_b32_e64 v46, v18, v30, s[12:13]
	v_cndmask_b32_e64 v45, v17, v31, s[10:11]
	v_cndmask_b32_e64 v44, v16, v30, s[10:11]
	v_cndmask_b32_e64 v43, v15, v31, s[8:9]
	v_cndmask_b32_e64 v42, v14, v30, s[8:9]
	v_cndmask_b32_e64 v41, v13, v31, s[6:7]
	v_cndmask_b32_e64 v40, v12, v30, s[6:7]
	v_cndmask_b32_e64 v39, v11, v31, s[4:5]
	v_cndmask_b32_e64 v38, v10, v30, s[4:5]
	v_cndmask_b32_e64 v37, v9, v31, s[2:3]
	v_cndmask_b32_e64 v36, v8, v30, s[2:3]
	v_cndmask_b32_e64 v35, v7, v31, s[0:1]
	v_cndmask_b32_e64 v34, v6, v30, s[0:1]
	v_cndmask_b32_e32 v31, v3, v31, vcc
	v_cndmask_b32_e32 v30, v2, v30, vcc
	v_pk_mov_b32 v[2:3], v[30:31], v[30:31] op_sel:[0,1]
	v_pk_mov_b32 v[4:5], v[32:33], v[32:33] op_sel:[0,1]
	v_pk_mov_b32 v[6:7], v[34:35], v[34:35] op_sel:[0,1]
	v_pk_mov_b32 v[8:9], v[36:37], v[36:37] op_sel:[0,1]
	v_pk_mov_b32 v[10:11], v[38:39], v[38:39] op_sel:[0,1]
	v_pk_mov_b32 v[12:13], v[40:41], v[40:41] op_sel:[0,1]
	v_pk_mov_b32 v[14:15], v[42:43], v[42:43] op_sel:[0,1]
	v_pk_mov_b32 v[16:17], v[44:45], v[44:45] op_sel:[0,1]
	v_pk_mov_b32 v[18:19], v[46:47], v[46:47] op_sel:[0,1]
	v_pk_mov_b32 v[20:21], v[48:49], v[48:49] op_sel:[0,1]
	v_pk_mov_b32 v[22:23], v[50:51], v[50:51] op_sel:[0,1]
	v_pk_mov_b32 v[24:25], v[52:53], v[52:53] op_sel:[0,1]
	v_pk_mov_b32 v[26:27], v[54:55], v[54:55] op_sel:[0,1]
	v_pk_mov_b32 v[28:29], v[56:57], v[56:57] op_sel:[0,1]
	v_pk_mov_b32 v[30:31], v[58:59], v[58:59] op_sel:[0,1]
	v_pk_mov_b32 v[32:33], v[60:61], v[60:61] op_sel:[0,1]
.LBB15_119:
	s_or_b64 exec, exec, s[28:29]
	v_pk_mov_b32 v[0:1], s[44:45], s[44:45] op_sel:[0,1]
	flat_load_dword v0, v[0:1] offset:52
	s_waitcnt vmcnt(0) lgkmcnt(0)
	v_add_u32_e32 v0, -1, v0
	v_cmp_ne_u32_e32 vcc, 13, v0
	s_and_saveexec_b64 s[28:29], vcc
	s_cbranch_execz .LBB15_121
; %bb.120:
	v_cmp_eq_u32_e32 vcc, 1, v0
	v_cndmask_b32_e32 v1, v2, v4, vcc
	v_cmp_eq_u32_e64 s[0:1], 2, v0
	v_cndmask_b32_e32 v34, v3, v5, vcc
	v_cndmask_b32_e64 v1, v1, v6, s[0:1]
	v_cmp_eq_u32_e64 s[2:3], 3, v0
	v_cndmask_b32_e64 v34, v34, v7, s[0:1]
	v_cndmask_b32_e64 v1, v1, v8, s[2:3]
	v_cmp_eq_u32_e64 s[4:5], 4, v0
	v_cndmask_b32_e64 v34, v34, v9, s[2:3]
	v_cndmask_b32_e64 v1, v1, v10, s[4:5]
	v_cmp_eq_u32_e64 s[6:7], 5, v0
	v_cndmask_b32_e64 v34, v34, v11, s[4:5]
	v_cndmask_b32_e64 v1, v1, v12, s[6:7]
	v_cmp_eq_u32_e64 s[8:9], 6, v0
	v_cndmask_b32_e64 v34, v34, v13, s[6:7]
	v_cndmask_b32_e64 v1, v1, v14, s[8:9]
	v_cmp_eq_u32_e64 s[10:11], 7, v0
	v_cndmask_b32_e64 v34, v34, v15, s[8:9]
	v_cndmask_b32_e64 v1, v1, v16, s[10:11]
	v_cmp_eq_u32_e64 s[12:13], 8, v0
	v_cndmask_b32_e64 v34, v34, v17, s[10:11]
	v_cndmask_b32_e64 v1, v1, v18, s[12:13]
	v_cmp_eq_u32_e64 s[14:15], 9, v0
	v_cndmask_b32_e64 v34, v34, v19, s[12:13]
	v_cndmask_b32_e64 v1, v1, v20, s[14:15]
	v_cmp_eq_u32_e64 s[16:17], 10, v0
	v_cndmask_b32_e64 v34, v34, v21, s[14:15]
	v_cndmask_b32_e64 v1, v1, v22, s[16:17]
	v_cmp_eq_u32_e64 s[18:19], 11, v0
	v_cndmask_b32_e64 v34, v34, v23, s[16:17]
	v_cndmask_b32_e64 v1, v1, v24, s[18:19]
	v_cmp_eq_u32_e64 s[20:21], 12, v0
	v_cndmask_b32_e64 v34, v34, v25, s[18:19]
	v_cndmask_b32_e64 v1, v1, v26, s[20:21]
	v_cmp_eq_u32_e64 s[22:23], 13, v0
	v_cndmask_b32_e64 v34, v34, v27, s[20:21]
	v_cndmask_b32_e64 v1, v1, v28, s[22:23]
	v_cmp_eq_u32_e64 s[24:25], 14, v0
	v_cndmask_b32_e64 v34, v34, v29, s[22:23]
	v_cndmask_b32_e64 v1, v1, v30, s[24:25]
	v_cmp_eq_u32_e64 s[26:27], 15, v0
	v_cndmask_b32_e64 v34, v34, v31, s[24:25]
	v_cndmask_b32_e64 v1, v1, v32, s[26:27]
	v_cndmask_b32_e64 v34, v34, v33, s[26:27]
	;; [unrolled: 1-line block ×4, first 2 shown]
	v_cndmask_b32_e32 v31, v5, v29, vcc
	v_cndmask_b32_e32 v30, v4, v28, vcc
	v_cmp_eq_u32_e32 vcc, 0, v0
	v_cndmask_b32_e64 v55, v34, v29, s[22:23]
	v_cndmask_b32_e64 v54, v1, v28, s[22:23]
	;; [unrolled: 1-line block ×26, first 2 shown]
	v_cndmask_b32_e32 v29, v3, v29, vcc
	v_cndmask_b32_e32 v28, v2, v28, vcc
	v_pk_mov_b32 v[2:3], v[28:29], v[28:29] op_sel:[0,1]
	v_pk_mov_b32 v[4:5], v[30:31], v[30:31] op_sel:[0,1]
	;; [unrolled: 1-line block ×16, first 2 shown]
.LBB15_121:
	s_or_b64 exec, exec, s[28:29]
	v_pk_mov_b32 v[0:1], s[44:45], s[44:45] op_sel:[0,1]
	flat_load_dword v0, v[0:1] offset:48
	s_waitcnt vmcnt(0) lgkmcnt(0)
	v_add_u32_e32 v0, -1, v0
	v_cmp_ne_u32_e32 vcc, 12, v0
	s_and_saveexec_b64 s[28:29], vcc
	s_cbranch_execz .LBB15_123
; %bb.122:
	v_cmp_eq_u32_e32 vcc, 1, v0
	v_cndmask_b32_e32 v1, v2, v4, vcc
	v_cmp_eq_u32_e64 s[0:1], 2, v0
	v_cndmask_b32_e32 v34, v3, v5, vcc
	v_cndmask_b32_e64 v1, v1, v6, s[0:1]
	v_cmp_eq_u32_e64 s[2:3], 3, v0
	v_cndmask_b32_e64 v34, v34, v7, s[0:1]
	v_cndmask_b32_e64 v1, v1, v8, s[2:3]
	v_cmp_eq_u32_e64 s[4:5], 4, v0
	v_cndmask_b32_e64 v34, v34, v9, s[2:3]
	;; [unrolled: 3-line block ×13, first 2 shown]
	v_cndmask_b32_e64 v1, v1, v32, s[26:27]
	v_cndmask_b32_e64 v34, v34, v33, s[26:27]
	;; [unrolled: 1-line block ×4, first 2 shown]
	v_cndmask_b32_e32 v29, v5, v27, vcc
	v_cndmask_b32_e32 v28, v4, v26, vcc
	v_cmp_eq_u32_e32 vcc, 0, v0
	v_cndmask_b32_e64 v51, v34, v27, s[20:21]
	v_cndmask_b32_e64 v50, v1, v26, s[20:21]
	;; [unrolled: 1-line block ×26, first 2 shown]
	v_cndmask_b32_e32 v27, v3, v27, vcc
	v_cndmask_b32_e32 v26, v2, v26, vcc
	v_pk_mov_b32 v[2:3], v[26:27], v[26:27] op_sel:[0,1]
	v_pk_mov_b32 v[4:5], v[28:29], v[28:29] op_sel:[0,1]
	;; [unrolled: 1-line block ×16, first 2 shown]
.LBB15_123:
	s_or_b64 exec, exec, s[28:29]
	v_pk_mov_b32 v[0:1], s[44:45], s[44:45] op_sel:[0,1]
	flat_load_dword v0, v[0:1] offset:44
	s_waitcnt vmcnt(0) lgkmcnt(0)
	v_add_u32_e32 v0, -1, v0
	v_cmp_ne_u32_e32 vcc, 11, v0
	s_and_saveexec_b64 s[28:29], vcc
	s_cbranch_execz .LBB15_125
; %bb.124:
	v_cmp_eq_u32_e32 vcc, 1, v0
	v_cndmask_b32_e32 v1, v2, v4, vcc
	v_cmp_eq_u32_e64 s[0:1], 2, v0
	v_cndmask_b32_e32 v34, v3, v5, vcc
	v_cndmask_b32_e64 v1, v1, v6, s[0:1]
	v_cmp_eq_u32_e64 s[2:3], 3, v0
	v_cndmask_b32_e64 v34, v34, v7, s[0:1]
	v_cndmask_b32_e64 v1, v1, v8, s[2:3]
	v_cmp_eq_u32_e64 s[4:5], 4, v0
	v_cndmask_b32_e64 v34, v34, v9, s[2:3]
	;; [unrolled: 3-line block ×13, first 2 shown]
	v_cndmask_b32_e64 v1, v1, v32, s[26:27]
	v_cndmask_b32_e64 v34, v34, v33, s[26:27]
	;; [unrolled: 1-line block ×4, first 2 shown]
	v_cndmask_b32_e32 v27, v5, v25, vcc
	v_cndmask_b32_e32 v26, v4, v24, vcc
	v_cmp_eq_u32_e32 vcc, 0, v0
	v_cndmask_b32_e64 v47, v34, v25, s[18:19]
	v_cndmask_b32_e64 v46, v1, v24, s[18:19]
	;; [unrolled: 1-line block ×26, first 2 shown]
	v_cndmask_b32_e32 v25, v3, v25, vcc
	v_cndmask_b32_e32 v24, v2, v24, vcc
	v_pk_mov_b32 v[2:3], v[24:25], v[24:25] op_sel:[0,1]
	v_pk_mov_b32 v[4:5], v[26:27], v[26:27] op_sel:[0,1]
	;; [unrolled: 1-line block ×16, first 2 shown]
.LBB15_125:
	s_or_b64 exec, exec, s[28:29]
	v_pk_mov_b32 v[0:1], s[44:45], s[44:45] op_sel:[0,1]
	flat_load_dword v0, v[0:1] offset:40
	s_waitcnt vmcnt(0) lgkmcnt(0)
	v_add_u32_e32 v0, -1, v0
	v_cmp_ne_u32_e32 vcc, 10, v0
	s_and_saveexec_b64 s[28:29], vcc
	s_cbranch_execz .LBB15_127
; %bb.126:
	v_cmp_eq_u32_e32 vcc, 1, v0
	v_cndmask_b32_e32 v1, v2, v4, vcc
	v_cmp_eq_u32_e64 s[0:1], 2, v0
	v_cndmask_b32_e32 v34, v3, v5, vcc
	v_cndmask_b32_e64 v1, v1, v6, s[0:1]
	v_cmp_eq_u32_e64 s[2:3], 3, v0
	v_cndmask_b32_e64 v34, v34, v7, s[0:1]
	v_cndmask_b32_e64 v1, v1, v8, s[2:3]
	v_cmp_eq_u32_e64 s[4:5], 4, v0
	v_cndmask_b32_e64 v34, v34, v9, s[2:3]
	;; [unrolled: 3-line block ×13, first 2 shown]
	v_cndmask_b32_e64 v1, v1, v32, s[26:27]
	v_cndmask_b32_e64 v34, v34, v33, s[26:27]
	;; [unrolled: 1-line block ×4, first 2 shown]
	v_cndmask_b32_e32 v25, v5, v23, vcc
	v_cndmask_b32_e32 v24, v4, v22, vcc
	v_cmp_eq_u32_e32 vcc, 0, v0
	v_cndmask_b32_e64 v43, v34, v23, s[16:17]
	v_cndmask_b32_e64 v42, v1, v22, s[16:17]
	;; [unrolled: 1-line block ×26, first 2 shown]
	v_cndmask_b32_e32 v23, v3, v23, vcc
	v_cndmask_b32_e32 v22, v2, v22, vcc
	v_pk_mov_b32 v[2:3], v[22:23], v[22:23] op_sel:[0,1]
	v_pk_mov_b32 v[4:5], v[24:25], v[24:25] op_sel:[0,1]
	;; [unrolled: 1-line block ×16, first 2 shown]
.LBB15_127:
	s_or_b64 exec, exec, s[28:29]
	v_pk_mov_b32 v[0:1], s[44:45], s[44:45] op_sel:[0,1]
	flat_load_dword v0, v[0:1] offset:36
	s_waitcnt vmcnt(0) lgkmcnt(0)
	v_add_u32_e32 v0, -1, v0
	v_cmp_ne_u32_e32 vcc, 9, v0
	s_and_saveexec_b64 s[28:29], vcc
	s_cbranch_execz .LBB15_129
; %bb.128:
	v_cmp_eq_u32_e32 vcc, 1, v0
	v_cndmask_b32_e32 v1, v2, v4, vcc
	v_cmp_eq_u32_e64 s[0:1], 2, v0
	v_cndmask_b32_e32 v34, v3, v5, vcc
	v_cndmask_b32_e64 v1, v1, v6, s[0:1]
	v_cmp_eq_u32_e64 s[2:3], 3, v0
	v_cndmask_b32_e64 v34, v34, v7, s[0:1]
	v_cndmask_b32_e64 v1, v1, v8, s[2:3]
	v_cmp_eq_u32_e64 s[4:5], 4, v0
	v_cndmask_b32_e64 v34, v34, v9, s[2:3]
	;; [unrolled: 3-line block ×13, first 2 shown]
	v_cndmask_b32_e64 v1, v1, v32, s[26:27]
	v_cndmask_b32_e64 v34, v34, v33, s[26:27]
	;; [unrolled: 1-line block ×4, first 2 shown]
	v_cndmask_b32_e32 v23, v5, v21, vcc
	v_cndmask_b32_e32 v22, v4, v20, vcc
	v_cmp_eq_u32_e32 vcc, 0, v0
	v_cndmask_b32_e64 v39, v34, v21, s[14:15]
	v_cndmask_b32_e64 v38, v1, v20, s[14:15]
	;; [unrolled: 1-line block ×26, first 2 shown]
	v_cndmask_b32_e32 v21, v3, v21, vcc
	v_cndmask_b32_e32 v20, v2, v20, vcc
	v_pk_mov_b32 v[2:3], v[20:21], v[20:21] op_sel:[0,1]
	v_pk_mov_b32 v[4:5], v[22:23], v[22:23] op_sel:[0,1]
	;; [unrolled: 1-line block ×16, first 2 shown]
.LBB15_129:
	s_or_b64 exec, exec, s[28:29]
	v_pk_mov_b32 v[0:1], s[44:45], s[44:45] op_sel:[0,1]
	flat_load_dword v0, v[0:1] offset:32
	s_waitcnt vmcnt(0) lgkmcnt(0)
	v_add_u32_e32 v0, -1, v0
	v_cmp_ne_u32_e32 vcc, 8, v0
	s_and_saveexec_b64 s[28:29], vcc
	s_cbranch_execz .LBB15_131
; %bb.130:
	v_cmp_eq_u32_e32 vcc, 1, v0
	v_cndmask_b32_e32 v1, v2, v4, vcc
	v_cmp_eq_u32_e64 s[0:1], 2, v0
	v_cndmask_b32_e32 v34, v3, v5, vcc
	v_cndmask_b32_e64 v1, v1, v6, s[0:1]
	v_cmp_eq_u32_e64 s[2:3], 3, v0
	v_cndmask_b32_e64 v34, v34, v7, s[0:1]
	v_cndmask_b32_e64 v1, v1, v8, s[2:3]
	v_cmp_eq_u32_e64 s[4:5], 4, v0
	v_cndmask_b32_e64 v34, v34, v9, s[2:3]
	;; [unrolled: 3-line block ×13, first 2 shown]
	v_cndmask_b32_e64 v1, v1, v32, s[26:27]
	v_cndmask_b32_e64 v34, v34, v33, s[26:27]
	;; [unrolled: 1-line block ×4, first 2 shown]
	v_cndmask_b32_e32 v21, v5, v19, vcc
	v_cndmask_b32_e32 v20, v4, v18, vcc
	v_cmp_eq_u32_e32 vcc, 0, v0
	v_cndmask_b32_e64 v35, v34, v19, s[12:13]
	v_cndmask_b32_e64 v34, v1, v18, s[12:13]
	v_cndmask_b32_e64 v49, v33, v19, s[26:27]
	v_cndmask_b32_e64 v48, v32, v18, s[26:27]
	v_cndmask_b32_e64 v47, v31, v19, s[24:25]
	v_cndmask_b32_e64 v46, v30, v18, s[24:25]
	v_cndmask_b32_e64 v45, v29, v19, s[22:23]
	v_cndmask_b32_e64 v44, v28, v18, s[22:23]
	v_cndmask_b32_e64 v43, v27, v19, s[20:21]
	v_cndmask_b32_e64 v42, v26, v18, s[20:21]
	v_cndmask_b32_e64 v41, v25, v19, s[18:19]
	v_cndmask_b32_e64 v40, v24, v18, s[18:19]
	v_cndmask_b32_e64 v39, v23, v19, s[16:17]
	v_cndmask_b32_e64 v38, v22, v18, s[16:17]
	v_cndmask_b32_e64 v33, v17, v19, s[10:11]
	v_cndmask_b32_e64 v32, v16, v18, s[10:11]
	v_cndmask_b32_e64 v31, v15, v19, s[8:9]
	v_cndmask_b32_e64 v30, v14, v18, s[8:9]
	v_cndmask_b32_e64 v29, v13, v19, s[6:7]
	v_cndmask_b32_e64 v28, v12, v18, s[6:7]
	v_cndmask_b32_e64 v27, v11, v19, s[4:5]
	v_cndmask_b32_e64 v26, v10, v18, s[4:5]
	v_cndmask_b32_e64 v25, v9, v19, s[2:3]
	v_cndmask_b32_e64 v24, v8, v18, s[2:3]
	v_cndmask_b32_e64 v23, v7, v19, s[0:1]
	v_cndmask_b32_e64 v22, v6, v18, s[0:1]
	v_cndmask_b32_e32 v19, v3, v19, vcc
	v_cndmask_b32_e32 v18, v2, v18, vcc
	v_pk_mov_b32 v[2:3], v[18:19], v[18:19] op_sel:[0,1]
	v_pk_mov_b32 v[4:5], v[20:21], v[20:21] op_sel:[0,1]
	;; [unrolled: 1-line block ×16, first 2 shown]
.LBB15_131:
	s_or_b64 exec, exec, s[28:29]
	v_pk_mov_b32 v[0:1], s[44:45], s[44:45] op_sel:[0,1]
	flat_load_dword v0, v[0:1] offset:28
	s_waitcnt vmcnt(0) lgkmcnt(0)
	v_add_u32_e32 v0, -1, v0
	v_cmp_ne_u32_e32 vcc, 7, v0
	s_and_saveexec_b64 s[28:29], vcc
	s_cbranch_execz .LBB15_133
; %bb.132:
	v_cmp_eq_u32_e32 vcc, 1, v0
	v_cndmask_b32_e32 v1, v2, v4, vcc
	v_cmp_eq_u32_e64 s[0:1], 2, v0
	v_cndmask_b32_e32 v34, v3, v5, vcc
	v_cndmask_b32_e64 v1, v1, v6, s[0:1]
	v_cmp_eq_u32_e64 s[2:3], 3, v0
	v_cndmask_b32_e64 v34, v34, v7, s[0:1]
	v_cndmask_b32_e64 v1, v1, v8, s[2:3]
	v_cmp_eq_u32_e64 s[4:5], 4, v0
	v_cndmask_b32_e64 v34, v34, v9, s[2:3]
	;; [unrolled: 3-line block ×13, first 2 shown]
	v_cndmask_b32_e64 v41, v23, v17, s[16:17]
	v_cndmask_b32_e64 v40, v22, v16, s[16:17]
	v_cndmask_b32_e32 v23, v5, v17, vcc
	v_cndmask_b32_e32 v22, v4, v16, vcc
	v_cmp_eq_u32_e32 vcc, 0, v0
	v_cndmask_b32_e64 v1, v1, v32, s[26:27]
	v_cndmask_b32_e64 v34, v34, v33, s[26:27]
	;; [unrolled: 1-line block ×24, first 2 shown]
	v_cndmask_b32_e32 v21, v3, v17, vcc
	v_cndmask_b32_e32 v20, v2, v16, vcc
	v_cndmask_b32_e64 v35, v34, v17, s[10:11]
	v_cndmask_b32_e64 v34, v1, v16, s[10:11]
	;; [unrolled: 1-line block ×4, first 2 shown]
	v_pk_mov_b32 v[2:3], v[20:21], v[20:21] op_sel:[0,1]
	v_pk_mov_b32 v[4:5], v[22:23], v[22:23] op_sel:[0,1]
	;; [unrolled: 1-line block ×16, first 2 shown]
.LBB15_133:
	s_or_b64 exec, exec, s[28:29]
	v_pk_mov_b32 v[0:1], s[44:45], s[44:45] op_sel:[0,1]
	flat_load_dword v0, v[0:1] offset:24
	s_waitcnt vmcnt(0) lgkmcnt(0)
	v_add_u32_e32 v0, -1, v0
	v_cmp_ne_u32_e32 vcc, 6, v0
	s_and_saveexec_b64 s[28:29], vcc
	s_cbranch_execz .LBB15_135
; %bb.134:
	v_cmp_eq_u32_e32 vcc, 1, v0
	v_cndmask_b32_e32 v1, v2, v4, vcc
	v_cmp_eq_u32_e64 s[0:1], 2, v0
	v_cndmask_b32_e32 v34, v3, v5, vcc
	v_cndmask_b32_e64 v1, v1, v6, s[0:1]
	v_cmp_eq_u32_e64 s[2:3], 3, v0
	v_cndmask_b32_e64 v34, v34, v7, s[0:1]
	v_cndmask_b32_e64 v1, v1, v8, s[2:3]
	v_cmp_eq_u32_e64 s[4:5], 4, v0
	v_cndmask_b32_e64 v34, v34, v9, s[2:3]
	v_cndmask_b32_e64 v1, v1, v10, s[4:5]
	v_cmp_eq_u32_e64 s[6:7], 5, v0
	v_cndmask_b32_e64 v34, v34, v11, s[4:5]
	v_cndmask_b32_e64 v1, v1, v12, s[6:7]
	v_cmp_eq_u32_e64 s[8:9], 6, v0
	v_cndmask_b32_e64 v34, v34, v13, s[6:7]
	v_cndmask_b32_e64 v1, v1, v14, s[8:9]
	v_cmp_eq_u32_e64 s[10:11], 7, v0
	v_cndmask_b32_e64 v34, v34, v15, s[8:9]
	v_cndmask_b32_e64 v1, v1, v16, s[10:11]
	v_cmp_eq_u32_e64 s[12:13], 8, v0
	v_cndmask_b32_e64 v34, v34, v17, s[10:11]
	v_cndmask_b32_e64 v1, v1, v18, s[12:13]
	v_cmp_eq_u32_e64 s[14:15], 9, v0
	v_cndmask_b32_e64 v34, v34, v19, s[12:13]
	v_cndmask_b32_e64 v1, v1, v20, s[14:15]
	v_cmp_eq_u32_e64 s[16:17], 10, v0
	v_cndmask_b32_e64 v34, v34, v21, s[14:15]
	v_cndmask_b32_e64 v1, v1, v22, s[16:17]
	v_cmp_eq_u32_e64 s[18:19], 11, v0
	v_cndmask_b32_e64 v34, v34, v23, s[16:17]
	v_cndmask_b32_e64 v1, v1, v24, s[18:19]
	v_cmp_eq_u32_e64 s[20:21], 12, v0
	v_cndmask_b32_e64 v34, v34, v25, s[18:19]
	v_cndmask_b32_e64 v1, v1, v26, s[20:21]
	v_cmp_eq_u32_e64 s[22:23], 13, v0
	v_cndmask_b32_e64 v34, v34, v27, s[20:21]
	v_cndmask_b32_e64 v1, v1, v28, s[22:23]
	v_cmp_eq_u32_e64 s[24:25], 14, v0
	v_cndmask_b32_e64 v34, v34, v29, s[22:23]
	v_cndmask_b32_e64 v1, v1, v30, s[24:25]
	v_cmp_eq_u32_e64 s[26:27], 15, v0
	v_cndmask_b32_e64 v34, v34, v31, s[24:25]
	v_cndmask_b32_e64 v45, v25, v15, s[18:19]
	v_cndmask_b32_e64 v44, v24, v14, s[18:19]
	v_cndmask_b32_e32 v25, v5, v15, vcc
	v_cndmask_b32_e32 v24, v4, v14, vcc
	v_cmp_eq_u32_e32 vcc, 0, v0
	v_cndmask_b32_e64 v1, v1, v32, s[26:27]
	v_cndmask_b32_e64 v34, v34, v33, s[26:27]
	;; [unrolled: 1-line block ×20, first 2 shown]
	v_cndmask_b32_e32 v23, v3, v15, vcc
	v_cndmask_b32_e32 v22, v2, v14, vcc
	v_cndmask_b32_e64 v35, v34, v15, s[8:9]
	v_cndmask_b32_e64 v34, v1, v14, s[8:9]
	;; [unrolled: 1-line block ×8, first 2 shown]
	v_pk_mov_b32 v[2:3], v[22:23], v[22:23] op_sel:[0,1]
	v_pk_mov_b32 v[4:5], v[24:25], v[24:25] op_sel:[0,1]
	;; [unrolled: 1-line block ×16, first 2 shown]
.LBB15_135:
	s_or_b64 exec, exec, s[28:29]
	v_pk_mov_b32 v[0:1], s[44:45], s[44:45] op_sel:[0,1]
	flat_load_dword v0, v[0:1] offset:20
	s_waitcnt vmcnt(0) lgkmcnt(0)
	v_add_u32_e32 v0, -1, v0
	v_cmp_ne_u32_e32 vcc, 5, v0
	s_and_saveexec_b64 s[28:29], vcc
	s_cbranch_execz .LBB15_137
; %bb.136:
	v_cmp_eq_u32_e32 vcc, 1, v0
	v_cndmask_b32_e32 v1, v2, v4, vcc
	v_cmp_eq_u32_e64 s[0:1], 2, v0
	v_cndmask_b32_e32 v34, v3, v5, vcc
	v_cndmask_b32_e64 v1, v1, v6, s[0:1]
	v_cmp_eq_u32_e64 s[2:3], 3, v0
	v_cndmask_b32_e64 v34, v34, v7, s[0:1]
	v_cndmask_b32_e64 v1, v1, v8, s[2:3]
	v_cmp_eq_u32_e64 s[4:5], 4, v0
	v_cndmask_b32_e64 v34, v34, v9, s[2:3]
	;; [unrolled: 3-line block ×13, first 2 shown]
	v_cndmask_b32_e64 v49, v27, v13, s[20:21]
	v_cndmask_b32_e64 v48, v26, v12, s[20:21]
	v_cndmask_b32_e32 v27, v5, v13, vcc
	v_cndmask_b32_e32 v26, v4, v12, vcc
	v_cmp_eq_u32_e32 vcc, 0, v0
	v_cndmask_b32_e64 v1, v1, v32, s[26:27]
	v_cndmask_b32_e64 v34, v34, v33, s[26:27]
	;; [unrolled: 1-line block ×16, first 2 shown]
	v_cndmask_b32_e32 v25, v3, v13, vcc
	v_cndmask_b32_e32 v24, v2, v12, vcc
	v_cndmask_b32_e64 v35, v34, v13, s[6:7]
	v_cndmask_b32_e64 v34, v1, v12, s[6:7]
	;; [unrolled: 1-line block ×12, first 2 shown]
	v_pk_mov_b32 v[2:3], v[24:25], v[24:25] op_sel:[0,1]
	v_pk_mov_b32 v[4:5], v[26:27], v[26:27] op_sel:[0,1]
	;; [unrolled: 1-line block ×16, first 2 shown]
.LBB15_137:
	s_or_b64 exec, exec, s[28:29]
	v_pk_mov_b32 v[0:1], s[44:45], s[44:45] op_sel:[0,1]
	flat_load_dword v0, v[0:1] offset:16
	s_waitcnt vmcnt(0) lgkmcnt(0)
	v_add_u32_e32 v0, -1, v0
	v_cmp_ne_u32_e32 vcc, 4, v0
	s_and_saveexec_b64 s[28:29], vcc
	s_cbranch_execz .LBB15_139
; %bb.138:
	v_cmp_eq_u32_e32 vcc, 1, v0
	v_cndmask_b32_e32 v1, v2, v4, vcc
	v_cmp_eq_u32_e64 s[0:1], 2, v0
	v_cndmask_b32_e32 v34, v3, v5, vcc
	v_cndmask_b32_e64 v1, v1, v6, s[0:1]
	v_cmp_eq_u32_e64 s[2:3], 3, v0
	v_cndmask_b32_e64 v34, v34, v7, s[0:1]
	v_cndmask_b32_e64 v1, v1, v8, s[2:3]
	v_cmp_eq_u32_e64 s[4:5], 4, v0
	v_cndmask_b32_e64 v34, v34, v9, s[2:3]
	v_cndmask_b32_e64 v1, v1, v10, s[4:5]
	v_cmp_eq_u32_e64 s[6:7], 5, v0
	v_cndmask_b32_e64 v34, v34, v11, s[4:5]
	v_cndmask_b32_e64 v1, v1, v12, s[6:7]
	v_cmp_eq_u32_e64 s[8:9], 6, v0
	v_cndmask_b32_e64 v34, v34, v13, s[6:7]
	v_cndmask_b32_e64 v1, v1, v14, s[8:9]
	v_cmp_eq_u32_e64 s[10:11], 7, v0
	v_cndmask_b32_e64 v34, v34, v15, s[8:9]
	v_cndmask_b32_e64 v1, v1, v16, s[10:11]
	v_cmp_eq_u32_e64 s[12:13], 8, v0
	v_cndmask_b32_e64 v34, v34, v17, s[10:11]
	v_cndmask_b32_e64 v1, v1, v18, s[12:13]
	v_cmp_eq_u32_e64 s[14:15], 9, v0
	v_cndmask_b32_e64 v34, v34, v19, s[12:13]
	v_cndmask_b32_e64 v1, v1, v20, s[14:15]
	v_cmp_eq_u32_e64 s[16:17], 10, v0
	v_cndmask_b32_e64 v34, v34, v21, s[14:15]
	v_cndmask_b32_e64 v1, v1, v22, s[16:17]
	v_cmp_eq_u32_e64 s[18:19], 11, v0
	v_cndmask_b32_e64 v34, v34, v23, s[16:17]
	v_cndmask_b32_e64 v1, v1, v24, s[18:19]
	v_cmp_eq_u32_e64 s[20:21], 12, v0
	v_cndmask_b32_e64 v34, v34, v25, s[18:19]
	v_cndmask_b32_e64 v1, v1, v26, s[20:21]
	v_cmp_eq_u32_e64 s[22:23], 13, v0
	v_cndmask_b32_e64 v34, v34, v27, s[20:21]
	v_cndmask_b32_e64 v1, v1, v28, s[22:23]
	v_cmp_eq_u32_e64 s[24:25], 14, v0
	v_cndmask_b32_e64 v34, v34, v29, s[22:23]
	v_cndmask_b32_e64 v1, v1, v30, s[24:25]
	v_cmp_eq_u32_e64 s[26:27], 15, v0
	v_cndmask_b32_e64 v34, v34, v31, s[24:25]
	v_cndmask_b32_e64 v53, v29, v11, s[22:23]
	v_cndmask_b32_e64 v52, v28, v10, s[22:23]
	v_cndmask_b32_e32 v29, v5, v11, vcc
	v_cndmask_b32_e32 v28, v4, v10, vcc
	v_cmp_eq_u32_e32 vcc, 0, v0
	v_cndmask_b32_e64 v1, v1, v32, s[26:27]
	v_cndmask_b32_e64 v34, v34, v33, s[26:27]
	;; [unrolled: 1-line block ×12, first 2 shown]
	v_cndmask_b32_e32 v27, v3, v11, vcc
	v_cndmask_b32_e32 v26, v2, v10, vcc
	v_cndmask_b32_e64 v35, v34, v11, s[4:5]
	v_cndmask_b32_e64 v34, v1, v10, s[4:5]
	;; [unrolled: 1-line block ×16, first 2 shown]
	v_pk_mov_b32 v[2:3], v[26:27], v[26:27] op_sel:[0,1]
	v_pk_mov_b32 v[4:5], v[28:29], v[28:29] op_sel:[0,1]
	;; [unrolled: 1-line block ×16, first 2 shown]
.LBB15_139:
	s_or_b64 exec, exec, s[28:29]
	v_pk_mov_b32 v[0:1], s[44:45], s[44:45] op_sel:[0,1]
	flat_load_dword v0, v[0:1] offset:12
	s_waitcnt vmcnt(0) lgkmcnt(0)
	v_add_u32_e32 v0, -1, v0
	v_cmp_ne_u32_e32 vcc, 3, v0
	s_and_saveexec_b64 s[28:29], vcc
	s_cbranch_execz .LBB15_141
; %bb.140:
	v_cmp_eq_u32_e32 vcc, 1, v0
	v_cndmask_b32_e32 v1, v2, v4, vcc
	v_cmp_eq_u32_e64 s[0:1], 2, v0
	v_cndmask_b32_e32 v34, v3, v5, vcc
	v_cndmask_b32_e64 v1, v1, v6, s[0:1]
	v_cmp_eq_u32_e64 s[2:3], 3, v0
	v_cndmask_b32_e64 v34, v34, v7, s[0:1]
	v_cndmask_b32_e64 v1, v1, v8, s[2:3]
	v_cmp_eq_u32_e64 s[4:5], 4, v0
	v_cndmask_b32_e64 v34, v34, v9, s[2:3]
	;; [unrolled: 3-line block ×13, first 2 shown]
	v_cndmask_b32_e64 v57, v31, v9, s[24:25]
	v_cndmask_b32_e64 v56, v30, v8, s[24:25]
	v_cndmask_b32_e32 v31, v5, v9, vcc
	v_cndmask_b32_e32 v30, v4, v8, vcc
	v_cmp_eq_u32_e32 vcc, 0, v0
	v_cndmask_b32_e64 v1, v1, v32, s[26:27]
	v_cndmask_b32_e64 v34, v34, v33, s[26:27]
	;; [unrolled: 1-line block ×8, first 2 shown]
	v_cndmask_b32_e32 v29, v3, v9, vcc
	v_cndmask_b32_e32 v28, v2, v8, vcc
	v_cndmask_b32_e64 v35, v34, v9, s[2:3]
	v_cndmask_b32_e64 v34, v1, v8, s[2:3]
	;; [unrolled: 1-line block ×20, first 2 shown]
	v_pk_mov_b32 v[2:3], v[28:29], v[28:29] op_sel:[0,1]
	v_pk_mov_b32 v[4:5], v[30:31], v[30:31] op_sel:[0,1]
	;; [unrolled: 1-line block ×16, first 2 shown]
.LBB15_141:
	s_or_b64 exec, exec, s[28:29]
	v_pk_mov_b32 v[0:1], s[44:45], s[44:45] op_sel:[0,1]
	flat_load_dword v0, v[0:1] offset:8
	s_waitcnt vmcnt(0) lgkmcnt(0)
	v_add_u32_e32 v0, -1, v0
	v_cmp_ne_u32_e32 vcc, 2, v0
	s_and_saveexec_b64 s[28:29], vcc
	s_cbranch_execz .LBB15_143
; %bb.142:
	v_cmp_eq_u32_e32 vcc, 1, v0
	v_cndmask_b32_e32 v1, v2, v4, vcc
	v_cmp_eq_u32_e64 s[0:1], 2, v0
	v_cndmask_b32_e32 v34, v3, v5, vcc
	v_cndmask_b32_e64 v1, v1, v6, s[0:1]
	v_cmp_eq_u32_e64 s[2:3], 3, v0
	v_cndmask_b32_e64 v34, v34, v7, s[0:1]
	v_cndmask_b32_e64 v1, v1, v8, s[2:3]
	v_cmp_eq_u32_e64 s[4:5], 4, v0
	v_cndmask_b32_e64 v34, v34, v9, s[2:3]
	;; [unrolled: 3-line block ×13, first 2 shown]
	v_cndmask_b32_e64 v1, v1, v32, s[26:27]
	v_cndmask_b32_e64 v34, v34, v33, s[26:27]
	;; [unrolled: 1-line block ×4, first 2 shown]
	v_cndmask_b32_e32 v33, v5, v7, vcc
	v_cndmask_b32_e32 v32, v4, v6, vcc
	v_cmp_eq_u32_e32 vcc, 0, v0
	v_cndmask_b32_e64 v59, v31, v7, s[24:25]
	v_cndmask_b32_e64 v58, v30, v6, s[24:25]
	v_cndmask_b32_e32 v31, v3, v7, vcc
	v_cndmask_b32_e32 v30, v2, v6, vcc
	v_cndmask_b32_e64 v35, v34, v7, s[0:1]
	v_cndmask_b32_e64 v34, v1, v6, s[0:1]
	;; [unrolled: 1-line block ×24, first 2 shown]
	v_pk_mov_b32 v[2:3], v[30:31], v[30:31] op_sel:[0,1]
	v_pk_mov_b32 v[4:5], v[32:33], v[32:33] op_sel:[0,1]
	;; [unrolled: 1-line block ×16, first 2 shown]
.LBB15_143:
	s_or_b64 exec, exec, s[28:29]
	v_pk_mov_b32 v[0:1], s[44:45], s[44:45] op_sel:[0,1]
	flat_load_dword v0, v[0:1] offset:4
	s_waitcnt vmcnt(0) lgkmcnt(0)
	v_add_u32_e32 v0, -1, v0
	v_cmp_ne_u32_e32 vcc, 1, v0
	s_and_saveexec_b64 s[28:29], vcc
	s_cbranch_execz .LBB15_145
; %bb.144:
	v_cmp_eq_u32_e32 vcc, 1, v0
	v_cndmask_b32_e32 v1, v2, v4, vcc
	v_cmp_eq_u32_e64 s[0:1], 2, v0
	v_cndmask_b32_e32 v34, v3, v5, vcc
	v_cndmask_b32_e64 v1, v1, v6, s[0:1]
	v_cmp_eq_u32_e64 s[2:3], 3, v0
	v_cndmask_b32_e64 v34, v34, v7, s[0:1]
	v_cndmask_b32_e64 v1, v1, v8, s[2:3]
	v_cmp_eq_u32_e64 s[4:5], 4, v0
	v_cndmask_b32_e64 v34, v34, v9, s[2:3]
	;; [unrolled: 3-line block ×13, first 2 shown]
	v_cndmask_b32_e64 v1, v1, v32, s[26:27]
	v_cndmask_b32_e64 v34, v34, v33, s[26:27]
	v_cndmask_b32_e32 v35, v34, v5, vcc
	v_cndmask_b32_e32 v34, v1, v4, vcc
	v_cmp_eq_u32_e32 vcc, 0, v0
	v_cndmask_b32_e64 v63, v33, v5, s[26:27]
	v_cndmask_b32_e64 v62, v32, v4, s[26:27]
	v_cndmask_b32_e32 v33, v3, v5, vcc
	v_cndmask_b32_e32 v32, v2, v4, vcc
	v_cndmask_b32_e64 v61, v31, v5, s[24:25]
	v_cndmask_b32_e64 v60, v30, v4, s[24:25]
	;; [unrolled: 1-line block ×26, first 2 shown]
	v_pk_mov_b32 v[2:3], v[32:33], v[32:33] op_sel:[0,1]
	v_pk_mov_b32 v[4:5], v[34:35], v[34:35] op_sel:[0,1]
	v_pk_mov_b32 v[6:7], v[36:37], v[36:37] op_sel:[0,1]
	v_pk_mov_b32 v[8:9], v[38:39], v[38:39] op_sel:[0,1]
	v_pk_mov_b32 v[10:11], v[40:41], v[40:41] op_sel:[0,1]
	v_pk_mov_b32 v[12:13], v[42:43], v[42:43] op_sel:[0,1]
	v_pk_mov_b32 v[14:15], v[44:45], v[44:45] op_sel:[0,1]
	v_pk_mov_b32 v[16:17], v[46:47], v[46:47] op_sel:[0,1]
	v_pk_mov_b32 v[18:19], v[48:49], v[48:49] op_sel:[0,1]
	v_pk_mov_b32 v[20:21], v[50:51], v[50:51] op_sel:[0,1]
	v_pk_mov_b32 v[22:23], v[52:53], v[52:53] op_sel:[0,1]
	v_pk_mov_b32 v[24:25], v[54:55], v[54:55] op_sel:[0,1]
	v_pk_mov_b32 v[26:27], v[56:57], v[56:57] op_sel:[0,1]
	v_pk_mov_b32 v[28:29], v[58:59], v[58:59] op_sel:[0,1]
	v_pk_mov_b32 v[30:31], v[60:61], v[60:61] op_sel:[0,1]
	v_pk_mov_b32 v[32:33], v[62:63], v[62:63] op_sel:[0,1]
.LBB15_145:
	s_or_b64 exec, exec, s[28:29]
	v_pk_mov_b32 v[0:1], s[44:45], s[44:45] op_sel:[0,1]
	flat_load_dword v0, v[0:1]
	s_waitcnt vmcnt(0) lgkmcnt(0)
	v_add_u32_e32 v0, -1, v0
	v_cmp_ne_u32_e32 vcc, 0, v0
	s_and_saveexec_b64 s[30:31], vcc
	s_cbranch_execz .LBB15_147
; %bb.146:
	v_cmp_eq_u32_e32 vcc, 1, v0
	v_cndmask_b32_e32 v1, v2, v4, vcc
	v_cmp_eq_u32_e64 s[0:1], 2, v0
	v_cndmask_b32_e32 v34, v3, v5, vcc
	v_cndmask_b32_e64 v1, v1, v6, s[0:1]
	v_cmp_eq_u32_e64 s[2:3], 3, v0
	v_cndmask_b32_e64 v34, v34, v7, s[0:1]
	v_cndmask_b32_e64 v1, v1, v8, s[2:3]
	v_cmp_eq_u32_e64 s[4:5], 4, v0
	v_cndmask_b32_e64 v34, v34, v9, s[2:3]
	;; [unrolled: 3-line block ×13, first 2 shown]
	v_cndmask_b32_e64 v1, v1, v32, s[26:27]
	v_cndmask_b32_e64 v34, v34, v33, s[26:27]
	v_cmp_eq_u32_e64 s[28:29], 0, v0
	v_cndmask_b32_e64 v35, v34, v3, s[28:29]
	v_cndmask_b32_e64 v34, v1, v2, s[28:29]
	;; [unrolled: 1-line block ×30, first 2 shown]
	v_cndmask_b32_e32 v37, v5, v3, vcc
	v_cndmask_b32_e32 v36, v4, v2, vcc
	v_pk_mov_b32 v[2:3], v[34:35], v[34:35] op_sel:[0,1]
	v_pk_mov_b32 v[4:5], v[36:37], v[36:37] op_sel:[0,1]
	;; [unrolled: 1-line block ×16, first 2 shown]
.LBB15_147:
	s_or_b64 exec, exec, s[30:31]
.LBB15_148:
	global_store_dwordx2 v[66:67], v[2:3], off
	global_store_dwordx2 v[68:69], v[4:5], off
	;; [unrolled: 1-line block ×16, first 2 shown]
	s_endpgm
	.section	.rodata,"a",@progbits
	.p2align	6, 0x0
	.amdhsa_kernel _ZN9rocsolver6v33100L18getri_kernel_smallILi16EdPdEEvT1_iilPiilS4_bb
		.amdhsa_group_segment_fixed_size 264
		.amdhsa_private_segment_fixed_size 0
		.amdhsa_kernarg_size 60
		.amdhsa_user_sgpr_count 6
		.amdhsa_user_sgpr_private_segment_buffer 1
		.amdhsa_user_sgpr_dispatch_ptr 0
		.amdhsa_user_sgpr_queue_ptr 0
		.amdhsa_user_sgpr_kernarg_segment_ptr 1
		.amdhsa_user_sgpr_dispatch_id 0
		.amdhsa_user_sgpr_flat_scratch_init 0
		.amdhsa_user_sgpr_kernarg_preload_length 0
		.amdhsa_user_sgpr_kernarg_preload_offset 0
		.amdhsa_user_sgpr_private_segment_size 0
		.amdhsa_uses_dynamic_stack 0
		.amdhsa_system_sgpr_private_segment_wavefront_offset 0
		.amdhsa_system_sgpr_workgroup_id_x 1
		.amdhsa_system_sgpr_workgroup_id_y 0
		.amdhsa_system_sgpr_workgroup_id_z 0
		.amdhsa_system_sgpr_workgroup_info 0
		.amdhsa_system_vgpr_workitem_id 0
		.amdhsa_next_free_vgpr 98
		.amdhsa_next_free_sgpr 54
		.amdhsa_accum_offset 100
		.amdhsa_reserve_vcc 1
		.amdhsa_reserve_flat_scratch 0
		.amdhsa_float_round_mode_32 0
		.amdhsa_float_round_mode_16_64 0
		.amdhsa_float_denorm_mode_32 3
		.amdhsa_float_denorm_mode_16_64 3
		.amdhsa_dx10_clamp 1
		.amdhsa_ieee_mode 1
		.amdhsa_fp16_overflow 0
		.amdhsa_tg_split 0
		.amdhsa_exception_fp_ieee_invalid_op 0
		.amdhsa_exception_fp_denorm_src 0
		.amdhsa_exception_fp_ieee_div_zero 0
		.amdhsa_exception_fp_ieee_overflow 0
		.amdhsa_exception_fp_ieee_underflow 0
		.amdhsa_exception_fp_ieee_inexact 0
		.amdhsa_exception_int_div_zero 0
	.end_amdhsa_kernel
	.section	.text._ZN9rocsolver6v33100L18getri_kernel_smallILi16EdPdEEvT1_iilPiilS4_bb,"axG",@progbits,_ZN9rocsolver6v33100L18getri_kernel_smallILi16EdPdEEvT1_iilPiilS4_bb,comdat
.Lfunc_end15:
	.size	_ZN9rocsolver6v33100L18getri_kernel_smallILi16EdPdEEvT1_iilPiilS4_bb, .Lfunc_end15-_ZN9rocsolver6v33100L18getri_kernel_smallILi16EdPdEEvT1_iilPiilS4_bb
                                        ; -- End function
	.section	.AMDGPU.csdata,"",@progbits
; Kernel info:
; codeLenInByte = 28140
; NumSgprs: 58
; NumVgprs: 98
; NumAgprs: 0
; TotalNumVgprs: 98
; ScratchSize: 0
; MemoryBound: 0
; FloatMode: 240
; IeeeMode: 1
; LDSByteSize: 264 bytes/workgroup (compile time only)
; SGPRBlocks: 7
; VGPRBlocks: 12
; NumSGPRsForWavesPerEU: 58
; NumVGPRsForWavesPerEU: 98
; AccumOffset: 100
; Occupancy: 4
; WaveLimiterHint : 0
; COMPUTE_PGM_RSRC2:SCRATCH_EN: 0
; COMPUTE_PGM_RSRC2:USER_SGPR: 6
; COMPUTE_PGM_RSRC2:TRAP_HANDLER: 0
; COMPUTE_PGM_RSRC2:TGID_X_EN: 1
; COMPUTE_PGM_RSRC2:TGID_Y_EN: 0
; COMPUTE_PGM_RSRC2:TGID_Z_EN: 0
; COMPUTE_PGM_RSRC2:TIDIG_COMP_CNT: 0
; COMPUTE_PGM_RSRC3_GFX90A:ACCUM_OFFSET: 24
; COMPUTE_PGM_RSRC3_GFX90A:TG_SPLIT: 0
	.section	.text._ZN9rocsolver6v33100L18getri_kernel_smallILi17EdPdEEvT1_iilPiilS4_bb,"axG",@progbits,_ZN9rocsolver6v33100L18getri_kernel_smallILi17EdPdEEvT1_iilPiilS4_bb,comdat
	.globl	_ZN9rocsolver6v33100L18getri_kernel_smallILi17EdPdEEvT1_iilPiilS4_bb ; -- Begin function _ZN9rocsolver6v33100L18getri_kernel_smallILi17EdPdEEvT1_iilPiilS4_bb
	.p2align	8
	.type	_ZN9rocsolver6v33100L18getri_kernel_smallILi17EdPdEEvT1_iilPiilS4_bb,@function
_ZN9rocsolver6v33100L18getri_kernel_smallILi17EdPdEEvT1_iilPiilS4_bb: ; @_ZN9rocsolver6v33100L18getri_kernel_smallILi17EdPdEEvT1_iilPiilS4_bb
; %bb.0:
	s_add_u32 flat_scratch_lo, s6, s9
	s_addc_u32 flat_scratch_hi, s7, 0
	s_add_u32 s0, s0, s9
	s_addc_u32 s1, s1, 0
	v_cmp_gt_u32_e32 vcc, 17, v0
	s_and_saveexec_b64 s[6:7], vcc
	s_cbranch_execz .LBB16_76
; %bb.1:
	s_load_dword s22, s[4:5], 0x38
	s_load_dwordx4 s[16:19], s[4:5], 0x10
	s_load_dwordx4 s[12:15], s[4:5], 0x28
                                        ; implicit-def: $sgpr10_sgpr11
	s_waitcnt lgkmcnt(0)
	s_bitcmp1_b32 s22, 8
	s_cselect_b64 s[20:21], -1, 0
	s_ashr_i32 s9, s8, 31
	s_bfe_u32 s6, s22, 0x10008
	s_cmp_eq_u32 s6, 0
	s_cbranch_scc1 .LBB16_3
; %bb.2:
	s_load_dword s6, s[4:5], 0x20
	s_mul_i32 s7, s8, s13
	s_mul_hi_u32 s10, s8, s12
	s_mul_i32 s11, s9, s12
	s_add_i32 s10, s10, s7
	s_add_i32 s11, s10, s11
	s_mul_i32 s10, s8, s12
	s_waitcnt lgkmcnt(0)
	s_ashr_i32 s7, s6, 31
	s_lshl_b64 s[10:11], s[10:11], 2
	s_add_u32 s10, s18, s10
	s_addc_u32 s11, s19, s11
	s_lshl_b64 s[6:7], s[6:7], 2
	s_add_u32 s10, s10, s6
	s_addc_u32 s11, s11, s7
.LBB16_3:
	s_load_dwordx4 s[4:7], s[4:5], 0x0
	s_mul_i32 s12, s8, s17
	s_mul_hi_u32 s13, s8, s16
	s_add_i32 s17, s13, s12
	v_lshlrev_b32_e32 v1, 3, v0
	s_waitcnt lgkmcnt(0)
	s_ashr_i32 s13, s6, 31
	s_mov_b32 s12, s6
	s_mul_i32 s6, s9, s16
	s_add_i32 s17, s17, s6
	s_mul_i32 s16, s8, s16
	s_lshl_b64 s[16:17], s[16:17], 3
	s_add_u32 s6, s4, s16
	s_addc_u32 s16, s5, s17
	s_lshl_b64 s[4:5], s[12:13], 3
	s_add_u32 s4, s6, s4
	s_addc_u32 s5, s16, s5
	v_mov_b32_e32 v3, s5
	v_add_co_u32_e32 v2, vcc, s4, v1
	s_ashr_i32 s13, s7, 31
	s_mov_b32 s12, s7
	s_add_i32 s6, s7, s7
	v_addc_co_u32_e32 v3, vcc, 0, v3, vcc
	s_lshl_b64 s[12:13], s[12:13], 3
	v_add_u32_e32 v8, s6, v0
	v_mov_b32_e32 v5, s13
	v_add_co_u32_e32 v4, vcc, s12, v2
	v_ashrrev_i32_e32 v9, 31, v8
	v_addc_co_u32_e32 v5, vcc, v3, v5, vcc
	v_lshlrev_b64 v[6:7], 3, v[8:9]
	v_add_u32_e32 v10, s7, v8
	v_mov_b32_e32 v9, s5
	v_add_co_u32_e32 v6, vcc, s4, v6
	v_ashrrev_i32_e32 v11, 31, v10
	v_addc_co_u32_e32 v7, vcc, v9, v7, vcc
	v_lshlrev_b64 v[8:9], 3, v[10:11]
	v_mov_b32_e32 v11, s5
	v_add_co_u32_e32 v8, vcc, s4, v8
	v_add_u32_e32 v10, s7, v10
	v_addc_co_u32_e32 v9, vcc, v11, v9, vcc
	v_ashrrev_i32_e32 v11, 31, v10
	v_add_u32_e32 v12, s7, v10
	v_lshlrev_b64 v[10:11], 3, v[10:11]
	v_mov_b32_e32 v15, s5
	v_ashrrev_i32_e32 v13, 31, v12
	v_add_co_u32_e32 v10, vcc, s4, v10
	v_add_u32_e32 v14, s7, v12
	v_addc_co_u32_e32 v11, vcc, v15, v11, vcc
	v_lshlrev_b64 v[12:13], 3, v[12:13]
	v_mov_b32_e32 v17, s5
	v_ashrrev_i32_e32 v15, 31, v14
	v_add_co_u32_e32 v12, vcc, s4, v12
	v_add_u32_e32 v16, s7, v14
	v_addc_co_u32_e32 v13, vcc, v17, v13, vcc
	;; [unrolled: 6-line block ×3, first 2 shown]
	v_lshlrev_b64 v[16:17], 3, v[16:17]
	v_mov_b32_e32 v19, s5
	v_ashrrev_i32_e32 v21, 31, v20
	v_add_co_u32_e32 v16, vcc, s4, v16
	v_addc_co_u32_e32 v17, vcc, v19, v17, vcc
	v_lshlrev_b64 v[18:19], 3, v[20:21]
	v_mov_b32_e32 v22, s5
	v_add_co_u32_e32 v18, vcc, s4, v18
	v_addc_co_u32_e32 v19, vcc, v22, v19, vcc
	v_add_u32_e32 v22, s7, v20
	v_ashrrev_i32_e32 v23, 31, v22
	v_lshlrev_b64 v[20:21], 3, v[22:23]
	v_add_u32_e32 v24, s7, v22
	v_mov_b32_e32 v23, s5
	v_add_co_u32_e32 v20, vcc, s4, v20
	v_ashrrev_i32_e32 v25, 31, v24
	v_addc_co_u32_e32 v21, vcc, v23, v21, vcc
	v_lshlrev_b64 v[22:23], 3, v[24:25]
	v_add_u32_e32 v26, s7, v24
	v_mov_b32_e32 v25, s5
	v_add_co_u32_e32 v22, vcc, s4, v22
	v_ashrrev_i32_e32 v27, 31, v26
	v_addc_co_u32_e32 v23, vcc, v25, v23, vcc
	;; [unrolled: 6-line block ×6, first 2 shown]
	v_lshlrev_b64 v[32:33], 3, v[34:35]
	v_mov_b32_e32 v35, s5
	v_add_co_u32_e32 v32, vcc, s4, v32
	global_load_dwordx2 v[36:37], v1, s[4:5]
	global_load_dwordx2 v[38:39], v[4:5], off
	global_load_dwordx2 v[40:41], v[6:7], off
	;; [unrolled: 1-line block ×12, first 2 shown]
	v_addc_co_u32_e32 v33, vcc, v35, v33, vcc
	global_load_dwordx2 v[62:63], v[28:29], off
	global_load_dwordx2 v[64:65], v[30:31], off
	;; [unrolled: 1-line block ×3, first 2 shown]
	v_add_u32_e32 v34, s7, v34
	v_ashrrev_i32_e32 v35, 31, v34
	v_lshlrev_b64 v[34:35], 3, v[34:35]
	v_mov_b32_e32 v68, s5
	v_add_co_u32_e32 v34, vcc, s4, v34
	v_addc_co_u32_e32 v35, vcc, v68, v35, vcc
	global_load_dwordx2 v[68:69], v[34:35], off
	s_bitcmp0_b32 s22, 0
	s_mov_b64 s[6:7], -1
	s_waitcnt vmcnt(16)
	buffer_store_dword v37, off, s[0:3], 0 offset:4
	buffer_store_dword v36, off, s[0:3], 0
	s_waitcnt vmcnt(17)
	buffer_store_dword v39, off, s[0:3], 0 offset:12
	buffer_store_dword v38, off, s[0:3], 0 offset:8
	s_waitcnt vmcnt(18)
	buffer_store_dword v41, off, s[0:3], 0 offset:20
	buffer_store_dword v40, off, s[0:3], 0 offset:16
	;; [unrolled: 3-line block ×16, first 2 shown]
	s_cbranch_scc1 .LBB16_74
; %bb.4:
	v_cmp_eq_u32_e64 s[4:5], 0, v0
	s_and_saveexec_b64 s[6:7], s[4:5]
	s_cbranch_execz .LBB16_6
; %bb.5:
	v_mov_b32_e32 v36, 0
	ds_write_b32 v36, v36 offset:136
.LBB16_6:
	s_or_b64 exec, exec, s[6:7]
	v_mov_b32_e32 v36, 0
	v_lshl_add_u32 v36, v0, 3, v36
	s_waitcnt lgkmcnt(0)
	; wave barrier
	s_waitcnt lgkmcnt(0)
	buffer_load_dword v38, v36, s[0:3], 0 offen
	buffer_load_dword v39, v36, s[0:3], 0 offen offset:4
	s_waitcnt vmcnt(0)
	v_cmp_eq_f64_e32 vcc, 0, v[38:39]
	s_and_saveexec_b64 s[12:13], vcc
	s_cbranch_execz .LBB16_10
; %bb.7:
	v_mov_b32_e32 v37, 0
	ds_read_b32 v39, v37 offset:136
	v_add_u32_e32 v38, 1, v0
	s_waitcnt lgkmcnt(0)
	v_readfirstlane_b32 s6, v39
	s_cmp_eq_u32 s6, 0
	s_cselect_b64 s[16:17], -1, 0
	v_cmp_gt_i32_e32 vcc, s6, v38
	s_or_b64 s[16:17], s[16:17], vcc
	s_and_b64 exec, exec, s[16:17]
	s_cbranch_execz .LBB16_10
; %bb.8:
	s_mov_b64 s[16:17], 0
	v_mov_b32_e32 v39, s6
.LBB16_9:                               ; =>This Inner Loop Header: Depth=1
	ds_cmpst_rtn_b32 v39, v37, v39, v38 offset:136
	s_waitcnt lgkmcnt(0)
	v_cmp_ne_u32_e32 vcc, 0, v39
	v_cmp_le_i32_e64 s[6:7], v39, v38
	s_and_b64 s[6:7], vcc, s[6:7]
	s_and_b64 s[6:7], exec, s[6:7]
	s_or_b64 s[16:17], s[6:7], s[16:17]
	s_andn2_b64 exec, exec, s[16:17]
	s_cbranch_execnz .LBB16_9
.LBB16_10:
	s_or_b64 exec, exec, s[12:13]
	v_mov_b32_e32 v38, 0
	s_waitcnt lgkmcnt(0)
	; wave barrier
	ds_read_b32 v37, v38 offset:136
	s_and_saveexec_b64 s[6:7], s[4:5]
	s_cbranch_execz .LBB16_12
; %bb.11:
	s_lshl_b64 s[12:13], s[8:9], 2
	s_add_u32 s12, s14, s12
	s_addc_u32 s13, s15, s13
	s_waitcnt lgkmcnt(0)
	global_store_dword v38, v37, s[12:13]
.LBB16_12:
	s_or_b64 exec, exec, s[6:7]
	s_waitcnt lgkmcnt(0)
	v_cmp_ne_u32_e32 vcc, 0, v37
	s_mov_b64 s[6:7], 0
	s_cbranch_vccnz .LBB16_74
; %bb.13:
	buffer_load_dword v38, v36, s[0:3], 0 offen
	buffer_load_dword v39, v36, s[0:3], 0 offen offset:4
	s_waitcnt vmcnt(0)
	v_div_scale_f64 v[40:41], s[6:7], v[38:39], v[38:39], 1.0
	v_rcp_f64_e32 v[42:43], v[40:41]
	v_div_scale_f64 v[44:45], vcc, 1.0, v[38:39], 1.0
	v_fma_f64 v[46:47], -v[40:41], v[42:43], 1.0
	v_fmac_f64_e32 v[42:43], v[42:43], v[46:47]
	v_fma_f64 v[46:47], -v[40:41], v[42:43], 1.0
	v_fmac_f64_e32 v[42:43], v[42:43], v[46:47]
	v_mul_f64 v[46:47], v[44:45], v[42:43]
	v_fma_f64 v[40:41], -v[40:41], v[46:47], v[44:45]
	v_div_fmas_f64 v[40:41], v[40:41], v[42:43], v[46:47]
	v_div_fixup_f64 v[40:41], v[40:41], v[38:39], 1.0
	buffer_store_dword v41, v36, s[0:3], 0 offen offset:4
	buffer_store_dword v40, v36, s[0:3], 0 offen
	buffer_load_dword v43, off, s[0:3], 0 offset:12
	buffer_load_dword v42, off, s[0:3], 0 offset:8
	v_add_u32_e32 v38, 0x90, v1
	v_xor_b32_e32 v41, 0x80000000, v41
	s_waitcnt vmcnt(0)
	ds_write2_b64 v1, v[40:41], v[42:43] offset1:18
	s_waitcnt lgkmcnt(0)
	; wave barrier
	s_waitcnt lgkmcnt(0)
	s_and_saveexec_b64 s[6:7], s[4:5]
	s_cbranch_execz .LBB16_15
; %bb.14:
	buffer_load_dword v40, v36, s[0:3], 0 offen
	buffer_load_dword v41, v36, s[0:3], 0 offen offset:4
	v_mov_b32_e32 v37, 0
	ds_read_b64 v[42:43], v38
	ds_read_b64 v[44:45], v37 offset:8
	s_waitcnt vmcnt(0) lgkmcnt(1)
	v_fma_f64 v[40:41], v[40:41], v[42:43], 0
	s_waitcnt lgkmcnt(0)
	v_mul_f64 v[40:41], v[40:41], v[44:45]
	buffer_store_dword v40, off, s[0:3], 0 offset:8
	buffer_store_dword v41, off, s[0:3], 0 offset:12
.LBB16_15:
	s_or_b64 exec, exec, s[6:7]
	s_waitcnt lgkmcnt(0)
	; wave barrier
	buffer_load_dword v40, off, s[0:3], 0 offset:16
	buffer_load_dword v41, off, s[0:3], 0 offset:20
	v_cmp_gt_u32_e32 vcc, 2, v0
	s_waitcnt vmcnt(0)
	ds_write_b64 v38, v[40:41]
	s_waitcnt lgkmcnt(0)
	; wave barrier
	s_waitcnt lgkmcnt(0)
	s_and_saveexec_b64 s[6:7], vcc
	s_cbranch_execz .LBB16_17
; %bb.16:
	buffer_load_dword v37, v36, s[0:3], 0 offen offset:4
	buffer_load_dword v44, off, s[0:3], 0 offset:8
	s_nop 0
	buffer_load_dword v36, v36, s[0:3], 0 offen
	s_nop 0
	buffer_load_dword v45, off, s[0:3], 0 offset:12
	ds_read_b64 v[46:47], v38
	v_mov_b32_e32 v39, 0
	ds_read2_b64 v[40:43], v39 offset0:2 offset1:19
	s_waitcnt vmcnt(1) lgkmcnt(1)
	v_fma_f64 v[36:37], v[36:37], v[46:47], 0
	s_waitcnt vmcnt(0) lgkmcnt(0)
	v_fma_f64 v[42:43], v[44:45], v[42:43], v[36:37]
	v_cndmask_b32_e64 v37, v37, v43, s[4:5]
	v_cndmask_b32_e64 v36, v36, v42, s[4:5]
	v_mul_f64 v[36:37], v[36:37], v[40:41]
	buffer_store_dword v37, off, s[0:3], 0 offset:20
	buffer_store_dword v36, off, s[0:3], 0 offset:16
.LBB16_17:
	s_or_b64 exec, exec, s[6:7]
	s_waitcnt lgkmcnt(0)
	; wave barrier
	buffer_load_dword v36, off, s[0:3], 0 offset:24
	buffer_load_dword v37, off, s[0:3], 0 offset:28
	v_cmp_gt_u32_e32 vcc, 3, v0
	v_add_u32_e32 v39, -1, v0
	s_waitcnt vmcnt(0)
	ds_write_b64 v38, v[36:37]
	s_waitcnt lgkmcnt(0)
	; wave barrier
	s_waitcnt lgkmcnt(0)
	s_and_saveexec_b64 s[4:5], vcc
	s_cbranch_execz .LBB16_21
; %bb.18:
	v_add_u32_e32 v40, -1, v0
	v_add_u32_e32 v41, 0x90, v1
	v_add_u32_e32 v42, 0, v1
	s_mov_b64 s[6:7], 0
	v_pk_mov_b32 v[36:37], 0, 0
.LBB16_19:                              ; =>This Inner Loop Header: Depth=1
	buffer_load_dword v44, v42, s[0:3], 0 offen
	buffer_load_dword v45, v42, s[0:3], 0 offen offset:4
	ds_read_b64 v[46:47], v41
	v_add_u32_e32 v40, 1, v40
	v_cmp_lt_u32_e32 vcc, 1, v40
	v_add_u32_e32 v41, 8, v41
	v_add_u32_e32 v42, 8, v42
	s_or_b64 s[6:7], vcc, s[6:7]
	s_waitcnt vmcnt(0) lgkmcnt(0)
	v_fmac_f64_e32 v[36:37], v[44:45], v[46:47]
	s_andn2_b64 exec, exec, s[6:7]
	s_cbranch_execnz .LBB16_19
; %bb.20:
	s_or_b64 exec, exec, s[6:7]
	v_mov_b32_e32 v40, 0
	ds_read_b64 v[40:41], v40 offset:24
	s_waitcnt lgkmcnt(0)
	v_mul_f64 v[36:37], v[36:37], v[40:41]
	buffer_store_dword v37, off, s[0:3], 0 offset:28
	buffer_store_dword v36, off, s[0:3], 0 offset:24
.LBB16_21:
	s_or_b64 exec, exec, s[4:5]
	s_waitcnt lgkmcnt(0)
	; wave barrier
	buffer_load_dword v36, off, s[0:3], 0 offset:32
	buffer_load_dword v37, off, s[0:3], 0 offset:36
	v_cmp_gt_u32_e32 vcc, 4, v0
	s_waitcnt vmcnt(0)
	ds_write_b64 v38, v[36:37]
	s_waitcnt lgkmcnt(0)
	; wave barrier
	s_waitcnt lgkmcnt(0)
	s_and_saveexec_b64 s[4:5], vcc
	s_cbranch_execz .LBB16_25
; %bb.22:
	v_add_u32_e32 v40, -1, v0
	v_add_u32_e32 v41, 0x90, v1
	v_add_u32_e32 v42, 0, v1
	s_mov_b64 s[6:7], 0
	v_pk_mov_b32 v[36:37], 0, 0
.LBB16_23:                              ; =>This Inner Loop Header: Depth=1
	buffer_load_dword v44, v42, s[0:3], 0 offen
	buffer_load_dword v45, v42, s[0:3], 0 offen offset:4
	ds_read_b64 v[46:47], v41
	v_add_u32_e32 v40, 1, v40
	v_cmp_lt_u32_e32 vcc, 2, v40
	v_add_u32_e32 v41, 8, v41
	v_add_u32_e32 v42, 8, v42
	s_or_b64 s[6:7], vcc, s[6:7]
	s_waitcnt vmcnt(0) lgkmcnt(0)
	v_fmac_f64_e32 v[36:37], v[44:45], v[46:47]
	s_andn2_b64 exec, exec, s[6:7]
	s_cbranch_execnz .LBB16_23
; %bb.24:
	s_or_b64 exec, exec, s[6:7]
	v_mov_b32_e32 v40, 0
	ds_read_b64 v[40:41], v40 offset:32
	s_waitcnt lgkmcnt(0)
	v_mul_f64 v[36:37], v[36:37], v[40:41]
	buffer_store_dword v37, off, s[0:3], 0 offset:36
	buffer_store_dword v36, off, s[0:3], 0 offset:32
.LBB16_25:
	s_or_b64 exec, exec, s[4:5]
	s_waitcnt lgkmcnt(0)
	; wave barrier
	buffer_load_dword v36, off, s[0:3], 0 offset:40
	buffer_load_dword v37, off, s[0:3], 0 offset:44
	v_cmp_gt_u32_e32 vcc, 5, v0
	;; [unrolled: 41-line block ×12, first 2 shown]
	s_waitcnt vmcnt(0)
	ds_write_b64 v38, v[36:37]
	s_waitcnt lgkmcnt(0)
	; wave barrier
	s_waitcnt lgkmcnt(0)
	s_and_saveexec_b64 s[4:5], vcc
	s_cbranch_execz .LBB16_69
; %bb.66:
	v_add_u32_e32 v40, -1, v0
	v_add_u32_e32 v41, 0x90, v1
	v_add_u32_e32 v42, 0, v1
	s_mov_b64 s[6:7], 0
	v_pk_mov_b32 v[36:37], 0, 0
.LBB16_67:                              ; =>This Inner Loop Header: Depth=1
	buffer_load_dword v44, v42, s[0:3], 0 offen
	buffer_load_dword v45, v42, s[0:3], 0 offen offset:4
	ds_read_b64 v[46:47], v41
	v_add_u32_e32 v40, 1, v40
	v_cmp_lt_u32_e32 vcc, 13, v40
	v_add_u32_e32 v41, 8, v41
	v_add_u32_e32 v42, 8, v42
	s_or_b64 s[6:7], vcc, s[6:7]
	s_waitcnt vmcnt(0) lgkmcnt(0)
	v_fmac_f64_e32 v[36:37], v[44:45], v[46:47]
	s_andn2_b64 exec, exec, s[6:7]
	s_cbranch_execnz .LBB16_67
; %bb.68:
	s_or_b64 exec, exec, s[6:7]
	v_mov_b32_e32 v40, 0
	ds_read_b64 v[40:41], v40 offset:120
	s_waitcnt lgkmcnt(0)
	v_mul_f64 v[36:37], v[36:37], v[40:41]
	buffer_store_dword v37, off, s[0:3], 0 offset:124
	buffer_store_dword v36, off, s[0:3], 0 offset:120
.LBB16_69:
	s_or_b64 exec, exec, s[4:5]
	s_waitcnt lgkmcnt(0)
	; wave barrier
	buffer_load_dword v36, off, s[0:3], 0 offset:128
	buffer_load_dword v37, off, s[0:3], 0 offset:132
	v_cmp_ne_u32_e32 vcc, 16, v0
	s_waitcnt vmcnt(0)
	ds_write_b64 v38, v[36:37]
	s_waitcnt lgkmcnt(0)
	; wave barrier
	s_waitcnt lgkmcnt(0)
	s_and_saveexec_b64 s[4:5], vcc
	s_cbranch_execz .LBB16_73
; %bb.70:
	v_add_u32_e32 v38, 0x90, v1
	v_add_u32_e32 v1, 0, v1
	s_mov_b64 s[6:7], 0
	v_pk_mov_b32 v[36:37], 0, 0
.LBB16_71:                              ; =>This Inner Loop Header: Depth=1
	buffer_load_dword v40, v1, s[0:3], 0 offen
	buffer_load_dword v41, v1, s[0:3], 0 offen offset:4
	ds_read_b64 v[42:43], v38
	v_add_u32_e32 v39, 1, v39
	v_cmp_lt_u32_e32 vcc, 14, v39
	v_add_u32_e32 v38, 8, v38
	v_add_u32_e32 v1, 8, v1
	s_or_b64 s[6:7], vcc, s[6:7]
	s_waitcnt vmcnt(0) lgkmcnt(0)
	v_fmac_f64_e32 v[36:37], v[40:41], v[42:43]
	s_andn2_b64 exec, exec, s[6:7]
	s_cbranch_execnz .LBB16_71
; %bb.72:
	s_or_b64 exec, exec, s[6:7]
	v_mov_b32_e32 v1, 0
	ds_read_b64 v[38:39], v1 offset:128
	s_waitcnt lgkmcnt(0)
	v_mul_f64 v[36:37], v[36:37], v[38:39]
	buffer_store_dword v37, off, s[0:3], 0 offset:132
	buffer_store_dword v36, off, s[0:3], 0 offset:128
.LBB16_73:
	s_or_b64 exec, exec, s[4:5]
	s_mov_b64 s[6:7], -1
	s_waitcnt lgkmcnt(0)
	; wave barrier
.LBB16_74:
	s_and_b64 vcc, exec, s[6:7]
	s_cbranch_vccz .LBB16_76
; %bb.75:
	s_lshl_b64 s[4:5], s[8:9], 2
	s_add_u32 s4, s14, s4
	s_addc_u32 s5, s15, s5
	v_mov_b32_e32 v1, 0
	global_load_dword v1, v1, s[4:5]
	s_waitcnt vmcnt(0)
	v_cmp_ne_u32_e32 vcc, 0, v1
	s_cbranch_vccz .LBB16_77
.LBB16_76:
	s_endpgm
.LBB16_77:
	v_mov_b32_e32 v1, 0x90
	v_lshl_add_u32 v1, v0, 3, v1
	v_cmp_eq_u32_e32 vcc, 16, v0
	s_and_saveexec_b64 s[4:5], vcc
	s_cbranch_execz .LBB16_79
; %bb.78:
	buffer_load_dword v36, off, s[0:3], 0 offset:120
	buffer_load_dword v37, off, s[0:3], 0 offset:124
	v_mov_b32_e32 v38, 0
	buffer_store_dword v38, off, s[0:3], 0 offset:120
	buffer_store_dword v38, off, s[0:3], 0 offset:124
	s_waitcnt vmcnt(2)
	ds_write_b64 v1, v[36:37]
.LBB16_79:
	s_or_b64 exec, exec, s[4:5]
	s_waitcnt lgkmcnt(0)
	; wave barrier
	s_waitcnt lgkmcnt(0)
	buffer_load_dword v38, off, s[0:3], 0 offset:128
	buffer_load_dword v39, off, s[0:3], 0 offset:132
	;; [unrolled: 1-line block ×4, first 2 shown]
	v_mov_b32_e32 v36, 0
	ds_read_b64 v[42:43], v36 offset:272
	v_cmp_lt_u32_e32 vcc, 14, v0
	s_waitcnt vmcnt(2) lgkmcnt(0)
	v_fma_f64 v[38:39], v[38:39], v[42:43], 0
	s_waitcnt vmcnt(0)
	v_add_f64 v[38:39], v[40:41], -v[38:39]
	buffer_store_dword v38, off, s[0:3], 0 offset:120
	buffer_store_dword v39, off, s[0:3], 0 offset:124
	s_and_saveexec_b64 s[4:5], vcc
	s_cbranch_execz .LBB16_81
; %bb.80:
	buffer_load_dword v38, off, s[0:3], 0 offset:112
	buffer_load_dword v39, off, s[0:3], 0 offset:116
	s_waitcnt vmcnt(0)
	ds_write_b64 v1, v[38:39]
	buffer_store_dword v36, off, s[0:3], 0 offset:112
	buffer_store_dword v36, off, s[0:3], 0 offset:116
.LBB16_81:
	s_or_b64 exec, exec, s[4:5]
	s_waitcnt lgkmcnt(0)
	; wave barrier
	s_waitcnt lgkmcnt(0)
	buffer_load_dword v40, off, s[0:3], 0 offset:120
	buffer_load_dword v41, off, s[0:3], 0 offset:124
	;; [unrolled: 1-line block ×6, first 2 shown]
	ds_read2_b64 v[36:39], v36 offset0:33 offset1:34
	v_cmp_lt_u32_e32 vcc, 13, v0
	s_waitcnt vmcnt(4) lgkmcnt(0)
	v_fma_f64 v[36:37], v[40:41], v[36:37], 0
	s_waitcnt vmcnt(2)
	v_fmac_f64_e32 v[36:37], v[42:43], v[38:39]
	s_waitcnt vmcnt(0)
	v_add_f64 v[36:37], v[44:45], -v[36:37]
	buffer_store_dword v36, off, s[0:3], 0 offset:112
	buffer_store_dword v37, off, s[0:3], 0 offset:116
	s_and_saveexec_b64 s[4:5], vcc
	s_cbranch_execz .LBB16_83
; %bb.82:
	buffer_load_dword v36, off, s[0:3], 0 offset:104
	buffer_load_dword v37, off, s[0:3], 0 offset:108
	v_mov_b32_e32 v38, 0
	buffer_store_dword v38, off, s[0:3], 0 offset:104
	buffer_store_dword v38, off, s[0:3], 0 offset:108
	s_waitcnt vmcnt(2)
	ds_write_b64 v1, v[36:37]
.LBB16_83:
	s_or_b64 exec, exec, s[4:5]
	s_waitcnt lgkmcnt(0)
	; wave barrier
	s_waitcnt lgkmcnt(0)
	buffer_load_dword v42, off, s[0:3], 0 offset:112
	buffer_load_dword v43, off, s[0:3], 0 offset:116
	;; [unrolled: 1-line block ×8, first 2 shown]
	v_mov_b32_e32 v36, 0
	ds_read_b128 v[38:41], v36 offset:256
	ds_read_b64 v[50:51], v36 offset:272
	v_cmp_lt_u32_e32 vcc, 12, v0
	s_waitcnt vmcnt(6) lgkmcnt(1)
	v_fma_f64 v[38:39], v[42:43], v[38:39], 0
	s_waitcnt vmcnt(4)
	v_fmac_f64_e32 v[38:39], v[44:45], v[40:41]
	s_waitcnt vmcnt(2) lgkmcnt(0)
	v_fmac_f64_e32 v[38:39], v[46:47], v[50:51]
	s_waitcnt vmcnt(0)
	v_add_f64 v[38:39], v[48:49], -v[38:39]
	buffer_store_dword v38, off, s[0:3], 0 offset:104
	buffer_store_dword v39, off, s[0:3], 0 offset:108
	s_and_saveexec_b64 s[4:5], vcc
	s_cbranch_execz .LBB16_85
; %bb.84:
	buffer_load_dword v38, off, s[0:3], 0 offset:96
	buffer_load_dword v39, off, s[0:3], 0 offset:100
	s_waitcnt vmcnt(0)
	ds_write_b64 v1, v[38:39]
	buffer_store_dword v36, off, s[0:3], 0 offset:96
	buffer_store_dword v36, off, s[0:3], 0 offset:100
.LBB16_85:
	s_or_b64 exec, exec, s[4:5]
	s_waitcnt lgkmcnt(0)
	; wave barrier
	s_waitcnt lgkmcnt(0)
	buffer_load_dword v46, off, s[0:3], 0 offset:104
	buffer_load_dword v47, off, s[0:3], 0 offset:108
	;; [unrolled: 1-line block ×10, first 2 shown]
	ds_read2_b64 v[38:41], v36 offset0:31 offset1:32
	ds_read2_b64 v[42:45], v36 offset0:33 offset1:34
	v_cmp_lt_u32_e32 vcc, 11, v0
	s_waitcnt vmcnt(8) lgkmcnt(1)
	v_fma_f64 v[36:37], v[46:47], v[38:39], 0
	s_waitcnt vmcnt(6)
	v_fmac_f64_e32 v[36:37], v[48:49], v[40:41]
	s_waitcnt vmcnt(4) lgkmcnt(0)
	v_fmac_f64_e32 v[36:37], v[50:51], v[42:43]
	s_waitcnt vmcnt(2)
	v_fmac_f64_e32 v[36:37], v[52:53], v[44:45]
	s_waitcnt vmcnt(0)
	v_add_f64 v[36:37], v[54:55], -v[36:37]
	buffer_store_dword v36, off, s[0:3], 0 offset:96
	buffer_store_dword v37, off, s[0:3], 0 offset:100
	s_and_saveexec_b64 s[4:5], vcc
	s_cbranch_execz .LBB16_87
; %bb.86:
	buffer_load_dword v36, off, s[0:3], 0 offset:88
	buffer_load_dword v37, off, s[0:3], 0 offset:92
	v_mov_b32_e32 v38, 0
	buffer_store_dword v38, off, s[0:3], 0 offset:88
	buffer_store_dword v38, off, s[0:3], 0 offset:92
	s_waitcnt vmcnt(2)
	ds_write_b64 v1, v[36:37]
.LBB16_87:
	s_or_b64 exec, exec, s[4:5]
	s_waitcnt lgkmcnt(0)
	; wave barrier
	s_waitcnt lgkmcnt(0)
	buffer_load_dword v46, off, s[0:3], 0 offset:96
	buffer_load_dword v47, off, s[0:3], 0 offset:100
	;; [unrolled: 1-line block ×12, first 2 shown]
	v_mov_b32_e32 v36, 0
	ds_read_b128 v[38:41], v36 offset:240
	ds_read_b128 v[42:45], v36 offset:256
	ds_read_b64 v[58:59], v36 offset:272
	v_cmp_lt_u32_e32 vcc, 10, v0
	s_waitcnt vmcnt(10) lgkmcnt(2)
	v_fma_f64 v[38:39], v[46:47], v[38:39], 0
	s_waitcnt vmcnt(8)
	v_fmac_f64_e32 v[38:39], v[48:49], v[40:41]
	s_waitcnt vmcnt(6) lgkmcnt(1)
	v_fmac_f64_e32 v[38:39], v[50:51], v[42:43]
	s_waitcnt vmcnt(4)
	v_fmac_f64_e32 v[38:39], v[52:53], v[44:45]
	s_waitcnt vmcnt(2) lgkmcnt(0)
	v_fmac_f64_e32 v[38:39], v[54:55], v[58:59]
	s_waitcnt vmcnt(0)
	v_add_f64 v[38:39], v[56:57], -v[38:39]
	buffer_store_dword v38, off, s[0:3], 0 offset:88
	buffer_store_dword v39, off, s[0:3], 0 offset:92
	s_and_saveexec_b64 s[4:5], vcc
	s_cbranch_execz .LBB16_89
; %bb.88:
	buffer_load_dword v38, off, s[0:3], 0 offset:80
	buffer_load_dword v39, off, s[0:3], 0 offset:84
	s_waitcnt vmcnt(0)
	ds_write_b64 v1, v[38:39]
	buffer_store_dword v36, off, s[0:3], 0 offset:80
	buffer_store_dword v36, off, s[0:3], 0 offset:84
.LBB16_89:
	s_or_b64 exec, exec, s[4:5]
	s_waitcnt lgkmcnt(0)
	; wave barrier
	s_waitcnt lgkmcnt(0)
	buffer_load_dword v50, off, s[0:3], 0 offset:88
	buffer_load_dword v51, off, s[0:3], 0 offset:92
	;; [unrolled: 1-line block ×14, first 2 shown]
	ds_read2_b64 v[38:41], v36 offset0:29 offset1:30
	ds_read2_b64 v[42:45], v36 offset0:31 offset1:32
	;; [unrolled: 1-line block ×3, first 2 shown]
	v_cmp_lt_u32_e32 vcc, 9, v0
	s_waitcnt vmcnt(12) lgkmcnt(2)
	v_fma_f64 v[36:37], v[50:51], v[38:39], 0
	s_waitcnt vmcnt(10)
	v_fmac_f64_e32 v[36:37], v[52:53], v[40:41]
	s_waitcnt vmcnt(8) lgkmcnt(1)
	v_fmac_f64_e32 v[36:37], v[54:55], v[42:43]
	s_waitcnt vmcnt(6)
	v_fmac_f64_e32 v[36:37], v[56:57], v[44:45]
	s_waitcnt vmcnt(4) lgkmcnt(0)
	v_fmac_f64_e32 v[36:37], v[58:59], v[46:47]
	s_waitcnt vmcnt(2)
	v_fmac_f64_e32 v[36:37], v[60:61], v[48:49]
	s_waitcnt vmcnt(0)
	v_add_f64 v[36:37], v[62:63], -v[36:37]
	buffer_store_dword v36, off, s[0:3], 0 offset:80
	buffer_store_dword v37, off, s[0:3], 0 offset:84
	s_and_saveexec_b64 s[4:5], vcc
	s_cbranch_execz .LBB16_91
; %bb.90:
	buffer_load_dword v36, off, s[0:3], 0 offset:72
	buffer_load_dword v37, off, s[0:3], 0 offset:76
	v_mov_b32_e32 v38, 0
	buffer_store_dword v38, off, s[0:3], 0 offset:72
	buffer_store_dword v38, off, s[0:3], 0 offset:76
	s_waitcnt vmcnt(2)
	ds_write_b64 v1, v[36:37]
.LBB16_91:
	s_or_b64 exec, exec, s[4:5]
	s_waitcnt lgkmcnt(0)
	; wave barrier
	s_waitcnt lgkmcnt(0)
	buffer_load_dword v50, off, s[0:3], 0 offset:80
	buffer_load_dword v51, off, s[0:3], 0 offset:84
	;; [unrolled: 1-line block ×16, first 2 shown]
	v_mov_b32_e32 v36, 0
	ds_read_b128 v[38:41], v36 offset:224
	ds_read_b128 v[42:45], v36 offset:240
	;; [unrolled: 1-line block ×3, first 2 shown]
	ds_read_b64 v[66:67], v36 offset:272
	v_cmp_lt_u32_e32 vcc, 8, v0
	s_waitcnt vmcnt(14) lgkmcnt(3)
	v_fma_f64 v[38:39], v[50:51], v[38:39], 0
	s_waitcnt vmcnt(12)
	v_fmac_f64_e32 v[38:39], v[52:53], v[40:41]
	s_waitcnt vmcnt(10) lgkmcnt(2)
	v_fmac_f64_e32 v[38:39], v[54:55], v[42:43]
	s_waitcnt vmcnt(8)
	v_fmac_f64_e32 v[38:39], v[56:57], v[44:45]
	s_waitcnt vmcnt(6) lgkmcnt(1)
	v_fmac_f64_e32 v[38:39], v[58:59], v[46:47]
	;; [unrolled: 4-line block ×3, first 2 shown]
	s_waitcnt vmcnt(0)
	v_add_f64 v[38:39], v[64:65], -v[38:39]
	buffer_store_dword v38, off, s[0:3], 0 offset:72
	buffer_store_dword v39, off, s[0:3], 0 offset:76
	s_and_saveexec_b64 s[4:5], vcc
	s_cbranch_execz .LBB16_93
; %bb.92:
	buffer_load_dword v38, off, s[0:3], 0 offset:64
	buffer_load_dword v39, off, s[0:3], 0 offset:68
	s_waitcnt vmcnt(0)
	ds_write_b64 v1, v[38:39]
	buffer_store_dword v36, off, s[0:3], 0 offset:64
	buffer_store_dword v36, off, s[0:3], 0 offset:68
.LBB16_93:
	s_or_b64 exec, exec, s[4:5]
	s_waitcnt lgkmcnt(0)
	; wave barrier
	s_waitcnt lgkmcnt(0)
	buffer_load_dword v54, off, s[0:3], 0 offset:72
	buffer_load_dword v55, off, s[0:3], 0 offset:76
	buffer_load_dword v56, off, s[0:3], 0 offset:80
	buffer_load_dword v57, off, s[0:3], 0 offset:84
	buffer_load_dword v58, off, s[0:3], 0 offset:88
	buffer_load_dword v59, off, s[0:3], 0 offset:92
	buffer_load_dword v60, off, s[0:3], 0 offset:96
	buffer_load_dword v61, off, s[0:3], 0 offset:100
	buffer_load_dword v62, off, s[0:3], 0 offset:104
	buffer_load_dword v63, off, s[0:3], 0 offset:108
	buffer_load_dword v64, off, s[0:3], 0 offset:112
	buffer_load_dword v65, off, s[0:3], 0 offset:116
	buffer_load_dword v66, off, s[0:3], 0 offset:120
	buffer_load_dword v67, off, s[0:3], 0 offset:124
	buffer_load_dword v69, off, s[0:3], 0 offset:132
	buffer_load_dword v68, off, s[0:3], 0 offset:128
	buffer_load_dword v70, off, s[0:3], 0 offset:64
	buffer_load_dword v71, off, s[0:3], 0 offset:68
	ds_read2_b64 v[38:41], v36 offset0:27 offset1:28
	ds_read2_b64 v[42:45], v36 offset0:29 offset1:30
	;; [unrolled: 1-line block ×4, first 2 shown]
	v_cmp_lt_u32_e32 vcc, 7, v0
	s_waitcnt vmcnt(16) lgkmcnt(3)
	v_fma_f64 v[36:37], v[54:55], v[38:39], 0
	s_waitcnt vmcnt(14)
	v_fmac_f64_e32 v[36:37], v[56:57], v[40:41]
	s_waitcnt vmcnt(12) lgkmcnt(2)
	v_fmac_f64_e32 v[36:37], v[58:59], v[42:43]
	s_waitcnt vmcnt(10)
	v_fmac_f64_e32 v[36:37], v[60:61], v[44:45]
	s_waitcnt vmcnt(8) lgkmcnt(1)
	v_fmac_f64_e32 v[36:37], v[62:63], v[46:47]
	;; [unrolled: 4-line block ×3, first 2 shown]
	s_waitcnt vmcnt(2)
	v_fmac_f64_e32 v[36:37], v[68:69], v[52:53]
	s_waitcnt vmcnt(0)
	v_add_f64 v[36:37], v[70:71], -v[36:37]
	buffer_store_dword v36, off, s[0:3], 0 offset:64
	buffer_store_dword v37, off, s[0:3], 0 offset:68
	s_and_saveexec_b64 s[4:5], vcc
	s_cbranch_execz .LBB16_95
; %bb.94:
	buffer_load_dword v36, off, s[0:3], 0 offset:56
	buffer_load_dword v37, off, s[0:3], 0 offset:60
	v_mov_b32_e32 v38, 0
	buffer_store_dword v38, off, s[0:3], 0 offset:56
	buffer_store_dword v38, off, s[0:3], 0 offset:60
	s_waitcnt vmcnt(2)
	ds_write_b64 v1, v[36:37]
.LBB16_95:
	s_or_b64 exec, exec, s[4:5]
	s_waitcnt lgkmcnt(0)
	; wave barrier
	s_waitcnt lgkmcnt(0)
	buffer_load_dword v54, off, s[0:3], 0 offset:64
	buffer_load_dword v55, off, s[0:3], 0 offset:68
	;; [unrolled: 1-line block ×20, first 2 shown]
	v_mov_b32_e32 v36, 0
	ds_read_b128 v[38:41], v36 offset:208
	ds_read_b128 v[42:45], v36 offset:224
	;; [unrolled: 1-line block ×4, first 2 shown]
	ds_read_b64 v[74:75], v36 offset:272
	v_cmp_lt_u32_e32 vcc, 6, v0
	s_waitcnt vmcnt(18) lgkmcnt(4)
	v_fma_f64 v[38:39], v[54:55], v[38:39], 0
	s_waitcnt vmcnt(16)
	v_fmac_f64_e32 v[38:39], v[56:57], v[40:41]
	s_waitcnt vmcnt(14) lgkmcnt(3)
	v_fmac_f64_e32 v[38:39], v[58:59], v[42:43]
	s_waitcnt vmcnt(12)
	v_fmac_f64_e32 v[38:39], v[60:61], v[44:45]
	s_waitcnt vmcnt(10) lgkmcnt(2)
	v_fmac_f64_e32 v[38:39], v[62:63], v[46:47]
	;; [unrolled: 4-line block ×3, first 2 shown]
	s_waitcnt vmcnt(2)
	v_fmac_f64_e32 v[38:39], v[70:71], v[52:53]
	s_waitcnt lgkmcnt(0)
	v_fmac_f64_e32 v[38:39], v[68:69], v[74:75]
	s_waitcnt vmcnt(0)
	v_add_f64 v[38:39], v[72:73], -v[38:39]
	buffer_store_dword v38, off, s[0:3], 0 offset:56
	buffer_store_dword v39, off, s[0:3], 0 offset:60
	s_and_saveexec_b64 s[4:5], vcc
	s_cbranch_execz .LBB16_97
; %bb.96:
	buffer_load_dword v38, off, s[0:3], 0 offset:48
	buffer_load_dword v39, off, s[0:3], 0 offset:52
	s_waitcnt vmcnt(0)
	ds_write_b64 v1, v[38:39]
	buffer_store_dword v36, off, s[0:3], 0 offset:48
	buffer_store_dword v36, off, s[0:3], 0 offset:52
.LBB16_97:
	s_or_b64 exec, exec, s[4:5]
	s_waitcnt lgkmcnt(0)
	; wave barrier
	s_waitcnt lgkmcnt(0)
	buffer_load_dword v58, off, s[0:3], 0 offset:56
	buffer_load_dword v59, off, s[0:3], 0 offset:60
	;; [unrolled: 1-line block ×22, first 2 shown]
	ds_read2_b64 v[38:41], v36 offset0:25 offset1:26
	ds_read2_b64 v[42:45], v36 offset0:27 offset1:28
	ds_read2_b64 v[46:49], v36 offset0:29 offset1:30
	ds_read2_b64 v[50:53], v36 offset0:31 offset1:32
	ds_read2_b64 v[54:57], v36 offset0:33 offset1:34
	v_cmp_lt_u32_e32 vcc, 5, v0
	s_waitcnt vmcnt(20) lgkmcnt(4)
	v_fma_f64 v[36:37], v[58:59], v[38:39], 0
	s_waitcnt vmcnt(18)
	v_fmac_f64_e32 v[36:37], v[60:61], v[40:41]
	s_waitcnt vmcnt(16) lgkmcnt(3)
	v_fmac_f64_e32 v[36:37], v[62:63], v[42:43]
	s_waitcnt vmcnt(14)
	v_fmac_f64_e32 v[36:37], v[64:65], v[44:45]
	s_waitcnt vmcnt(12) lgkmcnt(2)
	v_fmac_f64_e32 v[36:37], v[66:67], v[46:47]
	;; [unrolled: 4-line block ×3, first 2 shown]
	s_waitcnt vmcnt(3)
	v_fmac_f64_e32 v[36:37], v[76:77], v[52:53]
	s_waitcnt lgkmcnt(0)
	v_fmac_f64_e32 v[36:37], v[74:75], v[54:55]
	s_waitcnt vmcnt(2)
	v_fmac_f64_e32 v[36:37], v[72:73], v[56:57]
	s_waitcnt vmcnt(0)
	v_add_f64 v[36:37], v[78:79], -v[36:37]
	buffer_store_dword v36, off, s[0:3], 0 offset:48
	buffer_store_dword v37, off, s[0:3], 0 offset:52
	s_and_saveexec_b64 s[4:5], vcc
	s_cbranch_execz .LBB16_99
; %bb.98:
	buffer_load_dword v36, off, s[0:3], 0 offset:40
	buffer_load_dword v37, off, s[0:3], 0 offset:44
	v_mov_b32_e32 v38, 0
	buffer_store_dword v38, off, s[0:3], 0 offset:40
	buffer_store_dword v38, off, s[0:3], 0 offset:44
	s_waitcnt vmcnt(2)
	ds_write_b64 v1, v[36:37]
.LBB16_99:
	s_or_b64 exec, exec, s[4:5]
	s_waitcnt lgkmcnt(0)
	; wave barrier
	s_waitcnt lgkmcnt(0)
	buffer_load_dword v58, off, s[0:3], 0 offset:48
	buffer_load_dword v59, off, s[0:3], 0 offset:52
	;; [unrolled: 1-line block ×24, first 2 shown]
	v_mov_b32_e32 v36, 0
	ds_read_b128 v[38:41], v36 offset:192
	ds_read_b128 v[42:45], v36 offset:208
	;; [unrolled: 1-line block ×5, first 2 shown]
	ds_read_b64 v[82:83], v36 offset:272
	v_cmp_lt_u32_e32 vcc, 4, v0
	s_waitcnt vmcnt(22) lgkmcnt(5)
	v_fma_f64 v[38:39], v[58:59], v[38:39], 0
	s_waitcnt vmcnt(20)
	v_fmac_f64_e32 v[38:39], v[60:61], v[40:41]
	s_waitcnt vmcnt(18) lgkmcnt(4)
	v_fmac_f64_e32 v[38:39], v[62:63], v[42:43]
	s_waitcnt vmcnt(16)
	v_fmac_f64_e32 v[38:39], v[64:65], v[44:45]
	s_waitcnt vmcnt(14) lgkmcnt(3)
	v_fmac_f64_e32 v[38:39], v[66:67], v[46:47]
	;; [unrolled: 4-line block ×3, first 2 shown]
	s_waitcnt vmcnt(4)
	v_fmac_f64_e32 v[38:39], v[78:79], v[52:53]
	s_waitcnt lgkmcnt(1)
	v_fmac_f64_e32 v[38:39], v[76:77], v[54:55]
	s_waitcnt vmcnt(3)
	v_fmac_f64_e32 v[38:39], v[74:75], v[56:57]
	s_waitcnt vmcnt(2) lgkmcnt(0)
	v_fmac_f64_e32 v[38:39], v[72:73], v[82:83]
	s_waitcnt vmcnt(0)
	v_add_f64 v[38:39], v[80:81], -v[38:39]
	buffer_store_dword v39, off, s[0:3], 0 offset:44
	buffer_store_dword v38, off, s[0:3], 0 offset:40
	s_and_saveexec_b64 s[4:5], vcc
	s_cbranch_execz .LBB16_101
; %bb.100:
	buffer_load_dword v38, off, s[0:3], 0 offset:32
	buffer_load_dword v39, off, s[0:3], 0 offset:36
	s_waitcnt vmcnt(0)
	ds_write_b64 v1, v[38:39]
	buffer_store_dword v36, off, s[0:3], 0 offset:32
	buffer_store_dword v36, off, s[0:3], 0 offset:36
.LBB16_101:
	s_or_b64 exec, exec, s[4:5]
	s_waitcnt lgkmcnt(0)
	; wave barrier
	s_waitcnt lgkmcnt(0)
	buffer_load_dword v62, off, s[0:3], 0 offset:40
	buffer_load_dword v63, off, s[0:3], 0 offset:44
	;; [unrolled: 1-line block ×26, first 2 shown]
	ds_read2_b64 v[38:41], v36 offset0:23 offset1:24
	ds_read2_b64 v[42:45], v36 offset0:25 offset1:26
	;; [unrolled: 1-line block ×6, first 2 shown]
	v_cmp_lt_u32_e32 vcc, 3, v0
	s_waitcnt vmcnt(24) lgkmcnt(5)
	v_fma_f64 v[36:37], v[62:63], v[38:39], 0
	s_waitcnt vmcnt(22)
	v_fmac_f64_e32 v[36:37], v[64:65], v[40:41]
	s_waitcnt vmcnt(20) lgkmcnt(4)
	v_fmac_f64_e32 v[36:37], v[66:67], v[42:43]
	s_waitcnt vmcnt(18)
	v_fmac_f64_e32 v[36:37], v[68:69], v[44:45]
	s_waitcnt vmcnt(16) lgkmcnt(3)
	v_fmac_f64_e32 v[36:37], v[70:71], v[46:47]
	;; [unrolled: 4-line block ×3, first 2 shown]
	s_waitcnt vmcnt(5)
	v_fmac_f64_e32 v[36:37], v[82:83], v[52:53]
	s_waitcnt lgkmcnt(1)
	v_fmac_f64_e32 v[36:37], v[80:81], v[54:55]
	v_fmac_f64_e32 v[36:37], v[78:79], v[56:57]
	s_waitcnt vmcnt(4) lgkmcnt(0)
	v_fmac_f64_e32 v[36:37], v[76:77], v[58:59]
	s_waitcnt vmcnt(2)
	v_fmac_f64_e32 v[36:37], v[84:85], v[60:61]
	s_waitcnt vmcnt(0)
	v_add_f64 v[36:37], v[86:87], -v[36:37]
	buffer_store_dword v37, off, s[0:3], 0 offset:36
	buffer_store_dword v36, off, s[0:3], 0 offset:32
	s_and_saveexec_b64 s[4:5], vcc
	s_cbranch_execz .LBB16_103
; %bb.102:
	buffer_load_dword v36, off, s[0:3], 0 offset:24
	buffer_load_dword v37, off, s[0:3], 0 offset:28
	v_mov_b32_e32 v38, 0
	buffer_store_dword v38, off, s[0:3], 0 offset:24
	buffer_store_dword v38, off, s[0:3], 0 offset:28
	s_waitcnt vmcnt(2)
	ds_write_b64 v1, v[36:37]
.LBB16_103:
	s_or_b64 exec, exec, s[4:5]
	s_waitcnt lgkmcnt(0)
	; wave barrier
	s_waitcnt lgkmcnt(0)
	buffer_load_dword v62, off, s[0:3], 0 offset:32
	buffer_load_dword v63, off, s[0:3], 0 offset:36
	;; [unrolled: 1-line block ×28, first 2 shown]
	v_mov_b32_e32 v36, 0
	ds_read_b128 v[38:41], v36 offset:176
	ds_read_b128 v[42:45], v36 offset:192
	ds_read_b128 v[46:49], v36 offset:208
	ds_read_b128 v[50:53], v36 offset:224
	ds_read_b128 v[54:57], v36 offset:240
	ds_read_b128 v[58:61], v36 offset:256
	ds_read_b64 v[90:91], v36 offset:272
	v_cmp_lt_u32_e32 vcc, 2, v0
	s_waitcnt vmcnt(26) lgkmcnt(6)
	v_fma_f64 v[38:39], v[62:63], v[38:39], 0
	s_waitcnt vmcnt(24)
	v_fmac_f64_e32 v[38:39], v[64:65], v[40:41]
	s_waitcnt vmcnt(22) lgkmcnt(5)
	v_fmac_f64_e32 v[38:39], v[66:67], v[42:43]
	s_waitcnt vmcnt(20)
	v_fmac_f64_e32 v[38:39], v[68:69], v[44:45]
	s_waitcnt vmcnt(18) lgkmcnt(4)
	v_fmac_f64_e32 v[38:39], v[70:71], v[46:47]
	;; [unrolled: 4-line block ×3, first 2 shown]
	s_waitcnt vmcnt(6)
	v_fmac_f64_e32 v[38:39], v[82:83], v[52:53]
	s_waitcnt lgkmcnt(2)
	v_fmac_f64_e32 v[38:39], v[80:81], v[54:55]
	v_fmac_f64_e32 v[38:39], v[78:79], v[56:57]
	s_waitcnt lgkmcnt(1)
	v_fmac_f64_e32 v[38:39], v[76:77], v[58:59]
	s_waitcnt vmcnt(2)
	v_fmac_f64_e32 v[38:39], v[86:87], v[60:61]
	s_waitcnt lgkmcnt(0)
	v_fmac_f64_e32 v[38:39], v[84:85], v[90:91]
	s_waitcnt vmcnt(0)
	v_add_f64 v[38:39], v[88:89], -v[38:39]
	buffer_store_dword v39, off, s[0:3], 0 offset:28
	buffer_store_dword v38, off, s[0:3], 0 offset:24
	s_and_saveexec_b64 s[4:5], vcc
	s_cbranch_execz .LBB16_105
; %bb.104:
	buffer_load_dword v38, off, s[0:3], 0 offset:16
	buffer_load_dword v39, off, s[0:3], 0 offset:20
	s_waitcnt vmcnt(0)
	ds_write_b64 v1, v[38:39]
	buffer_store_dword v36, off, s[0:3], 0 offset:16
	buffer_store_dword v36, off, s[0:3], 0 offset:20
.LBB16_105:
	s_or_b64 exec, exec, s[4:5]
	s_waitcnt lgkmcnt(0)
	; wave barrier
	s_waitcnt lgkmcnt(0)
	buffer_load_dword v66, off, s[0:3], 0 offset:24
	buffer_load_dword v67, off, s[0:3], 0 offset:28
	;; [unrolled: 1-line block ×30, first 2 shown]
	ds_read2_b64 v[38:41], v36 offset0:21 offset1:22
	ds_read2_b64 v[42:45], v36 offset0:23 offset1:24
	;; [unrolled: 1-line block ×7, first 2 shown]
	v_cmp_lt_u32_e32 vcc, 1, v0
	s_waitcnt vmcnt(28) lgkmcnt(6)
	v_fma_f64 v[36:37], v[66:67], v[38:39], 0
	s_waitcnt vmcnt(26)
	v_fmac_f64_e32 v[36:37], v[68:69], v[40:41]
	s_waitcnt vmcnt(24) lgkmcnt(5)
	v_fmac_f64_e32 v[36:37], v[70:71], v[42:43]
	s_waitcnt vmcnt(22)
	v_fmac_f64_e32 v[36:37], v[72:73], v[44:45]
	s_waitcnt vmcnt(20) lgkmcnt(4)
	v_fmac_f64_e32 v[36:37], v[74:75], v[46:47]
	;; [unrolled: 4-line block ×3, first 2 shown]
	s_waitcnt vmcnt(8)
	v_fmac_f64_e32 v[36:37], v[86:87], v[52:53]
	s_waitcnt lgkmcnt(2)
	v_fmac_f64_e32 v[36:37], v[84:85], v[54:55]
	v_fmac_f64_e32 v[36:37], v[82:83], v[56:57]
	s_waitcnt lgkmcnt(1)
	v_fmac_f64_e32 v[36:37], v[80:81], v[58:59]
	s_waitcnt vmcnt(3)
	v_fmac_f64_e32 v[36:37], v[92:93], v[60:61]
	s_waitcnt lgkmcnt(0)
	v_fmac_f64_e32 v[36:37], v[90:91], v[62:63]
	s_waitcnt vmcnt(2)
	v_fmac_f64_e32 v[36:37], v[88:89], v[64:65]
	s_waitcnt vmcnt(0)
	v_add_f64 v[36:37], v[94:95], -v[36:37]
	buffer_store_dword v37, off, s[0:3], 0 offset:20
	buffer_store_dword v36, off, s[0:3], 0 offset:16
	s_and_saveexec_b64 s[4:5], vcc
	s_cbranch_execz .LBB16_107
; %bb.106:
	buffer_load_dword v36, off, s[0:3], 0 offset:8
	buffer_load_dword v37, off, s[0:3], 0 offset:12
	v_mov_b32_e32 v38, 0
	buffer_store_dword v38, off, s[0:3], 0 offset:8
	buffer_store_dword v38, off, s[0:3], 0 offset:12
	s_waitcnt vmcnt(2)
	ds_write_b64 v1, v[36:37]
.LBB16_107:
	s_or_b64 exec, exec, s[4:5]
	s_waitcnt lgkmcnt(0)
	; wave barrier
	s_waitcnt lgkmcnt(0)
	buffer_load_dword v36, off, s[0:3], 0 offset:16
	buffer_load_dword v37, off, s[0:3], 0 offset:20
	;; [unrolled: 1-line block ×32, first 2 shown]
	v_mov_b32_e32 v38, 0
	ds_read_b128 v[40:43], v38 offset:160
	ds_read_b128 v[44:47], v38 offset:176
	;; [unrolled: 1-line block ×7, first 2 shown]
	ds_read_b64 v[98:99], v38 offset:272
	v_cmp_ne_u32_e32 vcc, 0, v0
	s_waitcnt vmcnt(30) lgkmcnt(7)
	v_fma_f64 v[36:37], v[36:37], v[40:41], 0
	s_waitcnt vmcnt(28)
	v_fmac_f64_e32 v[36:37], v[68:69], v[42:43]
	s_waitcnt vmcnt(26) lgkmcnt(6)
	v_fmac_f64_e32 v[36:37], v[70:71], v[44:45]
	s_waitcnt vmcnt(24)
	v_fmac_f64_e32 v[36:37], v[72:73], v[46:47]
	s_waitcnt vmcnt(22) lgkmcnt(5)
	v_fmac_f64_e32 v[36:37], v[74:75], v[48:49]
	;; [unrolled: 4-line block ×3, first 2 shown]
	s_waitcnt vmcnt(10)
	v_fmac_f64_e32 v[36:37], v[86:87], v[54:55]
	s_waitcnt lgkmcnt(3)
	v_fmac_f64_e32 v[36:37], v[84:85], v[56:57]
	v_fmac_f64_e32 v[36:37], v[82:83], v[58:59]
	s_waitcnt lgkmcnt(2)
	v_fmac_f64_e32 v[36:37], v[80:81], v[60:61]
	s_waitcnt vmcnt(4)
	v_fmac_f64_e32 v[36:37], v[94:95], v[62:63]
	s_waitcnt lgkmcnt(1)
	v_fmac_f64_e32 v[36:37], v[92:93], v[64:65]
	s_waitcnt vmcnt(3)
	v_fmac_f64_e32 v[36:37], v[90:91], v[66:67]
	s_waitcnt vmcnt(2) lgkmcnt(0)
	v_fmac_f64_e32 v[36:37], v[88:89], v[98:99]
	s_waitcnt vmcnt(0)
	v_add_f64 v[36:37], v[96:97], -v[36:37]
	buffer_store_dword v37, off, s[0:3], 0 offset:12
	buffer_store_dword v36, off, s[0:3], 0 offset:8
	s_and_saveexec_b64 s[4:5], vcc
	s_cbranch_execz .LBB16_109
; %bb.108:
	buffer_load_dword v36, off, s[0:3], 0
	buffer_load_dword v37, off, s[0:3], 0 offset:4
	s_waitcnt vmcnt(0)
	ds_write_b64 v1, v[36:37]
	buffer_store_dword v38, off, s[0:3], 0
	buffer_store_dword v38, off, s[0:3], 0 offset:4
.LBB16_109:
	s_or_b64 exec, exec, s[4:5]
	s_waitcnt lgkmcnt(0)
	; wave barrier
	s_waitcnt lgkmcnt(0)
	buffer_load_dword v0, off, s[0:3], 0 offset:8
	buffer_load_dword v1, off, s[0:3], 0 offset:12
	;; [unrolled: 1-line block ×32, first 2 shown]
	buffer_load_dword v100, off, s[0:3], 0
	buffer_load_dword v101, off, s[0:3], 0 offset:4
	ds_read2_b64 v[40:43], v38 offset0:19 offset1:20
	ds_read2_b64 v[44:47], v38 offset0:21 offset1:22
	;; [unrolled: 1-line block ×8, first 2 shown]
	s_and_b64 vcc, exec, s[20:21]
	s_waitcnt vmcnt(32) lgkmcnt(7)
	v_fma_f64 v[0:1], v[0:1], v[40:41], 0
	s_waitcnt vmcnt(30)
	v_fmac_f64_e32 v[0:1], v[72:73], v[42:43]
	s_waitcnt vmcnt(28) lgkmcnt(6)
	v_fmac_f64_e32 v[0:1], v[74:75], v[44:45]
	s_waitcnt vmcnt(26)
	v_fmac_f64_e32 v[0:1], v[76:77], v[46:47]
	s_waitcnt vmcnt(24) lgkmcnt(5)
	v_fmac_f64_e32 v[0:1], v[78:79], v[48:49]
	;; [unrolled: 4-line block ×3, first 2 shown]
	s_waitcnt vmcnt(12)
	v_fmac_f64_e32 v[0:1], v[90:91], v[54:55]
	s_waitcnt lgkmcnt(3)
	v_fmac_f64_e32 v[0:1], v[88:89], v[56:57]
	v_fmac_f64_e32 v[0:1], v[86:87], v[58:59]
	s_waitcnt lgkmcnt(2)
	v_fmac_f64_e32 v[0:1], v[84:85], v[60:61]
	s_waitcnt vmcnt(5)
	v_fmac_f64_e32 v[0:1], v[96:97], v[62:63]
	s_waitcnt lgkmcnt(1)
	v_fmac_f64_e32 v[0:1], v[94:95], v[64:65]
	v_fmac_f64_e32 v[0:1], v[92:93], v[66:67]
	s_waitcnt vmcnt(4) lgkmcnt(0)
	v_fmac_f64_e32 v[0:1], v[36:37], v[68:69]
	s_waitcnt vmcnt(2)
	v_fmac_f64_e32 v[0:1], v[98:99], v[70:71]
	s_waitcnt vmcnt(0)
	v_add_f64 v[0:1], v[100:101], -v[0:1]
	buffer_store_dword v1, off, s[0:3], 0 offset:4
	buffer_store_dword v0, off, s[0:3], 0
	s_cbranch_vccz .LBB16_143
; %bb.110:
	v_pk_mov_b32 v[0:1], s[10:11], s[10:11] op_sel:[0,1]
	flat_load_dword v0, v[0:1] offset:60
	s_waitcnt vmcnt(0) lgkmcnt(0)
	v_add_u32_e32 v0, -1, v0
	v_cmp_ne_u32_e32 vcc, 15, v0
	s_and_saveexec_b64 s[4:5], vcc
	s_cbranch_execz .LBB16_112
; %bb.111:
	v_mov_b32_e32 v1, 0
	v_lshl_add_u32 v0, v0, 3, v1
	buffer_load_dword v1, v0, s[0:3], 0 offen
	buffer_load_dword v38, v0, s[0:3], 0 offen offset:4
	s_waitcnt vmcnt(1)
	buffer_store_dword v1, off, s[0:3], 0 offset:120
	s_waitcnt vmcnt(1)
	buffer_store_dword v38, off, s[0:3], 0 offset:124
	buffer_store_dword v36, v0, s[0:3], 0 offen
	buffer_store_dword v37, v0, s[0:3], 0 offen offset:4
.LBB16_112:
	s_or_b64 exec, exec, s[4:5]
	v_pk_mov_b32 v[0:1], s[10:11], s[10:11] op_sel:[0,1]
	flat_load_dword v0, v[0:1] offset:56
	s_waitcnt vmcnt(0) lgkmcnt(0)
	v_add_u32_e32 v0, -1, v0
	v_cmp_ne_u32_e32 vcc, 14, v0
	s_and_saveexec_b64 s[4:5], vcc
	s_cbranch_execz .LBB16_114
; %bb.113:
	v_mov_b32_e32 v1, 0
	v_lshl_add_u32 v0, v0, 3, v1
	buffer_load_dword v1, v0, s[0:3], 0 offen
	buffer_load_dword v36, v0, s[0:3], 0 offen offset:4
	buffer_load_dword v37, off, s[0:3], 0 offset:116
	buffer_load_dword v38, off, s[0:3], 0 offset:112
	s_waitcnt vmcnt(3)
	buffer_store_dword v1, off, s[0:3], 0 offset:112
	s_waitcnt vmcnt(3)
	buffer_store_dword v36, off, s[0:3], 0 offset:116
	s_waitcnt vmcnt(3)
	buffer_store_dword v37, v0, s[0:3], 0 offen offset:4
	s_waitcnt vmcnt(3)
	buffer_store_dword v38, v0, s[0:3], 0 offen
.LBB16_114:
	s_or_b64 exec, exec, s[4:5]
	v_pk_mov_b32 v[0:1], s[10:11], s[10:11] op_sel:[0,1]
	flat_load_dword v0, v[0:1] offset:52
	s_waitcnt vmcnt(0) lgkmcnt(0)
	v_add_u32_e32 v0, -1, v0
	v_cmp_ne_u32_e32 vcc, 13, v0
	s_and_saveexec_b64 s[4:5], vcc
	s_cbranch_execz .LBB16_116
; %bb.115:
	v_mov_b32_e32 v1, 0
	v_lshl_add_u32 v0, v0, 3, v1
	buffer_load_dword v1, v0, s[0:3], 0 offen
	buffer_load_dword v36, v0, s[0:3], 0 offen offset:4
	buffer_load_dword v37, off, s[0:3], 0 offset:104
	buffer_load_dword v38, off, s[0:3], 0 offset:108
	s_waitcnt vmcnt(3)
	buffer_store_dword v1, off, s[0:3], 0 offset:104
	s_waitcnt vmcnt(3)
	buffer_store_dword v36, off, s[0:3], 0 offset:108
	s_waitcnt vmcnt(3)
	buffer_store_dword v37, v0, s[0:3], 0 offen
	s_waitcnt vmcnt(3)
	buffer_store_dword v38, v0, s[0:3], 0 offen offset:4
.LBB16_116:
	s_or_b64 exec, exec, s[4:5]
	v_pk_mov_b32 v[0:1], s[10:11], s[10:11] op_sel:[0,1]
	flat_load_dword v0, v[0:1] offset:48
	s_waitcnt vmcnt(0) lgkmcnt(0)
	v_add_u32_e32 v0, -1, v0
	v_cmp_ne_u32_e32 vcc, 12, v0
	s_and_saveexec_b64 s[4:5], vcc
	s_cbranch_execz .LBB16_118
; %bb.117:
	v_mov_b32_e32 v1, 0
	v_lshl_add_u32 v0, v0, 3, v1
	buffer_load_dword v1, v0, s[0:3], 0 offen
	buffer_load_dword v36, v0, s[0:3], 0 offen offset:4
	buffer_load_dword v37, off, s[0:3], 0 offset:100
	buffer_load_dword v38, off, s[0:3], 0 offset:96
	s_waitcnt vmcnt(3)
	buffer_store_dword v1, off, s[0:3], 0 offset:96
	s_waitcnt vmcnt(3)
	buffer_store_dword v36, off, s[0:3], 0 offset:100
	s_waitcnt vmcnt(3)
	buffer_store_dword v37, v0, s[0:3], 0 offen offset:4
	s_waitcnt vmcnt(3)
	buffer_store_dword v38, v0, s[0:3], 0 offen
.LBB16_118:
	s_or_b64 exec, exec, s[4:5]
	v_pk_mov_b32 v[0:1], s[10:11], s[10:11] op_sel:[0,1]
	flat_load_dword v0, v[0:1] offset:44
	s_waitcnt vmcnt(0) lgkmcnt(0)
	v_add_u32_e32 v0, -1, v0
	v_cmp_ne_u32_e32 vcc, 11, v0
	s_and_saveexec_b64 s[4:5], vcc
	s_cbranch_execz .LBB16_120
; %bb.119:
	v_mov_b32_e32 v1, 0
	v_lshl_add_u32 v0, v0, 3, v1
	buffer_load_dword v1, v0, s[0:3], 0 offen
	buffer_load_dword v36, v0, s[0:3], 0 offen offset:4
	buffer_load_dword v37, off, s[0:3], 0 offset:88
	buffer_load_dword v38, off, s[0:3], 0 offset:92
	s_waitcnt vmcnt(3)
	buffer_store_dword v1, off, s[0:3], 0 offset:88
	s_waitcnt vmcnt(3)
	buffer_store_dword v36, off, s[0:3], 0 offset:92
	s_waitcnt vmcnt(3)
	buffer_store_dword v37, v0, s[0:3], 0 offen
	s_waitcnt vmcnt(3)
	buffer_store_dword v38, v0, s[0:3], 0 offen offset:4
.LBB16_120:
	;; [unrolled: 48-line block ×7, first 2 shown]
	s_or_b64 exec, exec, s[4:5]
	v_pk_mov_b32 v[0:1], s[10:11], s[10:11] op_sel:[0,1]
	flat_load_dword v36, v[0:1]
	s_nop 0
	buffer_load_dword v0, off, s[0:3], 0
	buffer_load_dword v1, off, s[0:3], 0 offset:4
	s_waitcnt vmcnt(0) lgkmcnt(0)
	v_add_u32_e32 v36, -1, v36
	v_cmp_ne_u32_e32 vcc, 0, v36
	s_and_saveexec_b64 s[4:5], vcc
	s_cbranch_execz .LBB16_142
; %bb.141:
	v_mov_b32_e32 v37, 0
	v_lshl_add_u32 v36, v36, 3, v37
	buffer_load_dword v37, v36, s[0:3], 0 offen offset:4
	buffer_load_dword v38, v36, s[0:3], 0 offen
	s_waitcnt vmcnt(1)
	buffer_store_dword v37, off, s[0:3], 0 offset:4
	s_waitcnt vmcnt(1)
	buffer_store_dword v38, off, s[0:3], 0
	buffer_store_dword v1, v36, s[0:3], 0 offen offset:4
	buffer_store_dword v0, v36, s[0:3], 0 offen
	buffer_load_dword v0, off, s[0:3], 0
	s_nop 0
	buffer_load_dword v1, off, s[0:3], 0 offset:4
.LBB16_142:
	s_or_b64 exec, exec, s[4:5]
.LBB16_143:
	buffer_load_dword v36, off, s[0:3], 0 offset:8
	buffer_load_dword v37, off, s[0:3], 0 offset:12
	buffer_load_dword v38, off, s[0:3], 0 offset:16
	buffer_load_dword v39, off, s[0:3], 0 offset:20
	buffer_load_dword v40, off, s[0:3], 0 offset:24
	buffer_load_dword v41, off, s[0:3], 0 offset:28
	buffer_load_dword v42, off, s[0:3], 0 offset:32
	buffer_load_dword v43, off, s[0:3], 0 offset:36
	buffer_load_dword v44, off, s[0:3], 0 offset:40
	buffer_load_dword v45, off, s[0:3], 0 offset:44
	buffer_load_dword v46, off, s[0:3], 0 offset:48
	buffer_load_dword v47, off, s[0:3], 0 offset:52
	buffer_load_dword v48, off, s[0:3], 0 offset:56
	buffer_load_dword v49, off, s[0:3], 0 offset:60
	buffer_load_dword v50, off, s[0:3], 0 offset:64
	buffer_load_dword v51, off, s[0:3], 0 offset:68
	buffer_load_dword v52, off, s[0:3], 0 offset:72
	buffer_load_dword v53, off, s[0:3], 0 offset:76
	buffer_load_dword v54, off, s[0:3], 0 offset:80
	buffer_load_dword v55, off, s[0:3], 0 offset:84
	buffer_load_dword v56, off, s[0:3], 0 offset:88
	buffer_load_dword v57, off, s[0:3], 0 offset:92
	buffer_load_dword v58, off, s[0:3], 0 offset:96
	buffer_load_dword v59, off, s[0:3], 0 offset:100
	buffer_load_dword v60, off, s[0:3], 0 offset:104
	buffer_load_dword v61, off, s[0:3], 0 offset:108
	buffer_load_dword v62, off, s[0:3], 0 offset:112
	buffer_load_dword v63, off, s[0:3], 0 offset:116
	buffer_load_dword v64, off, s[0:3], 0 offset:120
	buffer_load_dword v65, off, s[0:3], 0 offset:124
	buffer_load_dword v66, off, s[0:3], 0 offset:128
	buffer_load_dword v67, off, s[0:3], 0 offset:132
	s_waitcnt vmcnt(32)
	global_store_dwordx2 v[2:3], v[0:1], off
	s_waitcnt vmcnt(31)
	global_store_dwordx2 v[4:5], v[36:37], off
	;; [unrolled: 2-line block ×17, first 2 shown]
	s_endpgm
	.section	.rodata,"a",@progbits
	.p2align	6, 0x0
	.amdhsa_kernel _ZN9rocsolver6v33100L18getri_kernel_smallILi17EdPdEEvT1_iilPiilS4_bb
		.amdhsa_group_segment_fixed_size 280
		.amdhsa_private_segment_fixed_size 144
		.amdhsa_kernarg_size 60
		.amdhsa_user_sgpr_count 8
		.amdhsa_user_sgpr_private_segment_buffer 1
		.amdhsa_user_sgpr_dispatch_ptr 0
		.amdhsa_user_sgpr_queue_ptr 0
		.amdhsa_user_sgpr_kernarg_segment_ptr 1
		.amdhsa_user_sgpr_dispatch_id 0
		.amdhsa_user_sgpr_flat_scratch_init 1
		.amdhsa_user_sgpr_kernarg_preload_length 0
		.amdhsa_user_sgpr_kernarg_preload_offset 0
		.amdhsa_user_sgpr_private_segment_size 0
		.amdhsa_uses_dynamic_stack 0
		.amdhsa_system_sgpr_private_segment_wavefront_offset 1
		.amdhsa_system_sgpr_workgroup_id_x 1
		.amdhsa_system_sgpr_workgroup_id_y 0
		.amdhsa_system_sgpr_workgroup_id_z 0
		.amdhsa_system_sgpr_workgroup_info 0
		.amdhsa_system_vgpr_workitem_id 0
		.amdhsa_next_free_vgpr 102
		.amdhsa_next_free_sgpr 23
		.amdhsa_accum_offset 104
		.amdhsa_reserve_vcc 1
		.amdhsa_reserve_flat_scratch 1
		.amdhsa_float_round_mode_32 0
		.amdhsa_float_round_mode_16_64 0
		.amdhsa_float_denorm_mode_32 3
		.amdhsa_float_denorm_mode_16_64 3
		.amdhsa_dx10_clamp 1
		.amdhsa_ieee_mode 1
		.amdhsa_fp16_overflow 0
		.amdhsa_tg_split 0
		.amdhsa_exception_fp_ieee_invalid_op 0
		.amdhsa_exception_fp_denorm_src 0
		.amdhsa_exception_fp_ieee_div_zero 0
		.amdhsa_exception_fp_ieee_overflow 0
		.amdhsa_exception_fp_ieee_underflow 0
		.amdhsa_exception_fp_ieee_inexact 0
		.amdhsa_exception_int_div_zero 0
	.end_amdhsa_kernel
	.section	.text._ZN9rocsolver6v33100L18getri_kernel_smallILi17EdPdEEvT1_iilPiilS4_bb,"axG",@progbits,_ZN9rocsolver6v33100L18getri_kernel_smallILi17EdPdEEvT1_iilPiilS4_bb,comdat
.Lfunc_end16:
	.size	_ZN9rocsolver6v33100L18getri_kernel_smallILi17EdPdEEvT1_iilPiilS4_bb, .Lfunc_end16-_ZN9rocsolver6v33100L18getri_kernel_smallILi17EdPdEEvT1_iilPiilS4_bb
                                        ; -- End function
	.section	.AMDGPU.csdata,"",@progbits
; Kernel info:
; codeLenInByte = 12872
; NumSgprs: 29
; NumVgprs: 102
; NumAgprs: 0
; TotalNumVgprs: 102
; ScratchSize: 144
; MemoryBound: 0
; FloatMode: 240
; IeeeMode: 1
; LDSByteSize: 280 bytes/workgroup (compile time only)
; SGPRBlocks: 3
; VGPRBlocks: 12
; NumSGPRsForWavesPerEU: 29
; NumVGPRsForWavesPerEU: 102
; AccumOffset: 104
; Occupancy: 4
; WaveLimiterHint : 1
; COMPUTE_PGM_RSRC2:SCRATCH_EN: 1
; COMPUTE_PGM_RSRC2:USER_SGPR: 8
; COMPUTE_PGM_RSRC2:TRAP_HANDLER: 0
; COMPUTE_PGM_RSRC2:TGID_X_EN: 1
; COMPUTE_PGM_RSRC2:TGID_Y_EN: 0
; COMPUTE_PGM_RSRC2:TGID_Z_EN: 0
; COMPUTE_PGM_RSRC2:TIDIG_COMP_CNT: 0
; COMPUTE_PGM_RSRC3_GFX90A:ACCUM_OFFSET: 25
; COMPUTE_PGM_RSRC3_GFX90A:TG_SPLIT: 0
	.section	.text._ZN9rocsolver6v33100L18getri_kernel_smallILi18EdPdEEvT1_iilPiilS4_bb,"axG",@progbits,_ZN9rocsolver6v33100L18getri_kernel_smallILi18EdPdEEvT1_iilPiilS4_bb,comdat
	.globl	_ZN9rocsolver6v33100L18getri_kernel_smallILi18EdPdEEvT1_iilPiilS4_bb ; -- Begin function _ZN9rocsolver6v33100L18getri_kernel_smallILi18EdPdEEvT1_iilPiilS4_bb
	.p2align	8
	.type	_ZN9rocsolver6v33100L18getri_kernel_smallILi18EdPdEEvT1_iilPiilS4_bb,@function
_ZN9rocsolver6v33100L18getri_kernel_smallILi18EdPdEEvT1_iilPiilS4_bb: ; @_ZN9rocsolver6v33100L18getri_kernel_smallILi18EdPdEEvT1_iilPiilS4_bb
; %bb.0:
	s_add_u32 flat_scratch_lo, s6, s9
	s_addc_u32 flat_scratch_hi, s7, 0
	s_add_u32 s0, s0, s9
	s_addc_u32 s1, s1, 0
	v_cmp_gt_u32_e32 vcc, 18, v0
	s_and_saveexec_b64 s[6:7], vcc
	s_cbranch_execz .LBB17_80
; %bb.1:
	s_load_dword s22, s[4:5], 0x38
	s_load_dwordx4 s[16:19], s[4:5], 0x10
	s_load_dwordx4 s[12:15], s[4:5], 0x28
                                        ; implicit-def: $sgpr10_sgpr11
	s_waitcnt lgkmcnt(0)
	s_bitcmp1_b32 s22, 8
	s_cselect_b64 s[20:21], -1, 0
	s_ashr_i32 s9, s8, 31
	s_bfe_u32 s6, s22, 0x10008
	s_cmp_eq_u32 s6, 0
	s_cbranch_scc1 .LBB17_3
; %bb.2:
	s_load_dword s6, s[4:5], 0x20
	s_mul_i32 s7, s8, s13
	s_mul_hi_u32 s10, s8, s12
	s_mul_i32 s11, s9, s12
	s_add_i32 s10, s10, s7
	s_add_i32 s11, s10, s11
	s_mul_i32 s10, s8, s12
	s_waitcnt lgkmcnt(0)
	s_ashr_i32 s7, s6, 31
	s_lshl_b64 s[10:11], s[10:11], 2
	s_add_u32 s10, s18, s10
	s_addc_u32 s11, s19, s11
	s_lshl_b64 s[6:7], s[6:7], 2
	s_add_u32 s10, s10, s6
	s_addc_u32 s11, s11, s7
.LBB17_3:
	s_load_dwordx4 s[4:7], s[4:5], 0x0
	s_mul_i32 s12, s8, s17
	s_mul_hi_u32 s13, s8, s16
	s_add_i32 s17, s13, s12
	v_lshlrev_b32_e32 v1, 3, v0
	s_waitcnt lgkmcnt(0)
	s_ashr_i32 s13, s6, 31
	s_mov_b32 s12, s6
	s_mul_i32 s6, s9, s16
	s_add_i32 s17, s17, s6
	s_mul_i32 s16, s8, s16
	s_lshl_b64 s[16:17], s[16:17], 3
	s_add_u32 s6, s4, s16
	s_addc_u32 s16, s5, s17
	s_lshl_b64 s[4:5], s[12:13], 3
	s_add_u32 s4, s6, s4
	s_addc_u32 s5, s16, s5
	v_mov_b32_e32 v3, s5
	v_add_co_u32_e32 v2, vcc, s4, v1
	s_ashr_i32 s13, s7, 31
	s_mov_b32 s12, s7
	s_add_i32 s6, s7, s7
	v_addc_co_u32_e32 v3, vcc, 0, v3, vcc
	s_lshl_b64 s[12:13], s[12:13], 3
	v_add_u32_e32 v8, s6, v0
	v_mov_b32_e32 v5, s13
	v_add_co_u32_e32 v4, vcc, s12, v2
	v_ashrrev_i32_e32 v9, 31, v8
	v_addc_co_u32_e32 v5, vcc, v3, v5, vcc
	v_lshlrev_b64 v[6:7], 3, v[8:9]
	v_add_u32_e32 v10, s7, v8
	v_mov_b32_e32 v9, s5
	v_add_co_u32_e32 v6, vcc, s4, v6
	v_ashrrev_i32_e32 v11, 31, v10
	v_addc_co_u32_e32 v7, vcc, v9, v7, vcc
	v_lshlrev_b64 v[8:9], 3, v[10:11]
	;; [unrolled: 6-line block ×4, first 2 shown]
	v_mov_b32_e32 v15, s5
	v_add_co_u32_e32 v12, vcc, s4, v12
	v_add_u32_e32 v14, s7, v14
	v_addc_co_u32_e32 v13, vcc, v15, v13, vcc
	v_ashrrev_i32_e32 v15, 31, v14
	v_add_u32_e32 v16, s7, v14
	v_lshlrev_b64 v[14:15], 3, v[14:15]
	v_mov_b32_e32 v17, s5
	v_add_co_u32_e32 v14, vcc, s4, v14
	v_addc_co_u32_e32 v15, vcc, v17, v15, vcc
	v_ashrrev_i32_e32 v17, 31, v16
	v_add_u32_e32 v18, s7, v16
	v_lshlrev_b64 v[16:17], 3, v[16:17]
	v_mov_b32_e32 v19, s5
	v_add_co_u32_e32 v16, vcc, s4, v16
	;; [unrolled: 6-line block ×11, first 2 shown]
	global_load_dwordx2 v[38:39], v1, s[4:5]
	global_load_dwordx2 v[46:47], v[4:5], off
	global_load_dwordx2 v[42:43], v[6:7], off
	;; [unrolled: 1-line block ×12, first 2 shown]
	v_addc_co_u32_e32 v35, vcc, v64, v35, vcc
	global_load_dwordx2 v[64:65], v[28:29], off
	global_load_dwordx2 v[66:67], v[30:31], off
	;; [unrolled: 1-line block ×4, first 2 shown]
	v_ashrrev_i32_e32 v37, 31, v36
	v_lshlrev_b64 v[36:37], 3, v[36:37]
	v_mov_b32_e32 v72, s5
	v_add_co_u32_e32 v36, vcc, s4, v36
	v_addc_co_u32_e32 v37, vcc, v72, v37, vcc
	global_load_dwordx2 v[72:73], v[36:37], off
	s_bitcmp0_b32 s22, 0
	s_mov_b64 s[6:7], -1
	s_waitcnt vmcnt(17)
	buffer_store_dword v39, off, s[0:3], 0 offset:4
	buffer_store_dword v38, off, s[0:3], 0
	s_waitcnt vmcnt(18)
	buffer_store_dword v47, off, s[0:3], 0 offset:12
	buffer_store_dword v46, off, s[0:3], 0 offset:8
	s_waitcnt vmcnt(19)
	buffer_store_dword v43, off, s[0:3], 0 offset:20
	buffer_store_dword v42, off, s[0:3], 0 offset:16
	;; [unrolled: 3-line block ×17, first 2 shown]
	s_cbranch_scc1 .LBB17_78
; %bb.4:
	v_cmp_eq_u32_e64 s[4:5], 0, v0
	s_and_saveexec_b64 s[6:7], s[4:5]
	s_cbranch_execz .LBB17_6
; %bb.5:
	v_mov_b32_e32 v38, 0
	ds_write_b32 v38, v38 offset:288
.LBB17_6:
	s_or_b64 exec, exec, s[6:7]
	v_mov_b32_e32 v38, 0
	v_lshl_add_u32 v38, v0, 3, v38
	s_waitcnt lgkmcnt(0)
	; wave barrier
	s_waitcnt lgkmcnt(0)
	buffer_load_dword v40, v38, s[0:3], 0 offen
	buffer_load_dword v41, v38, s[0:3], 0 offen offset:4
	s_waitcnt vmcnt(0)
	v_cmp_eq_f64_e32 vcc, 0, v[40:41]
	s_and_saveexec_b64 s[12:13], vcc
	s_cbranch_execz .LBB17_10
; %bb.7:
	v_mov_b32_e32 v39, 0
	ds_read_b32 v41, v39 offset:288
	v_add_u32_e32 v40, 1, v0
	s_waitcnt lgkmcnt(0)
	v_readfirstlane_b32 s6, v41
	s_cmp_eq_u32 s6, 0
	s_cselect_b64 s[16:17], -1, 0
	v_cmp_gt_i32_e32 vcc, s6, v40
	s_or_b64 s[16:17], s[16:17], vcc
	s_and_b64 exec, exec, s[16:17]
	s_cbranch_execz .LBB17_10
; %bb.8:
	s_mov_b64 s[16:17], 0
	v_mov_b32_e32 v41, s6
.LBB17_9:                               ; =>This Inner Loop Header: Depth=1
	ds_cmpst_rtn_b32 v41, v39, v41, v40 offset:288
	s_waitcnt lgkmcnt(0)
	v_cmp_ne_u32_e32 vcc, 0, v41
	v_cmp_le_i32_e64 s[6:7], v41, v40
	s_and_b64 s[6:7], vcc, s[6:7]
	s_and_b64 s[6:7], exec, s[6:7]
	s_or_b64 s[16:17], s[6:7], s[16:17]
	s_andn2_b64 exec, exec, s[16:17]
	s_cbranch_execnz .LBB17_9
.LBB17_10:
	s_or_b64 exec, exec, s[12:13]
	v_mov_b32_e32 v40, 0
	s_waitcnt lgkmcnt(0)
	; wave barrier
	ds_read_b32 v39, v40 offset:288
	s_and_saveexec_b64 s[6:7], s[4:5]
	s_cbranch_execz .LBB17_12
; %bb.11:
	s_lshl_b64 s[12:13], s[8:9], 2
	s_add_u32 s12, s14, s12
	s_addc_u32 s13, s15, s13
	s_waitcnt lgkmcnt(0)
	global_store_dword v40, v39, s[12:13]
.LBB17_12:
	s_or_b64 exec, exec, s[6:7]
	s_waitcnt lgkmcnt(0)
	v_cmp_ne_u32_e32 vcc, 0, v39
	s_mov_b64 s[6:7], 0
	s_cbranch_vccnz .LBB17_78
; %bb.13:
	buffer_load_dword v40, v38, s[0:3], 0 offen
	buffer_load_dword v41, v38, s[0:3], 0 offen offset:4
	s_waitcnt vmcnt(0)
	v_div_scale_f64 v[42:43], s[6:7], v[40:41], v[40:41], 1.0
	v_rcp_f64_e32 v[44:45], v[42:43]
	v_div_scale_f64 v[46:47], vcc, 1.0, v[40:41], 1.0
	v_fma_f64 v[48:49], -v[42:43], v[44:45], 1.0
	v_fmac_f64_e32 v[44:45], v[44:45], v[48:49]
	v_fma_f64 v[48:49], -v[42:43], v[44:45], 1.0
	v_fmac_f64_e32 v[44:45], v[44:45], v[48:49]
	v_mul_f64 v[48:49], v[46:47], v[44:45]
	v_fma_f64 v[42:43], -v[42:43], v[48:49], v[46:47]
	v_div_fmas_f64 v[42:43], v[42:43], v[44:45], v[48:49]
	v_div_fixup_f64 v[42:43], v[42:43], v[40:41], 1.0
	buffer_store_dword v43, v38, s[0:3], 0 offen offset:4
	buffer_store_dword v42, v38, s[0:3], 0 offen
	buffer_load_dword v45, off, s[0:3], 0 offset:12
	buffer_load_dword v44, off, s[0:3], 0 offset:8
	v_add_u32_e32 v40, 0x90, v1
	v_xor_b32_e32 v43, 0x80000000, v43
	s_waitcnt vmcnt(0)
	ds_write2_b64 v1, v[42:43], v[44:45] offset1:18
	s_waitcnt lgkmcnt(0)
	; wave barrier
	s_waitcnt lgkmcnt(0)
	s_and_saveexec_b64 s[6:7], s[4:5]
	s_cbranch_execz .LBB17_15
; %bb.14:
	buffer_load_dword v42, v38, s[0:3], 0 offen
	buffer_load_dword v43, v38, s[0:3], 0 offen offset:4
	v_mov_b32_e32 v39, 0
	ds_read_b64 v[44:45], v40
	ds_read_b64 v[46:47], v39 offset:8
	s_waitcnt vmcnt(0) lgkmcnt(1)
	v_fma_f64 v[42:43], v[42:43], v[44:45], 0
	s_waitcnt lgkmcnt(0)
	v_mul_f64 v[42:43], v[42:43], v[46:47]
	buffer_store_dword v42, off, s[0:3], 0 offset:8
	buffer_store_dword v43, off, s[0:3], 0 offset:12
.LBB17_15:
	s_or_b64 exec, exec, s[6:7]
	s_waitcnt lgkmcnt(0)
	; wave barrier
	buffer_load_dword v42, off, s[0:3], 0 offset:16
	buffer_load_dword v43, off, s[0:3], 0 offset:20
	v_cmp_gt_u32_e32 vcc, 2, v0
	s_waitcnt vmcnt(0)
	ds_write_b64 v40, v[42:43]
	s_waitcnt lgkmcnt(0)
	; wave barrier
	s_waitcnt lgkmcnt(0)
	s_and_saveexec_b64 s[6:7], vcc
	s_cbranch_execz .LBB17_17
; %bb.16:
	buffer_load_dword v39, v38, s[0:3], 0 offen offset:4
	buffer_load_dword v46, off, s[0:3], 0 offset:8
	s_nop 0
	buffer_load_dword v38, v38, s[0:3], 0 offen
	s_nop 0
	buffer_load_dword v47, off, s[0:3], 0 offset:12
	ds_read_b64 v[48:49], v40
	v_mov_b32_e32 v41, 0
	ds_read2_b64 v[42:45], v41 offset0:2 offset1:19
	s_waitcnt vmcnt(1) lgkmcnt(1)
	v_fma_f64 v[38:39], v[38:39], v[48:49], 0
	s_waitcnt vmcnt(0) lgkmcnt(0)
	v_fma_f64 v[44:45], v[46:47], v[44:45], v[38:39]
	v_cndmask_b32_e64 v39, v39, v45, s[4:5]
	v_cndmask_b32_e64 v38, v38, v44, s[4:5]
	v_mul_f64 v[38:39], v[38:39], v[42:43]
	buffer_store_dword v39, off, s[0:3], 0 offset:20
	buffer_store_dword v38, off, s[0:3], 0 offset:16
.LBB17_17:
	s_or_b64 exec, exec, s[6:7]
	s_waitcnt lgkmcnt(0)
	; wave barrier
	buffer_load_dword v38, off, s[0:3], 0 offset:24
	buffer_load_dword v39, off, s[0:3], 0 offset:28
	v_cmp_gt_u32_e32 vcc, 3, v0
	v_add_u32_e32 v41, -1, v0
	s_waitcnt vmcnt(0)
	ds_write_b64 v40, v[38:39]
	s_waitcnt lgkmcnt(0)
	; wave barrier
	s_waitcnt lgkmcnt(0)
	s_and_saveexec_b64 s[4:5], vcc
	s_cbranch_execz .LBB17_21
; %bb.18:
	v_add_u32_e32 v42, -1, v0
	v_add_u32_e32 v43, 0x90, v1
	v_add_u32_e32 v44, 0, v1
	s_mov_b64 s[6:7], 0
	v_pk_mov_b32 v[38:39], 0, 0
.LBB17_19:                              ; =>This Inner Loop Header: Depth=1
	buffer_load_dword v46, v44, s[0:3], 0 offen
	buffer_load_dword v47, v44, s[0:3], 0 offen offset:4
	ds_read_b64 v[48:49], v43
	v_add_u32_e32 v42, 1, v42
	v_cmp_lt_u32_e32 vcc, 1, v42
	v_add_u32_e32 v43, 8, v43
	v_add_u32_e32 v44, 8, v44
	s_or_b64 s[6:7], vcc, s[6:7]
	s_waitcnt vmcnt(0) lgkmcnt(0)
	v_fmac_f64_e32 v[38:39], v[46:47], v[48:49]
	s_andn2_b64 exec, exec, s[6:7]
	s_cbranch_execnz .LBB17_19
; %bb.20:
	s_or_b64 exec, exec, s[6:7]
	v_mov_b32_e32 v42, 0
	ds_read_b64 v[42:43], v42 offset:24
	s_waitcnt lgkmcnt(0)
	v_mul_f64 v[38:39], v[38:39], v[42:43]
	buffer_store_dword v39, off, s[0:3], 0 offset:28
	buffer_store_dword v38, off, s[0:3], 0 offset:24
.LBB17_21:
	s_or_b64 exec, exec, s[4:5]
	s_waitcnt lgkmcnt(0)
	; wave barrier
	buffer_load_dword v38, off, s[0:3], 0 offset:32
	buffer_load_dword v39, off, s[0:3], 0 offset:36
	v_cmp_gt_u32_e32 vcc, 4, v0
	s_waitcnt vmcnt(0)
	ds_write_b64 v40, v[38:39]
	s_waitcnt lgkmcnt(0)
	; wave barrier
	s_waitcnt lgkmcnt(0)
	s_and_saveexec_b64 s[4:5], vcc
	s_cbranch_execz .LBB17_25
; %bb.22:
	v_add_u32_e32 v42, -1, v0
	v_add_u32_e32 v43, 0x90, v1
	v_add_u32_e32 v44, 0, v1
	s_mov_b64 s[6:7], 0
	v_pk_mov_b32 v[38:39], 0, 0
.LBB17_23:                              ; =>This Inner Loop Header: Depth=1
	buffer_load_dword v46, v44, s[0:3], 0 offen
	buffer_load_dword v47, v44, s[0:3], 0 offen offset:4
	ds_read_b64 v[48:49], v43
	v_add_u32_e32 v42, 1, v42
	v_cmp_lt_u32_e32 vcc, 2, v42
	v_add_u32_e32 v43, 8, v43
	v_add_u32_e32 v44, 8, v44
	s_or_b64 s[6:7], vcc, s[6:7]
	s_waitcnt vmcnt(0) lgkmcnt(0)
	v_fmac_f64_e32 v[38:39], v[46:47], v[48:49]
	s_andn2_b64 exec, exec, s[6:7]
	s_cbranch_execnz .LBB17_23
; %bb.24:
	s_or_b64 exec, exec, s[6:7]
	v_mov_b32_e32 v42, 0
	ds_read_b64 v[42:43], v42 offset:32
	s_waitcnt lgkmcnt(0)
	v_mul_f64 v[38:39], v[38:39], v[42:43]
	buffer_store_dword v39, off, s[0:3], 0 offset:36
	buffer_store_dword v38, off, s[0:3], 0 offset:32
.LBB17_25:
	s_or_b64 exec, exec, s[4:5]
	s_waitcnt lgkmcnt(0)
	; wave barrier
	buffer_load_dword v38, off, s[0:3], 0 offset:40
	buffer_load_dword v39, off, s[0:3], 0 offset:44
	v_cmp_gt_u32_e32 vcc, 5, v0
	;; [unrolled: 41-line block ×13, first 2 shown]
	s_waitcnt vmcnt(0)
	ds_write_b64 v40, v[38:39]
	s_waitcnt lgkmcnt(0)
	; wave barrier
	s_waitcnt lgkmcnt(0)
	s_and_saveexec_b64 s[4:5], vcc
	s_cbranch_execz .LBB17_73
; %bb.70:
	v_add_u32_e32 v42, -1, v0
	v_add_u32_e32 v43, 0x90, v1
	v_add_u32_e32 v44, 0, v1
	s_mov_b64 s[6:7], 0
	v_pk_mov_b32 v[38:39], 0, 0
.LBB17_71:                              ; =>This Inner Loop Header: Depth=1
	buffer_load_dword v46, v44, s[0:3], 0 offen
	buffer_load_dword v47, v44, s[0:3], 0 offen offset:4
	ds_read_b64 v[48:49], v43
	v_add_u32_e32 v42, 1, v42
	v_cmp_lt_u32_e32 vcc, 14, v42
	v_add_u32_e32 v43, 8, v43
	v_add_u32_e32 v44, 8, v44
	s_or_b64 s[6:7], vcc, s[6:7]
	s_waitcnt vmcnt(0) lgkmcnt(0)
	v_fmac_f64_e32 v[38:39], v[46:47], v[48:49]
	s_andn2_b64 exec, exec, s[6:7]
	s_cbranch_execnz .LBB17_71
; %bb.72:
	s_or_b64 exec, exec, s[6:7]
	v_mov_b32_e32 v42, 0
	ds_read_b64 v[42:43], v42 offset:128
	s_waitcnt lgkmcnt(0)
	v_mul_f64 v[38:39], v[38:39], v[42:43]
	buffer_store_dword v39, off, s[0:3], 0 offset:132
	buffer_store_dword v38, off, s[0:3], 0 offset:128
.LBB17_73:
	s_or_b64 exec, exec, s[4:5]
	s_waitcnt lgkmcnt(0)
	; wave barrier
	buffer_load_dword v38, off, s[0:3], 0 offset:136
	buffer_load_dword v39, off, s[0:3], 0 offset:140
	v_cmp_ne_u32_e32 vcc, 17, v0
	s_waitcnt vmcnt(0)
	ds_write_b64 v40, v[38:39]
	s_waitcnt lgkmcnt(0)
	; wave barrier
	s_waitcnt lgkmcnt(0)
	s_and_saveexec_b64 s[4:5], vcc
	s_cbranch_execz .LBB17_77
; %bb.74:
	v_add_u32_e32 v40, 0x90, v1
	v_add_u32_e32 v1, 0, v1
	s_mov_b64 s[6:7], 0
	v_pk_mov_b32 v[38:39], 0, 0
.LBB17_75:                              ; =>This Inner Loop Header: Depth=1
	buffer_load_dword v42, v1, s[0:3], 0 offen
	buffer_load_dword v43, v1, s[0:3], 0 offen offset:4
	ds_read_b64 v[44:45], v40
	v_add_u32_e32 v41, 1, v41
	v_cmp_lt_u32_e32 vcc, 15, v41
	v_add_u32_e32 v40, 8, v40
	v_add_u32_e32 v1, 8, v1
	s_or_b64 s[6:7], vcc, s[6:7]
	s_waitcnt vmcnt(0) lgkmcnt(0)
	v_fmac_f64_e32 v[38:39], v[42:43], v[44:45]
	s_andn2_b64 exec, exec, s[6:7]
	s_cbranch_execnz .LBB17_75
; %bb.76:
	s_or_b64 exec, exec, s[6:7]
	v_mov_b32_e32 v1, 0
	ds_read_b64 v[40:41], v1 offset:136
	s_waitcnt lgkmcnt(0)
	v_mul_f64 v[38:39], v[38:39], v[40:41]
	buffer_store_dword v39, off, s[0:3], 0 offset:140
	buffer_store_dword v38, off, s[0:3], 0 offset:136
.LBB17_77:
	s_or_b64 exec, exec, s[4:5]
	s_mov_b64 s[6:7], -1
	s_waitcnt lgkmcnt(0)
	; wave barrier
.LBB17_78:
	s_and_b64 vcc, exec, s[6:7]
	s_cbranch_vccz .LBB17_80
; %bb.79:
	s_lshl_b64 s[4:5], s[8:9], 2
	s_add_u32 s4, s14, s4
	s_addc_u32 s5, s15, s5
	v_mov_b32_e32 v1, 0
	global_load_dword v1, v1, s[4:5]
	s_waitcnt vmcnt(0)
	v_cmp_ne_u32_e32 vcc, 0, v1
	s_cbranch_vccz .LBB17_81
.LBB17_80:
	s_endpgm
.LBB17_81:
	v_mov_b32_e32 v1, 0x90
	v_lshl_add_u32 v1, v0, 3, v1
	v_cmp_eq_u32_e32 vcc, 17, v0
	s_and_saveexec_b64 s[4:5], vcc
	s_cbranch_execz .LBB17_83
; %bb.82:
	buffer_load_dword v38, off, s[0:3], 0 offset:128
	buffer_load_dword v39, off, s[0:3], 0 offset:132
	v_mov_b32_e32 v40, 0
	buffer_store_dword v40, off, s[0:3], 0 offset:128
	buffer_store_dword v40, off, s[0:3], 0 offset:132
	s_waitcnt vmcnt(2)
	ds_write_b64 v1, v[38:39]
.LBB17_83:
	s_or_b64 exec, exec, s[4:5]
	s_waitcnt lgkmcnt(0)
	; wave barrier
	s_waitcnt lgkmcnt(0)
	buffer_load_dword v40, off, s[0:3], 0 offset:136
	buffer_load_dword v41, off, s[0:3], 0 offset:140
	;; [unrolled: 1-line block ×4, first 2 shown]
	v_mov_b32_e32 v38, 0
	ds_read_b64 v[44:45], v38 offset:280
	v_cmp_lt_u32_e32 vcc, 15, v0
	s_waitcnt vmcnt(2) lgkmcnt(0)
	v_fma_f64 v[40:41], v[40:41], v[44:45], 0
	s_waitcnt vmcnt(0)
	v_add_f64 v[40:41], v[42:43], -v[40:41]
	buffer_store_dword v40, off, s[0:3], 0 offset:128
	buffer_store_dword v41, off, s[0:3], 0 offset:132
	s_and_saveexec_b64 s[4:5], vcc
	s_cbranch_execz .LBB17_85
; %bb.84:
	buffer_load_dword v40, off, s[0:3], 0 offset:120
	buffer_load_dword v41, off, s[0:3], 0 offset:124
	s_waitcnt vmcnt(0)
	ds_write_b64 v1, v[40:41]
	buffer_store_dword v38, off, s[0:3], 0 offset:120
	buffer_store_dword v38, off, s[0:3], 0 offset:124
.LBB17_85:
	s_or_b64 exec, exec, s[4:5]
	s_waitcnt lgkmcnt(0)
	; wave barrier
	s_waitcnt lgkmcnt(0)
	buffer_load_dword v42, off, s[0:3], 0 offset:128
	buffer_load_dword v43, off, s[0:3], 0 offset:132
	;; [unrolled: 1-line block ×6, first 2 shown]
	ds_read_b128 v[38:41], v38 offset:272
	v_cmp_lt_u32_e32 vcc, 14, v0
	s_waitcnt vmcnt(4) lgkmcnt(0)
	v_fma_f64 v[38:39], v[42:43], v[38:39], 0
	s_waitcnt vmcnt(2)
	v_fmac_f64_e32 v[38:39], v[44:45], v[40:41]
	s_waitcnt vmcnt(0)
	v_add_f64 v[38:39], v[46:47], -v[38:39]
	buffer_store_dword v38, off, s[0:3], 0 offset:120
	buffer_store_dword v39, off, s[0:3], 0 offset:124
	s_and_saveexec_b64 s[4:5], vcc
	s_cbranch_execz .LBB17_87
; %bb.86:
	buffer_load_dword v38, off, s[0:3], 0 offset:112
	buffer_load_dword v39, off, s[0:3], 0 offset:116
	v_mov_b32_e32 v40, 0
	buffer_store_dword v40, off, s[0:3], 0 offset:112
	buffer_store_dword v40, off, s[0:3], 0 offset:116
	s_waitcnt vmcnt(2)
	ds_write_b64 v1, v[38:39]
.LBB17_87:
	s_or_b64 exec, exec, s[4:5]
	s_waitcnt lgkmcnt(0)
	; wave barrier
	s_waitcnt lgkmcnt(0)
	buffer_load_dword v44, off, s[0:3], 0 offset:120
	buffer_load_dword v45, off, s[0:3], 0 offset:124
	;; [unrolled: 1-line block ×8, first 2 shown]
	v_mov_b32_e32 v38, 0
	ds_read2_b64 v[40:43], v38 offset0:33 offset1:34
	ds_read_b64 v[52:53], v38 offset:280
	v_cmp_lt_u32_e32 vcc, 13, v0
	s_waitcnt vmcnt(6) lgkmcnt(1)
	v_fma_f64 v[40:41], v[44:45], v[40:41], 0
	s_waitcnt vmcnt(4)
	v_fmac_f64_e32 v[40:41], v[46:47], v[42:43]
	s_waitcnt vmcnt(2) lgkmcnt(0)
	v_fmac_f64_e32 v[40:41], v[48:49], v[52:53]
	s_waitcnt vmcnt(0)
	v_add_f64 v[40:41], v[50:51], -v[40:41]
	buffer_store_dword v40, off, s[0:3], 0 offset:112
	buffer_store_dword v41, off, s[0:3], 0 offset:116
	s_and_saveexec_b64 s[4:5], vcc
	s_cbranch_execz .LBB17_89
; %bb.88:
	buffer_load_dword v40, off, s[0:3], 0 offset:104
	buffer_load_dword v41, off, s[0:3], 0 offset:108
	s_waitcnt vmcnt(0)
	ds_write_b64 v1, v[40:41]
	buffer_store_dword v38, off, s[0:3], 0 offset:104
	buffer_store_dword v38, off, s[0:3], 0 offset:108
.LBB17_89:
	s_or_b64 exec, exec, s[4:5]
	s_waitcnt lgkmcnt(0)
	; wave barrier
	s_waitcnt lgkmcnt(0)
	buffer_load_dword v48, off, s[0:3], 0 offset:112
	buffer_load_dword v49, off, s[0:3], 0 offset:116
	;; [unrolled: 1-line block ×10, first 2 shown]
	ds_read_b128 v[40:43], v38 offset:256
	ds_read_b128 v[44:47], v38 offset:272
	v_cmp_lt_u32_e32 vcc, 12, v0
	s_waitcnt vmcnt(8) lgkmcnt(1)
	v_fma_f64 v[38:39], v[48:49], v[40:41], 0
	s_waitcnt vmcnt(6)
	v_fmac_f64_e32 v[38:39], v[50:51], v[42:43]
	s_waitcnt vmcnt(4) lgkmcnt(0)
	v_fmac_f64_e32 v[38:39], v[52:53], v[44:45]
	s_waitcnt vmcnt(2)
	v_fmac_f64_e32 v[38:39], v[54:55], v[46:47]
	s_waitcnt vmcnt(0)
	v_add_f64 v[38:39], v[56:57], -v[38:39]
	buffer_store_dword v38, off, s[0:3], 0 offset:104
	buffer_store_dword v39, off, s[0:3], 0 offset:108
	s_and_saveexec_b64 s[4:5], vcc
	s_cbranch_execz .LBB17_91
; %bb.90:
	buffer_load_dword v38, off, s[0:3], 0 offset:96
	buffer_load_dword v39, off, s[0:3], 0 offset:100
	v_mov_b32_e32 v40, 0
	buffer_store_dword v40, off, s[0:3], 0 offset:96
	buffer_store_dword v40, off, s[0:3], 0 offset:100
	s_waitcnt vmcnt(2)
	ds_write_b64 v1, v[38:39]
.LBB17_91:
	s_or_b64 exec, exec, s[4:5]
	s_waitcnt lgkmcnt(0)
	; wave barrier
	s_waitcnt lgkmcnt(0)
	buffer_load_dword v48, off, s[0:3], 0 offset:104
	buffer_load_dword v49, off, s[0:3], 0 offset:108
	;; [unrolled: 1-line block ×12, first 2 shown]
	v_mov_b32_e32 v38, 0
	ds_read2_b64 v[40:43], v38 offset0:31 offset1:32
	ds_read2_b64 v[44:47], v38 offset0:33 offset1:34
	ds_read_b64 v[60:61], v38 offset:280
	v_cmp_lt_u32_e32 vcc, 11, v0
	s_waitcnt vmcnt(10) lgkmcnt(2)
	v_fma_f64 v[40:41], v[48:49], v[40:41], 0
	s_waitcnt vmcnt(8)
	v_fmac_f64_e32 v[40:41], v[50:51], v[42:43]
	s_waitcnt vmcnt(6) lgkmcnt(1)
	v_fmac_f64_e32 v[40:41], v[52:53], v[44:45]
	s_waitcnt vmcnt(4)
	v_fmac_f64_e32 v[40:41], v[54:55], v[46:47]
	s_waitcnt vmcnt(2) lgkmcnt(0)
	v_fmac_f64_e32 v[40:41], v[56:57], v[60:61]
	s_waitcnt vmcnt(0)
	v_add_f64 v[40:41], v[58:59], -v[40:41]
	buffer_store_dword v40, off, s[0:3], 0 offset:96
	buffer_store_dword v41, off, s[0:3], 0 offset:100
	s_and_saveexec_b64 s[4:5], vcc
	s_cbranch_execz .LBB17_93
; %bb.92:
	buffer_load_dword v40, off, s[0:3], 0 offset:88
	buffer_load_dword v41, off, s[0:3], 0 offset:92
	s_waitcnt vmcnt(0)
	ds_write_b64 v1, v[40:41]
	buffer_store_dword v38, off, s[0:3], 0 offset:88
	buffer_store_dword v38, off, s[0:3], 0 offset:92
.LBB17_93:
	s_or_b64 exec, exec, s[4:5]
	s_waitcnt lgkmcnt(0)
	; wave barrier
	s_waitcnt lgkmcnt(0)
	buffer_load_dword v52, off, s[0:3], 0 offset:96
	buffer_load_dword v53, off, s[0:3], 0 offset:100
	;; [unrolled: 1-line block ×14, first 2 shown]
	ds_read_b128 v[40:43], v38 offset:240
	ds_read_b128 v[44:47], v38 offset:256
	;; [unrolled: 1-line block ×3, first 2 shown]
	v_cmp_lt_u32_e32 vcc, 10, v0
	s_waitcnt vmcnt(12) lgkmcnt(2)
	v_fma_f64 v[38:39], v[52:53], v[40:41], 0
	s_waitcnt vmcnt(10)
	v_fmac_f64_e32 v[38:39], v[54:55], v[42:43]
	s_waitcnt vmcnt(8) lgkmcnt(1)
	v_fmac_f64_e32 v[38:39], v[56:57], v[44:45]
	s_waitcnt vmcnt(6)
	v_fmac_f64_e32 v[38:39], v[58:59], v[46:47]
	s_waitcnt vmcnt(4) lgkmcnt(0)
	v_fmac_f64_e32 v[38:39], v[60:61], v[48:49]
	s_waitcnt vmcnt(2)
	v_fmac_f64_e32 v[38:39], v[62:63], v[50:51]
	s_waitcnt vmcnt(0)
	v_add_f64 v[38:39], v[64:65], -v[38:39]
	buffer_store_dword v38, off, s[0:3], 0 offset:88
	buffer_store_dword v39, off, s[0:3], 0 offset:92
	s_and_saveexec_b64 s[4:5], vcc
	s_cbranch_execz .LBB17_95
; %bb.94:
	buffer_load_dword v38, off, s[0:3], 0 offset:80
	buffer_load_dword v39, off, s[0:3], 0 offset:84
	v_mov_b32_e32 v40, 0
	buffer_store_dword v40, off, s[0:3], 0 offset:80
	buffer_store_dword v40, off, s[0:3], 0 offset:84
	s_waitcnt vmcnt(2)
	ds_write_b64 v1, v[38:39]
.LBB17_95:
	s_or_b64 exec, exec, s[4:5]
	s_waitcnt lgkmcnt(0)
	; wave barrier
	s_waitcnt lgkmcnt(0)
	buffer_load_dword v52, off, s[0:3], 0 offset:88
	buffer_load_dword v53, off, s[0:3], 0 offset:92
	;; [unrolled: 1-line block ×16, first 2 shown]
	v_mov_b32_e32 v38, 0
	ds_read2_b64 v[40:43], v38 offset0:29 offset1:30
	ds_read2_b64 v[44:47], v38 offset0:31 offset1:32
	;; [unrolled: 1-line block ×3, first 2 shown]
	ds_read_b64 v[68:69], v38 offset:280
	v_cmp_lt_u32_e32 vcc, 9, v0
	s_waitcnt vmcnt(14) lgkmcnt(3)
	v_fma_f64 v[40:41], v[52:53], v[40:41], 0
	s_waitcnt vmcnt(12)
	v_fmac_f64_e32 v[40:41], v[54:55], v[42:43]
	s_waitcnt vmcnt(10) lgkmcnt(2)
	v_fmac_f64_e32 v[40:41], v[56:57], v[44:45]
	s_waitcnt vmcnt(8)
	v_fmac_f64_e32 v[40:41], v[58:59], v[46:47]
	s_waitcnt vmcnt(6) lgkmcnt(1)
	v_fmac_f64_e32 v[40:41], v[60:61], v[48:49]
	;; [unrolled: 4-line block ×3, first 2 shown]
	s_waitcnt vmcnt(0)
	v_add_f64 v[40:41], v[66:67], -v[40:41]
	buffer_store_dword v40, off, s[0:3], 0 offset:80
	buffer_store_dword v41, off, s[0:3], 0 offset:84
	s_and_saveexec_b64 s[4:5], vcc
	s_cbranch_execz .LBB17_97
; %bb.96:
	buffer_load_dword v40, off, s[0:3], 0 offset:72
	buffer_load_dword v41, off, s[0:3], 0 offset:76
	s_waitcnt vmcnt(0)
	ds_write_b64 v1, v[40:41]
	buffer_store_dword v38, off, s[0:3], 0 offset:72
	buffer_store_dword v38, off, s[0:3], 0 offset:76
.LBB17_97:
	s_or_b64 exec, exec, s[4:5]
	s_waitcnt lgkmcnt(0)
	; wave barrier
	s_waitcnt lgkmcnt(0)
	buffer_load_dword v56, off, s[0:3], 0 offset:80
	buffer_load_dword v57, off, s[0:3], 0 offset:84
	buffer_load_dword v58, off, s[0:3], 0 offset:88
	buffer_load_dword v59, off, s[0:3], 0 offset:92
	buffer_load_dword v60, off, s[0:3], 0 offset:96
	buffer_load_dword v61, off, s[0:3], 0 offset:100
	buffer_load_dword v62, off, s[0:3], 0 offset:104
	buffer_load_dword v63, off, s[0:3], 0 offset:108
	buffer_load_dword v64, off, s[0:3], 0 offset:112
	buffer_load_dword v65, off, s[0:3], 0 offset:116
	buffer_load_dword v66, off, s[0:3], 0 offset:120
	buffer_load_dword v67, off, s[0:3], 0 offset:124
	buffer_load_dword v68, off, s[0:3], 0 offset:128
	buffer_load_dword v69, off, s[0:3], 0 offset:132
	buffer_load_dword v71, off, s[0:3], 0 offset:140
	buffer_load_dword v70, off, s[0:3], 0 offset:136
	buffer_load_dword v72, off, s[0:3], 0 offset:72
	buffer_load_dword v73, off, s[0:3], 0 offset:76
	ds_read_b128 v[40:43], v38 offset:224
	ds_read_b128 v[44:47], v38 offset:240
	;; [unrolled: 1-line block ×4, first 2 shown]
	v_cmp_lt_u32_e32 vcc, 8, v0
	s_waitcnt vmcnt(16) lgkmcnt(3)
	v_fma_f64 v[38:39], v[56:57], v[40:41], 0
	s_waitcnt vmcnt(14)
	v_fmac_f64_e32 v[38:39], v[58:59], v[42:43]
	s_waitcnt vmcnt(12) lgkmcnt(2)
	v_fmac_f64_e32 v[38:39], v[60:61], v[44:45]
	s_waitcnt vmcnt(10)
	v_fmac_f64_e32 v[38:39], v[62:63], v[46:47]
	s_waitcnt vmcnt(8) lgkmcnt(1)
	v_fmac_f64_e32 v[38:39], v[64:65], v[48:49]
	;; [unrolled: 4-line block ×3, first 2 shown]
	s_waitcnt vmcnt(2)
	v_fmac_f64_e32 v[38:39], v[70:71], v[54:55]
	s_waitcnt vmcnt(0)
	v_add_f64 v[38:39], v[72:73], -v[38:39]
	buffer_store_dword v38, off, s[0:3], 0 offset:72
	buffer_store_dword v39, off, s[0:3], 0 offset:76
	s_and_saveexec_b64 s[4:5], vcc
	s_cbranch_execz .LBB17_99
; %bb.98:
	buffer_load_dword v38, off, s[0:3], 0 offset:64
	buffer_load_dword v39, off, s[0:3], 0 offset:68
	v_mov_b32_e32 v40, 0
	buffer_store_dword v40, off, s[0:3], 0 offset:64
	buffer_store_dword v40, off, s[0:3], 0 offset:68
	s_waitcnt vmcnt(2)
	ds_write_b64 v1, v[38:39]
.LBB17_99:
	s_or_b64 exec, exec, s[4:5]
	s_waitcnt lgkmcnt(0)
	; wave barrier
	s_waitcnt lgkmcnt(0)
	buffer_load_dword v56, off, s[0:3], 0 offset:72
	buffer_load_dword v57, off, s[0:3], 0 offset:76
	;; [unrolled: 1-line block ×20, first 2 shown]
	v_mov_b32_e32 v38, 0
	ds_read2_b64 v[40:43], v38 offset0:27 offset1:28
	ds_read2_b64 v[44:47], v38 offset0:29 offset1:30
	;; [unrolled: 1-line block ×4, first 2 shown]
	ds_read_b64 v[76:77], v38 offset:280
	v_cmp_lt_u32_e32 vcc, 7, v0
	s_waitcnt vmcnt(18) lgkmcnt(4)
	v_fma_f64 v[40:41], v[56:57], v[40:41], 0
	s_waitcnt vmcnt(16)
	v_fmac_f64_e32 v[40:41], v[58:59], v[42:43]
	s_waitcnt vmcnt(14) lgkmcnt(3)
	v_fmac_f64_e32 v[40:41], v[60:61], v[44:45]
	s_waitcnt vmcnt(12)
	v_fmac_f64_e32 v[40:41], v[62:63], v[46:47]
	s_waitcnt vmcnt(10) lgkmcnt(2)
	v_fmac_f64_e32 v[40:41], v[64:65], v[48:49]
	;; [unrolled: 4-line block ×3, first 2 shown]
	s_waitcnt vmcnt(2)
	v_fmac_f64_e32 v[40:41], v[72:73], v[54:55]
	s_waitcnt lgkmcnt(0)
	v_fmac_f64_e32 v[40:41], v[70:71], v[76:77]
	s_waitcnt vmcnt(0)
	v_add_f64 v[40:41], v[74:75], -v[40:41]
	buffer_store_dword v40, off, s[0:3], 0 offset:64
	buffer_store_dword v41, off, s[0:3], 0 offset:68
	s_and_saveexec_b64 s[4:5], vcc
	s_cbranch_execz .LBB17_101
; %bb.100:
	buffer_load_dword v40, off, s[0:3], 0 offset:56
	buffer_load_dword v41, off, s[0:3], 0 offset:60
	s_waitcnt vmcnt(0)
	ds_write_b64 v1, v[40:41]
	buffer_store_dword v38, off, s[0:3], 0 offset:56
	buffer_store_dword v38, off, s[0:3], 0 offset:60
.LBB17_101:
	s_or_b64 exec, exec, s[4:5]
	s_waitcnt lgkmcnt(0)
	; wave barrier
	s_waitcnt lgkmcnt(0)
	buffer_load_dword v60, off, s[0:3], 0 offset:64
	buffer_load_dword v61, off, s[0:3], 0 offset:68
	;; [unrolled: 1-line block ×22, first 2 shown]
	ds_read_b128 v[40:43], v38 offset:208
	ds_read_b128 v[44:47], v38 offset:224
	;; [unrolled: 1-line block ×5, first 2 shown]
	v_cmp_lt_u32_e32 vcc, 6, v0
	s_waitcnt vmcnt(20) lgkmcnt(4)
	v_fma_f64 v[38:39], v[60:61], v[40:41], 0
	s_waitcnt vmcnt(18)
	v_fmac_f64_e32 v[38:39], v[62:63], v[42:43]
	s_waitcnt vmcnt(16) lgkmcnt(3)
	v_fmac_f64_e32 v[38:39], v[64:65], v[44:45]
	s_waitcnt vmcnt(14)
	v_fmac_f64_e32 v[38:39], v[66:67], v[46:47]
	s_waitcnt vmcnt(12) lgkmcnt(2)
	v_fmac_f64_e32 v[38:39], v[68:69], v[48:49]
	;; [unrolled: 4-line block ×3, first 2 shown]
	s_waitcnt vmcnt(3)
	v_fmac_f64_e32 v[38:39], v[78:79], v[54:55]
	s_waitcnt lgkmcnt(0)
	v_fmac_f64_e32 v[38:39], v[76:77], v[56:57]
	s_waitcnt vmcnt(2)
	v_fmac_f64_e32 v[38:39], v[74:75], v[58:59]
	s_waitcnt vmcnt(0)
	v_add_f64 v[38:39], v[80:81], -v[38:39]
	buffer_store_dword v38, off, s[0:3], 0 offset:56
	buffer_store_dword v39, off, s[0:3], 0 offset:60
	s_and_saveexec_b64 s[4:5], vcc
	s_cbranch_execz .LBB17_103
; %bb.102:
	buffer_load_dword v38, off, s[0:3], 0 offset:48
	buffer_load_dword v39, off, s[0:3], 0 offset:52
	v_mov_b32_e32 v40, 0
	buffer_store_dword v40, off, s[0:3], 0 offset:48
	buffer_store_dword v40, off, s[0:3], 0 offset:52
	s_waitcnt vmcnt(2)
	ds_write_b64 v1, v[38:39]
.LBB17_103:
	s_or_b64 exec, exec, s[4:5]
	s_waitcnt lgkmcnt(0)
	; wave barrier
	s_waitcnt lgkmcnt(0)
	buffer_load_dword v60, off, s[0:3], 0 offset:56
	buffer_load_dword v61, off, s[0:3], 0 offset:60
	;; [unrolled: 1-line block ×24, first 2 shown]
	v_mov_b32_e32 v38, 0
	ds_read2_b64 v[40:43], v38 offset0:25 offset1:26
	ds_read2_b64 v[44:47], v38 offset0:27 offset1:28
	;; [unrolled: 1-line block ×5, first 2 shown]
	ds_read_b64 v[84:85], v38 offset:280
	v_cmp_lt_u32_e32 vcc, 5, v0
	s_waitcnt vmcnt(22) lgkmcnt(5)
	v_fma_f64 v[40:41], v[60:61], v[40:41], 0
	s_waitcnt vmcnt(20)
	v_fmac_f64_e32 v[40:41], v[62:63], v[42:43]
	s_waitcnt vmcnt(18) lgkmcnt(4)
	v_fmac_f64_e32 v[40:41], v[64:65], v[44:45]
	s_waitcnt vmcnt(16)
	v_fmac_f64_e32 v[40:41], v[66:67], v[46:47]
	s_waitcnt vmcnt(14) lgkmcnt(3)
	v_fmac_f64_e32 v[40:41], v[68:69], v[48:49]
	;; [unrolled: 4-line block ×3, first 2 shown]
	s_waitcnt vmcnt(4)
	v_fmac_f64_e32 v[40:41], v[80:81], v[54:55]
	s_waitcnt lgkmcnt(1)
	v_fmac_f64_e32 v[40:41], v[78:79], v[56:57]
	s_waitcnt vmcnt(3)
	v_fmac_f64_e32 v[40:41], v[76:77], v[58:59]
	s_waitcnt vmcnt(2) lgkmcnt(0)
	v_fmac_f64_e32 v[40:41], v[74:75], v[84:85]
	s_waitcnt vmcnt(0)
	v_add_f64 v[40:41], v[82:83], -v[40:41]
	buffer_store_dword v41, off, s[0:3], 0 offset:52
	buffer_store_dword v40, off, s[0:3], 0 offset:48
	s_and_saveexec_b64 s[4:5], vcc
	s_cbranch_execz .LBB17_105
; %bb.104:
	buffer_load_dword v40, off, s[0:3], 0 offset:40
	buffer_load_dword v41, off, s[0:3], 0 offset:44
	s_waitcnt vmcnt(0)
	ds_write_b64 v1, v[40:41]
	buffer_store_dword v38, off, s[0:3], 0 offset:40
	buffer_store_dword v38, off, s[0:3], 0 offset:44
.LBB17_105:
	s_or_b64 exec, exec, s[4:5]
	s_waitcnt lgkmcnt(0)
	; wave barrier
	s_waitcnt lgkmcnt(0)
	buffer_load_dword v64, off, s[0:3], 0 offset:48
	buffer_load_dword v65, off, s[0:3], 0 offset:52
	;; [unrolled: 1-line block ×26, first 2 shown]
	ds_read_b128 v[40:43], v38 offset:192
	ds_read_b128 v[44:47], v38 offset:208
	;; [unrolled: 1-line block ×6, first 2 shown]
	v_cmp_lt_u32_e32 vcc, 4, v0
	s_waitcnt vmcnt(24) lgkmcnt(5)
	v_fma_f64 v[38:39], v[64:65], v[40:41], 0
	s_waitcnt vmcnt(22)
	v_fmac_f64_e32 v[38:39], v[66:67], v[42:43]
	s_waitcnt vmcnt(20) lgkmcnt(4)
	v_fmac_f64_e32 v[38:39], v[68:69], v[44:45]
	s_waitcnt vmcnt(18)
	v_fmac_f64_e32 v[38:39], v[70:71], v[46:47]
	s_waitcnt vmcnt(16) lgkmcnt(3)
	v_fmac_f64_e32 v[38:39], v[72:73], v[48:49]
	s_waitcnt vmcnt(14)
	v_fmac_f64_e32 v[38:39], v[74:75], v[50:51]
	s_waitcnt vmcnt(12) lgkmcnt(2)
	v_fmac_f64_e32 v[38:39], v[76:77], v[52:53]
	s_waitcnt vmcnt(5)
	v_fmac_f64_e32 v[38:39], v[84:85], v[54:55]
	s_waitcnt lgkmcnt(1)
	v_fmac_f64_e32 v[38:39], v[82:83], v[56:57]
	v_fmac_f64_e32 v[38:39], v[80:81], v[58:59]
	s_waitcnt vmcnt(4) lgkmcnt(0)
	v_fmac_f64_e32 v[38:39], v[78:79], v[60:61]
	s_waitcnt vmcnt(2)
	v_fmac_f64_e32 v[38:39], v[86:87], v[62:63]
	s_waitcnt vmcnt(0)
	v_add_f64 v[38:39], v[88:89], -v[38:39]
	buffer_store_dword v39, off, s[0:3], 0 offset:44
	buffer_store_dword v38, off, s[0:3], 0 offset:40
	s_and_saveexec_b64 s[4:5], vcc
	s_cbranch_execz .LBB17_107
; %bb.106:
	buffer_load_dword v38, off, s[0:3], 0 offset:32
	buffer_load_dword v39, off, s[0:3], 0 offset:36
	v_mov_b32_e32 v40, 0
	buffer_store_dword v40, off, s[0:3], 0 offset:32
	buffer_store_dword v40, off, s[0:3], 0 offset:36
	s_waitcnt vmcnt(2)
	ds_write_b64 v1, v[38:39]
.LBB17_107:
	s_or_b64 exec, exec, s[4:5]
	s_waitcnt lgkmcnt(0)
	; wave barrier
	s_waitcnt lgkmcnt(0)
	buffer_load_dword v64, off, s[0:3], 0 offset:40
	buffer_load_dword v65, off, s[0:3], 0 offset:44
	;; [unrolled: 1-line block ×28, first 2 shown]
	v_mov_b32_e32 v38, 0
	ds_read2_b64 v[40:43], v38 offset0:23 offset1:24
	ds_read2_b64 v[44:47], v38 offset0:25 offset1:26
	;; [unrolled: 1-line block ×6, first 2 shown]
	ds_read_b64 v[92:93], v38 offset:280
	v_cmp_lt_u32_e32 vcc, 3, v0
	s_waitcnt vmcnt(26) lgkmcnt(6)
	v_fma_f64 v[40:41], v[64:65], v[40:41], 0
	s_waitcnt vmcnt(24)
	v_fmac_f64_e32 v[40:41], v[66:67], v[42:43]
	s_waitcnt vmcnt(22) lgkmcnt(5)
	v_fmac_f64_e32 v[40:41], v[68:69], v[44:45]
	s_waitcnt vmcnt(20)
	v_fmac_f64_e32 v[40:41], v[70:71], v[46:47]
	s_waitcnt vmcnt(18) lgkmcnt(4)
	v_fmac_f64_e32 v[40:41], v[72:73], v[48:49]
	;; [unrolled: 4-line block ×3, first 2 shown]
	s_waitcnt vmcnt(6)
	v_fmac_f64_e32 v[40:41], v[84:85], v[54:55]
	s_waitcnt lgkmcnt(2)
	v_fmac_f64_e32 v[40:41], v[82:83], v[56:57]
	v_fmac_f64_e32 v[40:41], v[80:81], v[58:59]
	s_waitcnt lgkmcnt(1)
	v_fmac_f64_e32 v[40:41], v[78:79], v[60:61]
	s_waitcnt vmcnt(2)
	v_fmac_f64_e32 v[40:41], v[88:89], v[62:63]
	s_waitcnt lgkmcnt(0)
	v_fmac_f64_e32 v[40:41], v[86:87], v[92:93]
	s_waitcnt vmcnt(0)
	v_add_f64 v[40:41], v[90:91], -v[40:41]
	buffer_store_dword v41, off, s[0:3], 0 offset:36
	buffer_store_dword v40, off, s[0:3], 0 offset:32
	s_and_saveexec_b64 s[4:5], vcc
	s_cbranch_execz .LBB17_109
; %bb.108:
	buffer_load_dword v40, off, s[0:3], 0 offset:24
	buffer_load_dword v41, off, s[0:3], 0 offset:28
	s_waitcnt vmcnt(0)
	ds_write_b64 v1, v[40:41]
	buffer_store_dword v38, off, s[0:3], 0 offset:24
	buffer_store_dword v38, off, s[0:3], 0 offset:28
.LBB17_109:
	s_or_b64 exec, exec, s[4:5]
	s_waitcnt lgkmcnt(0)
	; wave barrier
	s_waitcnt lgkmcnt(0)
	buffer_load_dword v68, off, s[0:3], 0 offset:32
	buffer_load_dword v69, off, s[0:3], 0 offset:36
	;; [unrolled: 1-line block ×30, first 2 shown]
	ds_read_b128 v[40:43], v38 offset:176
	ds_read_b128 v[44:47], v38 offset:192
	;; [unrolled: 1-line block ×7, first 2 shown]
	v_cmp_lt_u32_e32 vcc, 2, v0
	s_waitcnt vmcnt(28) lgkmcnt(6)
	v_fma_f64 v[38:39], v[68:69], v[40:41], 0
	s_waitcnt vmcnt(26)
	v_fmac_f64_e32 v[38:39], v[70:71], v[42:43]
	s_waitcnt vmcnt(24) lgkmcnt(5)
	v_fmac_f64_e32 v[38:39], v[72:73], v[44:45]
	s_waitcnt vmcnt(22)
	v_fmac_f64_e32 v[38:39], v[74:75], v[46:47]
	s_waitcnt vmcnt(20) lgkmcnt(4)
	v_fmac_f64_e32 v[38:39], v[76:77], v[48:49]
	s_waitcnt vmcnt(18)
	v_fmac_f64_e32 v[38:39], v[78:79], v[50:51]
	s_waitcnt vmcnt(16) lgkmcnt(3)
	v_fmac_f64_e32 v[38:39], v[80:81], v[52:53]
	s_waitcnt vmcnt(8)
	v_fmac_f64_e32 v[38:39], v[88:89], v[54:55]
	s_waitcnt lgkmcnt(2)
	v_fmac_f64_e32 v[38:39], v[86:87], v[56:57]
	v_fmac_f64_e32 v[38:39], v[84:85], v[58:59]
	s_waitcnt lgkmcnt(1)
	v_fmac_f64_e32 v[38:39], v[82:83], v[60:61]
	s_waitcnt vmcnt(3)
	v_fmac_f64_e32 v[38:39], v[94:95], v[62:63]
	s_waitcnt lgkmcnt(0)
	v_fmac_f64_e32 v[38:39], v[92:93], v[64:65]
	s_waitcnt vmcnt(2)
	v_fmac_f64_e32 v[38:39], v[90:91], v[66:67]
	s_waitcnt vmcnt(0)
	v_add_f64 v[38:39], v[96:97], -v[38:39]
	buffer_store_dword v39, off, s[0:3], 0 offset:28
	buffer_store_dword v38, off, s[0:3], 0 offset:24
	s_and_saveexec_b64 s[4:5], vcc
	s_cbranch_execz .LBB17_111
; %bb.110:
	buffer_load_dword v38, off, s[0:3], 0 offset:16
	buffer_load_dword v39, off, s[0:3], 0 offset:20
	v_mov_b32_e32 v40, 0
	buffer_store_dword v40, off, s[0:3], 0 offset:16
	buffer_store_dword v40, off, s[0:3], 0 offset:20
	s_waitcnt vmcnt(2)
	ds_write_b64 v1, v[38:39]
.LBB17_111:
	s_or_b64 exec, exec, s[4:5]
	s_waitcnt lgkmcnt(0)
	; wave barrier
	s_waitcnt lgkmcnt(0)
	buffer_load_dword v68, off, s[0:3], 0 offset:24
	buffer_load_dword v69, off, s[0:3], 0 offset:28
	;; [unrolled: 1-line block ×32, first 2 shown]
	v_mov_b32_e32 v38, 0
	ds_read2_b64 v[40:43], v38 offset0:21 offset1:22
	ds_read2_b64 v[44:47], v38 offset0:23 offset1:24
	;; [unrolled: 1-line block ×7, first 2 shown]
	ds_read_b64 v[100:101], v38 offset:280
	v_cmp_lt_u32_e32 vcc, 1, v0
	s_waitcnt vmcnt(30) lgkmcnt(7)
	v_fma_f64 v[40:41], v[68:69], v[40:41], 0
	s_waitcnt vmcnt(28)
	v_fmac_f64_e32 v[40:41], v[70:71], v[42:43]
	s_waitcnt vmcnt(26) lgkmcnt(6)
	v_fmac_f64_e32 v[40:41], v[72:73], v[44:45]
	s_waitcnt vmcnt(24)
	v_fmac_f64_e32 v[40:41], v[74:75], v[46:47]
	s_waitcnt vmcnt(22) lgkmcnt(5)
	v_fmac_f64_e32 v[40:41], v[76:77], v[48:49]
	;; [unrolled: 4-line block ×3, first 2 shown]
	s_waitcnt vmcnt(10)
	v_fmac_f64_e32 v[40:41], v[88:89], v[54:55]
	s_waitcnt lgkmcnt(3)
	v_fmac_f64_e32 v[40:41], v[86:87], v[56:57]
	v_fmac_f64_e32 v[40:41], v[84:85], v[58:59]
	s_waitcnt lgkmcnt(2)
	v_fmac_f64_e32 v[40:41], v[82:83], v[60:61]
	s_waitcnt vmcnt(4)
	v_fmac_f64_e32 v[40:41], v[96:97], v[62:63]
	s_waitcnt lgkmcnt(1)
	v_fmac_f64_e32 v[40:41], v[94:95], v[64:65]
	s_waitcnt vmcnt(3)
	v_fmac_f64_e32 v[40:41], v[92:93], v[66:67]
	s_waitcnt vmcnt(2) lgkmcnt(0)
	v_fmac_f64_e32 v[40:41], v[90:91], v[100:101]
	s_waitcnt vmcnt(0)
	v_add_f64 v[40:41], v[98:99], -v[40:41]
	buffer_store_dword v41, off, s[0:3], 0 offset:20
	buffer_store_dword v40, off, s[0:3], 0 offset:16
	s_and_saveexec_b64 s[4:5], vcc
	s_cbranch_execz .LBB17_113
; %bb.112:
	buffer_load_dword v40, off, s[0:3], 0 offset:8
	buffer_load_dword v41, off, s[0:3], 0 offset:12
	s_waitcnt vmcnt(0)
	ds_write_b64 v1, v[40:41]
	buffer_store_dword v38, off, s[0:3], 0 offset:8
	buffer_store_dword v38, off, s[0:3], 0 offset:12
.LBB17_113:
	s_or_b64 exec, exec, s[4:5]
	s_waitcnt lgkmcnt(0)
	; wave barrier
	s_waitcnt lgkmcnt(0)
	buffer_load_dword v72, off, s[0:3], 0 offset:16
	buffer_load_dword v73, off, s[0:3], 0 offset:20
	;; [unrolled: 1-line block ×34, first 2 shown]
	ds_read_b128 v[40:43], v38 offset:160
	ds_read_b128 v[44:47], v38 offset:176
	;; [unrolled: 1-line block ×8, first 2 shown]
	v_cmp_ne_u32_e32 vcc, 0, v0
	s_waitcnt vmcnt(32) lgkmcnt(7)
	v_fma_f64 v[38:39], v[72:73], v[40:41], 0
	s_waitcnt vmcnt(30)
	v_fmac_f64_e32 v[38:39], v[74:75], v[42:43]
	s_waitcnt vmcnt(28) lgkmcnt(6)
	v_fmac_f64_e32 v[38:39], v[76:77], v[44:45]
	s_waitcnt vmcnt(26)
	v_fmac_f64_e32 v[38:39], v[78:79], v[46:47]
	s_waitcnt vmcnt(24) lgkmcnt(5)
	v_fmac_f64_e32 v[38:39], v[80:81], v[48:49]
	;; [unrolled: 4-line block ×3, first 2 shown]
	s_waitcnt vmcnt(12)
	v_fmac_f64_e32 v[38:39], v[92:93], v[54:55]
	s_waitcnt lgkmcnt(3)
	v_fmac_f64_e32 v[38:39], v[90:91], v[56:57]
	v_fmac_f64_e32 v[38:39], v[88:89], v[58:59]
	s_waitcnt lgkmcnt(2)
	v_fmac_f64_e32 v[38:39], v[86:87], v[60:61]
	s_waitcnt vmcnt(5)
	v_fmac_f64_e32 v[38:39], v[100:101], v[62:63]
	s_waitcnt lgkmcnt(1)
	v_fmac_f64_e32 v[38:39], v[98:99], v[64:65]
	v_fmac_f64_e32 v[38:39], v[96:97], v[66:67]
	s_waitcnt vmcnt(4) lgkmcnt(0)
	v_fmac_f64_e32 v[38:39], v[94:95], v[68:69]
	s_waitcnt vmcnt(2)
	v_fmac_f64_e32 v[38:39], v[102:103], v[70:71]
	s_waitcnt vmcnt(0)
	v_add_f64 v[38:39], v[104:105], -v[38:39]
	buffer_store_dword v39, off, s[0:3], 0 offset:12
	buffer_store_dword v38, off, s[0:3], 0 offset:8
	s_and_saveexec_b64 s[4:5], vcc
	s_cbranch_execz .LBB17_115
; %bb.114:
	buffer_load_dword v38, off, s[0:3], 0
	buffer_load_dword v39, off, s[0:3], 0 offset:4
	v_mov_b32_e32 v0, 0
	buffer_store_dword v0, off, s[0:3], 0
	buffer_store_dword v0, off, s[0:3], 0 offset:4
	s_waitcnt vmcnt(2)
	ds_write_b64 v1, v[38:39]
.LBB17_115:
	s_or_b64 exec, exec, s[4:5]
	s_waitcnt lgkmcnt(0)
	; wave barrier
	s_waitcnt lgkmcnt(0)
	buffer_load_dword v0, off, s[0:3], 0 offset:8
	buffer_load_dword v1, off, s[0:3], 0 offset:12
	;; [unrolled: 1-line block ×34, first 2 shown]
	buffer_load_dword v102, off, s[0:3], 0
	buffer_load_dword v103, off, s[0:3], 0 offset:4
	v_mov_b32_e32 v104, 0
	ds_read2_b64 v[40:43], v104 offset0:19 offset1:20
	ds_read2_b64 v[44:47], v104 offset0:21 offset1:22
	ds_read2_b64 v[48:51], v104 offset0:23 offset1:24
	ds_read2_b64 v[52:55], v104 offset0:25 offset1:26
	ds_read2_b64 v[56:59], v104 offset0:27 offset1:28
	ds_read2_b64 v[60:63], v104 offset0:29 offset1:30
	ds_read2_b64 v[64:67], v104 offset0:31 offset1:32
	ds_read2_b64 v[68:71], v104 offset0:33 offset1:34
	ds_read_b64 v[104:105], v104 offset:280
	s_and_b64 vcc, exec, s[20:21]
	s_waitcnt vmcnt(34) lgkmcnt(8)
	v_fma_f64 v[0:1], v[0:1], v[40:41], 0
	s_waitcnt vmcnt(32)
	v_fmac_f64_e32 v[0:1], v[72:73], v[42:43]
	s_waitcnt vmcnt(30) lgkmcnt(7)
	v_fmac_f64_e32 v[0:1], v[74:75], v[44:45]
	s_waitcnt vmcnt(28)
	v_fmac_f64_e32 v[0:1], v[76:77], v[46:47]
	s_waitcnt vmcnt(26) lgkmcnt(6)
	v_fmac_f64_e32 v[0:1], v[78:79], v[48:49]
	;; [unrolled: 4-line block ×3, first 2 shown]
	s_waitcnt vmcnt(14)
	v_fmac_f64_e32 v[0:1], v[90:91], v[54:55]
	s_waitcnt lgkmcnt(4)
	v_fmac_f64_e32 v[0:1], v[88:89], v[56:57]
	v_fmac_f64_e32 v[0:1], v[86:87], v[58:59]
	s_waitcnt lgkmcnt(3)
	v_fmac_f64_e32 v[0:1], v[84:85], v[60:61]
	s_waitcnt vmcnt(6)
	v_fmac_f64_e32 v[0:1], v[98:99], v[62:63]
	s_waitcnt lgkmcnt(2)
	v_fmac_f64_e32 v[0:1], v[96:97], v[64:65]
	v_fmac_f64_e32 v[0:1], v[94:95], v[66:67]
	s_waitcnt lgkmcnt(1)
	v_fmac_f64_e32 v[0:1], v[92:93], v[68:69]
	s_waitcnt vmcnt(2)
	v_fmac_f64_e32 v[0:1], v[38:39], v[70:71]
	s_waitcnt lgkmcnt(0)
	v_fmac_f64_e32 v[0:1], v[100:101], v[104:105]
	s_waitcnt vmcnt(0)
	v_add_f64 v[0:1], v[102:103], -v[0:1]
	buffer_store_dword v1, off, s[0:3], 0 offset:4
	buffer_store_dword v0, off, s[0:3], 0
	s_cbranch_vccz .LBB17_151
; %bb.116:
	v_pk_mov_b32 v[0:1], s[10:11], s[10:11] op_sel:[0,1]
	flat_load_dword v0, v[0:1] offset:64
	s_waitcnt vmcnt(0) lgkmcnt(0)
	v_add_u32_e32 v0, -1, v0
	v_cmp_ne_u32_e32 vcc, 16, v0
	s_and_saveexec_b64 s[4:5], vcc
	s_cbranch_execz .LBB17_118
; %bb.117:
	v_mov_b32_e32 v1, 0
	v_lshl_add_u32 v0, v0, 3, v1
	buffer_load_dword v1, v0, s[0:3], 0 offen offset:4
	buffer_load_dword v40, v0, s[0:3], 0 offen
	s_waitcnt vmcnt(1)
	buffer_store_dword v1, off, s[0:3], 0 offset:132
	s_waitcnt vmcnt(1)
	buffer_store_dword v40, off, s[0:3], 0 offset:128
	buffer_store_dword v39, v0, s[0:3], 0 offen offset:4
	buffer_store_dword v38, v0, s[0:3], 0 offen
.LBB17_118:
	s_or_b64 exec, exec, s[4:5]
	v_pk_mov_b32 v[0:1], s[10:11], s[10:11] op_sel:[0,1]
	flat_load_dword v0, v[0:1] offset:60
	s_waitcnt vmcnt(0) lgkmcnt(0)
	v_add_u32_e32 v0, -1, v0
	v_cmp_ne_u32_e32 vcc, 15, v0
	s_and_saveexec_b64 s[4:5], vcc
	s_cbranch_execz .LBB17_120
; %bb.119:
	v_mov_b32_e32 v1, 0
	v_lshl_add_u32 v0, v0, 3, v1
	buffer_load_dword v1, v0, s[0:3], 0 offen
	buffer_load_dword v38, v0, s[0:3], 0 offen offset:4
	buffer_load_dword v39, off, s[0:3], 0 offset:120
	buffer_load_dword v40, off, s[0:3], 0 offset:124
	s_waitcnt vmcnt(3)
	buffer_store_dword v1, off, s[0:3], 0 offset:120
	s_waitcnt vmcnt(3)
	buffer_store_dword v38, off, s[0:3], 0 offset:124
	s_waitcnt vmcnt(3)
	buffer_store_dword v39, v0, s[0:3], 0 offen
	s_waitcnt vmcnt(3)
	buffer_store_dword v40, v0, s[0:3], 0 offen offset:4
.LBB17_120:
	s_or_b64 exec, exec, s[4:5]
	v_pk_mov_b32 v[0:1], s[10:11], s[10:11] op_sel:[0,1]
	flat_load_dword v0, v[0:1] offset:56
	s_waitcnt vmcnt(0) lgkmcnt(0)
	v_add_u32_e32 v0, -1, v0
	v_cmp_ne_u32_e32 vcc, 14, v0
	s_and_saveexec_b64 s[4:5], vcc
	s_cbranch_execz .LBB17_122
; %bb.121:
	v_mov_b32_e32 v1, 0
	v_lshl_add_u32 v0, v0, 3, v1
	buffer_load_dword v1, v0, s[0:3], 0 offen
	buffer_load_dword v38, v0, s[0:3], 0 offen offset:4
	buffer_load_dword v39, off, s[0:3], 0 offset:116
	buffer_load_dword v40, off, s[0:3], 0 offset:112
	s_waitcnt vmcnt(3)
	buffer_store_dword v1, off, s[0:3], 0 offset:112
	s_waitcnt vmcnt(3)
	buffer_store_dword v38, off, s[0:3], 0 offset:116
	s_waitcnt vmcnt(3)
	buffer_store_dword v39, v0, s[0:3], 0 offen offset:4
	s_waitcnt vmcnt(3)
	buffer_store_dword v40, v0, s[0:3], 0 offen
.LBB17_122:
	s_or_b64 exec, exec, s[4:5]
	v_pk_mov_b32 v[0:1], s[10:11], s[10:11] op_sel:[0,1]
	flat_load_dword v0, v[0:1] offset:52
	s_waitcnt vmcnt(0) lgkmcnt(0)
	v_add_u32_e32 v0, -1, v0
	v_cmp_ne_u32_e32 vcc, 13, v0
	s_and_saveexec_b64 s[4:5], vcc
	s_cbranch_execz .LBB17_124
; %bb.123:
	v_mov_b32_e32 v1, 0
	v_lshl_add_u32 v0, v0, 3, v1
	buffer_load_dword v1, v0, s[0:3], 0 offen
	buffer_load_dword v38, v0, s[0:3], 0 offen offset:4
	buffer_load_dword v39, off, s[0:3], 0 offset:104
	buffer_load_dword v40, off, s[0:3], 0 offset:108
	s_waitcnt vmcnt(3)
	buffer_store_dword v1, off, s[0:3], 0 offset:104
	s_waitcnt vmcnt(3)
	buffer_store_dword v38, off, s[0:3], 0 offset:108
	s_waitcnt vmcnt(3)
	buffer_store_dword v39, v0, s[0:3], 0 offen
	s_waitcnt vmcnt(3)
	buffer_store_dword v40, v0, s[0:3], 0 offen offset:4
.LBB17_124:
	s_or_b64 exec, exec, s[4:5]
	v_pk_mov_b32 v[0:1], s[10:11], s[10:11] op_sel:[0,1]
	flat_load_dword v0, v[0:1] offset:48
	s_waitcnt vmcnt(0) lgkmcnt(0)
	v_add_u32_e32 v0, -1, v0
	v_cmp_ne_u32_e32 vcc, 12, v0
	s_and_saveexec_b64 s[4:5], vcc
	s_cbranch_execz .LBB17_126
; %bb.125:
	v_mov_b32_e32 v1, 0
	v_lshl_add_u32 v0, v0, 3, v1
	buffer_load_dword v1, v0, s[0:3], 0 offen
	buffer_load_dword v38, v0, s[0:3], 0 offen offset:4
	buffer_load_dword v39, off, s[0:3], 0 offset:100
	buffer_load_dword v40, off, s[0:3], 0 offset:96
	s_waitcnt vmcnt(3)
	buffer_store_dword v1, off, s[0:3], 0 offset:96
	s_waitcnt vmcnt(3)
	buffer_store_dword v38, off, s[0:3], 0 offset:100
	s_waitcnt vmcnt(3)
	buffer_store_dword v39, v0, s[0:3], 0 offen offset:4
	s_waitcnt vmcnt(3)
	buffer_store_dword v40, v0, s[0:3], 0 offen
.LBB17_126:
	;; [unrolled: 48-line block ×7, first 2 shown]
	s_or_b64 exec, exec, s[4:5]
	v_pk_mov_b32 v[0:1], s[10:11], s[10:11] op_sel:[0,1]
	flat_load_dword v0, v[0:1] offset:4
	s_waitcnt vmcnt(0) lgkmcnt(0)
	v_add_u32_e32 v0, -1, v0
	v_cmp_ne_u32_e32 vcc, 1, v0
	s_and_saveexec_b64 s[4:5], vcc
	s_cbranch_execz .LBB17_148
; %bb.147:
	v_mov_b32_e32 v1, 0
	v_lshl_add_u32 v0, v0, 3, v1
	buffer_load_dword v1, v0, s[0:3], 0 offen
	buffer_load_dword v38, v0, s[0:3], 0 offen offset:4
	buffer_load_dword v39, off, s[0:3], 0 offset:8
	buffer_load_dword v40, off, s[0:3], 0 offset:12
	s_waitcnt vmcnt(3)
	buffer_store_dword v1, off, s[0:3], 0 offset:8
	s_waitcnt vmcnt(3)
	buffer_store_dword v38, off, s[0:3], 0 offset:12
	s_waitcnt vmcnt(3)
	buffer_store_dword v39, v0, s[0:3], 0 offen
	s_waitcnt vmcnt(3)
	buffer_store_dword v40, v0, s[0:3], 0 offen offset:4
.LBB17_148:
	s_or_b64 exec, exec, s[4:5]
	v_pk_mov_b32 v[0:1], s[10:11], s[10:11] op_sel:[0,1]
	flat_load_dword v38, v[0:1]
	s_nop 0
	buffer_load_dword v0, off, s[0:3], 0
	buffer_load_dword v1, off, s[0:3], 0 offset:4
	s_waitcnt vmcnt(0) lgkmcnt(0)
	v_add_u32_e32 v38, -1, v38
	v_cmp_ne_u32_e32 vcc, 0, v38
	s_and_saveexec_b64 s[4:5], vcc
	s_cbranch_execz .LBB17_150
; %bb.149:
	v_mov_b32_e32 v39, 0
	v_lshl_add_u32 v38, v38, 3, v39
	buffer_load_dword v39, v38, s[0:3], 0 offen offset:4
	buffer_load_dword v40, v38, s[0:3], 0 offen
	s_waitcnt vmcnt(1)
	buffer_store_dword v39, off, s[0:3], 0 offset:4
	s_waitcnt vmcnt(1)
	buffer_store_dword v40, off, s[0:3], 0
	buffer_store_dword v1, v38, s[0:3], 0 offen offset:4
	buffer_store_dword v0, v38, s[0:3], 0 offen
	buffer_load_dword v0, off, s[0:3], 0
	s_nop 0
	buffer_load_dword v1, off, s[0:3], 0 offset:4
.LBB17_150:
	s_or_b64 exec, exec, s[4:5]
.LBB17_151:
	buffer_load_dword v38, off, s[0:3], 0 offset:8
	buffer_load_dword v39, off, s[0:3], 0 offset:12
	;; [unrolled: 1-line block ×34, first 2 shown]
	s_waitcnt vmcnt(34)
	global_store_dwordx2 v[2:3], v[0:1], off
	s_waitcnt vmcnt(33)
	global_store_dwordx2 v[4:5], v[38:39], off
	;; [unrolled: 2-line block ×18, first 2 shown]
	s_endpgm
	.section	.rodata,"a",@progbits
	.p2align	6, 0x0
	.amdhsa_kernel _ZN9rocsolver6v33100L18getri_kernel_smallILi18EdPdEEvT1_iilPiilS4_bb
		.amdhsa_group_segment_fixed_size 296
		.amdhsa_private_segment_fixed_size 160
		.amdhsa_kernarg_size 60
		.amdhsa_user_sgpr_count 8
		.amdhsa_user_sgpr_private_segment_buffer 1
		.amdhsa_user_sgpr_dispatch_ptr 0
		.amdhsa_user_sgpr_queue_ptr 0
		.amdhsa_user_sgpr_kernarg_segment_ptr 1
		.amdhsa_user_sgpr_dispatch_id 0
		.amdhsa_user_sgpr_flat_scratch_init 1
		.amdhsa_user_sgpr_kernarg_preload_length 0
		.amdhsa_user_sgpr_kernarg_preload_offset 0
		.amdhsa_user_sgpr_private_segment_size 0
		.amdhsa_uses_dynamic_stack 0
		.amdhsa_system_sgpr_private_segment_wavefront_offset 1
		.amdhsa_system_sgpr_workgroup_id_x 1
		.amdhsa_system_sgpr_workgroup_id_y 0
		.amdhsa_system_sgpr_workgroup_id_z 0
		.amdhsa_system_sgpr_workgroup_info 0
		.amdhsa_system_vgpr_workitem_id 0
		.amdhsa_next_free_vgpr 106
		.amdhsa_next_free_sgpr 23
		.amdhsa_accum_offset 108
		.amdhsa_reserve_vcc 1
		.amdhsa_reserve_flat_scratch 1
		.amdhsa_float_round_mode_32 0
		.amdhsa_float_round_mode_16_64 0
		.amdhsa_float_denorm_mode_32 3
		.amdhsa_float_denorm_mode_16_64 3
		.amdhsa_dx10_clamp 1
		.amdhsa_ieee_mode 1
		.amdhsa_fp16_overflow 0
		.amdhsa_tg_split 0
		.amdhsa_exception_fp_ieee_invalid_op 0
		.amdhsa_exception_fp_denorm_src 0
		.amdhsa_exception_fp_ieee_div_zero 0
		.amdhsa_exception_fp_ieee_overflow 0
		.amdhsa_exception_fp_ieee_underflow 0
		.amdhsa_exception_fp_ieee_inexact 0
		.amdhsa_exception_int_div_zero 0
	.end_amdhsa_kernel
	.section	.text._ZN9rocsolver6v33100L18getri_kernel_smallILi18EdPdEEvT1_iilPiilS4_bb,"axG",@progbits,_ZN9rocsolver6v33100L18getri_kernel_smallILi18EdPdEEvT1_iilPiilS4_bb,comdat
.Lfunc_end17:
	.size	_ZN9rocsolver6v33100L18getri_kernel_smallILi18EdPdEEvT1_iilPiilS4_bb, .Lfunc_end17-_ZN9rocsolver6v33100L18getri_kernel_smallILi18EdPdEEvT1_iilPiilS4_bb
                                        ; -- End function
	.section	.AMDGPU.csdata,"",@progbits
; Kernel info:
; codeLenInByte = 13872
; NumSgprs: 29
; NumVgprs: 106
; NumAgprs: 0
; TotalNumVgprs: 106
; ScratchSize: 160
; MemoryBound: 0
; FloatMode: 240
; IeeeMode: 1
; LDSByteSize: 296 bytes/workgroup (compile time only)
; SGPRBlocks: 3
; VGPRBlocks: 13
; NumSGPRsForWavesPerEU: 29
; NumVGPRsForWavesPerEU: 106
; AccumOffset: 108
; Occupancy: 4
; WaveLimiterHint : 1
; COMPUTE_PGM_RSRC2:SCRATCH_EN: 1
; COMPUTE_PGM_RSRC2:USER_SGPR: 8
; COMPUTE_PGM_RSRC2:TRAP_HANDLER: 0
; COMPUTE_PGM_RSRC2:TGID_X_EN: 1
; COMPUTE_PGM_RSRC2:TGID_Y_EN: 0
; COMPUTE_PGM_RSRC2:TGID_Z_EN: 0
; COMPUTE_PGM_RSRC2:TIDIG_COMP_CNT: 0
; COMPUTE_PGM_RSRC3_GFX90A:ACCUM_OFFSET: 26
; COMPUTE_PGM_RSRC3_GFX90A:TG_SPLIT: 0
	.section	.text._ZN9rocsolver6v33100L18getri_kernel_smallILi19EdPdEEvT1_iilPiilS4_bb,"axG",@progbits,_ZN9rocsolver6v33100L18getri_kernel_smallILi19EdPdEEvT1_iilPiilS4_bb,comdat
	.globl	_ZN9rocsolver6v33100L18getri_kernel_smallILi19EdPdEEvT1_iilPiilS4_bb ; -- Begin function _ZN9rocsolver6v33100L18getri_kernel_smallILi19EdPdEEvT1_iilPiilS4_bb
	.p2align	8
	.type	_ZN9rocsolver6v33100L18getri_kernel_smallILi19EdPdEEvT1_iilPiilS4_bb,@function
_ZN9rocsolver6v33100L18getri_kernel_smallILi19EdPdEEvT1_iilPiilS4_bb: ; @_ZN9rocsolver6v33100L18getri_kernel_smallILi19EdPdEEvT1_iilPiilS4_bb
; %bb.0:
	s_add_u32 flat_scratch_lo, s6, s9
	s_addc_u32 flat_scratch_hi, s7, 0
	s_add_u32 s0, s0, s9
	s_addc_u32 s1, s1, 0
	v_cmp_gt_u32_e32 vcc, 19, v0
	s_and_saveexec_b64 s[6:7], vcc
	s_cbranch_execz .LBB18_84
; %bb.1:
	s_load_dword s22, s[4:5], 0x38
	s_load_dwordx4 s[16:19], s[4:5], 0x10
	s_load_dwordx4 s[12:15], s[4:5], 0x28
                                        ; implicit-def: $sgpr10_sgpr11
	s_waitcnt lgkmcnt(0)
	s_bitcmp1_b32 s22, 8
	s_cselect_b64 s[20:21], -1, 0
	s_ashr_i32 s9, s8, 31
	s_bfe_u32 s6, s22, 0x10008
	s_cmp_eq_u32 s6, 0
	s_cbranch_scc1 .LBB18_3
; %bb.2:
	s_load_dword s6, s[4:5], 0x20
	s_mul_i32 s7, s8, s13
	s_mul_hi_u32 s10, s8, s12
	s_mul_i32 s11, s9, s12
	s_add_i32 s10, s10, s7
	s_add_i32 s11, s10, s11
	s_mul_i32 s10, s8, s12
	s_waitcnt lgkmcnt(0)
	s_ashr_i32 s7, s6, 31
	s_lshl_b64 s[10:11], s[10:11], 2
	s_add_u32 s10, s18, s10
	s_addc_u32 s11, s19, s11
	s_lshl_b64 s[6:7], s[6:7], 2
	s_add_u32 s10, s10, s6
	s_addc_u32 s11, s11, s7
.LBB18_3:
	s_load_dwordx4 s[4:7], s[4:5], 0x0
	s_mul_i32 s12, s8, s17
	s_mul_hi_u32 s13, s8, s16
	s_add_i32 s17, s13, s12
	v_lshlrev_b32_e32 v1, 3, v0
	s_waitcnt lgkmcnt(0)
	s_ashr_i32 s13, s6, 31
	s_mov_b32 s12, s6
	s_mul_i32 s6, s9, s16
	s_add_i32 s17, s17, s6
	s_mul_i32 s16, s8, s16
	s_lshl_b64 s[16:17], s[16:17], 3
	s_add_u32 s6, s4, s16
	s_addc_u32 s16, s5, s17
	s_lshl_b64 s[4:5], s[12:13], 3
	s_add_u32 s4, s6, s4
	s_addc_u32 s5, s16, s5
	v_mov_b32_e32 v3, s5
	v_add_co_u32_e32 v2, vcc, s4, v1
	s_ashr_i32 s13, s7, 31
	s_mov_b32 s12, s7
	s_add_i32 s6, s7, s7
	v_addc_co_u32_e32 v3, vcc, 0, v3, vcc
	s_lshl_b64 s[12:13], s[12:13], 3
	v_add_u32_e32 v8, s6, v0
	v_mov_b32_e32 v5, s13
	v_add_co_u32_e32 v4, vcc, s12, v2
	v_ashrrev_i32_e32 v9, 31, v8
	v_addc_co_u32_e32 v5, vcc, v3, v5, vcc
	v_lshlrev_b64 v[6:7], 3, v[8:9]
	v_add_u32_e32 v10, s7, v8
	v_mov_b32_e32 v9, s5
	v_add_co_u32_e32 v6, vcc, s4, v6
	v_ashrrev_i32_e32 v11, 31, v10
	v_addc_co_u32_e32 v7, vcc, v9, v7, vcc
	v_lshlrev_b64 v[8:9], 3, v[10:11]
	;; [unrolled: 6-line block ×6, first 2 shown]
	v_mov_b32_e32 v19, s5
	v_add_co_u32_e32 v16, vcc, s4, v16
	v_add_u32_e32 v18, s7, v18
	v_addc_co_u32_e32 v17, vcc, v19, v17, vcc
	v_ashrrev_i32_e32 v19, 31, v18
	v_add_u32_e32 v20, s7, v18
	v_lshlrev_b64 v[18:19], 3, v[18:19]
	v_mov_b32_e32 v21, s5
	v_add_co_u32_e32 v18, vcc, s4, v18
	v_addc_co_u32_e32 v19, vcc, v21, v19, vcc
	v_ashrrev_i32_e32 v21, 31, v20
	v_add_u32_e32 v22, s7, v20
	v_lshlrev_b64 v[20:21], 3, v[20:21]
	v_mov_b32_e32 v23, s5
	v_add_co_u32_e32 v20, vcc, s4, v20
	;; [unrolled: 6-line block ×10, first 2 shown]
	global_load_dwordx2 v[40:41], v1, s[4:5]
	global_load_dwordx2 v[48:49], v[4:5], off
	global_load_dwordx2 v[44:45], v[6:7], off
	;; [unrolled: 1-line block ×13, first 2 shown]
	v_addc_co_u32_e32 v37, vcc, v68, v37, vcc
	global_load_dwordx2 v[68:69], v[30:31], off
	global_load_dwordx2 v[70:71], v[32:33], off
	;; [unrolled: 1-line block ×4, first 2 shown]
	v_ashrrev_i32_e32 v39, 31, v38
	v_lshlrev_b64 v[38:39], 3, v[38:39]
	v_mov_b32_e32 v76, s5
	v_add_co_u32_e32 v38, vcc, s4, v38
	v_addc_co_u32_e32 v39, vcc, v76, v39, vcc
	global_load_dwordx2 v[76:77], v[38:39], off
	s_bitcmp0_b32 s22, 0
	s_mov_b64 s[6:7], -1
	s_waitcnt vmcnt(18)
	buffer_store_dword v41, off, s[0:3], 0 offset:4
	buffer_store_dword v40, off, s[0:3], 0
	s_waitcnt vmcnt(19)
	buffer_store_dword v49, off, s[0:3], 0 offset:12
	buffer_store_dword v48, off, s[0:3], 0 offset:8
	s_waitcnt vmcnt(20)
	buffer_store_dword v45, off, s[0:3], 0 offset:20
	buffer_store_dword v44, off, s[0:3], 0 offset:16
	;; [unrolled: 3-line block ×18, first 2 shown]
	s_cbranch_scc1 .LBB18_82
; %bb.4:
	v_cmp_eq_u32_e64 s[4:5], 0, v0
	s_and_saveexec_b64 s[6:7], s[4:5]
	s_cbranch_execz .LBB18_6
; %bb.5:
	v_mov_b32_e32 v40, 0
	ds_write_b32 v40, v40 offset:152
.LBB18_6:
	s_or_b64 exec, exec, s[6:7]
	v_mov_b32_e32 v40, 0
	v_lshl_add_u32 v40, v0, 3, v40
	s_waitcnt lgkmcnt(0)
	; wave barrier
	s_waitcnt lgkmcnt(0)
	buffer_load_dword v42, v40, s[0:3], 0 offen
	buffer_load_dword v43, v40, s[0:3], 0 offen offset:4
	s_waitcnt vmcnt(0)
	v_cmp_eq_f64_e32 vcc, 0, v[42:43]
	s_and_saveexec_b64 s[12:13], vcc
	s_cbranch_execz .LBB18_10
; %bb.7:
	v_mov_b32_e32 v41, 0
	ds_read_b32 v43, v41 offset:152
	v_add_u32_e32 v42, 1, v0
	s_waitcnt lgkmcnt(0)
	v_readfirstlane_b32 s6, v43
	s_cmp_eq_u32 s6, 0
	s_cselect_b64 s[16:17], -1, 0
	v_cmp_gt_i32_e32 vcc, s6, v42
	s_or_b64 s[16:17], s[16:17], vcc
	s_and_b64 exec, exec, s[16:17]
	s_cbranch_execz .LBB18_10
; %bb.8:
	s_mov_b64 s[16:17], 0
	v_mov_b32_e32 v43, s6
.LBB18_9:                               ; =>This Inner Loop Header: Depth=1
	ds_cmpst_rtn_b32 v43, v41, v43, v42 offset:152
	s_waitcnt lgkmcnt(0)
	v_cmp_ne_u32_e32 vcc, 0, v43
	v_cmp_le_i32_e64 s[6:7], v43, v42
	s_and_b64 s[6:7], vcc, s[6:7]
	s_and_b64 s[6:7], exec, s[6:7]
	s_or_b64 s[16:17], s[6:7], s[16:17]
	s_andn2_b64 exec, exec, s[16:17]
	s_cbranch_execnz .LBB18_9
.LBB18_10:
	s_or_b64 exec, exec, s[12:13]
	v_mov_b32_e32 v42, 0
	s_waitcnt lgkmcnt(0)
	; wave barrier
	ds_read_b32 v41, v42 offset:152
	s_and_saveexec_b64 s[6:7], s[4:5]
	s_cbranch_execz .LBB18_12
; %bb.11:
	s_lshl_b64 s[12:13], s[8:9], 2
	s_add_u32 s12, s14, s12
	s_addc_u32 s13, s15, s13
	s_waitcnt lgkmcnt(0)
	global_store_dword v42, v41, s[12:13]
.LBB18_12:
	s_or_b64 exec, exec, s[6:7]
	s_waitcnt lgkmcnt(0)
	v_cmp_ne_u32_e32 vcc, 0, v41
	s_mov_b64 s[6:7], 0
	s_cbranch_vccnz .LBB18_82
; %bb.13:
	buffer_load_dword v42, v40, s[0:3], 0 offen
	buffer_load_dword v43, v40, s[0:3], 0 offen offset:4
	s_waitcnt vmcnt(0)
	v_div_scale_f64 v[44:45], s[6:7], v[42:43], v[42:43], 1.0
	v_rcp_f64_e32 v[46:47], v[44:45]
	v_div_scale_f64 v[48:49], vcc, 1.0, v[42:43], 1.0
	v_fma_f64 v[50:51], -v[44:45], v[46:47], 1.0
	v_fmac_f64_e32 v[46:47], v[46:47], v[50:51]
	v_fma_f64 v[50:51], -v[44:45], v[46:47], 1.0
	v_fmac_f64_e32 v[46:47], v[46:47], v[50:51]
	v_mul_f64 v[50:51], v[48:49], v[46:47]
	v_fma_f64 v[44:45], -v[44:45], v[50:51], v[48:49]
	v_div_fmas_f64 v[44:45], v[44:45], v[46:47], v[50:51]
	v_div_fixup_f64 v[44:45], v[44:45], v[42:43], 1.0
	buffer_store_dword v45, v40, s[0:3], 0 offen offset:4
	buffer_store_dword v44, v40, s[0:3], 0 offen
	buffer_load_dword v47, off, s[0:3], 0 offset:12
	buffer_load_dword v46, off, s[0:3], 0 offset:8
	v_add_u32_e32 v42, 0xa0, v1
	v_xor_b32_e32 v45, 0x80000000, v45
	s_waitcnt vmcnt(0)
	ds_write2_b64 v1, v[44:45], v[46:47] offset1:20
	s_waitcnt lgkmcnt(0)
	; wave barrier
	s_waitcnt lgkmcnt(0)
	s_and_saveexec_b64 s[6:7], s[4:5]
	s_cbranch_execz .LBB18_15
; %bb.14:
	buffer_load_dword v44, v40, s[0:3], 0 offen
	buffer_load_dword v45, v40, s[0:3], 0 offen offset:4
	v_mov_b32_e32 v41, 0
	ds_read_b64 v[46:47], v42
	ds_read_b64 v[48:49], v41 offset:8
	s_waitcnt vmcnt(0) lgkmcnt(1)
	v_fma_f64 v[44:45], v[44:45], v[46:47], 0
	s_waitcnt lgkmcnt(0)
	v_mul_f64 v[44:45], v[44:45], v[48:49]
	buffer_store_dword v44, off, s[0:3], 0 offset:8
	buffer_store_dword v45, off, s[0:3], 0 offset:12
.LBB18_15:
	s_or_b64 exec, exec, s[6:7]
	s_waitcnt lgkmcnt(0)
	; wave barrier
	buffer_load_dword v44, off, s[0:3], 0 offset:16
	buffer_load_dword v45, off, s[0:3], 0 offset:20
	v_cmp_gt_u32_e32 vcc, 2, v0
	s_waitcnt vmcnt(0)
	ds_write_b64 v42, v[44:45]
	s_waitcnt lgkmcnt(0)
	; wave barrier
	s_waitcnt lgkmcnt(0)
	s_and_saveexec_b64 s[6:7], vcc
	s_cbranch_execz .LBB18_17
; %bb.16:
	buffer_load_dword v41, v40, s[0:3], 0 offen offset:4
	buffer_load_dword v48, off, s[0:3], 0 offset:8
	s_nop 0
	buffer_load_dword v40, v40, s[0:3], 0 offen
	s_nop 0
	buffer_load_dword v49, off, s[0:3], 0 offset:12
	ds_read_b64 v[50:51], v42
	v_mov_b32_e32 v43, 0
	ds_read2_b64 v[44:47], v43 offset0:2 offset1:21
	s_waitcnt vmcnt(1) lgkmcnt(1)
	v_fma_f64 v[40:41], v[40:41], v[50:51], 0
	s_waitcnt vmcnt(0) lgkmcnt(0)
	v_fma_f64 v[46:47], v[48:49], v[46:47], v[40:41]
	v_cndmask_b32_e64 v41, v41, v47, s[4:5]
	v_cndmask_b32_e64 v40, v40, v46, s[4:5]
	v_mul_f64 v[40:41], v[40:41], v[44:45]
	buffer_store_dword v41, off, s[0:3], 0 offset:20
	buffer_store_dword v40, off, s[0:3], 0 offset:16
.LBB18_17:
	s_or_b64 exec, exec, s[6:7]
	s_waitcnt lgkmcnt(0)
	; wave barrier
	buffer_load_dword v40, off, s[0:3], 0 offset:24
	buffer_load_dword v41, off, s[0:3], 0 offset:28
	v_cmp_gt_u32_e32 vcc, 3, v0
	v_add_u32_e32 v43, -1, v0
	s_waitcnt vmcnt(0)
	ds_write_b64 v42, v[40:41]
	s_waitcnt lgkmcnt(0)
	; wave barrier
	s_waitcnt lgkmcnt(0)
	s_and_saveexec_b64 s[4:5], vcc
	s_cbranch_execz .LBB18_21
; %bb.18:
	v_add_u32_e32 v44, -1, v0
	v_add_u32_e32 v45, 0xa0, v1
	v_add_u32_e32 v46, 0, v1
	s_mov_b64 s[6:7], 0
	v_pk_mov_b32 v[40:41], 0, 0
.LBB18_19:                              ; =>This Inner Loop Header: Depth=1
	buffer_load_dword v48, v46, s[0:3], 0 offen
	buffer_load_dword v49, v46, s[0:3], 0 offen offset:4
	ds_read_b64 v[50:51], v45
	v_add_u32_e32 v44, 1, v44
	v_cmp_lt_u32_e32 vcc, 1, v44
	v_add_u32_e32 v45, 8, v45
	v_add_u32_e32 v46, 8, v46
	s_or_b64 s[6:7], vcc, s[6:7]
	s_waitcnt vmcnt(0) lgkmcnt(0)
	v_fmac_f64_e32 v[40:41], v[48:49], v[50:51]
	s_andn2_b64 exec, exec, s[6:7]
	s_cbranch_execnz .LBB18_19
; %bb.20:
	s_or_b64 exec, exec, s[6:7]
	v_mov_b32_e32 v44, 0
	ds_read_b64 v[44:45], v44 offset:24
	s_waitcnt lgkmcnt(0)
	v_mul_f64 v[40:41], v[40:41], v[44:45]
	buffer_store_dword v41, off, s[0:3], 0 offset:28
	buffer_store_dword v40, off, s[0:3], 0 offset:24
.LBB18_21:
	s_or_b64 exec, exec, s[4:5]
	s_waitcnt lgkmcnt(0)
	; wave barrier
	buffer_load_dword v40, off, s[0:3], 0 offset:32
	buffer_load_dword v41, off, s[0:3], 0 offset:36
	v_cmp_gt_u32_e32 vcc, 4, v0
	s_waitcnt vmcnt(0)
	ds_write_b64 v42, v[40:41]
	s_waitcnt lgkmcnt(0)
	; wave barrier
	s_waitcnt lgkmcnt(0)
	s_and_saveexec_b64 s[4:5], vcc
	s_cbranch_execz .LBB18_25
; %bb.22:
	v_add_u32_e32 v44, -1, v0
	v_add_u32_e32 v45, 0xa0, v1
	v_add_u32_e32 v46, 0, v1
	s_mov_b64 s[6:7], 0
	v_pk_mov_b32 v[40:41], 0, 0
.LBB18_23:                              ; =>This Inner Loop Header: Depth=1
	buffer_load_dword v48, v46, s[0:3], 0 offen
	buffer_load_dword v49, v46, s[0:3], 0 offen offset:4
	ds_read_b64 v[50:51], v45
	v_add_u32_e32 v44, 1, v44
	v_cmp_lt_u32_e32 vcc, 2, v44
	v_add_u32_e32 v45, 8, v45
	v_add_u32_e32 v46, 8, v46
	s_or_b64 s[6:7], vcc, s[6:7]
	s_waitcnt vmcnt(0) lgkmcnt(0)
	v_fmac_f64_e32 v[40:41], v[48:49], v[50:51]
	s_andn2_b64 exec, exec, s[6:7]
	s_cbranch_execnz .LBB18_23
; %bb.24:
	s_or_b64 exec, exec, s[6:7]
	v_mov_b32_e32 v44, 0
	ds_read_b64 v[44:45], v44 offset:32
	s_waitcnt lgkmcnt(0)
	v_mul_f64 v[40:41], v[40:41], v[44:45]
	buffer_store_dword v41, off, s[0:3], 0 offset:36
	buffer_store_dword v40, off, s[0:3], 0 offset:32
.LBB18_25:
	s_or_b64 exec, exec, s[4:5]
	s_waitcnt lgkmcnt(0)
	; wave barrier
	buffer_load_dword v40, off, s[0:3], 0 offset:40
	buffer_load_dword v41, off, s[0:3], 0 offset:44
	v_cmp_gt_u32_e32 vcc, 5, v0
	;; [unrolled: 41-line block ×14, first 2 shown]
	s_waitcnt vmcnt(0)
	ds_write_b64 v42, v[40:41]
	s_waitcnt lgkmcnt(0)
	; wave barrier
	s_waitcnt lgkmcnt(0)
	s_and_saveexec_b64 s[4:5], vcc
	s_cbranch_execz .LBB18_77
; %bb.74:
	v_add_u32_e32 v44, -1, v0
	v_add_u32_e32 v45, 0xa0, v1
	v_add_u32_e32 v46, 0, v1
	s_mov_b64 s[6:7], 0
	v_pk_mov_b32 v[40:41], 0, 0
.LBB18_75:                              ; =>This Inner Loop Header: Depth=1
	buffer_load_dword v48, v46, s[0:3], 0 offen
	buffer_load_dword v49, v46, s[0:3], 0 offen offset:4
	ds_read_b64 v[50:51], v45
	v_add_u32_e32 v44, 1, v44
	v_cmp_lt_u32_e32 vcc, 15, v44
	v_add_u32_e32 v45, 8, v45
	v_add_u32_e32 v46, 8, v46
	s_or_b64 s[6:7], vcc, s[6:7]
	s_waitcnt vmcnt(0) lgkmcnt(0)
	v_fmac_f64_e32 v[40:41], v[48:49], v[50:51]
	s_andn2_b64 exec, exec, s[6:7]
	s_cbranch_execnz .LBB18_75
; %bb.76:
	s_or_b64 exec, exec, s[6:7]
	v_mov_b32_e32 v44, 0
	ds_read_b64 v[44:45], v44 offset:136
	s_waitcnt lgkmcnt(0)
	v_mul_f64 v[40:41], v[40:41], v[44:45]
	buffer_store_dword v41, off, s[0:3], 0 offset:140
	buffer_store_dword v40, off, s[0:3], 0 offset:136
.LBB18_77:
	s_or_b64 exec, exec, s[4:5]
	s_waitcnt lgkmcnt(0)
	; wave barrier
	buffer_load_dword v40, off, s[0:3], 0 offset:144
	buffer_load_dword v41, off, s[0:3], 0 offset:148
	v_cmp_ne_u32_e32 vcc, 18, v0
	s_waitcnt vmcnt(0)
	ds_write_b64 v42, v[40:41]
	s_waitcnt lgkmcnt(0)
	; wave barrier
	s_waitcnt lgkmcnt(0)
	s_and_saveexec_b64 s[4:5], vcc
	s_cbranch_execz .LBB18_81
; %bb.78:
	v_add_u32_e32 v42, 0xa0, v1
	v_add_u32_e32 v1, 0, v1
	s_mov_b64 s[6:7], 0
	v_pk_mov_b32 v[40:41], 0, 0
.LBB18_79:                              ; =>This Inner Loop Header: Depth=1
	buffer_load_dword v44, v1, s[0:3], 0 offen
	buffer_load_dword v45, v1, s[0:3], 0 offen offset:4
	ds_read_b64 v[46:47], v42
	v_add_u32_e32 v43, 1, v43
	v_cmp_lt_u32_e32 vcc, 16, v43
	v_add_u32_e32 v42, 8, v42
	v_add_u32_e32 v1, 8, v1
	s_or_b64 s[6:7], vcc, s[6:7]
	s_waitcnt vmcnt(0) lgkmcnt(0)
	v_fmac_f64_e32 v[40:41], v[44:45], v[46:47]
	s_andn2_b64 exec, exec, s[6:7]
	s_cbranch_execnz .LBB18_79
; %bb.80:
	s_or_b64 exec, exec, s[6:7]
	v_mov_b32_e32 v1, 0
	ds_read_b64 v[42:43], v1 offset:144
	s_waitcnt lgkmcnt(0)
	v_mul_f64 v[40:41], v[40:41], v[42:43]
	buffer_store_dword v41, off, s[0:3], 0 offset:148
	buffer_store_dword v40, off, s[0:3], 0 offset:144
.LBB18_81:
	s_or_b64 exec, exec, s[4:5]
	s_mov_b64 s[6:7], -1
	s_waitcnt lgkmcnt(0)
	; wave barrier
.LBB18_82:
	s_and_b64 vcc, exec, s[6:7]
	s_cbranch_vccz .LBB18_84
; %bb.83:
	s_lshl_b64 s[4:5], s[8:9], 2
	s_add_u32 s4, s14, s4
	s_addc_u32 s5, s15, s5
	v_mov_b32_e32 v1, 0
	global_load_dword v1, v1, s[4:5]
	s_waitcnt vmcnt(0)
	v_cmp_ne_u32_e32 vcc, 0, v1
	s_cbranch_vccz .LBB18_85
.LBB18_84:
	s_endpgm
.LBB18_85:
	v_mov_b32_e32 v1, 0xa0
	v_lshl_add_u32 v1, v0, 3, v1
	v_cmp_eq_u32_e32 vcc, 18, v0
	s_and_saveexec_b64 s[4:5], vcc
	s_cbranch_execz .LBB18_87
; %bb.86:
	buffer_load_dword v40, off, s[0:3], 0 offset:136
	buffer_load_dword v41, off, s[0:3], 0 offset:140
	v_mov_b32_e32 v42, 0
	buffer_store_dword v42, off, s[0:3], 0 offset:136
	buffer_store_dword v42, off, s[0:3], 0 offset:140
	s_waitcnt vmcnt(2)
	ds_write_b64 v1, v[40:41]
.LBB18_87:
	s_or_b64 exec, exec, s[4:5]
	s_waitcnt lgkmcnt(0)
	; wave barrier
	s_waitcnt lgkmcnt(0)
	buffer_load_dword v42, off, s[0:3], 0 offset:144
	buffer_load_dword v43, off, s[0:3], 0 offset:148
	;; [unrolled: 1-line block ×4, first 2 shown]
	v_mov_b32_e32 v40, 0
	ds_read_b64 v[46:47], v40 offset:304
	v_cmp_lt_u32_e32 vcc, 16, v0
	s_waitcnt vmcnt(2) lgkmcnt(0)
	v_fma_f64 v[42:43], v[42:43], v[46:47], 0
	s_waitcnt vmcnt(0)
	v_add_f64 v[42:43], v[44:45], -v[42:43]
	buffer_store_dword v42, off, s[0:3], 0 offset:136
	buffer_store_dword v43, off, s[0:3], 0 offset:140
	s_and_saveexec_b64 s[4:5], vcc
	s_cbranch_execz .LBB18_89
; %bb.88:
	buffer_load_dword v42, off, s[0:3], 0 offset:128
	buffer_load_dword v43, off, s[0:3], 0 offset:132
	s_waitcnt vmcnt(0)
	ds_write_b64 v1, v[42:43]
	buffer_store_dword v40, off, s[0:3], 0 offset:128
	buffer_store_dword v40, off, s[0:3], 0 offset:132
.LBB18_89:
	s_or_b64 exec, exec, s[4:5]
	s_waitcnt lgkmcnt(0)
	; wave barrier
	s_waitcnt lgkmcnt(0)
	buffer_load_dword v44, off, s[0:3], 0 offset:136
	buffer_load_dword v45, off, s[0:3], 0 offset:140
	;; [unrolled: 1-line block ×6, first 2 shown]
	ds_read2_b64 v[40:43], v40 offset0:37 offset1:38
	v_cmp_lt_u32_e32 vcc, 15, v0
	s_waitcnt vmcnt(4) lgkmcnt(0)
	v_fma_f64 v[40:41], v[44:45], v[40:41], 0
	s_waitcnt vmcnt(2)
	v_fmac_f64_e32 v[40:41], v[46:47], v[42:43]
	s_waitcnt vmcnt(0)
	v_add_f64 v[40:41], v[48:49], -v[40:41]
	buffer_store_dword v40, off, s[0:3], 0 offset:128
	buffer_store_dword v41, off, s[0:3], 0 offset:132
	s_and_saveexec_b64 s[4:5], vcc
	s_cbranch_execz .LBB18_91
; %bb.90:
	buffer_load_dword v40, off, s[0:3], 0 offset:120
	buffer_load_dword v41, off, s[0:3], 0 offset:124
	v_mov_b32_e32 v42, 0
	buffer_store_dword v42, off, s[0:3], 0 offset:120
	buffer_store_dword v42, off, s[0:3], 0 offset:124
	s_waitcnt vmcnt(2)
	ds_write_b64 v1, v[40:41]
.LBB18_91:
	s_or_b64 exec, exec, s[4:5]
	s_waitcnt lgkmcnt(0)
	; wave barrier
	s_waitcnt lgkmcnt(0)
	buffer_load_dword v46, off, s[0:3], 0 offset:128
	buffer_load_dword v47, off, s[0:3], 0 offset:132
	;; [unrolled: 1-line block ×8, first 2 shown]
	v_mov_b32_e32 v40, 0
	ds_read_b128 v[42:45], v40 offset:288
	ds_read_b64 v[54:55], v40 offset:304
	v_cmp_lt_u32_e32 vcc, 14, v0
	s_waitcnt vmcnt(6) lgkmcnt(1)
	v_fma_f64 v[42:43], v[46:47], v[42:43], 0
	s_waitcnt vmcnt(4)
	v_fmac_f64_e32 v[42:43], v[48:49], v[44:45]
	s_waitcnt vmcnt(2) lgkmcnt(0)
	v_fmac_f64_e32 v[42:43], v[50:51], v[54:55]
	s_waitcnt vmcnt(0)
	v_add_f64 v[42:43], v[52:53], -v[42:43]
	buffer_store_dword v42, off, s[0:3], 0 offset:120
	buffer_store_dword v43, off, s[0:3], 0 offset:124
	s_and_saveexec_b64 s[4:5], vcc
	s_cbranch_execz .LBB18_93
; %bb.92:
	buffer_load_dword v42, off, s[0:3], 0 offset:112
	buffer_load_dword v43, off, s[0:3], 0 offset:116
	s_waitcnt vmcnt(0)
	ds_write_b64 v1, v[42:43]
	buffer_store_dword v40, off, s[0:3], 0 offset:112
	buffer_store_dword v40, off, s[0:3], 0 offset:116
.LBB18_93:
	s_or_b64 exec, exec, s[4:5]
	s_waitcnt lgkmcnt(0)
	; wave barrier
	s_waitcnt lgkmcnt(0)
	buffer_load_dword v50, off, s[0:3], 0 offset:120
	buffer_load_dword v51, off, s[0:3], 0 offset:124
	;; [unrolled: 1-line block ×10, first 2 shown]
	ds_read2_b64 v[42:45], v40 offset0:35 offset1:36
	ds_read2_b64 v[46:49], v40 offset0:37 offset1:38
	v_cmp_lt_u32_e32 vcc, 13, v0
	s_waitcnt vmcnt(8) lgkmcnt(1)
	v_fma_f64 v[40:41], v[50:51], v[42:43], 0
	s_waitcnt vmcnt(6)
	v_fmac_f64_e32 v[40:41], v[52:53], v[44:45]
	s_waitcnt vmcnt(4) lgkmcnt(0)
	v_fmac_f64_e32 v[40:41], v[54:55], v[46:47]
	s_waitcnt vmcnt(2)
	v_fmac_f64_e32 v[40:41], v[56:57], v[48:49]
	s_waitcnt vmcnt(0)
	v_add_f64 v[40:41], v[58:59], -v[40:41]
	buffer_store_dword v40, off, s[0:3], 0 offset:112
	buffer_store_dword v41, off, s[0:3], 0 offset:116
	s_and_saveexec_b64 s[4:5], vcc
	s_cbranch_execz .LBB18_95
; %bb.94:
	buffer_load_dword v40, off, s[0:3], 0 offset:104
	buffer_load_dword v41, off, s[0:3], 0 offset:108
	v_mov_b32_e32 v42, 0
	buffer_store_dword v42, off, s[0:3], 0 offset:104
	buffer_store_dword v42, off, s[0:3], 0 offset:108
	s_waitcnt vmcnt(2)
	ds_write_b64 v1, v[40:41]
.LBB18_95:
	s_or_b64 exec, exec, s[4:5]
	s_waitcnt lgkmcnt(0)
	; wave barrier
	s_waitcnt lgkmcnt(0)
	buffer_load_dword v50, off, s[0:3], 0 offset:112
	buffer_load_dword v51, off, s[0:3], 0 offset:116
	;; [unrolled: 1-line block ×12, first 2 shown]
	v_mov_b32_e32 v40, 0
	ds_read_b128 v[42:45], v40 offset:272
	ds_read_b128 v[46:49], v40 offset:288
	ds_read_b64 v[62:63], v40 offset:304
	v_cmp_lt_u32_e32 vcc, 12, v0
	s_waitcnt vmcnt(10) lgkmcnt(2)
	v_fma_f64 v[42:43], v[50:51], v[42:43], 0
	s_waitcnt vmcnt(8)
	v_fmac_f64_e32 v[42:43], v[52:53], v[44:45]
	s_waitcnt vmcnt(6) lgkmcnt(1)
	v_fmac_f64_e32 v[42:43], v[54:55], v[46:47]
	s_waitcnt vmcnt(4)
	v_fmac_f64_e32 v[42:43], v[56:57], v[48:49]
	s_waitcnt vmcnt(2) lgkmcnt(0)
	v_fmac_f64_e32 v[42:43], v[58:59], v[62:63]
	s_waitcnt vmcnt(0)
	v_add_f64 v[42:43], v[60:61], -v[42:43]
	buffer_store_dword v42, off, s[0:3], 0 offset:104
	buffer_store_dword v43, off, s[0:3], 0 offset:108
	s_and_saveexec_b64 s[4:5], vcc
	s_cbranch_execz .LBB18_97
; %bb.96:
	buffer_load_dword v42, off, s[0:3], 0 offset:96
	buffer_load_dword v43, off, s[0:3], 0 offset:100
	s_waitcnt vmcnt(0)
	ds_write_b64 v1, v[42:43]
	buffer_store_dword v40, off, s[0:3], 0 offset:96
	buffer_store_dword v40, off, s[0:3], 0 offset:100
.LBB18_97:
	s_or_b64 exec, exec, s[4:5]
	s_waitcnt lgkmcnt(0)
	; wave barrier
	s_waitcnt lgkmcnt(0)
	buffer_load_dword v54, off, s[0:3], 0 offset:104
	buffer_load_dword v55, off, s[0:3], 0 offset:108
	;; [unrolled: 1-line block ×14, first 2 shown]
	ds_read2_b64 v[42:45], v40 offset0:33 offset1:34
	ds_read2_b64 v[46:49], v40 offset0:35 offset1:36
	;; [unrolled: 1-line block ×3, first 2 shown]
	v_cmp_lt_u32_e32 vcc, 11, v0
	s_waitcnt vmcnt(12) lgkmcnt(2)
	v_fma_f64 v[40:41], v[54:55], v[42:43], 0
	s_waitcnt vmcnt(10)
	v_fmac_f64_e32 v[40:41], v[56:57], v[44:45]
	s_waitcnt vmcnt(8) lgkmcnt(1)
	v_fmac_f64_e32 v[40:41], v[58:59], v[46:47]
	s_waitcnt vmcnt(6)
	v_fmac_f64_e32 v[40:41], v[60:61], v[48:49]
	s_waitcnt vmcnt(4) lgkmcnt(0)
	v_fmac_f64_e32 v[40:41], v[62:63], v[50:51]
	s_waitcnt vmcnt(2)
	v_fmac_f64_e32 v[40:41], v[64:65], v[52:53]
	s_waitcnt vmcnt(0)
	v_add_f64 v[40:41], v[66:67], -v[40:41]
	buffer_store_dword v40, off, s[0:3], 0 offset:96
	buffer_store_dword v41, off, s[0:3], 0 offset:100
	s_and_saveexec_b64 s[4:5], vcc
	s_cbranch_execz .LBB18_99
; %bb.98:
	buffer_load_dword v40, off, s[0:3], 0 offset:88
	buffer_load_dword v41, off, s[0:3], 0 offset:92
	v_mov_b32_e32 v42, 0
	buffer_store_dword v42, off, s[0:3], 0 offset:88
	buffer_store_dword v42, off, s[0:3], 0 offset:92
	s_waitcnt vmcnt(2)
	ds_write_b64 v1, v[40:41]
.LBB18_99:
	s_or_b64 exec, exec, s[4:5]
	s_waitcnt lgkmcnt(0)
	; wave barrier
	s_waitcnt lgkmcnt(0)
	buffer_load_dword v54, off, s[0:3], 0 offset:96
	buffer_load_dword v55, off, s[0:3], 0 offset:100
	;; [unrolled: 1-line block ×16, first 2 shown]
	v_mov_b32_e32 v40, 0
	ds_read_b128 v[42:45], v40 offset:256
	ds_read_b128 v[46:49], v40 offset:272
	;; [unrolled: 1-line block ×3, first 2 shown]
	ds_read_b64 v[70:71], v40 offset:304
	v_cmp_lt_u32_e32 vcc, 10, v0
	s_waitcnt vmcnt(14) lgkmcnt(3)
	v_fma_f64 v[42:43], v[54:55], v[42:43], 0
	s_waitcnt vmcnt(12)
	v_fmac_f64_e32 v[42:43], v[56:57], v[44:45]
	s_waitcnt vmcnt(10) lgkmcnt(2)
	v_fmac_f64_e32 v[42:43], v[58:59], v[46:47]
	s_waitcnt vmcnt(8)
	v_fmac_f64_e32 v[42:43], v[60:61], v[48:49]
	s_waitcnt vmcnt(6) lgkmcnt(1)
	v_fmac_f64_e32 v[42:43], v[62:63], v[50:51]
	s_waitcnt vmcnt(4)
	v_fmac_f64_e32 v[42:43], v[64:65], v[52:53]
	s_waitcnt vmcnt(2) lgkmcnt(0)
	v_fmac_f64_e32 v[42:43], v[66:67], v[70:71]
	s_waitcnt vmcnt(0)
	v_add_f64 v[42:43], v[68:69], -v[42:43]
	buffer_store_dword v42, off, s[0:3], 0 offset:88
	buffer_store_dword v43, off, s[0:3], 0 offset:92
	s_and_saveexec_b64 s[4:5], vcc
	s_cbranch_execz .LBB18_101
; %bb.100:
	buffer_load_dword v42, off, s[0:3], 0 offset:80
	buffer_load_dword v43, off, s[0:3], 0 offset:84
	s_waitcnt vmcnt(0)
	ds_write_b64 v1, v[42:43]
	buffer_store_dword v40, off, s[0:3], 0 offset:80
	buffer_store_dword v40, off, s[0:3], 0 offset:84
.LBB18_101:
	s_or_b64 exec, exec, s[4:5]
	s_waitcnt lgkmcnt(0)
	; wave barrier
	s_waitcnt lgkmcnt(0)
	buffer_load_dword v58, off, s[0:3], 0 offset:88
	buffer_load_dword v59, off, s[0:3], 0 offset:92
	;; [unrolled: 1-line block ×18, first 2 shown]
	ds_read2_b64 v[42:45], v40 offset0:31 offset1:32
	ds_read2_b64 v[46:49], v40 offset0:33 offset1:34
	;; [unrolled: 1-line block ×4, first 2 shown]
	v_cmp_lt_u32_e32 vcc, 9, v0
	s_waitcnt vmcnt(16) lgkmcnt(3)
	v_fma_f64 v[40:41], v[58:59], v[42:43], 0
	s_waitcnt vmcnt(14)
	v_fmac_f64_e32 v[40:41], v[60:61], v[44:45]
	s_waitcnt vmcnt(12) lgkmcnt(2)
	v_fmac_f64_e32 v[40:41], v[62:63], v[46:47]
	s_waitcnt vmcnt(10)
	v_fmac_f64_e32 v[40:41], v[64:65], v[48:49]
	s_waitcnt vmcnt(8) lgkmcnt(1)
	v_fmac_f64_e32 v[40:41], v[66:67], v[50:51]
	;; [unrolled: 4-line block ×3, first 2 shown]
	s_waitcnt vmcnt(2)
	v_fmac_f64_e32 v[40:41], v[72:73], v[56:57]
	s_waitcnt vmcnt(0)
	v_add_f64 v[40:41], v[74:75], -v[40:41]
	buffer_store_dword v40, off, s[0:3], 0 offset:80
	buffer_store_dword v41, off, s[0:3], 0 offset:84
	s_and_saveexec_b64 s[4:5], vcc
	s_cbranch_execz .LBB18_103
; %bb.102:
	buffer_load_dword v40, off, s[0:3], 0 offset:72
	buffer_load_dword v41, off, s[0:3], 0 offset:76
	v_mov_b32_e32 v42, 0
	buffer_store_dword v42, off, s[0:3], 0 offset:72
	buffer_store_dword v42, off, s[0:3], 0 offset:76
	s_waitcnt vmcnt(2)
	ds_write_b64 v1, v[40:41]
.LBB18_103:
	s_or_b64 exec, exec, s[4:5]
	s_waitcnt lgkmcnt(0)
	; wave barrier
	s_waitcnt lgkmcnt(0)
	buffer_load_dword v58, off, s[0:3], 0 offset:80
	buffer_load_dword v59, off, s[0:3], 0 offset:84
	;; [unrolled: 1-line block ×20, first 2 shown]
	v_mov_b32_e32 v40, 0
	ds_read_b128 v[42:45], v40 offset:240
	ds_read_b128 v[46:49], v40 offset:256
	;; [unrolled: 1-line block ×4, first 2 shown]
	ds_read_b64 v[78:79], v40 offset:304
	v_cmp_lt_u32_e32 vcc, 8, v0
	s_waitcnt vmcnt(18) lgkmcnt(4)
	v_fma_f64 v[42:43], v[58:59], v[42:43], 0
	s_waitcnt vmcnt(16)
	v_fmac_f64_e32 v[42:43], v[60:61], v[44:45]
	s_waitcnt vmcnt(14) lgkmcnt(3)
	v_fmac_f64_e32 v[42:43], v[62:63], v[46:47]
	s_waitcnt vmcnt(12)
	v_fmac_f64_e32 v[42:43], v[64:65], v[48:49]
	s_waitcnt vmcnt(10) lgkmcnt(2)
	v_fmac_f64_e32 v[42:43], v[66:67], v[50:51]
	;; [unrolled: 4-line block ×3, first 2 shown]
	s_waitcnt vmcnt(2)
	v_fmac_f64_e32 v[42:43], v[74:75], v[56:57]
	s_waitcnt lgkmcnt(0)
	v_fmac_f64_e32 v[42:43], v[72:73], v[78:79]
	s_waitcnt vmcnt(0)
	v_add_f64 v[42:43], v[76:77], -v[42:43]
	buffer_store_dword v42, off, s[0:3], 0 offset:72
	buffer_store_dword v43, off, s[0:3], 0 offset:76
	s_and_saveexec_b64 s[4:5], vcc
	s_cbranch_execz .LBB18_105
; %bb.104:
	buffer_load_dword v42, off, s[0:3], 0 offset:64
	buffer_load_dword v43, off, s[0:3], 0 offset:68
	s_waitcnt vmcnt(0)
	ds_write_b64 v1, v[42:43]
	buffer_store_dword v40, off, s[0:3], 0 offset:64
	buffer_store_dword v40, off, s[0:3], 0 offset:68
.LBB18_105:
	s_or_b64 exec, exec, s[4:5]
	s_waitcnt lgkmcnt(0)
	; wave barrier
	s_waitcnt lgkmcnt(0)
	buffer_load_dword v62, off, s[0:3], 0 offset:72
	buffer_load_dword v63, off, s[0:3], 0 offset:76
	;; [unrolled: 1-line block ×22, first 2 shown]
	ds_read2_b64 v[42:45], v40 offset0:29 offset1:30
	ds_read2_b64 v[46:49], v40 offset0:31 offset1:32
	;; [unrolled: 1-line block ×5, first 2 shown]
	v_cmp_lt_u32_e32 vcc, 7, v0
	s_waitcnt vmcnt(20) lgkmcnt(4)
	v_fma_f64 v[40:41], v[62:63], v[42:43], 0
	s_waitcnt vmcnt(18)
	v_fmac_f64_e32 v[40:41], v[64:65], v[44:45]
	s_waitcnt vmcnt(16) lgkmcnt(3)
	v_fmac_f64_e32 v[40:41], v[66:67], v[46:47]
	s_waitcnt vmcnt(14)
	v_fmac_f64_e32 v[40:41], v[68:69], v[48:49]
	s_waitcnt vmcnt(12) lgkmcnt(2)
	v_fmac_f64_e32 v[40:41], v[70:71], v[50:51]
	;; [unrolled: 4-line block ×3, first 2 shown]
	s_waitcnt vmcnt(3)
	v_fmac_f64_e32 v[40:41], v[80:81], v[56:57]
	s_waitcnt lgkmcnt(0)
	v_fmac_f64_e32 v[40:41], v[78:79], v[58:59]
	s_waitcnt vmcnt(2)
	v_fmac_f64_e32 v[40:41], v[76:77], v[60:61]
	s_waitcnt vmcnt(0)
	v_add_f64 v[40:41], v[82:83], -v[40:41]
	buffer_store_dword v40, off, s[0:3], 0 offset:64
	buffer_store_dword v41, off, s[0:3], 0 offset:68
	s_and_saveexec_b64 s[4:5], vcc
	s_cbranch_execz .LBB18_107
; %bb.106:
	buffer_load_dword v40, off, s[0:3], 0 offset:56
	buffer_load_dword v41, off, s[0:3], 0 offset:60
	v_mov_b32_e32 v42, 0
	buffer_store_dword v42, off, s[0:3], 0 offset:56
	buffer_store_dword v42, off, s[0:3], 0 offset:60
	s_waitcnt vmcnt(2)
	ds_write_b64 v1, v[40:41]
.LBB18_107:
	s_or_b64 exec, exec, s[4:5]
	s_waitcnt lgkmcnt(0)
	; wave barrier
	s_waitcnt lgkmcnt(0)
	buffer_load_dword v62, off, s[0:3], 0 offset:64
	buffer_load_dword v63, off, s[0:3], 0 offset:68
	;; [unrolled: 1-line block ×24, first 2 shown]
	v_mov_b32_e32 v40, 0
	ds_read_b128 v[42:45], v40 offset:224
	ds_read_b128 v[46:49], v40 offset:240
	;; [unrolled: 1-line block ×5, first 2 shown]
	ds_read_b64 v[86:87], v40 offset:304
	v_cmp_lt_u32_e32 vcc, 6, v0
	s_waitcnt vmcnt(22) lgkmcnt(5)
	v_fma_f64 v[42:43], v[62:63], v[42:43], 0
	s_waitcnt vmcnt(20)
	v_fmac_f64_e32 v[42:43], v[64:65], v[44:45]
	s_waitcnt vmcnt(18) lgkmcnt(4)
	v_fmac_f64_e32 v[42:43], v[66:67], v[46:47]
	s_waitcnt vmcnt(16)
	v_fmac_f64_e32 v[42:43], v[68:69], v[48:49]
	s_waitcnt vmcnt(14) lgkmcnt(3)
	v_fmac_f64_e32 v[42:43], v[70:71], v[50:51]
	;; [unrolled: 4-line block ×3, first 2 shown]
	s_waitcnt vmcnt(4)
	v_fmac_f64_e32 v[42:43], v[82:83], v[56:57]
	s_waitcnt lgkmcnt(1)
	v_fmac_f64_e32 v[42:43], v[80:81], v[58:59]
	s_waitcnt vmcnt(3)
	v_fmac_f64_e32 v[42:43], v[78:79], v[60:61]
	s_waitcnt vmcnt(2) lgkmcnt(0)
	v_fmac_f64_e32 v[42:43], v[76:77], v[86:87]
	s_waitcnt vmcnt(0)
	v_add_f64 v[42:43], v[84:85], -v[42:43]
	buffer_store_dword v43, off, s[0:3], 0 offset:60
	buffer_store_dword v42, off, s[0:3], 0 offset:56
	s_and_saveexec_b64 s[4:5], vcc
	s_cbranch_execz .LBB18_109
; %bb.108:
	buffer_load_dword v42, off, s[0:3], 0 offset:48
	buffer_load_dword v43, off, s[0:3], 0 offset:52
	s_waitcnt vmcnt(0)
	ds_write_b64 v1, v[42:43]
	buffer_store_dword v40, off, s[0:3], 0 offset:48
	buffer_store_dword v40, off, s[0:3], 0 offset:52
.LBB18_109:
	s_or_b64 exec, exec, s[4:5]
	s_waitcnt lgkmcnt(0)
	; wave barrier
	s_waitcnt lgkmcnt(0)
	buffer_load_dword v66, off, s[0:3], 0 offset:56
	buffer_load_dword v67, off, s[0:3], 0 offset:60
	;; [unrolled: 1-line block ×26, first 2 shown]
	ds_read2_b64 v[42:45], v40 offset0:27 offset1:28
	ds_read2_b64 v[46:49], v40 offset0:29 offset1:30
	;; [unrolled: 1-line block ×6, first 2 shown]
	v_cmp_lt_u32_e32 vcc, 5, v0
	s_waitcnt vmcnt(24) lgkmcnt(5)
	v_fma_f64 v[40:41], v[66:67], v[42:43], 0
	s_waitcnt vmcnt(22)
	v_fmac_f64_e32 v[40:41], v[68:69], v[44:45]
	s_waitcnt vmcnt(20) lgkmcnt(4)
	v_fmac_f64_e32 v[40:41], v[70:71], v[46:47]
	s_waitcnt vmcnt(18)
	v_fmac_f64_e32 v[40:41], v[72:73], v[48:49]
	s_waitcnt vmcnt(16) lgkmcnt(3)
	v_fmac_f64_e32 v[40:41], v[74:75], v[50:51]
	;; [unrolled: 4-line block ×3, first 2 shown]
	s_waitcnt vmcnt(5)
	v_fmac_f64_e32 v[40:41], v[86:87], v[56:57]
	s_waitcnt lgkmcnt(1)
	v_fmac_f64_e32 v[40:41], v[84:85], v[58:59]
	v_fmac_f64_e32 v[40:41], v[82:83], v[60:61]
	s_waitcnt vmcnt(4) lgkmcnt(0)
	v_fmac_f64_e32 v[40:41], v[80:81], v[62:63]
	s_waitcnt vmcnt(2)
	v_fmac_f64_e32 v[40:41], v[88:89], v[64:65]
	s_waitcnt vmcnt(0)
	v_add_f64 v[40:41], v[90:91], -v[40:41]
	buffer_store_dword v41, off, s[0:3], 0 offset:52
	buffer_store_dword v40, off, s[0:3], 0 offset:48
	s_and_saveexec_b64 s[4:5], vcc
	s_cbranch_execz .LBB18_111
; %bb.110:
	buffer_load_dword v40, off, s[0:3], 0 offset:40
	buffer_load_dword v41, off, s[0:3], 0 offset:44
	v_mov_b32_e32 v42, 0
	buffer_store_dword v42, off, s[0:3], 0 offset:40
	buffer_store_dword v42, off, s[0:3], 0 offset:44
	s_waitcnt vmcnt(2)
	ds_write_b64 v1, v[40:41]
.LBB18_111:
	s_or_b64 exec, exec, s[4:5]
	s_waitcnt lgkmcnt(0)
	; wave barrier
	s_waitcnt lgkmcnt(0)
	buffer_load_dword v66, off, s[0:3], 0 offset:48
	buffer_load_dword v67, off, s[0:3], 0 offset:52
	;; [unrolled: 1-line block ×28, first 2 shown]
	v_mov_b32_e32 v40, 0
	ds_read_b128 v[42:45], v40 offset:208
	ds_read_b128 v[46:49], v40 offset:224
	;; [unrolled: 1-line block ×6, first 2 shown]
	ds_read_b64 v[94:95], v40 offset:304
	v_cmp_lt_u32_e32 vcc, 4, v0
	s_waitcnt vmcnt(26) lgkmcnt(6)
	v_fma_f64 v[42:43], v[66:67], v[42:43], 0
	s_waitcnt vmcnt(24)
	v_fmac_f64_e32 v[42:43], v[68:69], v[44:45]
	s_waitcnt vmcnt(22) lgkmcnt(5)
	v_fmac_f64_e32 v[42:43], v[70:71], v[46:47]
	s_waitcnt vmcnt(20)
	v_fmac_f64_e32 v[42:43], v[72:73], v[48:49]
	s_waitcnt vmcnt(18) lgkmcnt(4)
	v_fmac_f64_e32 v[42:43], v[74:75], v[50:51]
	;; [unrolled: 4-line block ×3, first 2 shown]
	s_waitcnt vmcnt(6)
	v_fmac_f64_e32 v[42:43], v[86:87], v[56:57]
	s_waitcnt lgkmcnt(2)
	v_fmac_f64_e32 v[42:43], v[84:85], v[58:59]
	v_fmac_f64_e32 v[42:43], v[82:83], v[60:61]
	s_waitcnt lgkmcnt(1)
	v_fmac_f64_e32 v[42:43], v[80:81], v[62:63]
	s_waitcnt vmcnt(2)
	v_fmac_f64_e32 v[42:43], v[90:91], v[64:65]
	s_waitcnt lgkmcnt(0)
	v_fmac_f64_e32 v[42:43], v[88:89], v[94:95]
	s_waitcnt vmcnt(0)
	v_add_f64 v[42:43], v[92:93], -v[42:43]
	buffer_store_dword v43, off, s[0:3], 0 offset:44
	buffer_store_dword v42, off, s[0:3], 0 offset:40
	s_and_saveexec_b64 s[4:5], vcc
	s_cbranch_execz .LBB18_113
; %bb.112:
	buffer_load_dword v42, off, s[0:3], 0 offset:32
	buffer_load_dword v43, off, s[0:3], 0 offset:36
	s_waitcnt vmcnt(0)
	ds_write_b64 v1, v[42:43]
	buffer_store_dword v40, off, s[0:3], 0 offset:32
	buffer_store_dword v40, off, s[0:3], 0 offset:36
.LBB18_113:
	s_or_b64 exec, exec, s[4:5]
	s_waitcnt lgkmcnt(0)
	; wave barrier
	s_waitcnt lgkmcnt(0)
	buffer_load_dword v70, off, s[0:3], 0 offset:40
	buffer_load_dword v71, off, s[0:3], 0 offset:44
	;; [unrolled: 1-line block ×30, first 2 shown]
	ds_read2_b64 v[42:45], v40 offset0:25 offset1:26
	ds_read2_b64 v[46:49], v40 offset0:27 offset1:28
	;; [unrolled: 1-line block ×7, first 2 shown]
	v_cmp_lt_u32_e32 vcc, 3, v0
	s_waitcnt vmcnt(28) lgkmcnt(6)
	v_fma_f64 v[40:41], v[70:71], v[42:43], 0
	s_waitcnt vmcnt(26)
	v_fmac_f64_e32 v[40:41], v[72:73], v[44:45]
	s_waitcnt vmcnt(24) lgkmcnt(5)
	v_fmac_f64_e32 v[40:41], v[74:75], v[46:47]
	s_waitcnt vmcnt(22)
	v_fmac_f64_e32 v[40:41], v[76:77], v[48:49]
	s_waitcnt vmcnt(20) lgkmcnt(4)
	v_fmac_f64_e32 v[40:41], v[78:79], v[50:51]
	s_waitcnt vmcnt(18)
	v_fmac_f64_e32 v[40:41], v[80:81], v[52:53]
	s_waitcnt vmcnt(16) lgkmcnt(3)
	v_fmac_f64_e32 v[40:41], v[82:83], v[54:55]
	s_waitcnt vmcnt(8)
	v_fmac_f64_e32 v[40:41], v[90:91], v[56:57]
	s_waitcnt lgkmcnt(2)
	v_fmac_f64_e32 v[40:41], v[88:89], v[58:59]
	v_fmac_f64_e32 v[40:41], v[86:87], v[60:61]
	s_waitcnt lgkmcnt(1)
	v_fmac_f64_e32 v[40:41], v[84:85], v[62:63]
	s_waitcnt vmcnt(3)
	v_fmac_f64_e32 v[40:41], v[96:97], v[64:65]
	s_waitcnt lgkmcnt(0)
	v_fmac_f64_e32 v[40:41], v[94:95], v[66:67]
	s_waitcnt vmcnt(2)
	v_fmac_f64_e32 v[40:41], v[92:93], v[68:69]
	s_waitcnt vmcnt(0)
	v_add_f64 v[40:41], v[98:99], -v[40:41]
	buffer_store_dword v41, off, s[0:3], 0 offset:36
	buffer_store_dword v40, off, s[0:3], 0 offset:32
	s_and_saveexec_b64 s[4:5], vcc
	s_cbranch_execz .LBB18_115
; %bb.114:
	buffer_load_dword v40, off, s[0:3], 0 offset:24
	buffer_load_dword v41, off, s[0:3], 0 offset:28
	v_mov_b32_e32 v42, 0
	buffer_store_dword v42, off, s[0:3], 0 offset:24
	buffer_store_dword v42, off, s[0:3], 0 offset:28
	s_waitcnt vmcnt(2)
	ds_write_b64 v1, v[40:41]
.LBB18_115:
	s_or_b64 exec, exec, s[4:5]
	s_waitcnt lgkmcnt(0)
	; wave barrier
	s_waitcnt lgkmcnt(0)
	buffer_load_dword v70, off, s[0:3], 0 offset:32
	buffer_load_dword v71, off, s[0:3], 0 offset:36
	;; [unrolled: 1-line block ×32, first 2 shown]
	v_mov_b32_e32 v40, 0
	ds_read_b128 v[42:45], v40 offset:192
	ds_read_b128 v[46:49], v40 offset:208
	;; [unrolled: 1-line block ×7, first 2 shown]
	ds_read_b64 v[102:103], v40 offset:304
	v_cmp_lt_u32_e32 vcc, 2, v0
	s_waitcnt vmcnt(30) lgkmcnt(7)
	v_fma_f64 v[42:43], v[70:71], v[42:43], 0
	s_waitcnt vmcnt(28)
	v_fmac_f64_e32 v[42:43], v[72:73], v[44:45]
	s_waitcnt vmcnt(26) lgkmcnt(6)
	v_fmac_f64_e32 v[42:43], v[74:75], v[46:47]
	s_waitcnt vmcnt(24)
	v_fmac_f64_e32 v[42:43], v[76:77], v[48:49]
	s_waitcnt vmcnt(22) lgkmcnt(5)
	v_fmac_f64_e32 v[42:43], v[78:79], v[50:51]
	;; [unrolled: 4-line block ×3, first 2 shown]
	s_waitcnt vmcnt(10)
	v_fmac_f64_e32 v[42:43], v[90:91], v[56:57]
	s_waitcnt lgkmcnt(3)
	v_fmac_f64_e32 v[42:43], v[88:89], v[58:59]
	v_fmac_f64_e32 v[42:43], v[86:87], v[60:61]
	s_waitcnt lgkmcnt(2)
	v_fmac_f64_e32 v[42:43], v[84:85], v[62:63]
	s_waitcnt vmcnt(4)
	v_fmac_f64_e32 v[42:43], v[98:99], v[64:65]
	s_waitcnt lgkmcnt(1)
	v_fmac_f64_e32 v[42:43], v[96:97], v[66:67]
	s_waitcnt vmcnt(3)
	v_fmac_f64_e32 v[42:43], v[94:95], v[68:69]
	s_waitcnt vmcnt(2) lgkmcnt(0)
	v_fmac_f64_e32 v[42:43], v[92:93], v[102:103]
	s_waitcnt vmcnt(0)
	v_add_f64 v[42:43], v[100:101], -v[42:43]
	buffer_store_dword v43, off, s[0:3], 0 offset:28
	buffer_store_dword v42, off, s[0:3], 0 offset:24
	s_and_saveexec_b64 s[4:5], vcc
	s_cbranch_execz .LBB18_117
; %bb.116:
	buffer_load_dword v42, off, s[0:3], 0 offset:16
	buffer_load_dword v43, off, s[0:3], 0 offset:20
	s_waitcnt vmcnt(0)
	ds_write_b64 v1, v[42:43]
	buffer_store_dword v40, off, s[0:3], 0 offset:16
	buffer_store_dword v40, off, s[0:3], 0 offset:20
.LBB18_117:
	s_or_b64 exec, exec, s[4:5]
	s_waitcnt lgkmcnt(0)
	; wave barrier
	s_waitcnt lgkmcnt(0)
	buffer_load_dword v74, off, s[0:3], 0 offset:24
	buffer_load_dword v75, off, s[0:3], 0 offset:28
	;; [unrolled: 1-line block ×34, first 2 shown]
	ds_read2_b64 v[42:45], v40 offset0:23 offset1:24
	ds_read2_b64 v[46:49], v40 offset0:25 offset1:26
	;; [unrolled: 1-line block ×8, first 2 shown]
	v_cmp_lt_u32_e32 vcc, 1, v0
	s_waitcnt vmcnt(32) lgkmcnt(7)
	v_fma_f64 v[40:41], v[74:75], v[42:43], 0
	s_waitcnt vmcnt(30)
	v_fmac_f64_e32 v[40:41], v[76:77], v[44:45]
	s_waitcnt vmcnt(28) lgkmcnt(6)
	v_fmac_f64_e32 v[40:41], v[78:79], v[46:47]
	s_waitcnt vmcnt(26)
	v_fmac_f64_e32 v[40:41], v[80:81], v[48:49]
	s_waitcnt vmcnt(24) lgkmcnt(5)
	v_fmac_f64_e32 v[40:41], v[82:83], v[50:51]
	;; [unrolled: 4-line block ×3, first 2 shown]
	s_waitcnt vmcnt(12)
	v_fmac_f64_e32 v[40:41], v[94:95], v[56:57]
	s_waitcnt lgkmcnt(3)
	v_fmac_f64_e32 v[40:41], v[92:93], v[58:59]
	v_fmac_f64_e32 v[40:41], v[90:91], v[60:61]
	s_waitcnt lgkmcnt(2)
	v_fmac_f64_e32 v[40:41], v[88:89], v[62:63]
	s_waitcnt vmcnt(5)
	v_fmac_f64_e32 v[40:41], v[102:103], v[64:65]
	s_waitcnt lgkmcnt(1)
	v_fmac_f64_e32 v[40:41], v[100:101], v[66:67]
	v_fmac_f64_e32 v[40:41], v[98:99], v[68:69]
	s_waitcnt vmcnt(4) lgkmcnt(0)
	v_fmac_f64_e32 v[40:41], v[96:97], v[70:71]
	s_waitcnt vmcnt(2)
	v_fmac_f64_e32 v[40:41], v[104:105], v[72:73]
	s_waitcnt vmcnt(0)
	v_add_f64 v[40:41], v[106:107], -v[40:41]
	buffer_store_dword v41, off, s[0:3], 0 offset:20
	buffer_store_dword v40, off, s[0:3], 0 offset:16
	s_and_saveexec_b64 s[4:5], vcc
	s_cbranch_execz .LBB18_119
; %bb.118:
	buffer_load_dword v40, off, s[0:3], 0 offset:8
	buffer_load_dword v41, off, s[0:3], 0 offset:12
	v_mov_b32_e32 v42, 0
	buffer_store_dword v42, off, s[0:3], 0 offset:8
	buffer_store_dword v42, off, s[0:3], 0 offset:12
	s_waitcnt vmcnt(2)
	ds_write_b64 v1, v[40:41]
.LBB18_119:
	s_or_b64 exec, exec, s[4:5]
	s_waitcnt lgkmcnt(0)
	; wave barrier
	s_waitcnt lgkmcnt(0)
	buffer_load_dword v40, off, s[0:3], 0 offset:16
	buffer_load_dword v41, off, s[0:3], 0 offset:20
	buffer_load_dword v76, off, s[0:3], 0 offset:24
	buffer_load_dword v77, off, s[0:3], 0 offset:28
	buffer_load_dword v78, off, s[0:3], 0 offset:32
	buffer_load_dword v79, off, s[0:3], 0 offset:36
	buffer_load_dword v80, off, s[0:3], 0 offset:40
	buffer_load_dword v81, off, s[0:3], 0 offset:44
	buffer_load_dword v82, off, s[0:3], 0 offset:48
	buffer_load_dword v83, off, s[0:3], 0 offset:52
	buffer_load_dword v84, off, s[0:3], 0 offset:56
	buffer_load_dword v85, off, s[0:3], 0 offset:60
	buffer_load_dword v86, off, s[0:3], 0 offset:64
	buffer_load_dword v87, off, s[0:3], 0 offset:68
	buffer_load_dword v89, off, s[0:3], 0 offset:100
	buffer_load_dword v88, off, s[0:3], 0 offset:96
	buffer_load_dword v91, off, s[0:3], 0 offset:92
	buffer_load_dword v90, off, s[0:3], 0 offset:88
	buffer_load_dword v93, off, s[0:3], 0 offset:84
	buffer_load_dword v92, off, s[0:3], 0 offset:80
	buffer_load_dword v95, off, s[0:3], 0 offset:76
	buffer_load_dword v94, off, s[0:3], 0 offset:72
	buffer_load_dword v97, off, s[0:3], 0 offset:132
	buffer_load_dword v96, off, s[0:3], 0 offset:128
	buffer_load_dword v99, off, s[0:3], 0 offset:124
	buffer_load_dword v98, off, s[0:3], 0 offset:120
	buffer_load_dword v101, off, s[0:3], 0 offset:116
	buffer_load_dword v100, off, s[0:3], 0 offset:112
	buffer_load_dword v103, off, s[0:3], 0 offset:108
	buffer_load_dword v102, off, s[0:3], 0 offset:104
	buffer_load_dword v105, off, s[0:3], 0 offset:148
	buffer_load_dword v104, off, s[0:3], 0 offset:144
	buffer_load_dword v107, off, s[0:3], 0 offset:140
	buffer_load_dword v106, off, s[0:3], 0 offset:136
	buffer_load_dword v108, off, s[0:3], 0 offset:8
	buffer_load_dword v109, off, s[0:3], 0 offset:12
	v_mov_b32_e32 v42, 0
	ds_read_b128 v[44:47], v42 offset:176
	ds_read_b128 v[48:51], v42 offset:192
	;; [unrolled: 1-line block ×8, first 2 shown]
	ds_read_b64 v[110:111], v42 offset:304
	v_cmp_ne_u32_e32 vcc, 0, v0
	s_waitcnt vmcnt(34) lgkmcnt(8)
	v_fma_f64 v[40:41], v[40:41], v[44:45], 0
	s_waitcnt vmcnt(32)
	v_fmac_f64_e32 v[40:41], v[76:77], v[46:47]
	s_waitcnt vmcnt(30) lgkmcnt(7)
	v_fmac_f64_e32 v[40:41], v[78:79], v[48:49]
	s_waitcnt vmcnt(28)
	v_fmac_f64_e32 v[40:41], v[80:81], v[50:51]
	s_waitcnt vmcnt(26) lgkmcnt(6)
	v_fmac_f64_e32 v[40:41], v[82:83], v[52:53]
	;; [unrolled: 4-line block ×3, first 2 shown]
	s_waitcnt vmcnt(14)
	v_fmac_f64_e32 v[40:41], v[94:95], v[58:59]
	s_waitcnt lgkmcnt(4)
	v_fmac_f64_e32 v[40:41], v[92:93], v[60:61]
	v_fmac_f64_e32 v[40:41], v[90:91], v[62:63]
	s_waitcnt lgkmcnt(3)
	v_fmac_f64_e32 v[40:41], v[88:89], v[64:65]
	s_waitcnt vmcnt(6)
	v_fmac_f64_e32 v[40:41], v[102:103], v[66:67]
	s_waitcnt lgkmcnt(2)
	v_fmac_f64_e32 v[40:41], v[100:101], v[68:69]
	v_fmac_f64_e32 v[40:41], v[98:99], v[70:71]
	s_waitcnt lgkmcnt(1)
	v_fmac_f64_e32 v[40:41], v[96:97], v[72:73]
	s_waitcnt vmcnt(2)
	v_fmac_f64_e32 v[40:41], v[106:107], v[74:75]
	s_waitcnt lgkmcnt(0)
	v_fmac_f64_e32 v[40:41], v[104:105], v[110:111]
	s_waitcnt vmcnt(0)
	v_add_f64 v[40:41], v[108:109], -v[40:41]
	buffer_store_dword v41, off, s[0:3], 0 offset:12
	buffer_store_dword v40, off, s[0:3], 0 offset:8
	s_and_saveexec_b64 s[4:5], vcc
	s_cbranch_execz .LBB18_121
; %bb.120:
	buffer_load_dword v40, off, s[0:3], 0
	buffer_load_dword v41, off, s[0:3], 0 offset:4
	s_waitcnt vmcnt(0)
	ds_write_b64 v1, v[40:41]
	buffer_store_dword v42, off, s[0:3], 0
	buffer_store_dword v42, off, s[0:3], 0 offset:4
.LBB18_121:
	s_or_b64 exec, exec, s[4:5]
	s_waitcnt lgkmcnt(0)
	; wave barrier
	s_waitcnt lgkmcnt(0)
	buffer_load_dword v0, off, s[0:3], 0 offset:8
	buffer_load_dword v1, off, s[0:3], 0 offset:12
	;; [unrolled: 1-line block ×36, first 2 shown]
	buffer_load_dword v112, off, s[0:3], 0
	buffer_load_dword v113, off, s[0:3], 0 offset:4
	ds_read2_b64 v[44:47], v42 offset0:21 offset1:22
	ds_read2_b64 v[48:51], v42 offset0:23 offset1:24
	ds_read2_b64 v[52:55], v42 offset0:25 offset1:26
	ds_read2_b64 v[56:59], v42 offset0:27 offset1:28
	ds_read2_b64 v[60:63], v42 offset0:29 offset1:30
	ds_read2_b64 v[64:67], v42 offset0:31 offset1:32
	ds_read2_b64 v[68:71], v42 offset0:33 offset1:34
	ds_read2_b64 v[72:75], v42 offset0:35 offset1:36
	ds_read2_b64 v[76:79], v42 offset0:37 offset1:38
	s_and_b64 vcc, exec, s[20:21]
	s_waitcnt vmcnt(36) lgkmcnt(8)
	v_fma_f64 v[0:1], v[0:1], v[44:45], 0
	s_waitcnt vmcnt(34)
	v_fmac_f64_e32 v[0:1], v[80:81], v[46:47]
	s_waitcnt vmcnt(32) lgkmcnt(7)
	v_fmac_f64_e32 v[0:1], v[82:83], v[48:49]
	s_waitcnt vmcnt(30)
	v_fmac_f64_e32 v[0:1], v[84:85], v[50:51]
	s_waitcnt vmcnt(28) lgkmcnt(6)
	v_fmac_f64_e32 v[0:1], v[86:87], v[52:53]
	;; [unrolled: 4-line block ×3, first 2 shown]
	s_waitcnt vmcnt(16)
	v_fmac_f64_e32 v[0:1], v[98:99], v[58:59]
	s_waitcnt lgkmcnt(4)
	v_fmac_f64_e32 v[0:1], v[96:97], v[60:61]
	v_fmac_f64_e32 v[0:1], v[94:95], v[62:63]
	s_waitcnt lgkmcnt(3)
	v_fmac_f64_e32 v[0:1], v[92:93], v[64:65]
	s_waitcnt vmcnt(8)
	v_fmac_f64_e32 v[0:1], v[106:107], v[66:67]
	s_waitcnt lgkmcnt(2)
	v_fmac_f64_e32 v[0:1], v[104:105], v[68:69]
	v_fmac_f64_e32 v[0:1], v[102:103], v[70:71]
	s_waitcnt lgkmcnt(1)
	v_fmac_f64_e32 v[0:1], v[100:101], v[72:73]
	s_waitcnt vmcnt(3)
	v_fmac_f64_e32 v[0:1], v[110:111], v[74:75]
	s_waitcnt lgkmcnt(0)
	v_fmac_f64_e32 v[0:1], v[40:41], v[76:77]
	s_waitcnt vmcnt(2)
	v_fmac_f64_e32 v[0:1], v[108:109], v[78:79]
	s_waitcnt vmcnt(0)
	v_add_f64 v[0:1], v[112:113], -v[0:1]
	buffer_store_dword v1, off, s[0:3], 0 offset:4
	buffer_store_dword v0, off, s[0:3], 0
	s_cbranch_vccz .LBB18_159
; %bb.122:
	v_pk_mov_b32 v[0:1], s[10:11], s[10:11] op_sel:[0,1]
	flat_load_dword v0, v[0:1] offset:68
	s_waitcnt vmcnt(0) lgkmcnt(0)
	v_add_u32_e32 v0, -1, v0
	v_cmp_ne_u32_e32 vcc, 17, v0
	s_and_saveexec_b64 s[4:5], vcc
	s_cbranch_execz .LBB18_124
; %bb.123:
	v_mov_b32_e32 v1, 0
	v_lshl_add_u32 v0, v0, 3, v1
	buffer_load_dword v1, v0, s[0:3], 0 offen
	buffer_load_dword v42, v0, s[0:3], 0 offen offset:4
	s_waitcnt vmcnt(1)
	buffer_store_dword v1, off, s[0:3], 0 offset:136
	s_waitcnt vmcnt(1)
	buffer_store_dword v42, off, s[0:3], 0 offset:140
	buffer_store_dword v40, v0, s[0:3], 0 offen
	buffer_store_dword v41, v0, s[0:3], 0 offen offset:4
.LBB18_124:
	s_or_b64 exec, exec, s[4:5]
	v_pk_mov_b32 v[0:1], s[10:11], s[10:11] op_sel:[0,1]
	flat_load_dword v0, v[0:1] offset:64
	s_waitcnt vmcnt(0) lgkmcnt(0)
	v_add_u32_e32 v0, -1, v0
	v_cmp_ne_u32_e32 vcc, 16, v0
	s_and_saveexec_b64 s[4:5], vcc
	s_cbranch_execz .LBB18_126
; %bb.125:
	v_mov_b32_e32 v1, 0
	v_lshl_add_u32 v0, v0, 3, v1
	buffer_load_dword v1, v0, s[0:3], 0 offen
	buffer_load_dword v40, v0, s[0:3], 0 offen offset:4
	buffer_load_dword v41, off, s[0:3], 0 offset:132
	buffer_load_dword v42, off, s[0:3], 0 offset:128
	s_waitcnt vmcnt(3)
	buffer_store_dword v1, off, s[0:3], 0 offset:128
	s_waitcnt vmcnt(3)
	buffer_store_dword v40, off, s[0:3], 0 offset:132
	s_waitcnt vmcnt(3)
	buffer_store_dword v41, v0, s[0:3], 0 offen offset:4
	s_waitcnt vmcnt(3)
	buffer_store_dword v42, v0, s[0:3], 0 offen
.LBB18_126:
	s_or_b64 exec, exec, s[4:5]
	v_pk_mov_b32 v[0:1], s[10:11], s[10:11] op_sel:[0,1]
	flat_load_dword v0, v[0:1] offset:60
	s_waitcnt vmcnt(0) lgkmcnt(0)
	v_add_u32_e32 v0, -1, v0
	v_cmp_ne_u32_e32 vcc, 15, v0
	s_and_saveexec_b64 s[4:5], vcc
	s_cbranch_execz .LBB18_128
; %bb.127:
	v_mov_b32_e32 v1, 0
	v_lshl_add_u32 v0, v0, 3, v1
	buffer_load_dword v1, v0, s[0:3], 0 offen
	buffer_load_dword v40, v0, s[0:3], 0 offen offset:4
	buffer_load_dword v41, off, s[0:3], 0 offset:120
	buffer_load_dword v42, off, s[0:3], 0 offset:124
	s_waitcnt vmcnt(3)
	buffer_store_dword v1, off, s[0:3], 0 offset:120
	s_waitcnt vmcnt(3)
	buffer_store_dword v40, off, s[0:3], 0 offset:124
	s_waitcnt vmcnt(3)
	buffer_store_dword v41, v0, s[0:3], 0 offen
	s_waitcnt vmcnt(3)
	buffer_store_dword v42, v0, s[0:3], 0 offen offset:4
.LBB18_128:
	s_or_b64 exec, exec, s[4:5]
	v_pk_mov_b32 v[0:1], s[10:11], s[10:11] op_sel:[0,1]
	flat_load_dword v0, v[0:1] offset:56
	s_waitcnt vmcnt(0) lgkmcnt(0)
	v_add_u32_e32 v0, -1, v0
	v_cmp_ne_u32_e32 vcc, 14, v0
	s_and_saveexec_b64 s[4:5], vcc
	s_cbranch_execz .LBB18_130
; %bb.129:
	v_mov_b32_e32 v1, 0
	v_lshl_add_u32 v0, v0, 3, v1
	buffer_load_dword v1, v0, s[0:3], 0 offen
	buffer_load_dword v40, v0, s[0:3], 0 offen offset:4
	buffer_load_dword v41, off, s[0:3], 0 offset:116
	buffer_load_dword v42, off, s[0:3], 0 offset:112
	s_waitcnt vmcnt(3)
	buffer_store_dword v1, off, s[0:3], 0 offset:112
	s_waitcnt vmcnt(3)
	buffer_store_dword v40, off, s[0:3], 0 offset:116
	s_waitcnt vmcnt(3)
	buffer_store_dword v41, v0, s[0:3], 0 offen offset:4
	s_waitcnt vmcnt(3)
	buffer_store_dword v42, v0, s[0:3], 0 offen
.LBB18_130:
	s_or_b64 exec, exec, s[4:5]
	v_pk_mov_b32 v[0:1], s[10:11], s[10:11] op_sel:[0,1]
	flat_load_dword v0, v[0:1] offset:52
	s_waitcnt vmcnt(0) lgkmcnt(0)
	v_add_u32_e32 v0, -1, v0
	v_cmp_ne_u32_e32 vcc, 13, v0
	s_and_saveexec_b64 s[4:5], vcc
	s_cbranch_execz .LBB18_132
; %bb.131:
	v_mov_b32_e32 v1, 0
	v_lshl_add_u32 v0, v0, 3, v1
	buffer_load_dword v1, v0, s[0:3], 0 offen
	buffer_load_dword v40, v0, s[0:3], 0 offen offset:4
	buffer_load_dword v41, off, s[0:3], 0 offset:104
	buffer_load_dword v42, off, s[0:3], 0 offset:108
	s_waitcnt vmcnt(3)
	buffer_store_dword v1, off, s[0:3], 0 offset:104
	s_waitcnt vmcnt(3)
	buffer_store_dword v40, off, s[0:3], 0 offset:108
	s_waitcnt vmcnt(3)
	buffer_store_dword v41, v0, s[0:3], 0 offen
	s_waitcnt vmcnt(3)
	buffer_store_dword v42, v0, s[0:3], 0 offen offset:4
.LBB18_132:
	;; [unrolled: 48-line block ×8, first 2 shown]
	s_or_b64 exec, exec, s[4:5]
	v_pk_mov_b32 v[0:1], s[10:11], s[10:11] op_sel:[0,1]
	flat_load_dword v40, v[0:1]
	s_nop 0
	buffer_load_dword v0, off, s[0:3], 0
	buffer_load_dword v1, off, s[0:3], 0 offset:4
	s_waitcnt vmcnt(0) lgkmcnt(0)
	v_add_u32_e32 v40, -1, v40
	v_cmp_ne_u32_e32 vcc, 0, v40
	s_and_saveexec_b64 s[4:5], vcc
	s_cbranch_execz .LBB18_158
; %bb.157:
	v_mov_b32_e32 v41, 0
	v_lshl_add_u32 v40, v40, 3, v41
	buffer_load_dword v41, v40, s[0:3], 0 offen offset:4
	buffer_load_dword v42, v40, s[0:3], 0 offen
	s_waitcnt vmcnt(1)
	buffer_store_dword v41, off, s[0:3], 0 offset:4
	s_waitcnt vmcnt(1)
	buffer_store_dword v42, off, s[0:3], 0
	buffer_store_dword v1, v40, s[0:3], 0 offen offset:4
	buffer_store_dword v0, v40, s[0:3], 0 offen
	buffer_load_dword v0, off, s[0:3], 0
	s_nop 0
	buffer_load_dword v1, off, s[0:3], 0 offset:4
.LBB18_158:
	s_or_b64 exec, exec, s[4:5]
.LBB18_159:
	buffer_load_dword v40, off, s[0:3], 0 offset:8
	buffer_load_dword v41, off, s[0:3], 0 offset:12
	;; [unrolled: 1-line block ×36, first 2 shown]
	s_waitcnt vmcnt(36)
	global_store_dwordx2 v[2:3], v[0:1], off
	s_waitcnt vmcnt(35)
	global_store_dwordx2 v[4:5], v[40:41], off
	;; [unrolled: 2-line block ×19, first 2 shown]
	s_endpgm
	.section	.rodata,"a",@progbits
	.p2align	6, 0x0
	.amdhsa_kernel _ZN9rocsolver6v33100L18getri_kernel_smallILi19EdPdEEvT1_iilPiilS4_bb
		.amdhsa_group_segment_fixed_size 312
		.amdhsa_private_segment_fixed_size 160
		.amdhsa_kernarg_size 60
		.amdhsa_user_sgpr_count 8
		.amdhsa_user_sgpr_private_segment_buffer 1
		.amdhsa_user_sgpr_dispatch_ptr 0
		.amdhsa_user_sgpr_queue_ptr 0
		.amdhsa_user_sgpr_kernarg_segment_ptr 1
		.amdhsa_user_sgpr_dispatch_id 0
		.amdhsa_user_sgpr_flat_scratch_init 1
		.amdhsa_user_sgpr_kernarg_preload_length 0
		.amdhsa_user_sgpr_kernarg_preload_offset 0
		.amdhsa_user_sgpr_private_segment_size 0
		.amdhsa_uses_dynamic_stack 0
		.amdhsa_system_sgpr_private_segment_wavefront_offset 1
		.amdhsa_system_sgpr_workgroup_id_x 1
		.amdhsa_system_sgpr_workgroup_id_y 0
		.amdhsa_system_sgpr_workgroup_id_z 0
		.amdhsa_system_sgpr_workgroup_info 0
		.amdhsa_system_vgpr_workitem_id 0
		.amdhsa_next_free_vgpr 114
		.amdhsa_next_free_sgpr 23
		.amdhsa_accum_offset 116
		.amdhsa_reserve_vcc 1
		.amdhsa_reserve_flat_scratch 1
		.amdhsa_float_round_mode_32 0
		.amdhsa_float_round_mode_16_64 0
		.amdhsa_float_denorm_mode_32 3
		.amdhsa_float_denorm_mode_16_64 3
		.amdhsa_dx10_clamp 1
		.amdhsa_ieee_mode 1
		.amdhsa_fp16_overflow 0
		.amdhsa_tg_split 0
		.amdhsa_exception_fp_ieee_invalid_op 0
		.amdhsa_exception_fp_denorm_src 0
		.amdhsa_exception_fp_ieee_div_zero 0
		.amdhsa_exception_fp_ieee_overflow 0
		.amdhsa_exception_fp_ieee_underflow 0
		.amdhsa_exception_fp_ieee_inexact 0
		.amdhsa_exception_int_div_zero 0
	.end_amdhsa_kernel
	.section	.text._ZN9rocsolver6v33100L18getri_kernel_smallILi19EdPdEEvT1_iilPiilS4_bb,"axG",@progbits,_ZN9rocsolver6v33100L18getri_kernel_smallILi19EdPdEEvT1_iilPiilS4_bb,comdat
.Lfunc_end18:
	.size	_ZN9rocsolver6v33100L18getri_kernel_smallILi19EdPdEEvT1_iilPiilS4_bb, .Lfunc_end18-_ZN9rocsolver6v33100L18getri_kernel_smallILi19EdPdEEvT1_iilPiilS4_bb
                                        ; -- End function
	.section	.AMDGPU.csdata,"",@progbits
; Kernel info:
; codeLenInByte = 14888
; NumSgprs: 29
; NumVgprs: 114
; NumAgprs: 0
; TotalNumVgprs: 114
; ScratchSize: 160
; MemoryBound: 0
; FloatMode: 240
; IeeeMode: 1
; LDSByteSize: 312 bytes/workgroup (compile time only)
; SGPRBlocks: 3
; VGPRBlocks: 14
; NumSGPRsForWavesPerEU: 29
; NumVGPRsForWavesPerEU: 114
; AccumOffset: 116
; Occupancy: 4
; WaveLimiterHint : 1
; COMPUTE_PGM_RSRC2:SCRATCH_EN: 1
; COMPUTE_PGM_RSRC2:USER_SGPR: 8
; COMPUTE_PGM_RSRC2:TRAP_HANDLER: 0
; COMPUTE_PGM_RSRC2:TGID_X_EN: 1
; COMPUTE_PGM_RSRC2:TGID_Y_EN: 0
; COMPUTE_PGM_RSRC2:TGID_Z_EN: 0
; COMPUTE_PGM_RSRC2:TIDIG_COMP_CNT: 0
; COMPUTE_PGM_RSRC3_GFX90A:ACCUM_OFFSET: 28
; COMPUTE_PGM_RSRC3_GFX90A:TG_SPLIT: 0
	.section	.text._ZN9rocsolver6v33100L18getri_kernel_smallILi20EdPdEEvT1_iilPiilS4_bb,"axG",@progbits,_ZN9rocsolver6v33100L18getri_kernel_smallILi20EdPdEEvT1_iilPiilS4_bb,comdat
	.globl	_ZN9rocsolver6v33100L18getri_kernel_smallILi20EdPdEEvT1_iilPiilS4_bb ; -- Begin function _ZN9rocsolver6v33100L18getri_kernel_smallILi20EdPdEEvT1_iilPiilS4_bb
	.p2align	8
	.type	_ZN9rocsolver6v33100L18getri_kernel_smallILi20EdPdEEvT1_iilPiilS4_bb,@function
_ZN9rocsolver6v33100L18getri_kernel_smallILi20EdPdEEvT1_iilPiilS4_bb: ; @_ZN9rocsolver6v33100L18getri_kernel_smallILi20EdPdEEvT1_iilPiilS4_bb
; %bb.0:
	s_add_u32 flat_scratch_lo, s6, s9
	s_addc_u32 flat_scratch_hi, s7, 0
	s_add_u32 s0, s0, s9
	s_addc_u32 s1, s1, 0
	v_cmp_gt_u32_e32 vcc, 20, v0
	s_and_saveexec_b64 s[6:7], vcc
	s_cbranch_execz .LBB19_88
; %bb.1:
	s_load_dword s22, s[4:5], 0x38
	s_load_dwordx4 s[16:19], s[4:5], 0x10
	s_load_dwordx4 s[12:15], s[4:5], 0x28
                                        ; implicit-def: $sgpr10_sgpr11
	s_waitcnt lgkmcnt(0)
	s_bitcmp1_b32 s22, 8
	s_cselect_b64 s[20:21], -1, 0
	s_ashr_i32 s9, s8, 31
	s_bfe_u32 s6, s22, 0x10008
	s_cmp_eq_u32 s6, 0
	s_cbranch_scc1 .LBB19_3
; %bb.2:
	s_load_dword s6, s[4:5], 0x20
	s_mul_i32 s7, s8, s13
	s_mul_hi_u32 s10, s8, s12
	s_mul_i32 s11, s9, s12
	s_add_i32 s10, s10, s7
	s_add_i32 s11, s10, s11
	s_mul_i32 s10, s8, s12
	s_waitcnt lgkmcnt(0)
	s_ashr_i32 s7, s6, 31
	s_lshl_b64 s[10:11], s[10:11], 2
	s_add_u32 s10, s18, s10
	s_addc_u32 s11, s19, s11
	s_lshl_b64 s[6:7], s[6:7], 2
	s_add_u32 s10, s10, s6
	s_addc_u32 s11, s11, s7
.LBB19_3:
	s_load_dwordx4 s[4:7], s[4:5], 0x0
	s_mul_i32 s12, s8, s17
	s_mul_hi_u32 s13, s8, s16
	s_add_i32 s17, s13, s12
	v_lshlrev_b32_e32 v1, 3, v0
	s_waitcnt lgkmcnt(0)
	s_ashr_i32 s13, s6, 31
	s_mov_b32 s12, s6
	s_mul_i32 s6, s9, s16
	s_add_i32 s17, s17, s6
	s_mul_i32 s16, s8, s16
	s_lshl_b64 s[16:17], s[16:17], 3
	s_add_u32 s6, s4, s16
	s_addc_u32 s16, s5, s17
	s_lshl_b64 s[4:5], s[12:13], 3
	s_add_u32 s4, s6, s4
	s_addc_u32 s5, s16, s5
	v_mov_b32_e32 v3, s5
	v_add_co_u32_e32 v2, vcc, s4, v1
	s_ashr_i32 s13, s7, 31
	s_mov_b32 s12, s7
	s_add_i32 s6, s7, s7
	v_addc_co_u32_e32 v3, vcc, 0, v3, vcc
	s_lshl_b64 s[12:13], s[12:13], 3
	v_add_u32_e32 v8, s6, v0
	v_mov_b32_e32 v5, s13
	v_add_co_u32_e32 v4, vcc, s12, v2
	v_ashrrev_i32_e32 v9, 31, v8
	v_addc_co_u32_e32 v5, vcc, v3, v5, vcc
	v_lshlrev_b64 v[6:7], 3, v[8:9]
	v_add_u32_e32 v10, s7, v8
	v_mov_b32_e32 v9, s5
	v_add_co_u32_e32 v6, vcc, s4, v6
	v_ashrrev_i32_e32 v11, 31, v10
	v_addc_co_u32_e32 v7, vcc, v9, v7, vcc
	v_lshlrev_b64 v[8:9], 3, v[10:11]
	;; [unrolled: 6-line block ×9, first 2 shown]
	v_mov_b32_e32 v25, s5
	v_add_co_u32_e32 v22, vcc, s4, v22
	v_add_u32_e32 v24, s7, v24
	v_addc_co_u32_e32 v23, vcc, v25, v23, vcc
	v_ashrrev_i32_e32 v25, 31, v24
	v_add_u32_e32 v26, s7, v24
	v_lshlrev_b64 v[24:25], 3, v[24:25]
	v_mov_b32_e32 v27, s5
	v_add_co_u32_e32 v24, vcc, s4, v24
	v_addc_co_u32_e32 v25, vcc, v27, v25, vcc
	v_ashrrev_i32_e32 v27, 31, v26
	v_add_u32_e32 v28, s7, v26
	v_lshlrev_b64 v[26:27], 3, v[26:27]
	v_mov_b32_e32 v29, s5
	v_add_co_u32_e32 v26, vcc, s4, v26
	v_addc_co_u32_e32 v27, vcc, v29, v27, vcc
	v_ashrrev_i32_e32 v29, 31, v28
	v_add_u32_e32 v30, s7, v28
	v_lshlrev_b64 v[28:29], 3, v[28:29]
	v_mov_b32_e32 v31, s5
	v_add_co_u32_e32 v28, vcc, s4, v28
	v_addc_co_u32_e32 v29, vcc, v31, v29, vcc
	v_ashrrev_i32_e32 v31, 31, v30
	v_add_u32_e32 v32, s7, v30
	v_lshlrev_b64 v[30:31], 3, v[30:31]
	v_mov_b32_e32 v33, s5
	v_add_co_u32_e32 v30, vcc, s4, v30
	v_addc_co_u32_e32 v31, vcc, v33, v31, vcc
	v_ashrrev_i32_e32 v33, 31, v32
	v_add_u32_e32 v34, s7, v32
	v_lshlrev_b64 v[32:33], 3, v[32:33]
	v_mov_b32_e32 v35, s5
	v_add_co_u32_e32 v32, vcc, s4, v32
	v_addc_co_u32_e32 v33, vcc, v35, v33, vcc
	v_ashrrev_i32_e32 v35, 31, v34
	v_add_u32_e32 v36, s7, v34
	v_lshlrev_b64 v[34:35], 3, v[34:35]
	v_mov_b32_e32 v37, s5
	v_add_co_u32_e32 v34, vcc, s4, v34
	v_addc_co_u32_e32 v35, vcc, v37, v35, vcc
	v_ashrrev_i32_e32 v37, 31, v36
	v_add_u32_e32 v38, s7, v36
	v_lshlrev_b64 v[36:37], 3, v[36:37]
	v_mov_b32_e32 v39, s5
	v_add_co_u32_e32 v36, vcc, s4, v36
	v_addc_co_u32_e32 v37, vcc, v39, v37, vcc
	v_ashrrev_i32_e32 v39, 31, v38
	v_add_u32_e32 v40, s7, v38
	v_lshlrev_b64 v[38:39], 3, v[38:39]
	v_mov_b32_e32 v72, s5
	v_add_co_u32_e32 v38, vcc, s4, v38
	global_load_dwordx2 v[42:43], v1, s[4:5]
	global_load_dwordx2 v[50:51], v[4:5], off
	global_load_dwordx2 v[46:47], v[6:7], off
	;; [unrolled: 1-line block ×14, first 2 shown]
	v_addc_co_u32_e32 v39, vcc, v72, v39, vcc
	global_load_dwordx2 v[72:73], v[32:33], off
	global_load_dwordx2 v[74:75], v[34:35], off
	;; [unrolled: 1-line block ×4, first 2 shown]
	v_ashrrev_i32_e32 v41, 31, v40
	v_lshlrev_b64 v[40:41], 3, v[40:41]
	v_mov_b32_e32 v80, s5
	v_add_co_u32_e32 v40, vcc, s4, v40
	v_addc_co_u32_e32 v41, vcc, v80, v41, vcc
	global_load_dwordx2 v[80:81], v[40:41], off
	s_bitcmp0_b32 s22, 0
	s_mov_b64 s[6:7], -1
	s_waitcnt vmcnt(19)
	buffer_store_dword v43, off, s[0:3], 0 offset:4
	buffer_store_dword v42, off, s[0:3], 0
	s_waitcnt vmcnt(20)
	buffer_store_dword v51, off, s[0:3], 0 offset:12
	buffer_store_dword v50, off, s[0:3], 0 offset:8
	s_waitcnt vmcnt(21)
	buffer_store_dword v47, off, s[0:3], 0 offset:20
	buffer_store_dword v46, off, s[0:3], 0 offset:16
	;; [unrolled: 3-line block ×19, first 2 shown]
	s_cbranch_scc1 .LBB19_86
; %bb.4:
	v_cmp_eq_u32_e64 s[4:5], 0, v0
	s_and_saveexec_b64 s[6:7], s[4:5]
	s_cbranch_execz .LBB19_6
; %bb.5:
	v_mov_b32_e32 v42, 0
	ds_write_b32 v42, v42 offset:320
.LBB19_6:
	s_or_b64 exec, exec, s[6:7]
	v_mov_b32_e32 v42, 0
	v_lshl_add_u32 v42, v0, 3, v42
	s_waitcnt lgkmcnt(0)
	; wave barrier
	s_waitcnt lgkmcnt(0)
	buffer_load_dword v44, v42, s[0:3], 0 offen
	buffer_load_dword v45, v42, s[0:3], 0 offen offset:4
	s_waitcnt vmcnt(0)
	v_cmp_eq_f64_e32 vcc, 0, v[44:45]
	s_and_saveexec_b64 s[12:13], vcc
	s_cbranch_execz .LBB19_10
; %bb.7:
	v_mov_b32_e32 v43, 0
	ds_read_b32 v45, v43 offset:320
	v_add_u32_e32 v44, 1, v0
	s_waitcnt lgkmcnt(0)
	v_readfirstlane_b32 s6, v45
	s_cmp_eq_u32 s6, 0
	s_cselect_b64 s[16:17], -1, 0
	v_cmp_gt_i32_e32 vcc, s6, v44
	s_or_b64 s[16:17], s[16:17], vcc
	s_and_b64 exec, exec, s[16:17]
	s_cbranch_execz .LBB19_10
; %bb.8:
	s_mov_b64 s[16:17], 0
	v_mov_b32_e32 v45, s6
.LBB19_9:                               ; =>This Inner Loop Header: Depth=1
	ds_cmpst_rtn_b32 v45, v43, v45, v44 offset:320
	s_waitcnt lgkmcnt(0)
	v_cmp_ne_u32_e32 vcc, 0, v45
	v_cmp_le_i32_e64 s[6:7], v45, v44
	s_and_b64 s[6:7], vcc, s[6:7]
	s_and_b64 s[6:7], exec, s[6:7]
	s_or_b64 s[16:17], s[6:7], s[16:17]
	s_andn2_b64 exec, exec, s[16:17]
	s_cbranch_execnz .LBB19_9
.LBB19_10:
	s_or_b64 exec, exec, s[12:13]
	v_mov_b32_e32 v44, 0
	s_waitcnt lgkmcnt(0)
	; wave barrier
	ds_read_b32 v43, v44 offset:320
	s_and_saveexec_b64 s[6:7], s[4:5]
	s_cbranch_execz .LBB19_12
; %bb.11:
	s_lshl_b64 s[12:13], s[8:9], 2
	s_add_u32 s12, s14, s12
	s_addc_u32 s13, s15, s13
	s_waitcnt lgkmcnt(0)
	global_store_dword v44, v43, s[12:13]
.LBB19_12:
	s_or_b64 exec, exec, s[6:7]
	s_waitcnt lgkmcnt(0)
	v_cmp_ne_u32_e32 vcc, 0, v43
	s_mov_b64 s[6:7], 0
	s_cbranch_vccnz .LBB19_86
; %bb.13:
	buffer_load_dword v44, v42, s[0:3], 0 offen
	buffer_load_dword v45, v42, s[0:3], 0 offen offset:4
	s_waitcnt vmcnt(0)
	v_div_scale_f64 v[46:47], s[6:7], v[44:45], v[44:45], 1.0
	v_rcp_f64_e32 v[48:49], v[46:47]
	v_div_scale_f64 v[50:51], vcc, 1.0, v[44:45], 1.0
	v_fma_f64 v[52:53], -v[46:47], v[48:49], 1.0
	v_fmac_f64_e32 v[48:49], v[48:49], v[52:53]
	v_fma_f64 v[52:53], -v[46:47], v[48:49], 1.0
	v_fmac_f64_e32 v[48:49], v[48:49], v[52:53]
	v_mul_f64 v[52:53], v[50:51], v[48:49]
	v_fma_f64 v[46:47], -v[46:47], v[52:53], v[50:51]
	v_div_fmas_f64 v[46:47], v[46:47], v[48:49], v[52:53]
	v_div_fixup_f64 v[46:47], v[46:47], v[44:45], 1.0
	buffer_store_dword v47, v42, s[0:3], 0 offen offset:4
	buffer_store_dword v46, v42, s[0:3], 0 offen
	buffer_load_dword v49, off, s[0:3], 0 offset:12
	buffer_load_dword v48, off, s[0:3], 0 offset:8
	v_add_u32_e32 v44, 0xa0, v1
	v_xor_b32_e32 v47, 0x80000000, v47
	s_waitcnt vmcnt(0)
	ds_write2_b64 v1, v[46:47], v[48:49] offset1:20
	s_waitcnt lgkmcnt(0)
	; wave barrier
	s_waitcnt lgkmcnt(0)
	s_and_saveexec_b64 s[6:7], s[4:5]
	s_cbranch_execz .LBB19_15
; %bb.14:
	buffer_load_dword v46, v42, s[0:3], 0 offen
	buffer_load_dword v47, v42, s[0:3], 0 offen offset:4
	v_mov_b32_e32 v43, 0
	ds_read_b64 v[48:49], v44
	ds_read_b64 v[50:51], v43 offset:8
	s_waitcnt vmcnt(0) lgkmcnt(1)
	v_fma_f64 v[46:47], v[46:47], v[48:49], 0
	s_waitcnt lgkmcnt(0)
	v_mul_f64 v[46:47], v[46:47], v[50:51]
	buffer_store_dword v46, off, s[0:3], 0 offset:8
	buffer_store_dword v47, off, s[0:3], 0 offset:12
.LBB19_15:
	s_or_b64 exec, exec, s[6:7]
	s_waitcnt lgkmcnt(0)
	; wave barrier
	buffer_load_dword v46, off, s[0:3], 0 offset:16
	buffer_load_dword v47, off, s[0:3], 0 offset:20
	v_cmp_gt_u32_e32 vcc, 2, v0
	s_waitcnt vmcnt(0)
	ds_write_b64 v44, v[46:47]
	s_waitcnt lgkmcnt(0)
	; wave barrier
	s_waitcnt lgkmcnt(0)
	s_and_saveexec_b64 s[6:7], vcc
	s_cbranch_execz .LBB19_17
; %bb.16:
	buffer_load_dword v43, v42, s[0:3], 0 offen offset:4
	buffer_load_dword v50, off, s[0:3], 0 offset:8
	s_nop 0
	buffer_load_dword v42, v42, s[0:3], 0 offen
	s_nop 0
	buffer_load_dword v51, off, s[0:3], 0 offset:12
	ds_read_b64 v[52:53], v44
	v_mov_b32_e32 v45, 0
	ds_read2_b64 v[46:49], v45 offset0:2 offset1:21
	s_waitcnt vmcnt(1) lgkmcnt(1)
	v_fma_f64 v[42:43], v[42:43], v[52:53], 0
	s_waitcnt vmcnt(0) lgkmcnt(0)
	v_fma_f64 v[48:49], v[50:51], v[48:49], v[42:43]
	v_cndmask_b32_e64 v43, v43, v49, s[4:5]
	v_cndmask_b32_e64 v42, v42, v48, s[4:5]
	v_mul_f64 v[42:43], v[42:43], v[46:47]
	buffer_store_dword v43, off, s[0:3], 0 offset:20
	buffer_store_dword v42, off, s[0:3], 0 offset:16
.LBB19_17:
	s_or_b64 exec, exec, s[6:7]
	s_waitcnt lgkmcnt(0)
	; wave barrier
	buffer_load_dword v42, off, s[0:3], 0 offset:24
	buffer_load_dword v43, off, s[0:3], 0 offset:28
	v_cmp_gt_u32_e32 vcc, 3, v0
	v_add_u32_e32 v45, -1, v0
	s_waitcnt vmcnt(0)
	ds_write_b64 v44, v[42:43]
	s_waitcnt lgkmcnt(0)
	; wave barrier
	s_waitcnt lgkmcnt(0)
	s_and_saveexec_b64 s[4:5], vcc
	s_cbranch_execz .LBB19_21
; %bb.18:
	v_add_u32_e32 v46, -1, v0
	v_add_u32_e32 v47, 0xa0, v1
	v_add_u32_e32 v48, 0, v1
	s_mov_b64 s[6:7], 0
	v_pk_mov_b32 v[42:43], 0, 0
.LBB19_19:                              ; =>This Inner Loop Header: Depth=1
	buffer_load_dword v50, v48, s[0:3], 0 offen
	buffer_load_dword v51, v48, s[0:3], 0 offen offset:4
	ds_read_b64 v[52:53], v47
	v_add_u32_e32 v46, 1, v46
	v_cmp_lt_u32_e32 vcc, 1, v46
	v_add_u32_e32 v47, 8, v47
	v_add_u32_e32 v48, 8, v48
	s_or_b64 s[6:7], vcc, s[6:7]
	s_waitcnt vmcnt(0) lgkmcnt(0)
	v_fmac_f64_e32 v[42:43], v[50:51], v[52:53]
	s_andn2_b64 exec, exec, s[6:7]
	s_cbranch_execnz .LBB19_19
; %bb.20:
	s_or_b64 exec, exec, s[6:7]
	v_mov_b32_e32 v46, 0
	ds_read_b64 v[46:47], v46 offset:24
	s_waitcnt lgkmcnt(0)
	v_mul_f64 v[42:43], v[42:43], v[46:47]
	buffer_store_dword v43, off, s[0:3], 0 offset:28
	buffer_store_dword v42, off, s[0:3], 0 offset:24
.LBB19_21:
	s_or_b64 exec, exec, s[4:5]
	s_waitcnt lgkmcnt(0)
	; wave barrier
	buffer_load_dword v42, off, s[0:3], 0 offset:32
	buffer_load_dword v43, off, s[0:3], 0 offset:36
	v_cmp_gt_u32_e32 vcc, 4, v0
	s_waitcnt vmcnt(0)
	ds_write_b64 v44, v[42:43]
	s_waitcnt lgkmcnt(0)
	; wave barrier
	s_waitcnt lgkmcnt(0)
	s_and_saveexec_b64 s[4:5], vcc
	s_cbranch_execz .LBB19_25
; %bb.22:
	v_add_u32_e32 v46, -1, v0
	v_add_u32_e32 v47, 0xa0, v1
	v_add_u32_e32 v48, 0, v1
	s_mov_b64 s[6:7], 0
	v_pk_mov_b32 v[42:43], 0, 0
.LBB19_23:                              ; =>This Inner Loop Header: Depth=1
	buffer_load_dword v50, v48, s[0:3], 0 offen
	buffer_load_dword v51, v48, s[0:3], 0 offen offset:4
	ds_read_b64 v[52:53], v47
	v_add_u32_e32 v46, 1, v46
	v_cmp_lt_u32_e32 vcc, 2, v46
	v_add_u32_e32 v47, 8, v47
	v_add_u32_e32 v48, 8, v48
	s_or_b64 s[6:7], vcc, s[6:7]
	s_waitcnt vmcnt(0) lgkmcnt(0)
	v_fmac_f64_e32 v[42:43], v[50:51], v[52:53]
	s_andn2_b64 exec, exec, s[6:7]
	s_cbranch_execnz .LBB19_23
; %bb.24:
	s_or_b64 exec, exec, s[6:7]
	v_mov_b32_e32 v46, 0
	ds_read_b64 v[46:47], v46 offset:32
	s_waitcnt lgkmcnt(0)
	v_mul_f64 v[42:43], v[42:43], v[46:47]
	buffer_store_dword v43, off, s[0:3], 0 offset:36
	buffer_store_dword v42, off, s[0:3], 0 offset:32
.LBB19_25:
	s_or_b64 exec, exec, s[4:5]
	s_waitcnt lgkmcnt(0)
	; wave barrier
	buffer_load_dword v42, off, s[0:3], 0 offset:40
	buffer_load_dword v43, off, s[0:3], 0 offset:44
	v_cmp_gt_u32_e32 vcc, 5, v0
	;; [unrolled: 41-line block ×15, first 2 shown]
	s_waitcnt vmcnt(0)
	ds_write_b64 v44, v[42:43]
	s_waitcnt lgkmcnt(0)
	; wave barrier
	s_waitcnt lgkmcnt(0)
	s_and_saveexec_b64 s[4:5], vcc
	s_cbranch_execz .LBB19_81
; %bb.78:
	v_add_u32_e32 v46, -1, v0
	v_add_u32_e32 v47, 0xa0, v1
	v_add_u32_e32 v48, 0, v1
	s_mov_b64 s[6:7], 0
	v_pk_mov_b32 v[42:43], 0, 0
.LBB19_79:                              ; =>This Inner Loop Header: Depth=1
	buffer_load_dword v50, v48, s[0:3], 0 offen
	buffer_load_dword v51, v48, s[0:3], 0 offen offset:4
	ds_read_b64 v[52:53], v47
	v_add_u32_e32 v46, 1, v46
	v_cmp_lt_u32_e32 vcc, 16, v46
	v_add_u32_e32 v47, 8, v47
	v_add_u32_e32 v48, 8, v48
	s_or_b64 s[6:7], vcc, s[6:7]
	s_waitcnt vmcnt(0) lgkmcnt(0)
	v_fmac_f64_e32 v[42:43], v[50:51], v[52:53]
	s_andn2_b64 exec, exec, s[6:7]
	s_cbranch_execnz .LBB19_79
; %bb.80:
	s_or_b64 exec, exec, s[6:7]
	v_mov_b32_e32 v46, 0
	ds_read_b64 v[46:47], v46 offset:144
	s_waitcnt lgkmcnt(0)
	v_mul_f64 v[42:43], v[42:43], v[46:47]
	buffer_store_dword v43, off, s[0:3], 0 offset:148
	buffer_store_dword v42, off, s[0:3], 0 offset:144
.LBB19_81:
	s_or_b64 exec, exec, s[4:5]
	s_waitcnt lgkmcnt(0)
	; wave barrier
	buffer_load_dword v42, off, s[0:3], 0 offset:152
	buffer_load_dword v43, off, s[0:3], 0 offset:156
	v_cmp_ne_u32_e32 vcc, 19, v0
	s_waitcnt vmcnt(0)
	ds_write_b64 v44, v[42:43]
	s_waitcnt lgkmcnt(0)
	; wave barrier
	s_waitcnt lgkmcnt(0)
	s_and_saveexec_b64 s[4:5], vcc
	s_cbranch_execz .LBB19_85
; %bb.82:
	v_add_u32_e32 v44, 0xa0, v1
	v_add_u32_e32 v1, 0, v1
	s_mov_b64 s[6:7], 0
	v_pk_mov_b32 v[42:43], 0, 0
.LBB19_83:                              ; =>This Inner Loop Header: Depth=1
	buffer_load_dword v46, v1, s[0:3], 0 offen
	buffer_load_dword v47, v1, s[0:3], 0 offen offset:4
	ds_read_b64 v[48:49], v44
	v_add_u32_e32 v45, 1, v45
	v_cmp_lt_u32_e32 vcc, 17, v45
	v_add_u32_e32 v44, 8, v44
	v_add_u32_e32 v1, 8, v1
	s_or_b64 s[6:7], vcc, s[6:7]
	s_waitcnt vmcnt(0) lgkmcnt(0)
	v_fmac_f64_e32 v[42:43], v[46:47], v[48:49]
	s_andn2_b64 exec, exec, s[6:7]
	s_cbranch_execnz .LBB19_83
; %bb.84:
	s_or_b64 exec, exec, s[6:7]
	v_mov_b32_e32 v1, 0
	ds_read_b64 v[44:45], v1 offset:152
	s_waitcnt lgkmcnt(0)
	v_mul_f64 v[42:43], v[42:43], v[44:45]
	buffer_store_dword v43, off, s[0:3], 0 offset:156
	buffer_store_dword v42, off, s[0:3], 0 offset:152
.LBB19_85:
	s_or_b64 exec, exec, s[4:5]
	s_mov_b64 s[6:7], -1
	s_waitcnt lgkmcnt(0)
	; wave barrier
.LBB19_86:
	s_and_b64 vcc, exec, s[6:7]
	s_cbranch_vccz .LBB19_88
; %bb.87:
	s_lshl_b64 s[4:5], s[8:9], 2
	s_add_u32 s4, s14, s4
	s_addc_u32 s5, s15, s5
	v_mov_b32_e32 v1, 0
	global_load_dword v1, v1, s[4:5]
	s_waitcnt vmcnt(0)
	v_cmp_ne_u32_e32 vcc, 0, v1
	s_cbranch_vccz .LBB19_89
.LBB19_88:
	s_endpgm
.LBB19_89:
	v_mov_b32_e32 v1, 0xa0
	v_lshl_add_u32 v1, v0, 3, v1
	v_cmp_eq_u32_e32 vcc, 19, v0
	s_and_saveexec_b64 s[4:5], vcc
	s_cbranch_execz .LBB19_91
; %bb.90:
	buffer_load_dword v42, off, s[0:3], 0 offset:144
	buffer_load_dword v43, off, s[0:3], 0 offset:148
	v_mov_b32_e32 v44, 0
	buffer_store_dword v44, off, s[0:3], 0 offset:144
	buffer_store_dword v44, off, s[0:3], 0 offset:148
	s_waitcnt vmcnt(2)
	ds_write_b64 v1, v[42:43]
.LBB19_91:
	s_or_b64 exec, exec, s[4:5]
	s_waitcnt lgkmcnt(0)
	; wave barrier
	s_waitcnt lgkmcnt(0)
	buffer_load_dword v44, off, s[0:3], 0 offset:152
	buffer_load_dword v45, off, s[0:3], 0 offset:156
	;; [unrolled: 1-line block ×4, first 2 shown]
	v_mov_b32_e32 v42, 0
	ds_read_b64 v[48:49], v42 offset:312
	v_cmp_lt_u32_e32 vcc, 17, v0
	s_waitcnt vmcnt(2) lgkmcnt(0)
	v_fma_f64 v[44:45], v[44:45], v[48:49], 0
	s_waitcnt vmcnt(0)
	v_add_f64 v[44:45], v[46:47], -v[44:45]
	buffer_store_dword v44, off, s[0:3], 0 offset:144
	buffer_store_dword v45, off, s[0:3], 0 offset:148
	s_and_saveexec_b64 s[4:5], vcc
	s_cbranch_execz .LBB19_93
; %bb.92:
	buffer_load_dword v44, off, s[0:3], 0 offset:136
	buffer_load_dword v45, off, s[0:3], 0 offset:140
	s_waitcnt vmcnt(0)
	ds_write_b64 v1, v[44:45]
	buffer_store_dword v42, off, s[0:3], 0 offset:136
	buffer_store_dword v42, off, s[0:3], 0 offset:140
.LBB19_93:
	s_or_b64 exec, exec, s[4:5]
	s_waitcnt lgkmcnt(0)
	; wave barrier
	s_waitcnt lgkmcnt(0)
	buffer_load_dword v46, off, s[0:3], 0 offset:144
	buffer_load_dword v47, off, s[0:3], 0 offset:148
	buffer_load_dword v48, off, s[0:3], 0 offset:152
	buffer_load_dword v49, off, s[0:3], 0 offset:156
	buffer_load_dword v50, off, s[0:3], 0 offset:136
	buffer_load_dword v51, off, s[0:3], 0 offset:140
	ds_read_b128 v[42:45], v42 offset:304
	v_cmp_lt_u32_e32 vcc, 16, v0
	s_waitcnt vmcnt(4) lgkmcnt(0)
	v_fma_f64 v[42:43], v[46:47], v[42:43], 0
	s_waitcnt vmcnt(2)
	v_fmac_f64_e32 v[42:43], v[48:49], v[44:45]
	s_waitcnt vmcnt(0)
	v_add_f64 v[42:43], v[50:51], -v[42:43]
	buffer_store_dword v42, off, s[0:3], 0 offset:136
	buffer_store_dword v43, off, s[0:3], 0 offset:140
	s_and_saveexec_b64 s[4:5], vcc
	s_cbranch_execz .LBB19_95
; %bb.94:
	buffer_load_dword v42, off, s[0:3], 0 offset:128
	buffer_load_dword v43, off, s[0:3], 0 offset:132
	v_mov_b32_e32 v44, 0
	buffer_store_dword v44, off, s[0:3], 0 offset:128
	buffer_store_dword v44, off, s[0:3], 0 offset:132
	s_waitcnt vmcnt(2)
	ds_write_b64 v1, v[42:43]
.LBB19_95:
	s_or_b64 exec, exec, s[4:5]
	s_waitcnt lgkmcnt(0)
	; wave barrier
	s_waitcnt lgkmcnt(0)
	buffer_load_dword v48, off, s[0:3], 0 offset:136
	buffer_load_dword v49, off, s[0:3], 0 offset:140
	;; [unrolled: 1-line block ×8, first 2 shown]
	v_mov_b32_e32 v42, 0
	ds_read2_b64 v[44:47], v42 offset0:37 offset1:38
	ds_read_b64 v[56:57], v42 offset:312
	v_cmp_lt_u32_e32 vcc, 15, v0
	s_waitcnt vmcnt(6) lgkmcnt(1)
	v_fma_f64 v[44:45], v[48:49], v[44:45], 0
	s_waitcnt vmcnt(4)
	v_fmac_f64_e32 v[44:45], v[50:51], v[46:47]
	s_waitcnt vmcnt(2) lgkmcnt(0)
	v_fmac_f64_e32 v[44:45], v[52:53], v[56:57]
	s_waitcnt vmcnt(0)
	v_add_f64 v[44:45], v[54:55], -v[44:45]
	buffer_store_dword v44, off, s[0:3], 0 offset:128
	buffer_store_dword v45, off, s[0:3], 0 offset:132
	s_and_saveexec_b64 s[4:5], vcc
	s_cbranch_execz .LBB19_97
; %bb.96:
	buffer_load_dword v44, off, s[0:3], 0 offset:120
	buffer_load_dword v45, off, s[0:3], 0 offset:124
	s_waitcnt vmcnt(0)
	ds_write_b64 v1, v[44:45]
	buffer_store_dword v42, off, s[0:3], 0 offset:120
	buffer_store_dword v42, off, s[0:3], 0 offset:124
.LBB19_97:
	s_or_b64 exec, exec, s[4:5]
	s_waitcnt lgkmcnt(0)
	; wave barrier
	s_waitcnt lgkmcnt(0)
	buffer_load_dword v52, off, s[0:3], 0 offset:128
	buffer_load_dword v53, off, s[0:3], 0 offset:132
	;; [unrolled: 1-line block ×10, first 2 shown]
	ds_read_b128 v[44:47], v42 offset:288
	ds_read_b128 v[48:51], v42 offset:304
	v_cmp_lt_u32_e32 vcc, 14, v0
	s_waitcnt vmcnt(8) lgkmcnt(1)
	v_fma_f64 v[42:43], v[52:53], v[44:45], 0
	s_waitcnt vmcnt(6)
	v_fmac_f64_e32 v[42:43], v[54:55], v[46:47]
	s_waitcnt vmcnt(4) lgkmcnt(0)
	v_fmac_f64_e32 v[42:43], v[56:57], v[48:49]
	s_waitcnt vmcnt(2)
	v_fmac_f64_e32 v[42:43], v[58:59], v[50:51]
	s_waitcnt vmcnt(0)
	v_add_f64 v[42:43], v[60:61], -v[42:43]
	buffer_store_dword v42, off, s[0:3], 0 offset:120
	buffer_store_dword v43, off, s[0:3], 0 offset:124
	s_and_saveexec_b64 s[4:5], vcc
	s_cbranch_execz .LBB19_99
; %bb.98:
	buffer_load_dword v42, off, s[0:3], 0 offset:112
	buffer_load_dword v43, off, s[0:3], 0 offset:116
	v_mov_b32_e32 v44, 0
	buffer_store_dword v44, off, s[0:3], 0 offset:112
	buffer_store_dword v44, off, s[0:3], 0 offset:116
	s_waitcnt vmcnt(2)
	ds_write_b64 v1, v[42:43]
.LBB19_99:
	s_or_b64 exec, exec, s[4:5]
	s_waitcnt lgkmcnt(0)
	; wave barrier
	s_waitcnt lgkmcnt(0)
	buffer_load_dword v52, off, s[0:3], 0 offset:120
	buffer_load_dword v53, off, s[0:3], 0 offset:124
	;; [unrolled: 1-line block ×12, first 2 shown]
	v_mov_b32_e32 v42, 0
	ds_read2_b64 v[44:47], v42 offset0:35 offset1:36
	ds_read2_b64 v[48:51], v42 offset0:37 offset1:38
	ds_read_b64 v[64:65], v42 offset:312
	v_cmp_lt_u32_e32 vcc, 13, v0
	s_waitcnt vmcnt(10) lgkmcnt(2)
	v_fma_f64 v[44:45], v[52:53], v[44:45], 0
	s_waitcnt vmcnt(8)
	v_fmac_f64_e32 v[44:45], v[54:55], v[46:47]
	s_waitcnt vmcnt(6) lgkmcnt(1)
	v_fmac_f64_e32 v[44:45], v[56:57], v[48:49]
	s_waitcnt vmcnt(4)
	v_fmac_f64_e32 v[44:45], v[58:59], v[50:51]
	s_waitcnt vmcnt(2) lgkmcnt(0)
	v_fmac_f64_e32 v[44:45], v[60:61], v[64:65]
	s_waitcnt vmcnt(0)
	v_add_f64 v[44:45], v[62:63], -v[44:45]
	buffer_store_dword v44, off, s[0:3], 0 offset:112
	buffer_store_dword v45, off, s[0:3], 0 offset:116
	s_and_saveexec_b64 s[4:5], vcc
	s_cbranch_execz .LBB19_101
; %bb.100:
	buffer_load_dword v44, off, s[0:3], 0 offset:104
	buffer_load_dword v45, off, s[0:3], 0 offset:108
	s_waitcnt vmcnt(0)
	ds_write_b64 v1, v[44:45]
	buffer_store_dword v42, off, s[0:3], 0 offset:104
	buffer_store_dword v42, off, s[0:3], 0 offset:108
.LBB19_101:
	s_or_b64 exec, exec, s[4:5]
	s_waitcnt lgkmcnt(0)
	; wave barrier
	s_waitcnt lgkmcnt(0)
	buffer_load_dword v56, off, s[0:3], 0 offset:112
	buffer_load_dword v57, off, s[0:3], 0 offset:116
	;; [unrolled: 1-line block ×14, first 2 shown]
	ds_read_b128 v[44:47], v42 offset:272
	ds_read_b128 v[48:51], v42 offset:288
	ds_read_b128 v[52:55], v42 offset:304
	v_cmp_lt_u32_e32 vcc, 12, v0
	s_waitcnt vmcnt(12) lgkmcnt(2)
	v_fma_f64 v[42:43], v[56:57], v[44:45], 0
	s_waitcnt vmcnt(10)
	v_fmac_f64_e32 v[42:43], v[58:59], v[46:47]
	s_waitcnt vmcnt(8) lgkmcnt(1)
	v_fmac_f64_e32 v[42:43], v[60:61], v[48:49]
	s_waitcnt vmcnt(6)
	v_fmac_f64_e32 v[42:43], v[62:63], v[50:51]
	s_waitcnt vmcnt(4) lgkmcnt(0)
	v_fmac_f64_e32 v[42:43], v[64:65], v[52:53]
	s_waitcnt vmcnt(2)
	v_fmac_f64_e32 v[42:43], v[66:67], v[54:55]
	s_waitcnt vmcnt(0)
	v_add_f64 v[42:43], v[68:69], -v[42:43]
	buffer_store_dword v42, off, s[0:3], 0 offset:104
	buffer_store_dword v43, off, s[0:3], 0 offset:108
	s_and_saveexec_b64 s[4:5], vcc
	s_cbranch_execz .LBB19_103
; %bb.102:
	buffer_load_dword v42, off, s[0:3], 0 offset:96
	buffer_load_dword v43, off, s[0:3], 0 offset:100
	v_mov_b32_e32 v44, 0
	buffer_store_dword v44, off, s[0:3], 0 offset:96
	buffer_store_dword v44, off, s[0:3], 0 offset:100
	s_waitcnt vmcnt(2)
	ds_write_b64 v1, v[42:43]
.LBB19_103:
	s_or_b64 exec, exec, s[4:5]
	s_waitcnt lgkmcnt(0)
	; wave barrier
	s_waitcnt lgkmcnt(0)
	buffer_load_dword v56, off, s[0:3], 0 offset:104
	buffer_load_dword v57, off, s[0:3], 0 offset:108
	;; [unrolled: 1-line block ×16, first 2 shown]
	v_mov_b32_e32 v42, 0
	ds_read2_b64 v[44:47], v42 offset0:33 offset1:34
	ds_read2_b64 v[48:51], v42 offset0:35 offset1:36
	;; [unrolled: 1-line block ×3, first 2 shown]
	ds_read_b64 v[72:73], v42 offset:312
	v_cmp_lt_u32_e32 vcc, 11, v0
	s_waitcnt vmcnt(14) lgkmcnt(3)
	v_fma_f64 v[44:45], v[56:57], v[44:45], 0
	s_waitcnt vmcnt(12)
	v_fmac_f64_e32 v[44:45], v[58:59], v[46:47]
	s_waitcnt vmcnt(10) lgkmcnt(2)
	v_fmac_f64_e32 v[44:45], v[60:61], v[48:49]
	s_waitcnt vmcnt(8)
	v_fmac_f64_e32 v[44:45], v[62:63], v[50:51]
	s_waitcnt vmcnt(6) lgkmcnt(1)
	v_fmac_f64_e32 v[44:45], v[64:65], v[52:53]
	;; [unrolled: 4-line block ×3, first 2 shown]
	s_waitcnt vmcnt(0)
	v_add_f64 v[44:45], v[70:71], -v[44:45]
	buffer_store_dword v44, off, s[0:3], 0 offset:96
	buffer_store_dword v45, off, s[0:3], 0 offset:100
	s_and_saveexec_b64 s[4:5], vcc
	s_cbranch_execz .LBB19_105
; %bb.104:
	buffer_load_dword v44, off, s[0:3], 0 offset:88
	buffer_load_dword v45, off, s[0:3], 0 offset:92
	s_waitcnt vmcnt(0)
	ds_write_b64 v1, v[44:45]
	buffer_store_dword v42, off, s[0:3], 0 offset:88
	buffer_store_dword v42, off, s[0:3], 0 offset:92
.LBB19_105:
	s_or_b64 exec, exec, s[4:5]
	s_waitcnt lgkmcnt(0)
	; wave barrier
	s_waitcnt lgkmcnt(0)
	buffer_load_dword v60, off, s[0:3], 0 offset:96
	buffer_load_dword v61, off, s[0:3], 0 offset:100
	;; [unrolled: 1-line block ×18, first 2 shown]
	ds_read_b128 v[44:47], v42 offset:256
	ds_read_b128 v[48:51], v42 offset:272
	;; [unrolled: 1-line block ×4, first 2 shown]
	v_cmp_lt_u32_e32 vcc, 10, v0
	s_waitcnt vmcnt(16) lgkmcnt(3)
	v_fma_f64 v[42:43], v[60:61], v[44:45], 0
	s_waitcnt vmcnt(14)
	v_fmac_f64_e32 v[42:43], v[62:63], v[46:47]
	s_waitcnt vmcnt(12) lgkmcnt(2)
	v_fmac_f64_e32 v[42:43], v[64:65], v[48:49]
	s_waitcnt vmcnt(10)
	v_fmac_f64_e32 v[42:43], v[66:67], v[50:51]
	s_waitcnt vmcnt(8) lgkmcnt(1)
	v_fmac_f64_e32 v[42:43], v[68:69], v[52:53]
	s_waitcnt vmcnt(6)
	v_fmac_f64_e32 v[42:43], v[70:71], v[54:55]
	s_waitcnt vmcnt(4) lgkmcnt(0)
	v_fmac_f64_e32 v[42:43], v[72:73], v[56:57]
	s_waitcnt vmcnt(2)
	v_fmac_f64_e32 v[42:43], v[74:75], v[58:59]
	s_waitcnt vmcnt(0)
	v_add_f64 v[42:43], v[76:77], -v[42:43]
	buffer_store_dword v42, off, s[0:3], 0 offset:88
	buffer_store_dword v43, off, s[0:3], 0 offset:92
	s_and_saveexec_b64 s[4:5], vcc
	s_cbranch_execz .LBB19_107
; %bb.106:
	buffer_load_dword v42, off, s[0:3], 0 offset:80
	buffer_load_dword v43, off, s[0:3], 0 offset:84
	v_mov_b32_e32 v44, 0
	buffer_store_dword v44, off, s[0:3], 0 offset:80
	buffer_store_dword v44, off, s[0:3], 0 offset:84
	s_waitcnt vmcnt(2)
	ds_write_b64 v1, v[42:43]
.LBB19_107:
	s_or_b64 exec, exec, s[4:5]
	s_waitcnt lgkmcnt(0)
	; wave barrier
	s_waitcnt lgkmcnt(0)
	buffer_load_dword v60, off, s[0:3], 0 offset:88
	buffer_load_dword v61, off, s[0:3], 0 offset:92
	;; [unrolled: 1-line block ×20, first 2 shown]
	v_mov_b32_e32 v42, 0
	ds_read2_b64 v[44:47], v42 offset0:31 offset1:32
	ds_read2_b64 v[48:51], v42 offset0:33 offset1:34
	;; [unrolled: 1-line block ×4, first 2 shown]
	ds_read_b64 v[80:81], v42 offset:312
	v_cmp_lt_u32_e32 vcc, 9, v0
	s_waitcnt vmcnt(18) lgkmcnt(4)
	v_fma_f64 v[44:45], v[60:61], v[44:45], 0
	s_waitcnt vmcnt(16)
	v_fmac_f64_e32 v[44:45], v[62:63], v[46:47]
	s_waitcnt vmcnt(14) lgkmcnt(3)
	v_fmac_f64_e32 v[44:45], v[64:65], v[48:49]
	s_waitcnt vmcnt(12)
	v_fmac_f64_e32 v[44:45], v[66:67], v[50:51]
	s_waitcnt vmcnt(10) lgkmcnt(2)
	v_fmac_f64_e32 v[44:45], v[68:69], v[52:53]
	;; [unrolled: 4-line block ×3, first 2 shown]
	s_waitcnt vmcnt(2)
	v_fmac_f64_e32 v[44:45], v[76:77], v[58:59]
	s_waitcnt lgkmcnt(0)
	v_fmac_f64_e32 v[44:45], v[74:75], v[80:81]
	s_waitcnt vmcnt(0)
	v_add_f64 v[44:45], v[78:79], -v[44:45]
	buffer_store_dword v44, off, s[0:3], 0 offset:80
	buffer_store_dword v45, off, s[0:3], 0 offset:84
	s_and_saveexec_b64 s[4:5], vcc
	s_cbranch_execz .LBB19_109
; %bb.108:
	buffer_load_dword v44, off, s[0:3], 0 offset:72
	buffer_load_dword v45, off, s[0:3], 0 offset:76
	s_waitcnt vmcnt(0)
	ds_write_b64 v1, v[44:45]
	buffer_store_dword v42, off, s[0:3], 0 offset:72
	buffer_store_dword v42, off, s[0:3], 0 offset:76
.LBB19_109:
	s_or_b64 exec, exec, s[4:5]
	s_waitcnt lgkmcnt(0)
	; wave barrier
	s_waitcnt lgkmcnt(0)
	buffer_load_dword v64, off, s[0:3], 0 offset:80
	buffer_load_dword v65, off, s[0:3], 0 offset:84
	;; [unrolled: 1-line block ×22, first 2 shown]
	ds_read_b128 v[44:47], v42 offset:240
	ds_read_b128 v[48:51], v42 offset:256
	;; [unrolled: 1-line block ×5, first 2 shown]
	v_cmp_lt_u32_e32 vcc, 8, v0
	s_waitcnt vmcnt(20) lgkmcnt(4)
	v_fma_f64 v[42:43], v[64:65], v[44:45], 0
	s_waitcnt vmcnt(18)
	v_fmac_f64_e32 v[42:43], v[66:67], v[46:47]
	s_waitcnt vmcnt(16) lgkmcnt(3)
	v_fmac_f64_e32 v[42:43], v[68:69], v[48:49]
	s_waitcnt vmcnt(14)
	v_fmac_f64_e32 v[42:43], v[70:71], v[50:51]
	s_waitcnt vmcnt(12) lgkmcnt(2)
	v_fmac_f64_e32 v[42:43], v[72:73], v[52:53]
	;; [unrolled: 4-line block ×3, first 2 shown]
	s_waitcnt vmcnt(3)
	v_fmac_f64_e32 v[42:43], v[82:83], v[58:59]
	s_waitcnt lgkmcnt(0)
	v_fmac_f64_e32 v[42:43], v[80:81], v[60:61]
	s_waitcnt vmcnt(2)
	v_fmac_f64_e32 v[42:43], v[78:79], v[62:63]
	s_waitcnt vmcnt(0)
	v_add_f64 v[42:43], v[84:85], -v[42:43]
	buffer_store_dword v42, off, s[0:3], 0 offset:72
	buffer_store_dword v43, off, s[0:3], 0 offset:76
	s_and_saveexec_b64 s[4:5], vcc
	s_cbranch_execz .LBB19_111
; %bb.110:
	buffer_load_dword v42, off, s[0:3], 0 offset:64
	buffer_load_dword v43, off, s[0:3], 0 offset:68
	v_mov_b32_e32 v44, 0
	buffer_store_dword v44, off, s[0:3], 0 offset:64
	buffer_store_dword v44, off, s[0:3], 0 offset:68
	s_waitcnt vmcnt(2)
	ds_write_b64 v1, v[42:43]
.LBB19_111:
	s_or_b64 exec, exec, s[4:5]
	s_waitcnt lgkmcnt(0)
	; wave barrier
	s_waitcnt lgkmcnt(0)
	buffer_load_dword v64, off, s[0:3], 0 offset:72
	buffer_load_dword v65, off, s[0:3], 0 offset:76
	;; [unrolled: 1-line block ×24, first 2 shown]
	v_mov_b32_e32 v42, 0
	ds_read2_b64 v[44:47], v42 offset0:29 offset1:30
	ds_read2_b64 v[48:51], v42 offset0:31 offset1:32
	;; [unrolled: 1-line block ×5, first 2 shown]
	ds_read_b64 v[88:89], v42 offset:312
	v_cmp_lt_u32_e32 vcc, 7, v0
	s_waitcnt vmcnt(22) lgkmcnt(5)
	v_fma_f64 v[44:45], v[64:65], v[44:45], 0
	s_waitcnt vmcnt(20)
	v_fmac_f64_e32 v[44:45], v[66:67], v[46:47]
	s_waitcnt vmcnt(18) lgkmcnt(4)
	v_fmac_f64_e32 v[44:45], v[68:69], v[48:49]
	s_waitcnt vmcnt(16)
	v_fmac_f64_e32 v[44:45], v[70:71], v[50:51]
	s_waitcnt vmcnt(14) lgkmcnt(3)
	v_fmac_f64_e32 v[44:45], v[72:73], v[52:53]
	;; [unrolled: 4-line block ×3, first 2 shown]
	s_waitcnt vmcnt(4)
	v_fmac_f64_e32 v[44:45], v[84:85], v[58:59]
	s_waitcnt lgkmcnt(1)
	v_fmac_f64_e32 v[44:45], v[82:83], v[60:61]
	s_waitcnt vmcnt(3)
	v_fmac_f64_e32 v[44:45], v[80:81], v[62:63]
	s_waitcnt vmcnt(2) lgkmcnt(0)
	v_fmac_f64_e32 v[44:45], v[78:79], v[88:89]
	s_waitcnt vmcnt(0)
	v_add_f64 v[44:45], v[86:87], -v[44:45]
	buffer_store_dword v45, off, s[0:3], 0 offset:68
	buffer_store_dword v44, off, s[0:3], 0 offset:64
	s_and_saveexec_b64 s[4:5], vcc
	s_cbranch_execz .LBB19_113
; %bb.112:
	buffer_load_dword v44, off, s[0:3], 0 offset:56
	buffer_load_dword v45, off, s[0:3], 0 offset:60
	s_waitcnt vmcnt(0)
	ds_write_b64 v1, v[44:45]
	buffer_store_dword v42, off, s[0:3], 0 offset:56
	buffer_store_dword v42, off, s[0:3], 0 offset:60
.LBB19_113:
	s_or_b64 exec, exec, s[4:5]
	s_waitcnt lgkmcnt(0)
	; wave barrier
	s_waitcnt lgkmcnt(0)
	buffer_load_dword v68, off, s[0:3], 0 offset:64
	buffer_load_dword v69, off, s[0:3], 0 offset:68
	;; [unrolled: 1-line block ×26, first 2 shown]
	ds_read_b128 v[44:47], v42 offset:224
	ds_read_b128 v[48:51], v42 offset:240
	;; [unrolled: 1-line block ×6, first 2 shown]
	v_cmp_lt_u32_e32 vcc, 6, v0
	s_waitcnt vmcnt(24) lgkmcnt(5)
	v_fma_f64 v[42:43], v[68:69], v[44:45], 0
	s_waitcnt vmcnt(22)
	v_fmac_f64_e32 v[42:43], v[70:71], v[46:47]
	s_waitcnt vmcnt(20) lgkmcnt(4)
	v_fmac_f64_e32 v[42:43], v[72:73], v[48:49]
	s_waitcnt vmcnt(18)
	v_fmac_f64_e32 v[42:43], v[74:75], v[50:51]
	s_waitcnt vmcnt(16) lgkmcnt(3)
	v_fmac_f64_e32 v[42:43], v[76:77], v[52:53]
	;; [unrolled: 4-line block ×3, first 2 shown]
	s_waitcnt vmcnt(5)
	v_fmac_f64_e32 v[42:43], v[88:89], v[58:59]
	s_waitcnt lgkmcnt(1)
	v_fmac_f64_e32 v[42:43], v[86:87], v[60:61]
	v_fmac_f64_e32 v[42:43], v[84:85], v[62:63]
	s_waitcnt vmcnt(4) lgkmcnt(0)
	v_fmac_f64_e32 v[42:43], v[82:83], v[64:65]
	s_waitcnt vmcnt(2)
	v_fmac_f64_e32 v[42:43], v[90:91], v[66:67]
	s_waitcnt vmcnt(0)
	v_add_f64 v[42:43], v[92:93], -v[42:43]
	buffer_store_dword v43, off, s[0:3], 0 offset:60
	buffer_store_dword v42, off, s[0:3], 0 offset:56
	s_and_saveexec_b64 s[4:5], vcc
	s_cbranch_execz .LBB19_115
; %bb.114:
	buffer_load_dword v42, off, s[0:3], 0 offset:48
	buffer_load_dword v43, off, s[0:3], 0 offset:52
	v_mov_b32_e32 v44, 0
	buffer_store_dword v44, off, s[0:3], 0 offset:48
	buffer_store_dword v44, off, s[0:3], 0 offset:52
	s_waitcnt vmcnt(2)
	ds_write_b64 v1, v[42:43]
.LBB19_115:
	s_or_b64 exec, exec, s[4:5]
	s_waitcnt lgkmcnt(0)
	; wave barrier
	s_waitcnt lgkmcnt(0)
	buffer_load_dword v68, off, s[0:3], 0 offset:56
	buffer_load_dword v69, off, s[0:3], 0 offset:60
	;; [unrolled: 1-line block ×28, first 2 shown]
	v_mov_b32_e32 v42, 0
	ds_read2_b64 v[44:47], v42 offset0:27 offset1:28
	ds_read2_b64 v[48:51], v42 offset0:29 offset1:30
	;; [unrolled: 1-line block ×6, first 2 shown]
	ds_read_b64 v[96:97], v42 offset:312
	v_cmp_lt_u32_e32 vcc, 5, v0
	s_waitcnt vmcnt(26) lgkmcnt(6)
	v_fma_f64 v[44:45], v[68:69], v[44:45], 0
	s_waitcnt vmcnt(24)
	v_fmac_f64_e32 v[44:45], v[70:71], v[46:47]
	s_waitcnt vmcnt(22) lgkmcnt(5)
	v_fmac_f64_e32 v[44:45], v[72:73], v[48:49]
	s_waitcnt vmcnt(20)
	v_fmac_f64_e32 v[44:45], v[74:75], v[50:51]
	s_waitcnt vmcnt(18) lgkmcnt(4)
	v_fmac_f64_e32 v[44:45], v[76:77], v[52:53]
	;; [unrolled: 4-line block ×3, first 2 shown]
	s_waitcnt vmcnt(6)
	v_fmac_f64_e32 v[44:45], v[88:89], v[58:59]
	s_waitcnt lgkmcnt(2)
	v_fmac_f64_e32 v[44:45], v[86:87], v[60:61]
	v_fmac_f64_e32 v[44:45], v[84:85], v[62:63]
	s_waitcnt lgkmcnt(1)
	v_fmac_f64_e32 v[44:45], v[82:83], v[64:65]
	s_waitcnt vmcnt(2)
	v_fmac_f64_e32 v[44:45], v[92:93], v[66:67]
	s_waitcnt lgkmcnt(0)
	v_fmac_f64_e32 v[44:45], v[90:91], v[96:97]
	s_waitcnt vmcnt(0)
	v_add_f64 v[44:45], v[94:95], -v[44:45]
	buffer_store_dword v45, off, s[0:3], 0 offset:52
	buffer_store_dword v44, off, s[0:3], 0 offset:48
	s_and_saveexec_b64 s[4:5], vcc
	s_cbranch_execz .LBB19_117
; %bb.116:
	buffer_load_dword v44, off, s[0:3], 0 offset:40
	buffer_load_dword v45, off, s[0:3], 0 offset:44
	s_waitcnt vmcnt(0)
	ds_write_b64 v1, v[44:45]
	buffer_store_dword v42, off, s[0:3], 0 offset:40
	buffer_store_dword v42, off, s[0:3], 0 offset:44
.LBB19_117:
	s_or_b64 exec, exec, s[4:5]
	s_waitcnt lgkmcnt(0)
	; wave barrier
	s_waitcnt lgkmcnt(0)
	buffer_load_dword v72, off, s[0:3], 0 offset:48
	buffer_load_dword v73, off, s[0:3], 0 offset:52
	;; [unrolled: 1-line block ×30, first 2 shown]
	ds_read_b128 v[44:47], v42 offset:208
	ds_read_b128 v[48:51], v42 offset:224
	ds_read_b128 v[52:55], v42 offset:240
	ds_read_b128 v[56:59], v42 offset:256
	ds_read_b128 v[60:63], v42 offset:272
	ds_read_b128 v[64:67], v42 offset:288
	ds_read_b128 v[68:71], v42 offset:304
	v_cmp_lt_u32_e32 vcc, 4, v0
	s_waitcnt vmcnt(28) lgkmcnt(6)
	v_fma_f64 v[42:43], v[72:73], v[44:45], 0
	s_waitcnt vmcnt(26)
	v_fmac_f64_e32 v[42:43], v[74:75], v[46:47]
	s_waitcnt vmcnt(24) lgkmcnt(5)
	v_fmac_f64_e32 v[42:43], v[76:77], v[48:49]
	s_waitcnt vmcnt(22)
	v_fmac_f64_e32 v[42:43], v[78:79], v[50:51]
	s_waitcnt vmcnt(20) lgkmcnt(4)
	v_fmac_f64_e32 v[42:43], v[80:81], v[52:53]
	;; [unrolled: 4-line block ×3, first 2 shown]
	s_waitcnt vmcnt(8)
	v_fmac_f64_e32 v[42:43], v[92:93], v[58:59]
	s_waitcnt lgkmcnt(2)
	v_fmac_f64_e32 v[42:43], v[90:91], v[60:61]
	v_fmac_f64_e32 v[42:43], v[88:89], v[62:63]
	s_waitcnt lgkmcnt(1)
	v_fmac_f64_e32 v[42:43], v[86:87], v[64:65]
	s_waitcnt vmcnt(3)
	v_fmac_f64_e32 v[42:43], v[98:99], v[66:67]
	s_waitcnt lgkmcnt(0)
	v_fmac_f64_e32 v[42:43], v[96:97], v[68:69]
	s_waitcnt vmcnt(2)
	v_fmac_f64_e32 v[42:43], v[94:95], v[70:71]
	s_waitcnt vmcnt(0)
	v_add_f64 v[42:43], v[100:101], -v[42:43]
	buffer_store_dword v43, off, s[0:3], 0 offset:44
	buffer_store_dword v42, off, s[0:3], 0 offset:40
	s_and_saveexec_b64 s[4:5], vcc
	s_cbranch_execz .LBB19_119
; %bb.118:
	buffer_load_dword v42, off, s[0:3], 0 offset:32
	buffer_load_dword v43, off, s[0:3], 0 offset:36
	v_mov_b32_e32 v44, 0
	buffer_store_dword v44, off, s[0:3], 0 offset:32
	buffer_store_dword v44, off, s[0:3], 0 offset:36
	s_waitcnt vmcnt(2)
	ds_write_b64 v1, v[42:43]
.LBB19_119:
	s_or_b64 exec, exec, s[4:5]
	s_waitcnt lgkmcnt(0)
	; wave barrier
	s_waitcnt lgkmcnt(0)
	buffer_load_dword v72, off, s[0:3], 0 offset:40
	buffer_load_dword v73, off, s[0:3], 0 offset:44
	;; [unrolled: 1-line block ×32, first 2 shown]
	v_mov_b32_e32 v42, 0
	ds_read2_b64 v[44:47], v42 offset0:25 offset1:26
	ds_read2_b64 v[48:51], v42 offset0:27 offset1:28
	ds_read2_b64 v[52:55], v42 offset0:29 offset1:30
	ds_read2_b64 v[56:59], v42 offset0:31 offset1:32
	ds_read2_b64 v[60:63], v42 offset0:33 offset1:34
	ds_read2_b64 v[64:67], v42 offset0:35 offset1:36
	ds_read2_b64 v[68:71], v42 offset0:37 offset1:38
	ds_read_b64 v[104:105], v42 offset:312
	v_cmp_lt_u32_e32 vcc, 3, v0
	s_waitcnt vmcnt(30) lgkmcnt(7)
	v_fma_f64 v[44:45], v[72:73], v[44:45], 0
	s_waitcnt vmcnt(28)
	v_fmac_f64_e32 v[44:45], v[74:75], v[46:47]
	s_waitcnt vmcnt(26) lgkmcnt(6)
	v_fmac_f64_e32 v[44:45], v[76:77], v[48:49]
	s_waitcnt vmcnt(24)
	v_fmac_f64_e32 v[44:45], v[78:79], v[50:51]
	s_waitcnt vmcnt(22) lgkmcnt(5)
	v_fmac_f64_e32 v[44:45], v[80:81], v[52:53]
	;; [unrolled: 4-line block ×3, first 2 shown]
	s_waitcnt vmcnt(10)
	v_fmac_f64_e32 v[44:45], v[92:93], v[58:59]
	s_waitcnt lgkmcnt(3)
	v_fmac_f64_e32 v[44:45], v[90:91], v[60:61]
	v_fmac_f64_e32 v[44:45], v[88:89], v[62:63]
	s_waitcnt lgkmcnt(2)
	v_fmac_f64_e32 v[44:45], v[86:87], v[64:65]
	s_waitcnt vmcnt(4)
	v_fmac_f64_e32 v[44:45], v[100:101], v[66:67]
	s_waitcnt lgkmcnt(1)
	v_fmac_f64_e32 v[44:45], v[98:99], v[68:69]
	s_waitcnt vmcnt(3)
	v_fmac_f64_e32 v[44:45], v[96:97], v[70:71]
	s_waitcnt vmcnt(2) lgkmcnt(0)
	v_fmac_f64_e32 v[44:45], v[94:95], v[104:105]
	s_waitcnt vmcnt(0)
	v_add_f64 v[44:45], v[102:103], -v[44:45]
	buffer_store_dword v45, off, s[0:3], 0 offset:36
	buffer_store_dword v44, off, s[0:3], 0 offset:32
	s_and_saveexec_b64 s[4:5], vcc
	s_cbranch_execz .LBB19_121
; %bb.120:
	buffer_load_dword v44, off, s[0:3], 0 offset:24
	buffer_load_dword v45, off, s[0:3], 0 offset:28
	s_waitcnt vmcnt(0)
	ds_write_b64 v1, v[44:45]
	buffer_store_dword v42, off, s[0:3], 0 offset:24
	buffer_store_dword v42, off, s[0:3], 0 offset:28
.LBB19_121:
	s_or_b64 exec, exec, s[4:5]
	s_waitcnt lgkmcnt(0)
	; wave barrier
	s_waitcnt lgkmcnt(0)
	buffer_load_dword v76, off, s[0:3], 0 offset:32
	buffer_load_dword v77, off, s[0:3], 0 offset:36
	;; [unrolled: 1-line block ×34, first 2 shown]
	ds_read_b128 v[44:47], v42 offset:192
	ds_read_b128 v[48:51], v42 offset:208
	;; [unrolled: 1-line block ×8, first 2 shown]
	v_cmp_lt_u32_e32 vcc, 2, v0
	s_waitcnt vmcnt(32) lgkmcnt(7)
	v_fma_f64 v[42:43], v[76:77], v[44:45], 0
	s_waitcnt vmcnt(30)
	v_fmac_f64_e32 v[42:43], v[78:79], v[46:47]
	s_waitcnt vmcnt(28) lgkmcnt(6)
	v_fmac_f64_e32 v[42:43], v[80:81], v[48:49]
	s_waitcnt vmcnt(26)
	v_fmac_f64_e32 v[42:43], v[82:83], v[50:51]
	s_waitcnt vmcnt(24) lgkmcnt(5)
	v_fmac_f64_e32 v[42:43], v[84:85], v[52:53]
	;; [unrolled: 4-line block ×3, first 2 shown]
	s_waitcnt vmcnt(12)
	v_fmac_f64_e32 v[42:43], v[96:97], v[58:59]
	s_waitcnt lgkmcnt(3)
	v_fmac_f64_e32 v[42:43], v[94:95], v[60:61]
	v_fmac_f64_e32 v[42:43], v[92:93], v[62:63]
	s_waitcnt lgkmcnt(2)
	v_fmac_f64_e32 v[42:43], v[90:91], v[64:65]
	s_waitcnt vmcnt(5)
	v_fmac_f64_e32 v[42:43], v[104:105], v[66:67]
	s_waitcnt lgkmcnt(1)
	v_fmac_f64_e32 v[42:43], v[102:103], v[68:69]
	v_fmac_f64_e32 v[42:43], v[100:101], v[70:71]
	s_waitcnt vmcnt(4) lgkmcnt(0)
	v_fmac_f64_e32 v[42:43], v[98:99], v[72:73]
	s_waitcnt vmcnt(2)
	v_fmac_f64_e32 v[42:43], v[106:107], v[74:75]
	s_waitcnt vmcnt(0)
	v_add_f64 v[42:43], v[108:109], -v[42:43]
	buffer_store_dword v43, off, s[0:3], 0 offset:28
	buffer_store_dword v42, off, s[0:3], 0 offset:24
	s_and_saveexec_b64 s[4:5], vcc
	s_cbranch_execz .LBB19_123
; %bb.122:
	buffer_load_dword v42, off, s[0:3], 0 offset:16
	buffer_load_dword v43, off, s[0:3], 0 offset:20
	v_mov_b32_e32 v44, 0
	buffer_store_dword v44, off, s[0:3], 0 offset:16
	buffer_store_dword v44, off, s[0:3], 0 offset:20
	s_waitcnt vmcnt(2)
	ds_write_b64 v1, v[42:43]
.LBB19_123:
	s_or_b64 exec, exec, s[4:5]
	s_waitcnt lgkmcnt(0)
	; wave barrier
	s_waitcnt lgkmcnt(0)
	buffer_load_dword v76, off, s[0:3], 0 offset:24
	buffer_load_dword v77, off, s[0:3], 0 offset:28
	;; [unrolled: 1-line block ×36, first 2 shown]
	v_mov_b32_e32 v42, 0
	ds_read2_b64 v[44:47], v42 offset0:23 offset1:24
	ds_read2_b64 v[48:51], v42 offset0:25 offset1:26
	ds_read2_b64 v[52:55], v42 offset0:27 offset1:28
	ds_read2_b64 v[56:59], v42 offset0:29 offset1:30
	ds_read2_b64 v[60:63], v42 offset0:31 offset1:32
	ds_read2_b64 v[64:67], v42 offset0:33 offset1:34
	ds_read2_b64 v[68:71], v42 offset0:35 offset1:36
	ds_read2_b64 v[72:75], v42 offset0:37 offset1:38
	ds_read_b64 v[112:113], v42 offset:312
	v_cmp_lt_u32_e32 vcc, 1, v0
	s_waitcnt vmcnt(34) lgkmcnt(8)
	v_fma_f64 v[44:45], v[76:77], v[44:45], 0
	s_waitcnt vmcnt(32)
	v_fmac_f64_e32 v[44:45], v[78:79], v[46:47]
	s_waitcnt vmcnt(30) lgkmcnt(7)
	v_fmac_f64_e32 v[44:45], v[80:81], v[48:49]
	s_waitcnt vmcnt(28)
	v_fmac_f64_e32 v[44:45], v[82:83], v[50:51]
	s_waitcnt vmcnt(26) lgkmcnt(6)
	v_fmac_f64_e32 v[44:45], v[84:85], v[52:53]
	;; [unrolled: 4-line block ×3, first 2 shown]
	s_waitcnt vmcnt(14)
	v_fmac_f64_e32 v[44:45], v[96:97], v[58:59]
	s_waitcnt lgkmcnt(4)
	v_fmac_f64_e32 v[44:45], v[94:95], v[60:61]
	v_fmac_f64_e32 v[44:45], v[92:93], v[62:63]
	s_waitcnt lgkmcnt(3)
	v_fmac_f64_e32 v[44:45], v[90:91], v[64:65]
	s_waitcnt vmcnt(6)
	v_fmac_f64_e32 v[44:45], v[104:105], v[66:67]
	s_waitcnt lgkmcnt(2)
	v_fmac_f64_e32 v[44:45], v[102:103], v[68:69]
	v_fmac_f64_e32 v[44:45], v[100:101], v[70:71]
	s_waitcnt lgkmcnt(1)
	v_fmac_f64_e32 v[44:45], v[98:99], v[72:73]
	s_waitcnt vmcnt(2)
	v_fmac_f64_e32 v[44:45], v[108:109], v[74:75]
	s_waitcnt lgkmcnt(0)
	v_fmac_f64_e32 v[44:45], v[106:107], v[112:113]
	s_waitcnt vmcnt(0)
	v_add_f64 v[44:45], v[110:111], -v[44:45]
	buffer_store_dword v45, off, s[0:3], 0 offset:20
	buffer_store_dword v44, off, s[0:3], 0 offset:16
	s_and_saveexec_b64 s[4:5], vcc
	s_cbranch_execz .LBB19_125
; %bb.124:
	buffer_load_dword v44, off, s[0:3], 0 offset:8
	buffer_load_dword v45, off, s[0:3], 0 offset:12
	s_waitcnt vmcnt(0)
	ds_write_b64 v1, v[44:45]
	buffer_store_dword v42, off, s[0:3], 0 offset:8
	buffer_store_dword v42, off, s[0:3], 0 offset:12
.LBB19_125:
	s_or_b64 exec, exec, s[4:5]
	s_waitcnt lgkmcnt(0)
	; wave barrier
	s_waitcnt lgkmcnt(0)
	buffer_load_dword v80, off, s[0:3], 0 offset:16
	buffer_load_dword v81, off, s[0:3], 0 offset:20
	;; [unrolled: 1-line block ×38, first 2 shown]
	ds_read_b128 v[44:47], v42 offset:176
	ds_read_b128 v[48:51], v42 offset:192
	;; [unrolled: 1-line block ×9, first 2 shown]
	v_cmp_ne_u32_e32 vcc, 0, v0
	s_waitcnt vmcnt(36) lgkmcnt(8)
	v_fma_f64 v[42:43], v[80:81], v[44:45], 0
	s_waitcnt vmcnt(34)
	v_fmac_f64_e32 v[42:43], v[82:83], v[46:47]
	s_waitcnt vmcnt(32) lgkmcnt(7)
	v_fmac_f64_e32 v[42:43], v[84:85], v[48:49]
	s_waitcnt vmcnt(30)
	v_fmac_f64_e32 v[42:43], v[86:87], v[50:51]
	s_waitcnt vmcnt(28) lgkmcnt(6)
	v_fmac_f64_e32 v[42:43], v[88:89], v[52:53]
	;; [unrolled: 4-line block ×3, first 2 shown]
	s_waitcnt vmcnt(16)
	v_fmac_f64_e32 v[42:43], v[100:101], v[58:59]
	s_waitcnt lgkmcnt(4)
	v_fmac_f64_e32 v[42:43], v[98:99], v[60:61]
	v_fmac_f64_e32 v[42:43], v[96:97], v[62:63]
	s_waitcnt lgkmcnt(3)
	v_fmac_f64_e32 v[42:43], v[94:95], v[64:65]
	s_waitcnt vmcnt(8)
	v_fmac_f64_e32 v[42:43], v[108:109], v[66:67]
	s_waitcnt lgkmcnt(2)
	v_fmac_f64_e32 v[42:43], v[106:107], v[68:69]
	v_fmac_f64_e32 v[42:43], v[104:105], v[70:71]
	s_waitcnt lgkmcnt(1)
	v_fmac_f64_e32 v[42:43], v[102:103], v[72:73]
	s_waitcnt vmcnt(3)
	v_fmac_f64_e32 v[42:43], v[114:115], v[74:75]
	s_waitcnt lgkmcnt(0)
	v_fmac_f64_e32 v[42:43], v[112:113], v[76:77]
	s_waitcnt vmcnt(2)
	v_fmac_f64_e32 v[42:43], v[110:111], v[78:79]
	s_waitcnt vmcnt(0)
	v_add_f64 v[42:43], v[116:117], -v[42:43]
	buffer_store_dword v43, off, s[0:3], 0 offset:12
	buffer_store_dword v42, off, s[0:3], 0 offset:8
	s_and_saveexec_b64 s[4:5], vcc
	s_cbranch_execz .LBB19_127
; %bb.126:
	buffer_load_dword v42, off, s[0:3], 0
	buffer_load_dword v43, off, s[0:3], 0 offset:4
	v_mov_b32_e32 v0, 0
	buffer_store_dword v0, off, s[0:3], 0
	buffer_store_dword v0, off, s[0:3], 0 offset:4
	s_waitcnt vmcnt(2)
	ds_write_b64 v1, v[42:43]
.LBB19_127:
	s_or_b64 exec, exec, s[4:5]
	s_waitcnt lgkmcnt(0)
	; wave barrier
	s_waitcnt lgkmcnt(0)
	buffer_load_dword v0, off, s[0:3], 0 offset:8
	buffer_load_dword v1, off, s[0:3], 0 offset:12
	;; [unrolled: 1-line block ×38, first 2 shown]
	buffer_load_dword v114, off, s[0:3], 0
	buffer_load_dword v115, off, s[0:3], 0 offset:4
	v_mov_b32_e32 v116, 0
	ds_read2_b64 v[44:47], v116 offset0:21 offset1:22
	ds_read2_b64 v[48:51], v116 offset0:23 offset1:24
	;; [unrolled: 1-line block ×9, first 2 shown]
	ds_read_b64 v[116:117], v116 offset:312
	s_and_b64 vcc, exec, s[20:21]
	s_waitcnt vmcnt(38) lgkmcnt(9)
	v_fma_f64 v[0:1], v[0:1], v[44:45], 0
	s_waitcnt vmcnt(36)
	v_fmac_f64_e32 v[0:1], v[80:81], v[46:47]
	s_waitcnt vmcnt(34) lgkmcnt(8)
	v_fmac_f64_e32 v[0:1], v[82:83], v[48:49]
	s_waitcnt vmcnt(32)
	v_fmac_f64_e32 v[0:1], v[84:85], v[50:51]
	s_waitcnt vmcnt(30) lgkmcnt(7)
	v_fmac_f64_e32 v[0:1], v[86:87], v[52:53]
	;; [unrolled: 4-line block ×3, first 2 shown]
	s_waitcnt vmcnt(18)
	v_fmac_f64_e32 v[0:1], v[98:99], v[58:59]
	s_waitcnt lgkmcnt(5)
	v_fmac_f64_e32 v[0:1], v[96:97], v[60:61]
	v_fmac_f64_e32 v[0:1], v[94:95], v[62:63]
	s_waitcnt lgkmcnt(4)
	v_fmac_f64_e32 v[0:1], v[92:93], v[64:65]
	s_waitcnt vmcnt(10)
	v_fmac_f64_e32 v[0:1], v[106:107], v[66:67]
	s_waitcnt lgkmcnt(3)
	v_fmac_f64_e32 v[0:1], v[104:105], v[68:69]
	v_fmac_f64_e32 v[0:1], v[102:103], v[70:71]
	s_waitcnt lgkmcnt(2)
	v_fmac_f64_e32 v[0:1], v[100:101], v[72:73]
	s_waitcnt vmcnt(4)
	v_fmac_f64_e32 v[0:1], v[112:113], v[74:75]
	s_waitcnt lgkmcnt(1)
	v_fmac_f64_e32 v[0:1], v[110:111], v[76:77]
	s_waitcnt vmcnt(3)
	v_fmac_f64_e32 v[0:1], v[42:43], v[78:79]
	s_waitcnt vmcnt(2) lgkmcnt(0)
	v_fmac_f64_e32 v[0:1], v[108:109], v[116:117]
	s_waitcnt vmcnt(0)
	v_add_f64 v[0:1], v[114:115], -v[0:1]
	buffer_store_dword v1, off, s[0:3], 0 offset:4
	buffer_store_dword v0, off, s[0:3], 0
	s_cbranch_vccz .LBB19_167
; %bb.128:
	v_pk_mov_b32 v[0:1], s[10:11], s[10:11] op_sel:[0,1]
	flat_load_dword v0, v[0:1] offset:72
	s_waitcnt vmcnt(0) lgkmcnt(0)
	v_add_u32_e32 v0, -1, v0
	v_cmp_ne_u32_e32 vcc, 18, v0
	s_and_saveexec_b64 s[4:5], vcc
	s_cbranch_execz .LBB19_130
; %bb.129:
	v_mov_b32_e32 v1, 0
	v_lshl_add_u32 v0, v0, 3, v1
	buffer_load_dword v1, v0, s[0:3], 0 offen offset:4
	buffer_load_dword v44, v0, s[0:3], 0 offen
	s_waitcnt vmcnt(1)
	buffer_store_dword v1, off, s[0:3], 0 offset:148
	s_waitcnt vmcnt(1)
	buffer_store_dword v44, off, s[0:3], 0 offset:144
	buffer_store_dword v43, v0, s[0:3], 0 offen offset:4
	buffer_store_dword v42, v0, s[0:3], 0 offen
.LBB19_130:
	s_or_b64 exec, exec, s[4:5]
	v_pk_mov_b32 v[0:1], s[10:11], s[10:11] op_sel:[0,1]
	flat_load_dword v0, v[0:1] offset:68
	s_waitcnt vmcnt(0) lgkmcnt(0)
	v_add_u32_e32 v0, -1, v0
	v_cmp_ne_u32_e32 vcc, 17, v0
	s_and_saveexec_b64 s[4:5], vcc
	s_cbranch_execz .LBB19_132
; %bb.131:
	v_mov_b32_e32 v1, 0
	v_lshl_add_u32 v0, v0, 3, v1
	buffer_load_dword v1, v0, s[0:3], 0 offen
	buffer_load_dword v42, v0, s[0:3], 0 offen offset:4
	buffer_load_dword v43, off, s[0:3], 0 offset:136
	buffer_load_dword v44, off, s[0:3], 0 offset:140
	s_waitcnt vmcnt(3)
	buffer_store_dword v1, off, s[0:3], 0 offset:136
	s_waitcnt vmcnt(3)
	buffer_store_dword v42, off, s[0:3], 0 offset:140
	s_waitcnt vmcnt(3)
	buffer_store_dword v43, v0, s[0:3], 0 offen
	s_waitcnt vmcnt(3)
	buffer_store_dword v44, v0, s[0:3], 0 offen offset:4
.LBB19_132:
	s_or_b64 exec, exec, s[4:5]
	v_pk_mov_b32 v[0:1], s[10:11], s[10:11] op_sel:[0,1]
	flat_load_dword v0, v[0:1] offset:64
	s_waitcnt vmcnt(0) lgkmcnt(0)
	v_add_u32_e32 v0, -1, v0
	v_cmp_ne_u32_e32 vcc, 16, v0
	s_and_saveexec_b64 s[4:5], vcc
	s_cbranch_execz .LBB19_134
; %bb.133:
	v_mov_b32_e32 v1, 0
	v_lshl_add_u32 v0, v0, 3, v1
	buffer_load_dword v1, v0, s[0:3], 0 offen
	buffer_load_dword v42, v0, s[0:3], 0 offen offset:4
	buffer_load_dword v43, off, s[0:3], 0 offset:132
	buffer_load_dword v44, off, s[0:3], 0 offset:128
	s_waitcnt vmcnt(3)
	buffer_store_dword v1, off, s[0:3], 0 offset:128
	s_waitcnt vmcnt(3)
	buffer_store_dword v42, off, s[0:3], 0 offset:132
	s_waitcnt vmcnt(3)
	buffer_store_dword v43, v0, s[0:3], 0 offen offset:4
	s_waitcnt vmcnt(3)
	buffer_store_dword v44, v0, s[0:3], 0 offen
.LBB19_134:
	s_or_b64 exec, exec, s[4:5]
	v_pk_mov_b32 v[0:1], s[10:11], s[10:11] op_sel:[0,1]
	flat_load_dword v0, v[0:1] offset:60
	s_waitcnt vmcnt(0) lgkmcnt(0)
	v_add_u32_e32 v0, -1, v0
	v_cmp_ne_u32_e32 vcc, 15, v0
	s_and_saveexec_b64 s[4:5], vcc
	s_cbranch_execz .LBB19_136
; %bb.135:
	v_mov_b32_e32 v1, 0
	v_lshl_add_u32 v0, v0, 3, v1
	buffer_load_dword v1, v0, s[0:3], 0 offen
	buffer_load_dword v42, v0, s[0:3], 0 offen offset:4
	buffer_load_dword v43, off, s[0:3], 0 offset:120
	buffer_load_dword v44, off, s[0:3], 0 offset:124
	s_waitcnt vmcnt(3)
	buffer_store_dword v1, off, s[0:3], 0 offset:120
	s_waitcnt vmcnt(3)
	buffer_store_dword v42, off, s[0:3], 0 offset:124
	s_waitcnt vmcnt(3)
	buffer_store_dword v43, v0, s[0:3], 0 offen
	s_waitcnt vmcnt(3)
	buffer_store_dword v44, v0, s[0:3], 0 offen offset:4
.LBB19_136:
	s_or_b64 exec, exec, s[4:5]
	v_pk_mov_b32 v[0:1], s[10:11], s[10:11] op_sel:[0,1]
	flat_load_dword v0, v[0:1] offset:56
	s_waitcnt vmcnt(0) lgkmcnt(0)
	v_add_u32_e32 v0, -1, v0
	v_cmp_ne_u32_e32 vcc, 14, v0
	s_and_saveexec_b64 s[4:5], vcc
	s_cbranch_execz .LBB19_138
; %bb.137:
	v_mov_b32_e32 v1, 0
	v_lshl_add_u32 v0, v0, 3, v1
	buffer_load_dword v1, v0, s[0:3], 0 offen
	buffer_load_dword v42, v0, s[0:3], 0 offen offset:4
	buffer_load_dword v43, off, s[0:3], 0 offset:116
	buffer_load_dword v44, off, s[0:3], 0 offset:112
	s_waitcnt vmcnt(3)
	buffer_store_dword v1, off, s[0:3], 0 offset:112
	s_waitcnt vmcnt(3)
	buffer_store_dword v42, off, s[0:3], 0 offset:116
	s_waitcnt vmcnt(3)
	buffer_store_dword v43, v0, s[0:3], 0 offen offset:4
	s_waitcnt vmcnt(3)
	buffer_store_dword v44, v0, s[0:3], 0 offen
.LBB19_138:
	;; [unrolled: 48-line block ×8, first 2 shown]
	s_or_b64 exec, exec, s[4:5]
	v_pk_mov_b32 v[0:1], s[10:11], s[10:11] op_sel:[0,1]
	flat_load_dword v0, v[0:1] offset:4
	s_waitcnt vmcnt(0) lgkmcnt(0)
	v_add_u32_e32 v0, -1, v0
	v_cmp_ne_u32_e32 vcc, 1, v0
	s_and_saveexec_b64 s[4:5], vcc
	s_cbranch_execz .LBB19_164
; %bb.163:
	v_mov_b32_e32 v1, 0
	v_lshl_add_u32 v0, v0, 3, v1
	buffer_load_dword v1, v0, s[0:3], 0 offen
	buffer_load_dword v42, v0, s[0:3], 0 offen offset:4
	buffer_load_dword v43, off, s[0:3], 0 offset:8
	buffer_load_dword v44, off, s[0:3], 0 offset:12
	s_waitcnt vmcnt(3)
	buffer_store_dword v1, off, s[0:3], 0 offset:8
	s_waitcnt vmcnt(3)
	buffer_store_dword v42, off, s[0:3], 0 offset:12
	s_waitcnt vmcnt(3)
	buffer_store_dword v43, v0, s[0:3], 0 offen
	s_waitcnt vmcnt(3)
	buffer_store_dword v44, v0, s[0:3], 0 offen offset:4
.LBB19_164:
	s_or_b64 exec, exec, s[4:5]
	v_pk_mov_b32 v[0:1], s[10:11], s[10:11] op_sel:[0,1]
	flat_load_dword v42, v[0:1]
	s_nop 0
	buffer_load_dword v0, off, s[0:3], 0
	buffer_load_dword v1, off, s[0:3], 0 offset:4
	s_waitcnt vmcnt(0) lgkmcnt(0)
	v_add_u32_e32 v42, -1, v42
	v_cmp_ne_u32_e32 vcc, 0, v42
	s_and_saveexec_b64 s[4:5], vcc
	s_cbranch_execz .LBB19_166
; %bb.165:
	v_mov_b32_e32 v43, 0
	v_lshl_add_u32 v42, v42, 3, v43
	buffer_load_dword v43, v42, s[0:3], 0 offen offset:4
	buffer_load_dword v44, v42, s[0:3], 0 offen
	s_waitcnt vmcnt(1)
	buffer_store_dword v43, off, s[0:3], 0 offset:4
	s_waitcnt vmcnt(1)
	buffer_store_dword v44, off, s[0:3], 0
	buffer_store_dword v1, v42, s[0:3], 0 offen offset:4
	buffer_store_dword v0, v42, s[0:3], 0 offen
	buffer_load_dword v0, off, s[0:3], 0
	s_nop 0
	buffer_load_dword v1, off, s[0:3], 0 offset:4
.LBB19_166:
	s_or_b64 exec, exec, s[4:5]
.LBB19_167:
	buffer_load_dword v42, off, s[0:3], 0 offset:8
	buffer_load_dword v43, off, s[0:3], 0 offset:12
	;; [unrolled: 1-line block ×38, first 2 shown]
	s_waitcnt vmcnt(38)
	global_store_dwordx2 v[2:3], v[0:1], off
	s_waitcnt vmcnt(37)
	global_store_dwordx2 v[4:5], v[42:43], off
	;; [unrolled: 2-line block ×20, first 2 shown]
	s_endpgm
	.section	.rodata,"a",@progbits
	.p2align	6, 0x0
	.amdhsa_kernel _ZN9rocsolver6v33100L18getri_kernel_smallILi20EdPdEEvT1_iilPiilS4_bb
		.amdhsa_group_segment_fixed_size 328
		.amdhsa_private_segment_fixed_size 176
		.amdhsa_kernarg_size 60
		.amdhsa_user_sgpr_count 8
		.amdhsa_user_sgpr_private_segment_buffer 1
		.amdhsa_user_sgpr_dispatch_ptr 0
		.amdhsa_user_sgpr_queue_ptr 0
		.amdhsa_user_sgpr_kernarg_segment_ptr 1
		.amdhsa_user_sgpr_dispatch_id 0
		.amdhsa_user_sgpr_flat_scratch_init 1
		.amdhsa_user_sgpr_kernarg_preload_length 0
		.amdhsa_user_sgpr_kernarg_preload_offset 0
		.amdhsa_user_sgpr_private_segment_size 0
		.amdhsa_uses_dynamic_stack 0
		.amdhsa_system_sgpr_private_segment_wavefront_offset 1
		.amdhsa_system_sgpr_workgroup_id_x 1
		.amdhsa_system_sgpr_workgroup_id_y 0
		.amdhsa_system_sgpr_workgroup_id_z 0
		.amdhsa_system_sgpr_workgroup_info 0
		.amdhsa_system_vgpr_workitem_id 0
		.amdhsa_next_free_vgpr 118
		.amdhsa_next_free_sgpr 23
		.amdhsa_accum_offset 120
		.amdhsa_reserve_vcc 1
		.amdhsa_reserve_flat_scratch 1
		.amdhsa_float_round_mode_32 0
		.amdhsa_float_round_mode_16_64 0
		.amdhsa_float_denorm_mode_32 3
		.amdhsa_float_denorm_mode_16_64 3
		.amdhsa_dx10_clamp 1
		.amdhsa_ieee_mode 1
		.amdhsa_fp16_overflow 0
		.amdhsa_tg_split 0
		.amdhsa_exception_fp_ieee_invalid_op 0
		.amdhsa_exception_fp_denorm_src 0
		.amdhsa_exception_fp_ieee_div_zero 0
		.amdhsa_exception_fp_ieee_overflow 0
		.amdhsa_exception_fp_ieee_underflow 0
		.amdhsa_exception_fp_ieee_inexact 0
		.amdhsa_exception_int_div_zero 0
	.end_amdhsa_kernel
	.section	.text._ZN9rocsolver6v33100L18getri_kernel_smallILi20EdPdEEvT1_iilPiilS4_bb,"axG",@progbits,_ZN9rocsolver6v33100L18getri_kernel_smallILi20EdPdEEvT1_iilPiilS4_bb,comdat
.Lfunc_end19:
	.size	_ZN9rocsolver6v33100L18getri_kernel_smallILi20EdPdEEvT1_iilPiilS4_bb, .Lfunc_end19-_ZN9rocsolver6v33100L18getri_kernel_smallILi20EdPdEEvT1_iilPiilS4_bb
                                        ; -- End function
	.section	.AMDGPU.csdata,"",@progbits
; Kernel info:
; codeLenInByte = 15944
; NumSgprs: 29
; NumVgprs: 118
; NumAgprs: 0
; TotalNumVgprs: 118
; ScratchSize: 176
; MemoryBound: 0
; FloatMode: 240
; IeeeMode: 1
; LDSByteSize: 328 bytes/workgroup (compile time only)
; SGPRBlocks: 3
; VGPRBlocks: 14
; NumSGPRsForWavesPerEU: 29
; NumVGPRsForWavesPerEU: 118
; AccumOffset: 120
; Occupancy: 4
; WaveLimiterHint : 1
; COMPUTE_PGM_RSRC2:SCRATCH_EN: 1
; COMPUTE_PGM_RSRC2:USER_SGPR: 8
; COMPUTE_PGM_RSRC2:TRAP_HANDLER: 0
; COMPUTE_PGM_RSRC2:TGID_X_EN: 1
; COMPUTE_PGM_RSRC2:TGID_Y_EN: 0
; COMPUTE_PGM_RSRC2:TGID_Z_EN: 0
; COMPUTE_PGM_RSRC2:TIDIG_COMP_CNT: 0
; COMPUTE_PGM_RSRC3_GFX90A:ACCUM_OFFSET: 29
; COMPUTE_PGM_RSRC3_GFX90A:TG_SPLIT: 0
	.section	.text._ZN9rocsolver6v33100L18getri_kernel_smallILi21EdPdEEvT1_iilPiilS4_bb,"axG",@progbits,_ZN9rocsolver6v33100L18getri_kernel_smallILi21EdPdEEvT1_iilPiilS4_bb,comdat
	.globl	_ZN9rocsolver6v33100L18getri_kernel_smallILi21EdPdEEvT1_iilPiilS4_bb ; -- Begin function _ZN9rocsolver6v33100L18getri_kernel_smallILi21EdPdEEvT1_iilPiilS4_bb
	.p2align	8
	.type	_ZN9rocsolver6v33100L18getri_kernel_smallILi21EdPdEEvT1_iilPiilS4_bb,@function
_ZN9rocsolver6v33100L18getri_kernel_smallILi21EdPdEEvT1_iilPiilS4_bb: ; @_ZN9rocsolver6v33100L18getri_kernel_smallILi21EdPdEEvT1_iilPiilS4_bb
; %bb.0:
	s_add_u32 flat_scratch_lo, s6, s9
	s_addc_u32 flat_scratch_hi, s7, 0
	s_add_u32 s0, s0, s9
	s_addc_u32 s1, s1, 0
	v_cmp_gt_u32_e32 vcc, 21, v0
	s_and_saveexec_b64 s[6:7], vcc
	s_cbranch_execz .LBB20_92
; %bb.1:
	s_load_dword s22, s[4:5], 0x38
	s_load_dwordx4 s[16:19], s[4:5], 0x10
	s_load_dwordx4 s[12:15], s[4:5], 0x28
                                        ; implicit-def: $sgpr10_sgpr11
	s_waitcnt lgkmcnt(0)
	s_bitcmp1_b32 s22, 8
	s_cselect_b64 s[20:21], -1, 0
	s_ashr_i32 s9, s8, 31
	s_bfe_u32 s6, s22, 0x10008
	s_cmp_eq_u32 s6, 0
	s_cbranch_scc1 .LBB20_3
; %bb.2:
	s_load_dword s6, s[4:5], 0x20
	s_mul_i32 s7, s8, s13
	s_mul_hi_u32 s10, s8, s12
	s_mul_i32 s11, s9, s12
	s_add_i32 s10, s10, s7
	s_add_i32 s11, s10, s11
	s_mul_i32 s10, s8, s12
	s_waitcnt lgkmcnt(0)
	s_ashr_i32 s7, s6, 31
	s_lshl_b64 s[10:11], s[10:11], 2
	s_add_u32 s10, s18, s10
	s_addc_u32 s11, s19, s11
	s_lshl_b64 s[6:7], s[6:7], 2
	s_add_u32 s10, s10, s6
	s_addc_u32 s11, s11, s7
.LBB20_3:
	s_load_dwordx4 s[4:7], s[4:5], 0x0
	s_mul_i32 s12, s8, s17
	s_mul_hi_u32 s13, s8, s16
	s_add_i32 s17, s13, s12
	v_lshlrev_b32_e32 v1, 3, v0
	s_waitcnt lgkmcnt(0)
	s_ashr_i32 s13, s6, 31
	s_mov_b32 s12, s6
	s_mul_i32 s6, s9, s16
	s_add_i32 s17, s17, s6
	s_mul_i32 s16, s8, s16
	s_lshl_b64 s[16:17], s[16:17], 3
	s_add_u32 s6, s4, s16
	s_addc_u32 s16, s5, s17
	s_lshl_b64 s[4:5], s[12:13], 3
	s_add_u32 s4, s6, s4
	s_addc_u32 s5, s16, s5
	v_mov_b32_e32 v3, s5
	v_add_co_u32_e32 v2, vcc, s4, v1
	s_ashr_i32 s13, s7, 31
	s_mov_b32 s12, s7
	s_add_i32 s6, s7, s7
	v_addc_co_u32_e32 v3, vcc, 0, v3, vcc
	s_lshl_b64 s[12:13], s[12:13], 3
	v_add_u32_e32 v8, s6, v0
	v_mov_b32_e32 v5, s13
	v_add_co_u32_e32 v4, vcc, s12, v2
	v_ashrrev_i32_e32 v9, 31, v8
	v_addc_co_u32_e32 v5, vcc, v3, v5, vcc
	v_lshlrev_b64 v[6:7], 3, v[8:9]
	v_add_u32_e32 v10, s7, v8
	v_mov_b32_e32 v9, s5
	v_add_co_u32_e32 v6, vcc, s4, v6
	v_ashrrev_i32_e32 v11, 31, v10
	v_addc_co_u32_e32 v7, vcc, v9, v7, vcc
	v_lshlrev_b64 v[8:9], 3, v[10:11]
	;; [unrolled: 6-line block ×18, first 2 shown]
	v_mov_b32_e32 v43, s5
	v_add_co_u32_e32 v40, vcc, s4, v40
	global_load_dwordx2 v[44:45], v1, s[4:5]
	global_load_dwordx2 v[52:53], v[4:5], off
	global_load_dwordx2 v[48:49], v[6:7], off
	;; [unrolled: 1-line block ×16, first 2 shown]
	v_addc_co_u32_e32 v41, vcc, v43, v41, vcc
	global_load_dwordx2 v[78:79], v[36:37], off
	global_load_dwordx2 v[80:81], v[38:39], off
	;; [unrolled: 1-line block ×3, first 2 shown]
	v_add_u32_e32 v42, s7, v42
	v_ashrrev_i32_e32 v43, 31, v42
	v_lshlrev_b64 v[42:43], 3, v[42:43]
	v_mov_b32_e32 v84, s5
	v_add_co_u32_e32 v42, vcc, s4, v42
	v_addc_co_u32_e32 v43, vcc, v84, v43, vcc
	global_load_dwordx2 v[84:85], v[42:43], off
	s_bitcmp0_b32 s22, 0
	s_mov_b64 s[6:7], -1
	s_waitcnt vmcnt(20)
	buffer_store_dword v45, off, s[0:3], 0 offset:4
	buffer_store_dword v44, off, s[0:3], 0
	s_waitcnt vmcnt(21)
	buffer_store_dword v53, off, s[0:3], 0 offset:12
	buffer_store_dword v52, off, s[0:3], 0 offset:8
	s_waitcnt vmcnt(22)
	buffer_store_dword v49, off, s[0:3], 0 offset:20
	buffer_store_dword v48, off, s[0:3], 0 offset:16
	;; [unrolled: 3-line block ×20, first 2 shown]
	s_cbranch_scc1 .LBB20_90
; %bb.4:
	v_cmp_eq_u32_e64 s[4:5], 0, v0
	s_and_saveexec_b64 s[6:7], s[4:5]
	s_cbranch_execz .LBB20_6
; %bb.5:
	v_mov_b32_e32 v44, 0
	ds_write_b32 v44, v44 offset:168
.LBB20_6:
	s_or_b64 exec, exec, s[6:7]
	v_mov_b32_e32 v44, 0
	v_lshl_add_u32 v44, v0, 3, v44
	s_waitcnt lgkmcnt(0)
	; wave barrier
	s_waitcnt lgkmcnt(0)
	buffer_load_dword v46, v44, s[0:3], 0 offen
	buffer_load_dword v47, v44, s[0:3], 0 offen offset:4
	s_waitcnt vmcnt(0)
	v_cmp_eq_f64_e32 vcc, 0, v[46:47]
	s_and_saveexec_b64 s[12:13], vcc
	s_cbranch_execz .LBB20_10
; %bb.7:
	v_mov_b32_e32 v45, 0
	ds_read_b32 v47, v45 offset:168
	v_add_u32_e32 v46, 1, v0
	s_waitcnt lgkmcnt(0)
	v_readfirstlane_b32 s6, v47
	s_cmp_eq_u32 s6, 0
	s_cselect_b64 s[16:17], -1, 0
	v_cmp_gt_i32_e32 vcc, s6, v46
	s_or_b64 s[16:17], s[16:17], vcc
	s_and_b64 exec, exec, s[16:17]
	s_cbranch_execz .LBB20_10
; %bb.8:
	s_mov_b64 s[16:17], 0
	v_mov_b32_e32 v47, s6
.LBB20_9:                               ; =>This Inner Loop Header: Depth=1
	ds_cmpst_rtn_b32 v47, v45, v47, v46 offset:168
	s_waitcnt lgkmcnt(0)
	v_cmp_ne_u32_e32 vcc, 0, v47
	v_cmp_le_i32_e64 s[6:7], v47, v46
	s_and_b64 s[6:7], vcc, s[6:7]
	s_and_b64 s[6:7], exec, s[6:7]
	s_or_b64 s[16:17], s[6:7], s[16:17]
	s_andn2_b64 exec, exec, s[16:17]
	s_cbranch_execnz .LBB20_9
.LBB20_10:
	s_or_b64 exec, exec, s[12:13]
	v_mov_b32_e32 v46, 0
	s_waitcnt lgkmcnt(0)
	; wave barrier
	ds_read_b32 v45, v46 offset:168
	s_and_saveexec_b64 s[6:7], s[4:5]
	s_cbranch_execz .LBB20_12
; %bb.11:
	s_lshl_b64 s[12:13], s[8:9], 2
	s_add_u32 s12, s14, s12
	s_addc_u32 s13, s15, s13
	s_waitcnt lgkmcnt(0)
	global_store_dword v46, v45, s[12:13]
.LBB20_12:
	s_or_b64 exec, exec, s[6:7]
	s_waitcnt lgkmcnt(0)
	v_cmp_ne_u32_e32 vcc, 0, v45
	s_mov_b64 s[6:7], 0
	s_cbranch_vccnz .LBB20_90
; %bb.13:
	buffer_load_dword v46, v44, s[0:3], 0 offen
	buffer_load_dword v47, v44, s[0:3], 0 offen offset:4
	s_waitcnt vmcnt(0)
	v_div_scale_f64 v[48:49], s[6:7], v[46:47], v[46:47], 1.0
	v_rcp_f64_e32 v[50:51], v[48:49]
	v_div_scale_f64 v[52:53], vcc, 1.0, v[46:47], 1.0
	v_fma_f64 v[54:55], -v[48:49], v[50:51], 1.0
	v_fmac_f64_e32 v[50:51], v[50:51], v[54:55]
	v_fma_f64 v[54:55], -v[48:49], v[50:51], 1.0
	v_fmac_f64_e32 v[50:51], v[50:51], v[54:55]
	v_mul_f64 v[54:55], v[52:53], v[50:51]
	v_fma_f64 v[48:49], -v[48:49], v[54:55], v[52:53]
	v_div_fmas_f64 v[48:49], v[48:49], v[50:51], v[54:55]
	v_div_fixup_f64 v[48:49], v[48:49], v[46:47], 1.0
	buffer_store_dword v49, v44, s[0:3], 0 offen offset:4
	buffer_store_dword v48, v44, s[0:3], 0 offen
	buffer_load_dword v51, off, s[0:3], 0 offset:12
	buffer_load_dword v50, off, s[0:3], 0 offset:8
	v_add_u32_e32 v46, 0xb0, v1
	v_xor_b32_e32 v49, 0x80000000, v49
	s_waitcnt vmcnt(0)
	ds_write2_b64 v1, v[48:49], v[50:51] offset1:22
	s_waitcnt lgkmcnt(0)
	; wave barrier
	s_waitcnt lgkmcnt(0)
	s_and_saveexec_b64 s[6:7], s[4:5]
	s_cbranch_execz .LBB20_15
; %bb.14:
	buffer_load_dword v48, v44, s[0:3], 0 offen
	buffer_load_dword v49, v44, s[0:3], 0 offen offset:4
	v_mov_b32_e32 v45, 0
	ds_read_b64 v[50:51], v46
	ds_read_b64 v[52:53], v45 offset:8
	s_waitcnt vmcnt(0) lgkmcnt(1)
	v_fma_f64 v[48:49], v[48:49], v[50:51], 0
	s_waitcnt lgkmcnt(0)
	v_mul_f64 v[48:49], v[48:49], v[52:53]
	buffer_store_dword v48, off, s[0:3], 0 offset:8
	buffer_store_dword v49, off, s[0:3], 0 offset:12
.LBB20_15:
	s_or_b64 exec, exec, s[6:7]
	s_waitcnt lgkmcnt(0)
	; wave barrier
	buffer_load_dword v48, off, s[0:3], 0 offset:16
	buffer_load_dword v49, off, s[0:3], 0 offset:20
	v_cmp_gt_u32_e32 vcc, 2, v0
	s_waitcnt vmcnt(0)
	ds_write_b64 v46, v[48:49]
	s_waitcnt lgkmcnt(0)
	; wave barrier
	s_waitcnt lgkmcnt(0)
	s_and_saveexec_b64 s[6:7], vcc
	s_cbranch_execz .LBB20_17
; %bb.16:
	buffer_load_dword v45, v44, s[0:3], 0 offen offset:4
	buffer_load_dword v52, off, s[0:3], 0 offset:8
	s_nop 0
	buffer_load_dword v44, v44, s[0:3], 0 offen
	s_nop 0
	buffer_load_dword v53, off, s[0:3], 0 offset:12
	ds_read_b64 v[54:55], v46
	v_mov_b32_e32 v47, 0
	ds_read2_b64 v[48:51], v47 offset0:2 offset1:23
	s_waitcnt vmcnt(1) lgkmcnt(1)
	v_fma_f64 v[44:45], v[44:45], v[54:55], 0
	s_waitcnt vmcnt(0) lgkmcnt(0)
	v_fma_f64 v[50:51], v[52:53], v[50:51], v[44:45]
	v_cndmask_b32_e64 v45, v45, v51, s[4:5]
	v_cndmask_b32_e64 v44, v44, v50, s[4:5]
	v_mul_f64 v[44:45], v[44:45], v[48:49]
	buffer_store_dword v45, off, s[0:3], 0 offset:20
	buffer_store_dword v44, off, s[0:3], 0 offset:16
.LBB20_17:
	s_or_b64 exec, exec, s[6:7]
	s_waitcnt lgkmcnt(0)
	; wave barrier
	buffer_load_dword v44, off, s[0:3], 0 offset:24
	buffer_load_dword v45, off, s[0:3], 0 offset:28
	v_cmp_gt_u32_e32 vcc, 3, v0
	v_add_u32_e32 v47, -1, v0
	s_waitcnt vmcnt(0)
	ds_write_b64 v46, v[44:45]
	s_waitcnt lgkmcnt(0)
	; wave barrier
	s_waitcnt lgkmcnt(0)
	s_and_saveexec_b64 s[4:5], vcc
	s_cbranch_execz .LBB20_21
; %bb.18:
	v_add_u32_e32 v48, -1, v0
	v_add_u32_e32 v49, 0xb0, v1
	v_add_u32_e32 v50, 0, v1
	s_mov_b64 s[6:7], 0
	v_pk_mov_b32 v[44:45], 0, 0
.LBB20_19:                              ; =>This Inner Loop Header: Depth=1
	buffer_load_dword v52, v50, s[0:3], 0 offen
	buffer_load_dword v53, v50, s[0:3], 0 offen offset:4
	ds_read_b64 v[54:55], v49
	v_add_u32_e32 v48, 1, v48
	v_cmp_lt_u32_e32 vcc, 1, v48
	v_add_u32_e32 v49, 8, v49
	v_add_u32_e32 v50, 8, v50
	s_or_b64 s[6:7], vcc, s[6:7]
	s_waitcnt vmcnt(0) lgkmcnt(0)
	v_fmac_f64_e32 v[44:45], v[52:53], v[54:55]
	s_andn2_b64 exec, exec, s[6:7]
	s_cbranch_execnz .LBB20_19
; %bb.20:
	s_or_b64 exec, exec, s[6:7]
	v_mov_b32_e32 v48, 0
	ds_read_b64 v[48:49], v48 offset:24
	s_waitcnt lgkmcnt(0)
	v_mul_f64 v[44:45], v[44:45], v[48:49]
	buffer_store_dword v45, off, s[0:3], 0 offset:28
	buffer_store_dword v44, off, s[0:3], 0 offset:24
.LBB20_21:
	s_or_b64 exec, exec, s[4:5]
	s_waitcnt lgkmcnt(0)
	; wave barrier
	buffer_load_dword v44, off, s[0:3], 0 offset:32
	buffer_load_dword v45, off, s[0:3], 0 offset:36
	v_cmp_gt_u32_e32 vcc, 4, v0
	s_waitcnt vmcnt(0)
	ds_write_b64 v46, v[44:45]
	s_waitcnt lgkmcnt(0)
	; wave barrier
	s_waitcnt lgkmcnt(0)
	s_and_saveexec_b64 s[4:5], vcc
	s_cbranch_execz .LBB20_25
; %bb.22:
	v_add_u32_e32 v48, -1, v0
	v_add_u32_e32 v49, 0xb0, v1
	v_add_u32_e32 v50, 0, v1
	s_mov_b64 s[6:7], 0
	v_pk_mov_b32 v[44:45], 0, 0
.LBB20_23:                              ; =>This Inner Loop Header: Depth=1
	buffer_load_dword v52, v50, s[0:3], 0 offen
	buffer_load_dword v53, v50, s[0:3], 0 offen offset:4
	ds_read_b64 v[54:55], v49
	v_add_u32_e32 v48, 1, v48
	v_cmp_lt_u32_e32 vcc, 2, v48
	v_add_u32_e32 v49, 8, v49
	v_add_u32_e32 v50, 8, v50
	s_or_b64 s[6:7], vcc, s[6:7]
	s_waitcnt vmcnt(0) lgkmcnt(0)
	v_fmac_f64_e32 v[44:45], v[52:53], v[54:55]
	s_andn2_b64 exec, exec, s[6:7]
	s_cbranch_execnz .LBB20_23
; %bb.24:
	s_or_b64 exec, exec, s[6:7]
	v_mov_b32_e32 v48, 0
	ds_read_b64 v[48:49], v48 offset:32
	s_waitcnt lgkmcnt(0)
	v_mul_f64 v[44:45], v[44:45], v[48:49]
	buffer_store_dword v45, off, s[0:3], 0 offset:36
	buffer_store_dword v44, off, s[0:3], 0 offset:32
.LBB20_25:
	s_or_b64 exec, exec, s[4:5]
	s_waitcnt lgkmcnt(0)
	; wave barrier
	buffer_load_dword v44, off, s[0:3], 0 offset:40
	buffer_load_dword v45, off, s[0:3], 0 offset:44
	v_cmp_gt_u32_e32 vcc, 5, v0
	;; [unrolled: 41-line block ×16, first 2 shown]
	s_waitcnt vmcnt(0)
	ds_write_b64 v46, v[44:45]
	s_waitcnt lgkmcnt(0)
	; wave barrier
	s_waitcnt lgkmcnt(0)
	s_and_saveexec_b64 s[4:5], vcc
	s_cbranch_execz .LBB20_85
; %bb.82:
	v_add_u32_e32 v48, -1, v0
	v_add_u32_e32 v49, 0xb0, v1
	v_add_u32_e32 v50, 0, v1
	s_mov_b64 s[6:7], 0
	v_pk_mov_b32 v[44:45], 0, 0
.LBB20_83:                              ; =>This Inner Loop Header: Depth=1
	buffer_load_dword v52, v50, s[0:3], 0 offen
	buffer_load_dword v53, v50, s[0:3], 0 offen offset:4
	ds_read_b64 v[54:55], v49
	v_add_u32_e32 v48, 1, v48
	v_cmp_lt_u32_e32 vcc, 17, v48
	v_add_u32_e32 v49, 8, v49
	v_add_u32_e32 v50, 8, v50
	s_or_b64 s[6:7], vcc, s[6:7]
	s_waitcnt vmcnt(0) lgkmcnt(0)
	v_fmac_f64_e32 v[44:45], v[52:53], v[54:55]
	s_andn2_b64 exec, exec, s[6:7]
	s_cbranch_execnz .LBB20_83
; %bb.84:
	s_or_b64 exec, exec, s[6:7]
	v_mov_b32_e32 v48, 0
	ds_read_b64 v[48:49], v48 offset:152
	s_waitcnt lgkmcnt(0)
	v_mul_f64 v[44:45], v[44:45], v[48:49]
	buffer_store_dword v45, off, s[0:3], 0 offset:156
	buffer_store_dword v44, off, s[0:3], 0 offset:152
.LBB20_85:
	s_or_b64 exec, exec, s[4:5]
	s_waitcnt lgkmcnt(0)
	; wave barrier
	buffer_load_dword v44, off, s[0:3], 0 offset:160
	buffer_load_dword v45, off, s[0:3], 0 offset:164
	v_cmp_ne_u32_e32 vcc, 20, v0
	s_waitcnt vmcnt(0)
	ds_write_b64 v46, v[44:45]
	s_waitcnt lgkmcnt(0)
	; wave barrier
	s_waitcnt lgkmcnt(0)
	s_and_saveexec_b64 s[4:5], vcc
	s_cbranch_execz .LBB20_89
; %bb.86:
	v_add_u32_e32 v46, 0xb0, v1
	v_add_u32_e32 v1, 0, v1
	s_mov_b64 s[6:7], 0
	v_pk_mov_b32 v[44:45], 0, 0
.LBB20_87:                              ; =>This Inner Loop Header: Depth=1
	buffer_load_dword v48, v1, s[0:3], 0 offen
	buffer_load_dword v49, v1, s[0:3], 0 offen offset:4
	ds_read_b64 v[50:51], v46
	v_add_u32_e32 v47, 1, v47
	v_cmp_lt_u32_e32 vcc, 18, v47
	v_add_u32_e32 v46, 8, v46
	v_add_u32_e32 v1, 8, v1
	s_or_b64 s[6:7], vcc, s[6:7]
	s_waitcnt vmcnt(0) lgkmcnt(0)
	v_fmac_f64_e32 v[44:45], v[48:49], v[50:51]
	s_andn2_b64 exec, exec, s[6:7]
	s_cbranch_execnz .LBB20_87
; %bb.88:
	s_or_b64 exec, exec, s[6:7]
	v_mov_b32_e32 v1, 0
	ds_read_b64 v[46:47], v1 offset:160
	s_waitcnt lgkmcnt(0)
	v_mul_f64 v[44:45], v[44:45], v[46:47]
	buffer_store_dword v45, off, s[0:3], 0 offset:164
	buffer_store_dword v44, off, s[0:3], 0 offset:160
.LBB20_89:
	s_or_b64 exec, exec, s[4:5]
	s_mov_b64 s[6:7], -1
	s_waitcnt lgkmcnt(0)
	; wave barrier
.LBB20_90:
	s_and_b64 vcc, exec, s[6:7]
	s_cbranch_vccz .LBB20_92
; %bb.91:
	s_lshl_b64 s[4:5], s[8:9], 2
	s_add_u32 s4, s14, s4
	s_addc_u32 s5, s15, s5
	v_mov_b32_e32 v1, 0
	global_load_dword v1, v1, s[4:5]
	s_waitcnt vmcnt(0)
	v_cmp_ne_u32_e32 vcc, 0, v1
	s_cbranch_vccz .LBB20_93
.LBB20_92:
	s_endpgm
.LBB20_93:
	v_mov_b32_e32 v1, 0xb0
	v_lshl_add_u32 v1, v0, 3, v1
	v_cmp_eq_u32_e32 vcc, 20, v0
	s_and_saveexec_b64 s[4:5], vcc
	s_cbranch_execz .LBB20_95
; %bb.94:
	buffer_load_dword v44, off, s[0:3], 0 offset:152
	buffer_load_dword v45, off, s[0:3], 0 offset:156
	v_mov_b32_e32 v46, 0
	buffer_store_dword v46, off, s[0:3], 0 offset:152
	buffer_store_dword v46, off, s[0:3], 0 offset:156
	s_waitcnt vmcnt(2)
	ds_write_b64 v1, v[44:45]
.LBB20_95:
	s_or_b64 exec, exec, s[4:5]
	s_waitcnt lgkmcnt(0)
	; wave barrier
	s_waitcnt lgkmcnt(0)
	buffer_load_dword v46, off, s[0:3], 0 offset:160
	buffer_load_dword v47, off, s[0:3], 0 offset:164
	;; [unrolled: 1-line block ×4, first 2 shown]
	v_mov_b32_e32 v44, 0
	ds_read_b64 v[50:51], v44 offset:336
	v_cmp_lt_u32_e32 vcc, 18, v0
	s_waitcnt vmcnt(2) lgkmcnt(0)
	v_fma_f64 v[46:47], v[46:47], v[50:51], 0
	s_waitcnt vmcnt(0)
	v_add_f64 v[46:47], v[48:49], -v[46:47]
	buffer_store_dword v46, off, s[0:3], 0 offset:152
	buffer_store_dword v47, off, s[0:3], 0 offset:156
	s_and_saveexec_b64 s[4:5], vcc
	s_cbranch_execz .LBB20_97
; %bb.96:
	buffer_load_dword v46, off, s[0:3], 0 offset:144
	buffer_load_dword v47, off, s[0:3], 0 offset:148
	s_waitcnt vmcnt(0)
	ds_write_b64 v1, v[46:47]
	buffer_store_dword v44, off, s[0:3], 0 offset:144
	buffer_store_dword v44, off, s[0:3], 0 offset:148
.LBB20_97:
	s_or_b64 exec, exec, s[4:5]
	s_waitcnt lgkmcnt(0)
	; wave barrier
	s_waitcnt lgkmcnt(0)
	buffer_load_dword v48, off, s[0:3], 0 offset:152
	buffer_load_dword v49, off, s[0:3], 0 offset:156
	;; [unrolled: 1-line block ×6, first 2 shown]
	ds_read2_b64 v[44:47], v44 offset0:41 offset1:42
	v_cmp_lt_u32_e32 vcc, 17, v0
	s_waitcnt vmcnt(4) lgkmcnt(0)
	v_fma_f64 v[44:45], v[48:49], v[44:45], 0
	s_waitcnt vmcnt(2)
	v_fmac_f64_e32 v[44:45], v[50:51], v[46:47]
	s_waitcnt vmcnt(0)
	v_add_f64 v[44:45], v[52:53], -v[44:45]
	buffer_store_dword v44, off, s[0:3], 0 offset:144
	buffer_store_dword v45, off, s[0:3], 0 offset:148
	s_and_saveexec_b64 s[4:5], vcc
	s_cbranch_execz .LBB20_99
; %bb.98:
	buffer_load_dword v44, off, s[0:3], 0 offset:136
	buffer_load_dword v45, off, s[0:3], 0 offset:140
	v_mov_b32_e32 v46, 0
	buffer_store_dword v46, off, s[0:3], 0 offset:136
	buffer_store_dword v46, off, s[0:3], 0 offset:140
	s_waitcnt vmcnt(2)
	ds_write_b64 v1, v[44:45]
.LBB20_99:
	s_or_b64 exec, exec, s[4:5]
	s_waitcnt lgkmcnt(0)
	; wave barrier
	s_waitcnt lgkmcnt(0)
	buffer_load_dword v50, off, s[0:3], 0 offset:144
	buffer_load_dword v51, off, s[0:3], 0 offset:148
	;; [unrolled: 1-line block ×8, first 2 shown]
	v_mov_b32_e32 v44, 0
	ds_read_b128 v[46:49], v44 offset:320
	ds_read_b64 v[58:59], v44 offset:336
	v_cmp_lt_u32_e32 vcc, 16, v0
	s_waitcnt vmcnt(6) lgkmcnt(1)
	v_fma_f64 v[46:47], v[50:51], v[46:47], 0
	s_waitcnt vmcnt(4)
	v_fmac_f64_e32 v[46:47], v[52:53], v[48:49]
	s_waitcnt vmcnt(2) lgkmcnt(0)
	v_fmac_f64_e32 v[46:47], v[54:55], v[58:59]
	s_waitcnt vmcnt(0)
	v_add_f64 v[46:47], v[56:57], -v[46:47]
	buffer_store_dword v46, off, s[0:3], 0 offset:136
	buffer_store_dword v47, off, s[0:3], 0 offset:140
	s_and_saveexec_b64 s[4:5], vcc
	s_cbranch_execz .LBB20_101
; %bb.100:
	buffer_load_dword v46, off, s[0:3], 0 offset:128
	buffer_load_dword v47, off, s[0:3], 0 offset:132
	s_waitcnt vmcnt(0)
	ds_write_b64 v1, v[46:47]
	buffer_store_dword v44, off, s[0:3], 0 offset:128
	buffer_store_dword v44, off, s[0:3], 0 offset:132
.LBB20_101:
	s_or_b64 exec, exec, s[4:5]
	s_waitcnt lgkmcnt(0)
	; wave barrier
	s_waitcnt lgkmcnt(0)
	buffer_load_dword v54, off, s[0:3], 0 offset:136
	buffer_load_dword v55, off, s[0:3], 0 offset:140
	;; [unrolled: 1-line block ×10, first 2 shown]
	ds_read2_b64 v[46:49], v44 offset0:39 offset1:40
	ds_read2_b64 v[50:53], v44 offset0:41 offset1:42
	v_cmp_lt_u32_e32 vcc, 15, v0
	s_waitcnt vmcnt(8) lgkmcnt(1)
	v_fma_f64 v[44:45], v[54:55], v[46:47], 0
	s_waitcnt vmcnt(6)
	v_fmac_f64_e32 v[44:45], v[56:57], v[48:49]
	s_waitcnt vmcnt(4) lgkmcnt(0)
	v_fmac_f64_e32 v[44:45], v[58:59], v[50:51]
	s_waitcnt vmcnt(2)
	v_fmac_f64_e32 v[44:45], v[60:61], v[52:53]
	s_waitcnt vmcnt(0)
	v_add_f64 v[44:45], v[62:63], -v[44:45]
	buffer_store_dword v44, off, s[0:3], 0 offset:128
	buffer_store_dword v45, off, s[0:3], 0 offset:132
	s_and_saveexec_b64 s[4:5], vcc
	s_cbranch_execz .LBB20_103
; %bb.102:
	buffer_load_dword v44, off, s[0:3], 0 offset:120
	buffer_load_dword v45, off, s[0:3], 0 offset:124
	v_mov_b32_e32 v46, 0
	buffer_store_dword v46, off, s[0:3], 0 offset:120
	buffer_store_dword v46, off, s[0:3], 0 offset:124
	s_waitcnt vmcnt(2)
	ds_write_b64 v1, v[44:45]
.LBB20_103:
	s_or_b64 exec, exec, s[4:5]
	s_waitcnt lgkmcnt(0)
	; wave barrier
	s_waitcnt lgkmcnt(0)
	buffer_load_dword v54, off, s[0:3], 0 offset:128
	buffer_load_dword v55, off, s[0:3], 0 offset:132
	;; [unrolled: 1-line block ×12, first 2 shown]
	v_mov_b32_e32 v44, 0
	ds_read_b128 v[46:49], v44 offset:304
	ds_read_b128 v[50:53], v44 offset:320
	ds_read_b64 v[66:67], v44 offset:336
	v_cmp_lt_u32_e32 vcc, 14, v0
	s_waitcnt vmcnt(10) lgkmcnt(2)
	v_fma_f64 v[46:47], v[54:55], v[46:47], 0
	s_waitcnt vmcnt(8)
	v_fmac_f64_e32 v[46:47], v[56:57], v[48:49]
	s_waitcnt vmcnt(6) lgkmcnt(1)
	v_fmac_f64_e32 v[46:47], v[58:59], v[50:51]
	s_waitcnt vmcnt(4)
	v_fmac_f64_e32 v[46:47], v[60:61], v[52:53]
	s_waitcnt vmcnt(2) lgkmcnt(0)
	v_fmac_f64_e32 v[46:47], v[62:63], v[66:67]
	s_waitcnt vmcnt(0)
	v_add_f64 v[46:47], v[64:65], -v[46:47]
	buffer_store_dword v46, off, s[0:3], 0 offset:120
	buffer_store_dword v47, off, s[0:3], 0 offset:124
	s_and_saveexec_b64 s[4:5], vcc
	s_cbranch_execz .LBB20_105
; %bb.104:
	buffer_load_dword v46, off, s[0:3], 0 offset:112
	buffer_load_dword v47, off, s[0:3], 0 offset:116
	s_waitcnt vmcnt(0)
	ds_write_b64 v1, v[46:47]
	buffer_store_dword v44, off, s[0:3], 0 offset:112
	buffer_store_dword v44, off, s[0:3], 0 offset:116
.LBB20_105:
	s_or_b64 exec, exec, s[4:5]
	s_waitcnt lgkmcnt(0)
	; wave barrier
	s_waitcnt lgkmcnt(0)
	buffer_load_dword v58, off, s[0:3], 0 offset:120
	buffer_load_dword v59, off, s[0:3], 0 offset:124
	;; [unrolled: 1-line block ×14, first 2 shown]
	ds_read2_b64 v[46:49], v44 offset0:37 offset1:38
	ds_read2_b64 v[50:53], v44 offset0:39 offset1:40
	;; [unrolled: 1-line block ×3, first 2 shown]
	v_cmp_lt_u32_e32 vcc, 13, v0
	s_waitcnt vmcnt(12) lgkmcnt(2)
	v_fma_f64 v[44:45], v[58:59], v[46:47], 0
	s_waitcnt vmcnt(10)
	v_fmac_f64_e32 v[44:45], v[60:61], v[48:49]
	s_waitcnt vmcnt(8) lgkmcnt(1)
	v_fmac_f64_e32 v[44:45], v[62:63], v[50:51]
	s_waitcnt vmcnt(6)
	v_fmac_f64_e32 v[44:45], v[64:65], v[52:53]
	s_waitcnt vmcnt(4) lgkmcnt(0)
	v_fmac_f64_e32 v[44:45], v[66:67], v[54:55]
	s_waitcnt vmcnt(2)
	v_fmac_f64_e32 v[44:45], v[68:69], v[56:57]
	s_waitcnt vmcnt(0)
	v_add_f64 v[44:45], v[70:71], -v[44:45]
	buffer_store_dword v44, off, s[0:3], 0 offset:112
	buffer_store_dword v45, off, s[0:3], 0 offset:116
	s_and_saveexec_b64 s[4:5], vcc
	s_cbranch_execz .LBB20_107
; %bb.106:
	buffer_load_dword v44, off, s[0:3], 0 offset:104
	buffer_load_dword v45, off, s[0:3], 0 offset:108
	v_mov_b32_e32 v46, 0
	buffer_store_dword v46, off, s[0:3], 0 offset:104
	buffer_store_dword v46, off, s[0:3], 0 offset:108
	s_waitcnt vmcnt(2)
	ds_write_b64 v1, v[44:45]
.LBB20_107:
	s_or_b64 exec, exec, s[4:5]
	s_waitcnt lgkmcnt(0)
	; wave barrier
	s_waitcnt lgkmcnt(0)
	buffer_load_dword v58, off, s[0:3], 0 offset:112
	buffer_load_dword v59, off, s[0:3], 0 offset:116
	;; [unrolled: 1-line block ×16, first 2 shown]
	v_mov_b32_e32 v44, 0
	ds_read_b128 v[46:49], v44 offset:288
	ds_read_b128 v[50:53], v44 offset:304
	;; [unrolled: 1-line block ×3, first 2 shown]
	ds_read_b64 v[74:75], v44 offset:336
	v_cmp_lt_u32_e32 vcc, 12, v0
	s_waitcnt vmcnt(14) lgkmcnt(3)
	v_fma_f64 v[46:47], v[58:59], v[46:47], 0
	s_waitcnt vmcnt(12)
	v_fmac_f64_e32 v[46:47], v[60:61], v[48:49]
	s_waitcnt vmcnt(10) lgkmcnt(2)
	v_fmac_f64_e32 v[46:47], v[62:63], v[50:51]
	s_waitcnt vmcnt(8)
	v_fmac_f64_e32 v[46:47], v[64:65], v[52:53]
	s_waitcnt vmcnt(6) lgkmcnt(1)
	v_fmac_f64_e32 v[46:47], v[66:67], v[54:55]
	;; [unrolled: 4-line block ×3, first 2 shown]
	s_waitcnt vmcnt(0)
	v_add_f64 v[46:47], v[72:73], -v[46:47]
	buffer_store_dword v46, off, s[0:3], 0 offset:104
	buffer_store_dword v47, off, s[0:3], 0 offset:108
	s_and_saveexec_b64 s[4:5], vcc
	s_cbranch_execz .LBB20_109
; %bb.108:
	buffer_load_dword v46, off, s[0:3], 0 offset:96
	buffer_load_dword v47, off, s[0:3], 0 offset:100
	s_waitcnt vmcnt(0)
	ds_write_b64 v1, v[46:47]
	buffer_store_dword v44, off, s[0:3], 0 offset:96
	buffer_store_dword v44, off, s[0:3], 0 offset:100
.LBB20_109:
	s_or_b64 exec, exec, s[4:5]
	s_waitcnt lgkmcnt(0)
	; wave barrier
	s_waitcnt lgkmcnt(0)
	buffer_load_dword v62, off, s[0:3], 0 offset:104
	buffer_load_dword v63, off, s[0:3], 0 offset:108
	;; [unrolled: 1-line block ×18, first 2 shown]
	ds_read2_b64 v[46:49], v44 offset0:35 offset1:36
	ds_read2_b64 v[50:53], v44 offset0:37 offset1:38
	;; [unrolled: 1-line block ×4, first 2 shown]
	v_cmp_lt_u32_e32 vcc, 11, v0
	s_waitcnt vmcnt(16) lgkmcnt(3)
	v_fma_f64 v[44:45], v[62:63], v[46:47], 0
	s_waitcnt vmcnt(14)
	v_fmac_f64_e32 v[44:45], v[64:65], v[48:49]
	s_waitcnt vmcnt(12) lgkmcnt(2)
	v_fmac_f64_e32 v[44:45], v[66:67], v[50:51]
	s_waitcnt vmcnt(10)
	v_fmac_f64_e32 v[44:45], v[68:69], v[52:53]
	s_waitcnt vmcnt(8) lgkmcnt(1)
	v_fmac_f64_e32 v[44:45], v[70:71], v[54:55]
	s_waitcnt vmcnt(6)
	v_fmac_f64_e32 v[44:45], v[72:73], v[56:57]
	s_waitcnt vmcnt(4) lgkmcnt(0)
	v_fmac_f64_e32 v[44:45], v[74:75], v[58:59]
	s_waitcnt vmcnt(2)
	v_fmac_f64_e32 v[44:45], v[76:77], v[60:61]
	s_waitcnt vmcnt(0)
	v_add_f64 v[44:45], v[78:79], -v[44:45]
	buffer_store_dword v44, off, s[0:3], 0 offset:96
	buffer_store_dword v45, off, s[0:3], 0 offset:100
	s_and_saveexec_b64 s[4:5], vcc
	s_cbranch_execz .LBB20_111
; %bb.110:
	buffer_load_dword v44, off, s[0:3], 0 offset:88
	buffer_load_dword v45, off, s[0:3], 0 offset:92
	v_mov_b32_e32 v46, 0
	buffer_store_dword v46, off, s[0:3], 0 offset:88
	buffer_store_dword v46, off, s[0:3], 0 offset:92
	s_waitcnt vmcnt(2)
	ds_write_b64 v1, v[44:45]
.LBB20_111:
	s_or_b64 exec, exec, s[4:5]
	s_waitcnt lgkmcnt(0)
	; wave barrier
	s_waitcnt lgkmcnt(0)
	buffer_load_dword v62, off, s[0:3], 0 offset:96
	buffer_load_dword v63, off, s[0:3], 0 offset:100
	;; [unrolled: 1-line block ×20, first 2 shown]
	v_mov_b32_e32 v44, 0
	ds_read_b128 v[46:49], v44 offset:272
	ds_read_b128 v[50:53], v44 offset:288
	;; [unrolled: 1-line block ×4, first 2 shown]
	ds_read_b64 v[82:83], v44 offset:336
	v_cmp_lt_u32_e32 vcc, 10, v0
	s_waitcnt vmcnt(18) lgkmcnt(4)
	v_fma_f64 v[46:47], v[62:63], v[46:47], 0
	s_waitcnt vmcnt(16)
	v_fmac_f64_e32 v[46:47], v[64:65], v[48:49]
	s_waitcnt vmcnt(14) lgkmcnt(3)
	v_fmac_f64_e32 v[46:47], v[66:67], v[50:51]
	s_waitcnt vmcnt(12)
	v_fmac_f64_e32 v[46:47], v[68:69], v[52:53]
	s_waitcnt vmcnt(10) lgkmcnt(2)
	v_fmac_f64_e32 v[46:47], v[70:71], v[54:55]
	;; [unrolled: 4-line block ×3, first 2 shown]
	s_waitcnt vmcnt(2)
	v_fmac_f64_e32 v[46:47], v[78:79], v[60:61]
	s_waitcnt lgkmcnt(0)
	v_fmac_f64_e32 v[46:47], v[76:77], v[82:83]
	s_waitcnt vmcnt(0)
	v_add_f64 v[46:47], v[80:81], -v[46:47]
	buffer_store_dword v46, off, s[0:3], 0 offset:88
	buffer_store_dword v47, off, s[0:3], 0 offset:92
	s_and_saveexec_b64 s[4:5], vcc
	s_cbranch_execz .LBB20_113
; %bb.112:
	buffer_load_dword v46, off, s[0:3], 0 offset:80
	buffer_load_dword v47, off, s[0:3], 0 offset:84
	s_waitcnt vmcnt(0)
	ds_write_b64 v1, v[46:47]
	buffer_store_dword v44, off, s[0:3], 0 offset:80
	buffer_store_dword v44, off, s[0:3], 0 offset:84
.LBB20_113:
	s_or_b64 exec, exec, s[4:5]
	s_waitcnt lgkmcnt(0)
	; wave barrier
	s_waitcnt lgkmcnt(0)
	buffer_load_dword v66, off, s[0:3], 0 offset:88
	buffer_load_dword v67, off, s[0:3], 0 offset:92
	buffer_load_dword v68, off, s[0:3], 0 offset:96
	buffer_load_dword v69, off, s[0:3], 0 offset:100
	buffer_load_dword v70, off, s[0:3], 0 offset:104
	buffer_load_dword v71, off, s[0:3], 0 offset:108
	buffer_load_dword v72, off, s[0:3], 0 offset:112
	buffer_load_dword v73, off, s[0:3], 0 offset:116
	buffer_load_dword v74, off, s[0:3], 0 offset:120
	buffer_load_dword v75, off, s[0:3], 0 offset:124
	buffer_load_dword v76, off, s[0:3], 0 offset:128
	buffer_load_dword v77, off, s[0:3], 0 offset:132
	buffer_load_dword v78, off, s[0:3], 0 offset:136
	buffer_load_dword v79, off, s[0:3], 0 offset:140
	buffer_load_dword v80, off, s[0:3], 0 offset:160
	buffer_load_dword v83, off, s[0:3], 0 offset:156
	buffer_load_dword v82, off, s[0:3], 0 offset:152
	buffer_load_dword v85, off, s[0:3], 0 offset:148
	buffer_load_dword v84, off, s[0:3], 0 offset:144
	buffer_load_dword v81, off, s[0:3], 0 offset:164
	buffer_load_dword v86, off, s[0:3], 0 offset:80
	buffer_load_dword v87, off, s[0:3], 0 offset:84
	ds_read2_b64 v[46:49], v44 offset0:33 offset1:34
	ds_read2_b64 v[50:53], v44 offset0:35 offset1:36
	;; [unrolled: 1-line block ×5, first 2 shown]
	v_cmp_lt_u32_e32 vcc, 9, v0
	s_waitcnt vmcnt(20) lgkmcnt(4)
	v_fma_f64 v[44:45], v[66:67], v[46:47], 0
	s_waitcnt vmcnt(18)
	v_fmac_f64_e32 v[44:45], v[68:69], v[48:49]
	s_waitcnt vmcnt(16) lgkmcnt(3)
	v_fmac_f64_e32 v[44:45], v[70:71], v[50:51]
	s_waitcnt vmcnt(14)
	v_fmac_f64_e32 v[44:45], v[72:73], v[52:53]
	s_waitcnt vmcnt(12) lgkmcnt(2)
	v_fmac_f64_e32 v[44:45], v[74:75], v[54:55]
	;; [unrolled: 4-line block ×3, first 2 shown]
	s_waitcnt vmcnt(3)
	v_fmac_f64_e32 v[44:45], v[84:85], v[60:61]
	s_waitcnt lgkmcnt(0)
	v_fmac_f64_e32 v[44:45], v[82:83], v[62:63]
	s_waitcnt vmcnt(2)
	v_fmac_f64_e32 v[44:45], v[80:81], v[64:65]
	s_waitcnt vmcnt(0)
	v_add_f64 v[44:45], v[86:87], -v[44:45]
	buffer_store_dword v44, off, s[0:3], 0 offset:80
	buffer_store_dword v45, off, s[0:3], 0 offset:84
	s_and_saveexec_b64 s[4:5], vcc
	s_cbranch_execz .LBB20_115
; %bb.114:
	buffer_load_dword v44, off, s[0:3], 0 offset:72
	buffer_load_dword v45, off, s[0:3], 0 offset:76
	v_mov_b32_e32 v46, 0
	buffer_store_dword v46, off, s[0:3], 0 offset:72
	buffer_store_dword v46, off, s[0:3], 0 offset:76
	s_waitcnt vmcnt(2)
	ds_write_b64 v1, v[44:45]
.LBB20_115:
	s_or_b64 exec, exec, s[4:5]
	s_waitcnt lgkmcnt(0)
	; wave barrier
	s_waitcnt lgkmcnt(0)
	buffer_load_dword v66, off, s[0:3], 0 offset:80
	buffer_load_dword v67, off, s[0:3], 0 offset:84
	;; [unrolled: 1-line block ×24, first 2 shown]
	v_mov_b32_e32 v44, 0
	ds_read_b128 v[46:49], v44 offset:256
	ds_read_b128 v[50:53], v44 offset:272
	;; [unrolled: 1-line block ×5, first 2 shown]
	ds_read_b64 v[90:91], v44 offset:336
	v_cmp_lt_u32_e32 vcc, 8, v0
	s_waitcnt vmcnt(22) lgkmcnt(5)
	v_fma_f64 v[46:47], v[66:67], v[46:47], 0
	s_waitcnt vmcnt(20)
	v_fmac_f64_e32 v[46:47], v[68:69], v[48:49]
	s_waitcnt vmcnt(18) lgkmcnt(4)
	v_fmac_f64_e32 v[46:47], v[70:71], v[50:51]
	s_waitcnt vmcnt(16)
	v_fmac_f64_e32 v[46:47], v[72:73], v[52:53]
	s_waitcnt vmcnt(14) lgkmcnt(3)
	v_fmac_f64_e32 v[46:47], v[74:75], v[54:55]
	;; [unrolled: 4-line block ×3, first 2 shown]
	s_waitcnt vmcnt(4)
	v_fmac_f64_e32 v[46:47], v[86:87], v[60:61]
	s_waitcnt lgkmcnt(1)
	v_fmac_f64_e32 v[46:47], v[84:85], v[62:63]
	s_waitcnt vmcnt(3)
	v_fmac_f64_e32 v[46:47], v[82:83], v[64:65]
	s_waitcnt vmcnt(2) lgkmcnt(0)
	v_fmac_f64_e32 v[46:47], v[80:81], v[90:91]
	s_waitcnt vmcnt(0)
	v_add_f64 v[46:47], v[88:89], -v[46:47]
	buffer_store_dword v47, off, s[0:3], 0 offset:76
	buffer_store_dword v46, off, s[0:3], 0 offset:72
	s_and_saveexec_b64 s[4:5], vcc
	s_cbranch_execz .LBB20_117
; %bb.116:
	buffer_load_dword v46, off, s[0:3], 0 offset:64
	buffer_load_dword v47, off, s[0:3], 0 offset:68
	s_waitcnt vmcnt(0)
	ds_write_b64 v1, v[46:47]
	buffer_store_dword v44, off, s[0:3], 0 offset:64
	buffer_store_dword v44, off, s[0:3], 0 offset:68
.LBB20_117:
	s_or_b64 exec, exec, s[4:5]
	s_waitcnt lgkmcnt(0)
	; wave barrier
	s_waitcnt lgkmcnt(0)
	buffer_load_dword v70, off, s[0:3], 0 offset:72
	buffer_load_dword v71, off, s[0:3], 0 offset:76
	buffer_load_dword v72, off, s[0:3], 0 offset:80
	buffer_load_dword v73, off, s[0:3], 0 offset:84
	buffer_load_dword v74, off, s[0:3], 0 offset:88
	buffer_load_dword v75, off, s[0:3], 0 offset:92
	buffer_load_dword v76, off, s[0:3], 0 offset:96
	buffer_load_dword v77, off, s[0:3], 0 offset:100
	buffer_load_dword v78, off, s[0:3], 0 offset:104
	buffer_load_dword v79, off, s[0:3], 0 offset:108
	buffer_load_dword v80, off, s[0:3], 0 offset:112
	buffer_load_dword v81, off, s[0:3], 0 offset:116
	buffer_load_dword v82, off, s[0:3], 0 offset:120
	buffer_load_dword v83, off, s[0:3], 0 offset:124
	buffer_load_dword v84, off, s[0:3], 0 offset:152
	buffer_load_dword v87, off, s[0:3], 0 offset:148
	buffer_load_dword v86, off, s[0:3], 0 offset:144
	buffer_load_dword v89, off, s[0:3], 0 offset:140
	buffer_load_dword v88, off, s[0:3], 0 offset:136
	buffer_load_dword v91, off, s[0:3], 0 offset:132
	buffer_load_dword v90, off, s[0:3], 0 offset:128
	buffer_load_dword v85, off, s[0:3], 0 offset:156
	buffer_load_dword v93, off, s[0:3], 0 offset:164
	buffer_load_dword v92, off, s[0:3], 0 offset:160
	buffer_load_dword v94, off, s[0:3], 0 offset:64
	buffer_load_dword v95, off, s[0:3], 0 offset:68
	ds_read2_b64 v[46:49], v44 offset0:31 offset1:32
	ds_read2_b64 v[50:53], v44 offset0:33 offset1:34
	;; [unrolled: 1-line block ×6, first 2 shown]
	v_cmp_lt_u32_e32 vcc, 7, v0
	s_waitcnt vmcnt(24) lgkmcnt(5)
	v_fma_f64 v[44:45], v[70:71], v[46:47], 0
	s_waitcnt vmcnt(22)
	v_fmac_f64_e32 v[44:45], v[72:73], v[48:49]
	s_waitcnt vmcnt(20) lgkmcnt(4)
	v_fmac_f64_e32 v[44:45], v[74:75], v[50:51]
	s_waitcnt vmcnt(18)
	v_fmac_f64_e32 v[44:45], v[76:77], v[52:53]
	s_waitcnt vmcnt(16) lgkmcnt(3)
	v_fmac_f64_e32 v[44:45], v[78:79], v[54:55]
	;; [unrolled: 4-line block ×3, first 2 shown]
	s_waitcnt vmcnt(5)
	v_fmac_f64_e32 v[44:45], v[90:91], v[60:61]
	s_waitcnt lgkmcnt(1)
	v_fmac_f64_e32 v[44:45], v[88:89], v[62:63]
	v_fmac_f64_e32 v[44:45], v[86:87], v[64:65]
	s_waitcnt vmcnt(4) lgkmcnt(0)
	v_fmac_f64_e32 v[44:45], v[84:85], v[66:67]
	s_waitcnt vmcnt(2)
	v_fmac_f64_e32 v[44:45], v[92:93], v[68:69]
	s_waitcnt vmcnt(0)
	v_add_f64 v[44:45], v[94:95], -v[44:45]
	buffer_store_dword v45, off, s[0:3], 0 offset:68
	buffer_store_dword v44, off, s[0:3], 0 offset:64
	s_and_saveexec_b64 s[4:5], vcc
	s_cbranch_execz .LBB20_119
; %bb.118:
	buffer_load_dword v44, off, s[0:3], 0 offset:56
	buffer_load_dword v45, off, s[0:3], 0 offset:60
	v_mov_b32_e32 v46, 0
	buffer_store_dword v46, off, s[0:3], 0 offset:56
	buffer_store_dword v46, off, s[0:3], 0 offset:60
	s_waitcnt vmcnt(2)
	ds_write_b64 v1, v[44:45]
.LBB20_119:
	s_or_b64 exec, exec, s[4:5]
	s_waitcnt lgkmcnt(0)
	; wave barrier
	s_waitcnt lgkmcnt(0)
	buffer_load_dword v70, off, s[0:3], 0 offset:64
	buffer_load_dword v71, off, s[0:3], 0 offset:68
	buffer_load_dword v72, off, s[0:3], 0 offset:72
	buffer_load_dword v73, off, s[0:3], 0 offset:76
	buffer_load_dword v74, off, s[0:3], 0 offset:80
	buffer_load_dword v75, off, s[0:3], 0 offset:84
	buffer_load_dword v76, off, s[0:3], 0 offset:88
	buffer_load_dword v77, off, s[0:3], 0 offset:92
	buffer_load_dword v78, off, s[0:3], 0 offset:96
	buffer_load_dword v79, off, s[0:3], 0 offset:100
	buffer_load_dword v80, off, s[0:3], 0 offset:104
	buffer_load_dword v81, off, s[0:3], 0 offset:108
	buffer_load_dword v82, off, s[0:3], 0 offset:112
	buffer_load_dword v83, off, s[0:3], 0 offset:116
	buffer_load_dword v85, off, s[0:3], 0 offset:148
	buffer_load_dword v84, off, s[0:3], 0 offset:144
	buffer_load_dword v87, off, s[0:3], 0 offset:140
	buffer_load_dword v86, off, s[0:3], 0 offset:136
	buffer_load_dword v89, off, s[0:3], 0 offset:132
	buffer_load_dword v88, off, s[0:3], 0 offset:128
	buffer_load_dword v91, off, s[0:3], 0 offset:124
	buffer_load_dword v90, off, s[0:3], 0 offset:120
	buffer_load_dword v93, off, s[0:3], 0 offset:164
	buffer_load_dword v92, off, s[0:3], 0 offset:160
	buffer_load_dword v95, off, s[0:3], 0 offset:156
	buffer_load_dword v94, off, s[0:3], 0 offset:152
	buffer_load_dword v96, off, s[0:3], 0 offset:56
	buffer_load_dword v97, off, s[0:3], 0 offset:60
	v_mov_b32_e32 v44, 0
	ds_read_b128 v[46:49], v44 offset:240
	ds_read_b128 v[50:53], v44 offset:256
	;; [unrolled: 1-line block ×6, first 2 shown]
	ds_read_b64 v[98:99], v44 offset:336
	v_cmp_lt_u32_e32 vcc, 6, v0
	s_waitcnt vmcnt(26) lgkmcnt(6)
	v_fma_f64 v[46:47], v[70:71], v[46:47], 0
	s_waitcnt vmcnt(24)
	v_fmac_f64_e32 v[46:47], v[72:73], v[48:49]
	s_waitcnt vmcnt(22) lgkmcnt(5)
	v_fmac_f64_e32 v[46:47], v[74:75], v[50:51]
	s_waitcnt vmcnt(20)
	v_fmac_f64_e32 v[46:47], v[76:77], v[52:53]
	s_waitcnt vmcnt(18) lgkmcnt(4)
	v_fmac_f64_e32 v[46:47], v[78:79], v[54:55]
	;; [unrolled: 4-line block ×3, first 2 shown]
	s_waitcnt vmcnt(6)
	v_fmac_f64_e32 v[46:47], v[90:91], v[60:61]
	s_waitcnt lgkmcnt(2)
	v_fmac_f64_e32 v[46:47], v[88:89], v[62:63]
	v_fmac_f64_e32 v[46:47], v[86:87], v[64:65]
	s_waitcnt lgkmcnt(1)
	v_fmac_f64_e32 v[46:47], v[84:85], v[66:67]
	s_waitcnt vmcnt(2)
	v_fmac_f64_e32 v[46:47], v[94:95], v[68:69]
	s_waitcnt lgkmcnt(0)
	v_fmac_f64_e32 v[46:47], v[92:93], v[98:99]
	s_waitcnt vmcnt(0)
	v_add_f64 v[46:47], v[96:97], -v[46:47]
	buffer_store_dword v47, off, s[0:3], 0 offset:60
	buffer_store_dword v46, off, s[0:3], 0 offset:56
	s_and_saveexec_b64 s[4:5], vcc
	s_cbranch_execz .LBB20_121
; %bb.120:
	buffer_load_dword v46, off, s[0:3], 0 offset:48
	buffer_load_dword v47, off, s[0:3], 0 offset:52
	s_waitcnt vmcnt(0)
	ds_write_b64 v1, v[46:47]
	buffer_store_dword v44, off, s[0:3], 0 offset:48
	buffer_store_dword v44, off, s[0:3], 0 offset:52
.LBB20_121:
	s_or_b64 exec, exec, s[4:5]
	s_waitcnt lgkmcnt(0)
	; wave barrier
	s_waitcnt lgkmcnt(0)
	buffer_load_dword v74, off, s[0:3], 0 offset:56
	buffer_load_dword v75, off, s[0:3], 0 offset:60
	;; [unrolled: 1-line block ×30, first 2 shown]
	ds_read2_b64 v[46:49], v44 offset0:29 offset1:30
	ds_read2_b64 v[50:53], v44 offset0:31 offset1:32
	;; [unrolled: 1-line block ×7, first 2 shown]
	v_cmp_lt_u32_e32 vcc, 5, v0
	s_waitcnt vmcnt(28) lgkmcnt(6)
	v_fma_f64 v[44:45], v[74:75], v[46:47], 0
	s_waitcnt vmcnt(26)
	v_fmac_f64_e32 v[44:45], v[76:77], v[48:49]
	s_waitcnt vmcnt(24) lgkmcnt(5)
	v_fmac_f64_e32 v[44:45], v[78:79], v[50:51]
	s_waitcnt vmcnt(22)
	v_fmac_f64_e32 v[44:45], v[80:81], v[52:53]
	s_waitcnt vmcnt(20) lgkmcnt(4)
	v_fmac_f64_e32 v[44:45], v[82:83], v[54:55]
	;; [unrolled: 4-line block ×3, first 2 shown]
	s_waitcnt vmcnt(8)
	v_fmac_f64_e32 v[44:45], v[94:95], v[60:61]
	s_waitcnt lgkmcnt(2)
	v_fmac_f64_e32 v[44:45], v[92:93], v[62:63]
	v_fmac_f64_e32 v[44:45], v[90:91], v[64:65]
	s_waitcnt lgkmcnt(1)
	v_fmac_f64_e32 v[44:45], v[88:89], v[66:67]
	s_waitcnt vmcnt(3)
	v_fmac_f64_e32 v[44:45], v[100:101], v[68:69]
	s_waitcnt lgkmcnt(0)
	v_fmac_f64_e32 v[44:45], v[98:99], v[70:71]
	s_waitcnt vmcnt(2)
	v_fmac_f64_e32 v[44:45], v[96:97], v[72:73]
	s_waitcnt vmcnt(0)
	v_add_f64 v[44:45], v[102:103], -v[44:45]
	buffer_store_dword v45, off, s[0:3], 0 offset:52
	buffer_store_dword v44, off, s[0:3], 0 offset:48
	s_and_saveexec_b64 s[4:5], vcc
	s_cbranch_execz .LBB20_123
; %bb.122:
	buffer_load_dword v44, off, s[0:3], 0 offset:40
	buffer_load_dword v45, off, s[0:3], 0 offset:44
	v_mov_b32_e32 v46, 0
	buffer_store_dword v46, off, s[0:3], 0 offset:40
	buffer_store_dword v46, off, s[0:3], 0 offset:44
	s_waitcnt vmcnt(2)
	ds_write_b64 v1, v[44:45]
.LBB20_123:
	s_or_b64 exec, exec, s[4:5]
	s_waitcnt lgkmcnt(0)
	; wave barrier
	s_waitcnt lgkmcnt(0)
	buffer_load_dword v74, off, s[0:3], 0 offset:48
	buffer_load_dword v75, off, s[0:3], 0 offset:52
	;; [unrolled: 1-line block ×32, first 2 shown]
	v_mov_b32_e32 v44, 0
	ds_read_b128 v[46:49], v44 offset:224
	ds_read_b128 v[50:53], v44 offset:240
	;; [unrolled: 1-line block ×7, first 2 shown]
	ds_read_b64 v[106:107], v44 offset:336
	v_cmp_lt_u32_e32 vcc, 4, v0
	s_waitcnt vmcnt(30) lgkmcnt(7)
	v_fma_f64 v[46:47], v[74:75], v[46:47], 0
	s_waitcnt vmcnt(28)
	v_fmac_f64_e32 v[46:47], v[76:77], v[48:49]
	s_waitcnt vmcnt(26) lgkmcnt(6)
	v_fmac_f64_e32 v[46:47], v[78:79], v[50:51]
	s_waitcnt vmcnt(24)
	v_fmac_f64_e32 v[46:47], v[80:81], v[52:53]
	s_waitcnt vmcnt(22) lgkmcnt(5)
	v_fmac_f64_e32 v[46:47], v[82:83], v[54:55]
	;; [unrolled: 4-line block ×3, first 2 shown]
	s_waitcnt vmcnt(10)
	v_fmac_f64_e32 v[46:47], v[94:95], v[60:61]
	s_waitcnt lgkmcnt(3)
	v_fmac_f64_e32 v[46:47], v[92:93], v[62:63]
	v_fmac_f64_e32 v[46:47], v[90:91], v[64:65]
	s_waitcnt lgkmcnt(2)
	v_fmac_f64_e32 v[46:47], v[88:89], v[66:67]
	s_waitcnt vmcnt(4)
	v_fmac_f64_e32 v[46:47], v[102:103], v[68:69]
	s_waitcnt lgkmcnt(1)
	v_fmac_f64_e32 v[46:47], v[100:101], v[70:71]
	s_waitcnt vmcnt(3)
	v_fmac_f64_e32 v[46:47], v[98:99], v[72:73]
	s_waitcnt vmcnt(2) lgkmcnt(0)
	v_fmac_f64_e32 v[46:47], v[96:97], v[106:107]
	s_waitcnt vmcnt(0)
	v_add_f64 v[46:47], v[104:105], -v[46:47]
	buffer_store_dword v47, off, s[0:3], 0 offset:44
	buffer_store_dword v46, off, s[0:3], 0 offset:40
	s_and_saveexec_b64 s[4:5], vcc
	s_cbranch_execz .LBB20_125
; %bb.124:
	buffer_load_dword v46, off, s[0:3], 0 offset:32
	buffer_load_dword v47, off, s[0:3], 0 offset:36
	s_waitcnt vmcnt(0)
	ds_write_b64 v1, v[46:47]
	buffer_store_dword v44, off, s[0:3], 0 offset:32
	buffer_store_dword v44, off, s[0:3], 0 offset:36
.LBB20_125:
	s_or_b64 exec, exec, s[4:5]
	s_waitcnt lgkmcnt(0)
	; wave barrier
	s_waitcnt lgkmcnt(0)
	buffer_load_dword v78, off, s[0:3], 0 offset:40
	buffer_load_dword v79, off, s[0:3], 0 offset:44
	;; [unrolled: 1-line block ×34, first 2 shown]
	ds_read2_b64 v[46:49], v44 offset0:27 offset1:28
	ds_read2_b64 v[50:53], v44 offset0:29 offset1:30
	;; [unrolled: 1-line block ×8, first 2 shown]
	v_cmp_lt_u32_e32 vcc, 3, v0
	s_waitcnt vmcnt(32) lgkmcnt(7)
	v_fma_f64 v[44:45], v[78:79], v[46:47], 0
	s_waitcnt vmcnt(30)
	v_fmac_f64_e32 v[44:45], v[80:81], v[48:49]
	s_waitcnt vmcnt(28) lgkmcnt(6)
	v_fmac_f64_e32 v[44:45], v[82:83], v[50:51]
	s_waitcnt vmcnt(26)
	v_fmac_f64_e32 v[44:45], v[84:85], v[52:53]
	s_waitcnt vmcnt(24) lgkmcnt(5)
	v_fmac_f64_e32 v[44:45], v[86:87], v[54:55]
	;; [unrolled: 4-line block ×3, first 2 shown]
	s_waitcnt vmcnt(12)
	v_fmac_f64_e32 v[44:45], v[98:99], v[60:61]
	s_waitcnt lgkmcnt(3)
	v_fmac_f64_e32 v[44:45], v[96:97], v[62:63]
	v_fmac_f64_e32 v[44:45], v[94:95], v[64:65]
	s_waitcnt lgkmcnt(2)
	v_fmac_f64_e32 v[44:45], v[92:93], v[66:67]
	s_waitcnt vmcnt(5)
	v_fmac_f64_e32 v[44:45], v[106:107], v[68:69]
	s_waitcnt lgkmcnt(1)
	v_fmac_f64_e32 v[44:45], v[104:105], v[70:71]
	v_fmac_f64_e32 v[44:45], v[102:103], v[72:73]
	s_waitcnt vmcnt(4) lgkmcnt(0)
	v_fmac_f64_e32 v[44:45], v[100:101], v[74:75]
	s_waitcnt vmcnt(2)
	v_fmac_f64_e32 v[44:45], v[108:109], v[76:77]
	s_waitcnt vmcnt(0)
	v_add_f64 v[44:45], v[110:111], -v[44:45]
	buffer_store_dword v45, off, s[0:3], 0 offset:36
	buffer_store_dword v44, off, s[0:3], 0 offset:32
	s_and_saveexec_b64 s[4:5], vcc
	s_cbranch_execz .LBB20_127
; %bb.126:
	buffer_load_dword v44, off, s[0:3], 0 offset:24
	buffer_load_dword v45, off, s[0:3], 0 offset:28
	v_mov_b32_e32 v46, 0
	buffer_store_dword v46, off, s[0:3], 0 offset:24
	buffer_store_dword v46, off, s[0:3], 0 offset:28
	s_waitcnt vmcnt(2)
	ds_write_b64 v1, v[44:45]
.LBB20_127:
	s_or_b64 exec, exec, s[4:5]
	s_waitcnt lgkmcnt(0)
	; wave barrier
	s_waitcnt lgkmcnt(0)
	buffer_load_dword v78, off, s[0:3], 0 offset:32
	buffer_load_dword v79, off, s[0:3], 0 offset:36
	;; [unrolled: 1-line block ×36, first 2 shown]
	v_mov_b32_e32 v44, 0
	ds_read_b128 v[46:49], v44 offset:208
	ds_read_b128 v[50:53], v44 offset:224
	ds_read_b128 v[54:57], v44 offset:240
	ds_read_b128 v[58:61], v44 offset:256
	ds_read_b128 v[62:65], v44 offset:272
	ds_read_b128 v[66:69], v44 offset:288
	ds_read_b128 v[70:73], v44 offset:304
	ds_read_b128 v[74:77], v44 offset:320
	ds_read_b64 v[114:115], v44 offset:336
	v_cmp_lt_u32_e32 vcc, 2, v0
	s_waitcnt vmcnt(34) lgkmcnt(8)
	v_fma_f64 v[46:47], v[78:79], v[46:47], 0
	s_waitcnt vmcnt(32)
	v_fmac_f64_e32 v[46:47], v[80:81], v[48:49]
	s_waitcnt vmcnt(30) lgkmcnt(7)
	v_fmac_f64_e32 v[46:47], v[82:83], v[50:51]
	s_waitcnt vmcnt(28)
	v_fmac_f64_e32 v[46:47], v[84:85], v[52:53]
	s_waitcnt vmcnt(26) lgkmcnt(6)
	v_fmac_f64_e32 v[46:47], v[86:87], v[54:55]
	;; [unrolled: 4-line block ×3, first 2 shown]
	s_waitcnt vmcnt(14)
	v_fmac_f64_e32 v[46:47], v[98:99], v[60:61]
	s_waitcnt lgkmcnt(4)
	v_fmac_f64_e32 v[46:47], v[96:97], v[62:63]
	v_fmac_f64_e32 v[46:47], v[94:95], v[64:65]
	s_waitcnt lgkmcnt(3)
	v_fmac_f64_e32 v[46:47], v[92:93], v[66:67]
	s_waitcnt vmcnt(6)
	v_fmac_f64_e32 v[46:47], v[106:107], v[68:69]
	s_waitcnt lgkmcnt(2)
	v_fmac_f64_e32 v[46:47], v[104:105], v[70:71]
	v_fmac_f64_e32 v[46:47], v[102:103], v[72:73]
	s_waitcnt lgkmcnt(1)
	v_fmac_f64_e32 v[46:47], v[100:101], v[74:75]
	s_waitcnt vmcnt(2)
	v_fmac_f64_e32 v[46:47], v[110:111], v[76:77]
	s_waitcnt lgkmcnt(0)
	v_fmac_f64_e32 v[46:47], v[108:109], v[114:115]
	s_waitcnt vmcnt(0)
	v_add_f64 v[46:47], v[112:113], -v[46:47]
	buffer_store_dword v47, off, s[0:3], 0 offset:28
	buffer_store_dword v46, off, s[0:3], 0 offset:24
	s_and_saveexec_b64 s[4:5], vcc
	s_cbranch_execz .LBB20_129
; %bb.128:
	buffer_load_dword v46, off, s[0:3], 0 offset:16
	buffer_load_dword v47, off, s[0:3], 0 offset:20
	s_waitcnt vmcnt(0)
	ds_write_b64 v1, v[46:47]
	buffer_store_dword v44, off, s[0:3], 0 offset:16
	buffer_store_dword v44, off, s[0:3], 0 offset:20
.LBB20_129:
	s_or_b64 exec, exec, s[4:5]
	s_waitcnt lgkmcnt(0)
	; wave barrier
	s_waitcnt lgkmcnt(0)
	buffer_load_dword v82, off, s[0:3], 0 offset:24
	buffer_load_dword v83, off, s[0:3], 0 offset:28
	;; [unrolled: 1-line block ×38, first 2 shown]
	ds_read2_b64 v[46:49], v44 offset0:25 offset1:26
	ds_read2_b64 v[50:53], v44 offset0:27 offset1:28
	;; [unrolled: 1-line block ×9, first 2 shown]
	v_cmp_lt_u32_e32 vcc, 1, v0
	s_waitcnt vmcnt(36) lgkmcnt(8)
	v_fma_f64 v[44:45], v[82:83], v[46:47], 0
	s_waitcnt vmcnt(34)
	v_fmac_f64_e32 v[44:45], v[84:85], v[48:49]
	s_waitcnt vmcnt(32) lgkmcnt(7)
	v_fmac_f64_e32 v[44:45], v[86:87], v[50:51]
	s_waitcnt vmcnt(30)
	v_fmac_f64_e32 v[44:45], v[88:89], v[52:53]
	s_waitcnt vmcnt(28) lgkmcnt(6)
	v_fmac_f64_e32 v[44:45], v[90:91], v[54:55]
	;; [unrolled: 4-line block ×3, first 2 shown]
	s_waitcnt vmcnt(16)
	v_fmac_f64_e32 v[44:45], v[102:103], v[60:61]
	s_waitcnt lgkmcnt(4)
	v_fmac_f64_e32 v[44:45], v[100:101], v[62:63]
	v_fmac_f64_e32 v[44:45], v[98:99], v[64:65]
	s_waitcnt lgkmcnt(3)
	v_fmac_f64_e32 v[44:45], v[96:97], v[66:67]
	s_waitcnt vmcnt(8)
	v_fmac_f64_e32 v[44:45], v[110:111], v[68:69]
	s_waitcnt lgkmcnt(2)
	v_fmac_f64_e32 v[44:45], v[108:109], v[70:71]
	v_fmac_f64_e32 v[44:45], v[106:107], v[72:73]
	s_waitcnt lgkmcnt(1)
	v_fmac_f64_e32 v[44:45], v[104:105], v[74:75]
	s_waitcnt vmcnt(3)
	v_fmac_f64_e32 v[44:45], v[116:117], v[76:77]
	s_waitcnt lgkmcnt(0)
	v_fmac_f64_e32 v[44:45], v[114:115], v[78:79]
	s_waitcnt vmcnt(2)
	v_fmac_f64_e32 v[44:45], v[112:113], v[80:81]
	s_waitcnt vmcnt(0)
	v_add_f64 v[44:45], v[118:119], -v[44:45]
	buffer_store_dword v45, off, s[0:3], 0 offset:20
	buffer_store_dword v44, off, s[0:3], 0 offset:16
	s_and_saveexec_b64 s[4:5], vcc
	s_cbranch_execz .LBB20_131
; %bb.130:
	buffer_load_dword v44, off, s[0:3], 0 offset:8
	buffer_load_dword v45, off, s[0:3], 0 offset:12
	v_mov_b32_e32 v46, 0
	buffer_store_dword v46, off, s[0:3], 0 offset:8
	buffer_store_dword v46, off, s[0:3], 0 offset:12
	s_waitcnt vmcnt(2)
	ds_write_b64 v1, v[44:45]
.LBB20_131:
	s_or_b64 exec, exec, s[4:5]
	s_waitcnt lgkmcnt(0)
	; wave barrier
	s_waitcnt lgkmcnt(0)
	buffer_load_dword v44, off, s[0:3], 0 offset:16
	buffer_load_dword v45, off, s[0:3], 0 offset:20
	buffer_load_dword v84, off, s[0:3], 0 offset:24
	buffer_load_dword v85, off, s[0:3], 0 offset:28
	buffer_load_dword v86, off, s[0:3], 0 offset:32
	buffer_load_dword v87, off, s[0:3], 0 offset:36
	buffer_load_dword v88, off, s[0:3], 0 offset:40
	buffer_load_dword v89, off, s[0:3], 0 offset:44
	buffer_load_dword v90, off, s[0:3], 0 offset:48
	buffer_load_dword v91, off, s[0:3], 0 offset:52
	buffer_load_dword v92, off, s[0:3], 0 offset:56
	buffer_load_dword v93, off, s[0:3], 0 offset:60
	buffer_load_dword v94, off, s[0:3], 0 offset:64
	buffer_load_dword v95, off, s[0:3], 0 offset:68
	buffer_load_dword v97, off, s[0:3], 0 offset:100
	buffer_load_dword v96, off, s[0:3], 0 offset:96
	buffer_load_dword v99, off, s[0:3], 0 offset:92
	buffer_load_dword v98, off, s[0:3], 0 offset:88
	buffer_load_dword v101, off, s[0:3], 0 offset:84
	buffer_load_dword v100, off, s[0:3], 0 offset:80
	buffer_load_dword v103, off, s[0:3], 0 offset:76
	buffer_load_dword v102, off, s[0:3], 0 offset:72
	buffer_load_dword v105, off, s[0:3], 0 offset:132
	buffer_load_dword v104, off, s[0:3], 0 offset:128
	buffer_load_dword v107, off, s[0:3], 0 offset:124
	buffer_load_dword v106, off, s[0:3], 0 offset:120
	buffer_load_dword v109, off, s[0:3], 0 offset:116
	buffer_load_dword v108, off, s[0:3], 0 offset:112
	buffer_load_dword v111, off, s[0:3], 0 offset:108
	buffer_load_dword v110, off, s[0:3], 0 offset:104
	buffer_load_dword v112, off, s[0:3], 0 offset:160
	buffer_load_dword v114, off, s[0:3], 0 offset:152
	buffer_load_dword v117, off, s[0:3], 0 offset:148
	buffer_load_dword v116, off, s[0:3], 0 offset:144
	buffer_load_dword v119, off, s[0:3], 0 offset:140
	buffer_load_dword v118, off, s[0:3], 0 offset:136
	buffer_load_dword v115, off, s[0:3], 0 offset:156
	buffer_load_dword v113, off, s[0:3], 0 offset:164
	buffer_load_dword v120, off, s[0:3], 0 offset:8
	buffer_load_dword v121, off, s[0:3], 0 offset:12
	v_mov_b32_e32 v46, 0
	ds_read_b128 v[48:51], v46 offset:192
	ds_read_b128 v[52:55], v46 offset:208
	;; [unrolled: 1-line block ×9, first 2 shown]
	ds_read_b64 v[122:123], v46 offset:336
	v_cmp_ne_u32_e32 vcc, 0, v0
	s_waitcnt vmcnt(38) lgkmcnt(9)
	v_fma_f64 v[44:45], v[44:45], v[48:49], 0
	s_waitcnt vmcnt(36)
	v_fmac_f64_e32 v[44:45], v[84:85], v[50:51]
	s_waitcnt vmcnt(34) lgkmcnt(8)
	v_fmac_f64_e32 v[44:45], v[86:87], v[52:53]
	s_waitcnt vmcnt(32)
	v_fmac_f64_e32 v[44:45], v[88:89], v[54:55]
	s_waitcnt vmcnt(30) lgkmcnt(7)
	v_fmac_f64_e32 v[44:45], v[90:91], v[56:57]
	;; [unrolled: 4-line block ×3, first 2 shown]
	s_waitcnt vmcnt(18)
	v_fmac_f64_e32 v[44:45], v[102:103], v[62:63]
	s_waitcnt lgkmcnt(5)
	v_fmac_f64_e32 v[44:45], v[100:101], v[64:65]
	v_fmac_f64_e32 v[44:45], v[98:99], v[66:67]
	s_waitcnt lgkmcnt(4)
	v_fmac_f64_e32 v[44:45], v[96:97], v[68:69]
	s_waitcnt vmcnt(10)
	v_fmac_f64_e32 v[44:45], v[110:111], v[70:71]
	s_waitcnt lgkmcnt(3)
	v_fmac_f64_e32 v[44:45], v[108:109], v[72:73]
	v_fmac_f64_e32 v[44:45], v[106:107], v[74:75]
	s_waitcnt lgkmcnt(2)
	v_fmac_f64_e32 v[44:45], v[104:105], v[76:77]
	s_waitcnt vmcnt(4)
	v_fmac_f64_e32 v[44:45], v[118:119], v[78:79]
	s_waitcnt lgkmcnt(1)
	v_fmac_f64_e32 v[44:45], v[116:117], v[80:81]
	s_waitcnt vmcnt(3)
	v_fmac_f64_e32 v[44:45], v[114:115], v[82:83]
	s_waitcnt vmcnt(2) lgkmcnt(0)
	v_fmac_f64_e32 v[44:45], v[112:113], v[122:123]
	s_waitcnt vmcnt(0)
	v_add_f64 v[44:45], v[120:121], -v[44:45]
	buffer_store_dword v45, off, s[0:3], 0 offset:12
	buffer_store_dword v44, off, s[0:3], 0 offset:8
	s_and_saveexec_b64 s[4:5], vcc
	s_cbranch_execz .LBB20_133
; %bb.132:
	buffer_load_dword v44, off, s[0:3], 0
	buffer_load_dword v45, off, s[0:3], 0 offset:4
	s_waitcnt vmcnt(0)
	ds_write_b64 v1, v[44:45]
	buffer_store_dword v46, off, s[0:3], 0
	buffer_store_dword v46, off, s[0:3], 0 offset:4
.LBB20_133:
	s_or_b64 exec, exec, s[4:5]
	s_waitcnt lgkmcnt(0)
	; wave barrier
	s_waitcnt lgkmcnt(0)
	buffer_load_dword v0, off, s[0:3], 0 offset:8
	buffer_load_dword v1, off, s[0:3], 0 offset:12
	;; [unrolled: 1-line block ×40, first 2 shown]
	buffer_load_dword v124, off, s[0:3], 0
	buffer_load_dword v125, off, s[0:3], 0 offset:4
	ds_read2_b64 v[48:51], v46 offset0:23 offset1:24
	ds_read2_b64 v[52:55], v46 offset0:25 offset1:26
	;; [unrolled: 1-line block ×10, first 2 shown]
	s_and_b64 vcc, exec, s[20:21]
	s_waitcnt vmcnt(40) lgkmcnt(9)
	v_fma_f64 v[0:1], v[0:1], v[48:49], 0
	s_waitcnt vmcnt(38)
	v_fmac_f64_e32 v[0:1], v[88:89], v[50:51]
	s_waitcnt vmcnt(36) lgkmcnt(8)
	v_fmac_f64_e32 v[0:1], v[90:91], v[52:53]
	s_waitcnt vmcnt(34)
	v_fmac_f64_e32 v[0:1], v[92:93], v[54:55]
	s_waitcnt vmcnt(32) lgkmcnt(7)
	v_fmac_f64_e32 v[0:1], v[94:95], v[56:57]
	;; [unrolled: 4-line block ×3, first 2 shown]
	s_waitcnt vmcnt(20)
	v_fmac_f64_e32 v[0:1], v[106:107], v[62:63]
	s_waitcnt lgkmcnt(5)
	v_fmac_f64_e32 v[0:1], v[104:105], v[64:65]
	v_fmac_f64_e32 v[0:1], v[102:103], v[66:67]
	s_waitcnt lgkmcnt(4)
	v_fmac_f64_e32 v[0:1], v[100:101], v[68:69]
	s_waitcnt vmcnt(12)
	v_fmac_f64_e32 v[0:1], v[114:115], v[70:71]
	s_waitcnt lgkmcnt(3)
	v_fmac_f64_e32 v[0:1], v[112:113], v[72:73]
	v_fmac_f64_e32 v[0:1], v[110:111], v[74:75]
	s_waitcnt lgkmcnt(2)
	v_fmac_f64_e32 v[0:1], v[108:109], v[76:77]
	s_waitcnt vmcnt(5)
	v_fmac_f64_e32 v[0:1], v[120:121], v[78:79]
	s_waitcnt lgkmcnt(1)
	v_fmac_f64_e32 v[0:1], v[118:119], v[80:81]
	v_fmac_f64_e32 v[0:1], v[116:117], v[82:83]
	s_waitcnt vmcnt(4) lgkmcnt(0)
	v_fmac_f64_e32 v[0:1], v[44:45], v[84:85]
	s_waitcnt vmcnt(2)
	v_fmac_f64_e32 v[0:1], v[122:123], v[86:87]
	s_waitcnt vmcnt(0)
	v_add_f64 v[0:1], v[124:125], -v[0:1]
	buffer_store_dword v1, off, s[0:3], 0 offset:4
	buffer_store_dword v0, off, s[0:3], 0
	s_cbranch_vccz .LBB20_175
; %bb.134:
	v_pk_mov_b32 v[0:1], s[10:11], s[10:11] op_sel:[0,1]
	flat_load_dword v0, v[0:1] offset:76
	s_waitcnt vmcnt(0) lgkmcnt(0)
	v_add_u32_e32 v0, -1, v0
	v_cmp_ne_u32_e32 vcc, 19, v0
	s_and_saveexec_b64 s[4:5], vcc
	s_cbranch_execz .LBB20_136
; %bb.135:
	v_mov_b32_e32 v1, 0
	v_lshl_add_u32 v0, v0, 3, v1
	buffer_load_dword v1, v0, s[0:3], 0 offen
	buffer_load_dword v46, v0, s[0:3], 0 offen offset:4
	s_waitcnt vmcnt(1)
	buffer_store_dword v1, off, s[0:3], 0 offset:152
	s_waitcnt vmcnt(1)
	buffer_store_dword v46, off, s[0:3], 0 offset:156
	buffer_store_dword v44, v0, s[0:3], 0 offen
	buffer_store_dword v45, v0, s[0:3], 0 offen offset:4
.LBB20_136:
	s_or_b64 exec, exec, s[4:5]
	v_pk_mov_b32 v[0:1], s[10:11], s[10:11] op_sel:[0,1]
	flat_load_dword v0, v[0:1] offset:72
	s_waitcnt vmcnt(0) lgkmcnt(0)
	v_add_u32_e32 v0, -1, v0
	v_cmp_ne_u32_e32 vcc, 18, v0
	s_and_saveexec_b64 s[4:5], vcc
	s_cbranch_execz .LBB20_138
; %bb.137:
	v_mov_b32_e32 v1, 0
	v_lshl_add_u32 v0, v0, 3, v1
	buffer_load_dword v1, v0, s[0:3], 0 offen
	buffer_load_dword v44, v0, s[0:3], 0 offen offset:4
	buffer_load_dword v45, off, s[0:3], 0 offset:148
	buffer_load_dword v46, off, s[0:3], 0 offset:144
	s_waitcnt vmcnt(3)
	buffer_store_dword v1, off, s[0:3], 0 offset:144
	s_waitcnt vmcnt(3)
	buffer_store_dword v44, off, s[0:3], 0 offset:148
	s_waitcnt vmcnt(3)
	buffer_store_dword v45, v0, s[0:3], 0 offen offset:4
	s_waitcnt vmcnt(3)
	buffer_store_dword v46, v0, s[0:3], 0 offen
.LBB20_138:
	s_or_b64 exec, exec, s[4:5]
	v_pk_mov_b32 v[0:1], s[10:11], s[10:11] op_sel:[0,1]
	flat_load_dword v0, v[0:1] offset:68
	s_waitcnt vmcnt(0) lgkmcnt(0)
	v_add_u32_e32 v0, -1, v0
	v_cmp_ne_u32_e32 vcc, 17, v0
	s_and_saveexec_b64 s[4:5], vcc
	s_cbranch_execz .LBB20_140
; %bb.139:
	v_mov_b32_e32 v1, 0
	v_lshl_add_u32 v0, v0, 3, v1
	buffer_load_dword v1, v0, s[0:3], 0 offen
	buffer_load_dword v44, v0, s[0:3], 0 offen offset:4
	buffer_load_dword v45, off, s[0:3], 0 offset:136
	buffer_load_dword v46, off, s[0:3], 0 offset:140
	s_waitcnt vmcnt(3)
	buffer_store_dword v1, off, s[0:3], 0 offset:136
	s_waitcnt vmcnt(3)
	buffer_store_dword v44, off, s[0:3], 0 offset:140
	s_waitcnt vmcnt(3)
	buffer_store_dword v45, v0, s[0:3], 0 offen
	s_waitcnt vmcnt(3)
	buffer_store_dword v46, v0, s[0:3], 0 offen offset:4
.LBB20_140:
	s_or_b64 exec, exec, s[4:5]
	v_pk_mov_b32 v[0:1], s[10:11], s[10:11] op_sel:[0,1]
	flat_load_dword v0, v[0:1] offset:64
	s_waitcnt vmcnt(0) lgkmcnt(0)
	v_add_u32_e32 v0, -1, v0
	v_cmp_ne_u32_e32 vcc, 16, v0
	s_and_saveexec_b64 s[4:5], vcc
	s_cbranch_execz .LBB20_142
; %bb.141:
	v_mov_b32_e32 v1, 0
	v_lshl_add_u32 v0, v0, 3, v1
	buffer_load_dword v1, v0, s[0:3], 0 offen
	buffer_load_dword v44, v0, s[0:3], 0 offen offset:4
	buffer_load_dword v45, off, s[0:3], 0 offset:132
	buffer_load_dword v46, off, s[0:3], 0 offset:128
	s_waitcnt vmcnt(3)
	buffer_store_dword v1, off, s[0:3], 0 offset:128
	s_waitcnt vmcnt(3)
	buffer_store_dword v44, off, s[0:3], 0 offset:132
	s_waitcnt vmcnt(3)
	buffer_store_dword v45, v0, s[0:3], 0 offen offset:4
	s_waitcnt vmcnt(3)
	buffer_store_dword v46, v0, s[0:3], 0 offen
.LBB20_142:
	s_or_b64 exec, exec, s[4:5]
	v_pk_mov_b32 v[0:1], s[10:11], s[10:11] op_sel:[0,1]
	flat_load_dword v0, v[0:1] offset:60
	s_waitcnt vmcnt(0) lgkmcnt(0)
	v_add_u32_e32 v0, -1, v0
	v_cmp_ne_u32_e32 vcc, 15, v0
	s_and_saveexec_b64 s[4:5], vcc
	s_cbranch_execz .LBB20_144
; %bb.143:
	v_mov_b32_e32 v1, 0
	v_lshl_add_u32 v0, v0, 3, v1
	buffer_load_dword v1, v0, s[0:3], 0 offen
	buffer_load_dword v44, v0, s[0:3], 0 offen offset:4
	buffer_load_dword v45, off, s[0:3], 0 offset:120
	buffer_load_dword v46, off, s[0:3], 0 offset:124
	s_waitcnt vmcnt(3)
	buffer_store_dword v1, off, s[0:3], 0 offset:120
	s_waitcnt vmcnt(3)
	buffer_store_dword v44, off, s[0:3], 0 offset:124
	s_waitcnt vmcnt(3)
	buffer_store_dword v45, v0, s[0:3], 0 offen
	s_waitcnt vmcnt(3)
	buffer_store_dword v46, v0, s[0:3], 0 offen offset:4
.LBB20_144:
	;; [unrolled: 48-line block ×9, first 2 shown]
	s_or_b64 exec, exec, s[4:5]
	v_pk_mov_b32 v[0:1], s[10:11], s[10:11] op_sel:[0,1]
	flat_load_dword v44, v[0:1]
	s_nop 0
	buffer_load_dword v0, off, s[0:3], 0
	buffer_load_dword v1, off, s[0:3], 0 offset:4
	s_waitcnt vmcnt(0) lgkmcnt(0)
	v_add_u32_e32 v44, -1, v44
	v_cmp_ne_u32_e32 vcc, 0, v44
	s_and_saveexec_b64 s[4:5], vcc
	s_cbranch_execz .LBB20_174
; %bb.173:
	v_mov_b32_e32 v45, 0
	v_lshl_add_u32 v44, v44, 3, v45
	buffer_load_dword v45, v44, s[0:3], 0 offen offset:4
	buffer_load_dword v46, v44, s[0:3], 0 offen
	s_waitcnt vmcnt(1)
	buffer_store_dword v45, off, s[0:3], 0 offset:4
	s_waitcnt vmcnt(1)
	buffer_store_dword v46, off, s[0:3], 0
	buffer_store_dword v1, v44, s[0:3], 0 offen offset:4
	buffer_store_dword v0, v44, s[0:3], 0 offen
	buffer_load_dword v0, off, s[0:3], 0
	s_nop 0
	buffer_load_dword v1, off, s[0:3], 0 offset:4
.LBB20_174:
	s_or_b64 exec, exec, s[4:5]
.LBB20_175:
	buffer_load_dword v44, off, s[0:3], 0 offset:8
	buffer_load_dword v45, off, s[0:3], 0 offset:12
	;; [unrolled: 1-line block ×40, first 2 shown]
	s_waitcnt vmcnt(40)
	global_store_dwordx2 v[2:3], v[0:1], off
	s_waitcnt vmcnt(39)
	global_store_dwordx2 v[4:5], v[44:45], off
	;; [unrolled: 2-line block ×21, first 2 shown]
	s_endpgm
	.section	.rodata,"a",@progbits
	.p2align	6, 0x0
	.amdhsa_kernel _ZN9rocsolver6v33100L18getri_kernel_smallILi21EdPdEEvT1_iilPiilS4_bb
		.amdhsa_group_segment_fixed_size 344
		.amdhsa_private_segment_fixed_size 176
		.amdhsa_kernarg_size 60
		.amdhsa_user_sgpr_count 8
		.amdhsa_user_sgpr_private_segment_buffer 1
		.amdhsa_user_sgpr_dispatch_ptr 0
		.amdhsa_user_sgpr_queue_ptr 0
		.amdhsa_user_sgpr_kernarg_segment_ptr 1
		.amdhsa_user_sgpr_dispatch_id 0
		.amdhsa_user_sgpr_flat_scratch_init 1
		.amdhsa_user_sgpr_kernarg_preload_length 0
		.amdhsa_user_sgpr_kernarg_preload_offset 0
		.amdhsa_user_sgpr_private_segment_size 0
		.amdhsa_uses_dynamic_stack 0
		.amdhsa_system_sgpr_private_segment_wavefront_offset 1
		.amdhsa_system_sgpr_workgroup_id_x 1
		.amdhsa_system_sgpr_workgroup_id_y 0
		.amdhsa_system_sgpr_workgroup_id_z 0
		.amdhsa_system_sgpr_workgroup_info 0
		.amdhsa_system_vgpr_workitem_id 0
		.amdhsa_next_free_vgpr 126
		.amdhsa_next_free_sgpr 23
		.amdhsa_accum_offset 128
		.amdhsa_reserve_vcc 1
		.amdhsa_reserve_flat_scratch 1
		.amdhsa_float_round_mode_32 0
		.amdhsa_float_round_mode_16_64 0
		.amdhsa_float_denorm_mode_32 3
		.amdhsa_float_denorm_mode_16_64 3
		.amdhsa_dx10_clamp 1
		.amdhsa_ieee_mode 1
		.amdhsa_fp16_overflow 0
		.amdhsa_tg_split 0
		.amdhsa_exception_fp_ieee_invalid_op 0
		.amdhsa_exception_fp_denorm_src 0
		.amdhsa_exception_fp_ieee_div_zero 0
		.amdhsa_exception_fp_ieee_overflow 0
		.amdhsa_exception_fp_ieee_underflow 0
		.amdhsa_exception_fp_ieee_inexact 0
		.amdhsa_exception_int_div_zero 0
	.end_amdhsa_kernel
	.section	.text._ZN9rocsolver6v33100L18getri_kernel_smallILi21EdPdEEvT1_iilPiilS4_bb,"axG",@progbits,_ZN9rocsolver6v33100L18getri_kernel_smallILi21EdPdEEvT1_iilPiilS4_bb,comdat
.Lfunc_end20:
	.size	_ZN9rocsolver6v33100L18getri_kernel_smallILi21EdPdEEvT1_iilPiilS4_bb, .Lfunc_end20-_ZN9rocsolver6v33100L18getri_kernel_smallILi21EdPdEEvT1_iilPiilS4_bb
                                        ; -- End function
	.section	.AMDGPU.csdata,"",@progbits
; Kernel info:
; codeLenInByte = 17012
; NumSgprs: 29
; NumVgprs: 126
; NumAgprs: 0
; TotalNumVgprs: 126
; ScratchSize: 176
; MemoryBound: 0
; FloatMode: 240
; IeeeMode: 1
; LDSByteSize: 344 bytes/workgroup (compile time only)
; SGPRBlocks: 3
; VGPRBlocks: 15
; NumSGPRsForWavesPerEU: 29
; NumVGPRsForWavesPerEU: 126
; AccumOffset: 128
; Occupancy: 4
; WaveLimiterHint : 1
; COMPUTE_PGM_RSRC2:SCRATCH_EN: 1
; COMPUTE_PGM_RSRC2:USER_SGPR: 8
; COMPUTE_PGM_RSRC2:TRAP_HANDLER: 0
; COMPUTE_PGM_RSRC2:TGID_X_EN: 1
; COMPUTE_PGM_RSRC2:TGID_Y_EN: 0
; COMPUTE_PGM_RSRC2:TGID_Z_EN: 0
; COMPUTE_PGM_RSRC2:TIDIG_COMP_CNT: 0
; COMPUTE_PGM_RSRC3_GFX90A:ACCUM_OFFSET: 31
; COMPUTE_PGM_RSRC3_GFX90A:TG_SPLIT: 0
	.section	.text._ZN9rocsolver6v33100L18getri_kernel_smallILi22EdPdEEvT1_iilPiilS4_bb,"axG",@progbits,_ZN9rocsolver6v33100L18getri_kernel_smallILi22EdPdEEvT1_iilPiilS4_bb,comdat
	.globl	_ZN9rocsolver6v33100L18getri_kernel_smallILi22EdPdEEvT1_iilPiilS4_bb ; -- Begin function _ZN9rocsolver6v33100L18getri_kernel_smallILi22EdPdEEvT1_iilPiilS4_bb
	.p2align	8
	.type	_ZN9rocsolver6v33100L18getri_kernel_smallILi22EdPdEEvT1_iilPiilS4_bb,@function
_ZN9rocsolver6v33100L18getri_kernel_smallILi22EdPdEEvT1_iilPiilS4_bb: ; @_ZN9rocsolver6v33100L18getri_kernel_smallILi22EdPdEEvT1_iilPiilS4_bb
; %bb.0:
	s_add_u32 flat_scratch_lo, s6, s9
	s_addc_u32 flat_scratch_hi, s7, 0
	s_add_u32 s0, s0, s9
	s_addc_u32 s1, s1, 0
	v_cmp_gt_u32_e32 vcc, 22, v0
	s_and_saveexec_b64 s[6:7], vcc
	s_cbranch_execz .LBB21_96
; %bb.1:
	s_load_dword s22, s[4:5], 0x38
	s_load_dwordx4 s[16:19], s[4:5], 0x10
	s_load_dwordx4 s[12:15], s[4:5], 0x28
                                        ; implicit-def: $sgpr10_sgpr11
	s_waitcnt lgkmcnt(0)
	s_bitcmp1_b32 s22, 8
	s_cselect_b64 s[20:21], -1, 0
	s_ashr_i32 s9, s8, 31
	s_bfe_u32 s6, s22, 0x10008
	s_cmp_eq_u32 s6, 0
	s_cbranch_scc1 .LBB21_3
; %bb.2:
	s_load_dword s6, s[4:5], 0x20
	s_mul_i32 s7, s8, s13
	s_mul_hi_u32 s10, s8, s12
	s_mul_i32 s11, s9, s12
	s_add_i32 s10, s10, s7
	s_add_i32 s11, s10, s11
	s_mul_i32 s10, s8, s12
	s_waitcnt lgkmcnt(0)
	s_ashr_i32 s7, s6, 31
	s_lshl_b64 s[10:11], s[10:11], 2
	s_add_u32 s10, s18, s10
	s_addc_u32 s11, s19, s11
	s_lshl_b64 s[6:7], s[6:7], 2
	s_add_u32 s10, s10, s6
	s_addc_u32 s11, s11, s7
.LBB21_3:
	s_load_dwordx4 s[4:7], s[4:5], 0x0
	s_mul_i32 s12, s8, s17
	s_mul_hi_u32 s13, s8, s16
	s_add_i32 s17, s13, s12
	v_lshlrev_b32_e32 v1, 3, v0
	s_waitcnt lgkmcnt(0)
	s_ashr_i32 s13, s6, 31
	s_mov_b32 s12, s6
	s_mul_i32 s6, s9, s16
	s_add_i32 s17, s17, s6
	s_mul_i32 s16, s8, s16
	s_lshl_b64 s[16:17], s[16:17], 3
	s_add_u32 s6, s4, s16
	s_addc_u32 s16, s5, s17
	s_lshl_b64 s[4:5], s[12:13], 3
	s_add_u32 s4, s6, s4
	s_addc_u32 s5, s16, s5
	v_mov_b32_e32 v3, s5
	v_add_co_u32_e32 v2, vcc, s4, v1
	s_ashr_i32 s13, s7, 31
	s_mov_b32 s12, s7
	s_add_i32 s6, s7, s7
	v_addc_co_u32_e32 v3, vcc, 0, v3, vcc
	s_lshl_b64 s[12:13], s[12:13], 3
	v_add_u32_e32 v8, s6, v0
	v_mov_b32_e32 v5, s13
	v_add_co_u32_e32 v4, vcc, s12, v2
	v_ashrrev_i32_e32 v9, 31, v8
	v_addc_co_u32_e32 v5, vcc, v3, v5, vcc
	v_lshlrev_b64 v[6:7], 3, v[8:9]
	v_add_u32_e32 v10, s7, v8
	v_mov_b32_e32 v9, s5
	v_add_co_u32_e32 v6, vcc, s4, v6
	v_ashrrev_i32_e32 v11, 31, v10
	v_addc_co_u32_e32 v7, vcc, v9, v7, vcc
	v_lshlrev_b64 v[8:9], 3, v[10:11]
	v_add_u32_e32 v12, s7, v10
	v_mov_b32_e32 v11, s5
	v_add_co_u32_e32 v8, vcc, s4, v8
	v_ashrrev_i32_e32 v13, 31, v12
	v_addc_co_u32_e32 v9, vcc, v11, v9, vcc
	v_lshlrev_b64 v[10:11], 3, v[12:13]
	v_add_u32_e32 v14, s7, v12
	v_mov_b32_e32 v13, s5
	v_add_co_u32_e32 v10, vcc, s4, v10
	v_ashrrev_i32_e32 v15, 31, v14
	v_addc_co_u32_e32 v11, vcc, v13, v11, vcc
	v_lshlrev_b64 v[12:13], 3, v[14:15]
	v_add_u32_e32 v16, s7, v14
	v_mov_b32_e32 v15, s5
	v_add_co_u32_e32 v12, vcc, s4, v12
	v_ashrrev_i32_e32 v17, 31, v16
	v_addc_co_u32_e32 v13, vcc, v15, v13, vcc
	v_lshlrev_b64 v[14:15], 3, v[16:17]
	v_add_u32_e32 v18, s7, v16
	v_mov_b32_e32 v17, s5
	v_add_co_u32_e32 v14, vcc, s4, v14
	v_ashrrev_i32_e32 v19, 31, v18
	v_addc_co_u32_e32 v15, vcc, v17, v15, vcc
	v_lshlrev_b64 v[16:17], 3, v[18:19]
	v_mov_b32_e32 v19, s5
	v_add_co_u32_e32 v16, vcc, s4, v16
	v_add_u32_e32 v18, s7, v18
	v_addc_co_u32_e32 v17, vcc, v19, v17, vcc
	v_ashrrev_i32_e32 v19, 31, v18
	v_add_u32_e32 v20, s7, v18
	v_lshlrev_b64 v[18:19], 3, v[18:19]
	v_mov_b32_e32 v21, s5
	v_add_co_u32_e32 v18, vcc, s4, v18
	v_addc_co_u32_e32 v19, vcc, v21, v19, vcc
	v_ashrrev_i32_e32 v21, 31, v20
	v_add_u32_e32 v22, s7, v20
	v_lshlrev_b64 v[20:21], 3, v[20:21]
	v_mov_b32_e32 v23, s5
	v_add_co_u32_e32 v20, vcc, s4, v20
	;; [unrolled: 6-line block ×13, first 2 shown]
	global_load_dwordx2 v[46:47], v1, s[4:5]
	global_load_dwordx2 v[54:55], v[4:5], off
	global_load_dwordx2 v[50:51], v[6:7], off
	;; [unrolled: 1-line block ×16, first 2 shown]
	v_addc_co_u32_e32 v43, vcc, v80, v43, vcc
	global_load_dwordx2 v[80:81], v[36:37], off
	global_load_dwordx2 v[82:83], v[38:39], off
	;; [unrolled: 1-line block ×4, first 2 shown]
	v_ashrrev_i32_e32 v45, 31, v44
	v_lshlrev_b64 v[44:45], 3, v[44:45]
	v_mov_b32_e32 v88, s5
	v_add_co_u32_e32 v44, vcc, s4, v44
	v_addc_co_u32_e32 v45, vcc, v88, v45, vcc
	global_load_dwordx2 v[88:89], v[44:45], off
	s_bitcmp0_b32 s22, 0
	s_mov_b64 s[6:7], -1
	s_waitcnt vmcnt(21)
	buffer_store_dword v47, off, s[0:3], 0 offset:4
	buffer_store_dword v46, off, s[0:3], 0
	s_waitcnt vmcnt(22)
	buffer_store_dword v55, off, s[0:3], 0 offset:12
	buffer_store_dword v54, off, s[0:3], 0 offset:8
	s_waitcnt vmcnt(23)
	buffer_store_dword v51, off, s[0:3], 0 offset:20
	buffer_store_dword v50, off, s[0:3], 0 offset:16
	;; [unrolled: 3-line block ×21, first 2 shown]
	s_cbranch_scc1 .LBB21_94
; %bb.4:
	v_cmp_eq_u32_e64 s[4:5], 0, v0
	s_and_saveexec_b64 s[6:7], s[4:5]
	s_cbranch_execz .LBB21_6
; %bb.5:
	v_mov_b32_e32 v46, 0
	ds_write_b32 v46, v46 offset:352
.LBB21_6:
	s_or_b64 exec, exec, s[6:7]
	v_mov_b32_e32 v46, 0
	v_lshl_add_u32 v46, v0, 3, v46
	s_waitcnt lgkmcnt(0)
	; wave barrier
	s_waitcnt lgkmcnt(0)
	buffer_load_dword v48, v46, s[0:3], 0 offen
	buffer_load_dword v49, v46, s[0:3], 0 offen offset:4
	s_waitcnt vmcnt(0)
	v_cmp_eq_f64_e32 vcc, 0, v[48:49]
	s_and_saveexec_b64 s[12:13], vcc
	s_cbranch_execz .LBB21_10
; %bb.7:
	v_mov_b32_e32 v47, 0
	ds_read_b32 v49, v47 offset:352
	v_add_u32_e32 v48, 1, v0
	s_waitcnt lgkmcnt(0)
	v_readfirstlane_b32 s6, v49
	s_cmp_eq_u32 s6, 0
	s_cselect_b64 s[16:17], -1, 0
	v_cmp_gt_i32_e32 vcc, s6, v48
	s_or_b64 s[16:17], s[16:17], vcc
	s_and_b64 exec, exec, s[16:17]
	s_cbranch_execz .LBB21_10
; %bb.8:
	s_mov_b64 s[16:17], 0
	v_mov_b32_e32 v49, s6
.LBB21_9:                               ; =>This Inner Loop Header: Depth=1
	ds_cmpst_rtn_b32 v49, v47, v49, v48 offset:352
	s_waitcnt lgkmcnt(0)
	v_cmp_ne_u32_e32 vcc, 0, v49
	v_cmp_le_i32_e64 s[6:7], v49, v48
	s_and_b64 s[6:7], vcc, s[6:7]
	s_and_b64 s[6:7], exec, s[6:7]
	s_or_b64 s[16:17], s[6:7], s[16:17]
	s_andn2_b64 exec, exec, s[16:17]
	s_cbranch_execnz .LBB21_9
.LBB21_10:
	s_or_b64 exec, exec, s[12:13]
	v_mov_b32_e32 v48, 0
	s_waitcnt lgkmcnt(0)
	; wave barrier
	ds_read_b32 v47, v48 offset:352
	s_and_saveexec_b64 s[6:7], s[4:5]
	s_cbranch_execz .LBB21_12
; %bb.11:
	s_lshl_b64 s[12:13], s[8:9], 2
	s_add_u32 s12, s14, s12
	s_addc_u32 s13, s15, s13
	s_waitcnt lgkmcnt(0)
	global_store_dword v48, v47, s[12:13]
.LBB21_12:
	s_or_b64 exec, exec, s[6:7]
	s_waitcnt lgkmcnt(0)
	v_cmp_ne_u32_e32 vcc, 0, v47
	s_mov_b64 s[6:7], 0
	s_cbranch_vccnz .LBB21_94
; %bb.13:
	buffer_load_dword v48, v46, s[0:3], 0 offen
	buffer_load_dword v49, v46, s[0:3], 0 offen offset:4
	s_waitcnt vmcnt(0)
	v_div_scale_f64 v[50:51], s[6:7], v[48:49], v[48:49], 1.0
	v_rcp_f64_e32 v[52:53], v[50:51]
	v_div_scale_f64 v[54:55], vcc, 1.0, v[48:49], 1.0
	v_fma_f64 v[56:57], -v[50:51], v[52:53], 1.0
	v_fmac_f64_e32 v[52:53], v[52:53], v[56:57]
	v_fma_f64 v[56:57], -v[50:51], v[52:53], 1.0
	v_fmac_f64_e32 v[52:53], v[52:53], v[56:57]
	v_mul_f64 v[56:57], v[54:55], v[52:53]
	v_fma_f64 v[50:51], -v[50:51], v[56:57], v[54:55]
	v_div_fmas_f64 v[50:51], v[50:51], v[52:53], v[56:57]
	v_div_fixup_f64 v[50:51], v[50:51], v[48:49], 1.0
	buffer_store_dword v51, v46, s[0:3], 0 offen offset:4
	buffer_store_dword v50, v46, s[0:3], 0 offen
	buffer_load_dword v53, off, s[0:3], 0 offset:12
	buffer_load_dword v52, off, s[0:3], 0 offset:8
	v_add_u32_e32 v48, 0xb0, v1
	v_xor_b32_e32 v51, 0x80000000, v51
	s_waitcnt vmcnt(0)
	ds_write2_b64 v1, v[50:51], v[52:53] offset1:22
	s_waitcnt lgkmcnt(0)
	; wave barrier
	s_waitcnt lgkmcnt(0)
	s_and_saveexec_b64 s[6:7], s[4:5]
	s_cbranch_execz .LBB21_15
; %bb.14:
	buffer_load_dword v50, v46, s[0:3], 0 offen
	buffer_load_dword v51, v46, s[0:3], 0 offen offset:4
	v_mov_b32_e32 v47, 0
	ds_read_b64 v[52:53], v48
	ds_read_b64 v[54:55], v47 offset:8
	s_waitcnt vmcnt(0) lgkmcnt(1)
	v_fma_f64 v[50:51], v[50:51], v[52:53], 0
	s_waitcnt lgkmcnt(0)
	v_mul_f64 v[50:51], v[50:51], v[54:55]
	buffer_store_dword v50, off, s[0:3], 0 offset:8
	buffer_store_dword v51, off, s[0:3], 0 offset:12
.LBB21_15:
	s_or_b64 exec, exec, s[6:7]
	s_waitcnt lgkmcnt(0)
	; wave barrier
	buffer_load_dword v50, off, s[0:3], 0 offset:16
	buffer_load_dword v51, off, s[0:3], 0 offset:20
	v_cmp_gt_u32_e32 vcc, 2, v0
	s_waitcnt vmcnt(0)
	ds_write_b64 v48, v[50:51]
	s_waitcnt lgkmcnt(0)
	; wave barrier
	s_waitcnt lgkmcnt(0)
	s_and_saveexec_b64 s[6:7], vcc
	s_cbranch_execz .LBB21_17
; %bb.16:
	buffer_load_dword v47, v46, s[0:3], 0 offen offset:4
	buffer_load_dword v54, off, s[0:3], 0 offset:8
	s_nop 0
	buffer_load_dword v46, v46, s[0:3], 0 offen
	s_nop 0
	buffer_load_dword v55, off, s[0:3], 0 offset:12
	ds_read_b64 v[56:57], v48
	v_mov_b32_e32 v49, 0
	ds_read2_b64 v[50:53], v49 offset0:2 offset1:23
	s_waitcnt vmcnt(1) lgkmcnt(1)
	v_fma_f64 v[46:47], v[46:47], v[56:57], 0
	s_waitcnt vmcnt(0) lgkmcnt(0)
	v_fma_f64 v[52:53], v[54:55], v[52:53], v[46:47]
	v_cndmask_b32_e64 v47, v47, v53, s[4:5]
	v_cndmask_b32_e64 v46, v46, v52, s[4:5]
	v_mul_f64 v[46:47], v[46:47], v[50:51]
	buffer_store_dword v47, off, s[0:3], 0 offset:20
	buffer_store_dword v46, off, s[0:3], 0 offset:16
.LBB21_17:
	s_or_b64 exec, exec, s[6:7]
	s_waitcnt lgkmcnt(0)
	; wave barrier
	buffer_load_dword v46, off, s[0:3], 0 offset:24
	buffer_load_dword v47, off, s[0:3], 0 offset:28
	v_cmp_gt_u32_e32 vcc, 3, v0
	v_add_u32_e32 v49, -1, v0
	s_waitcnt vmcnt(0)
	ds_write_b64 v48, v[46:47]
	s_waitcnt lgkmcnt(0)
	; wave barrier
	s_waitcnt lgkmcnt(0)
	s_and_saveexec_b64 s[4:5], vcc
	s_cbranch_execz .LBB21_21
; %bb.18:
	v_add_u32_e32 v50, -1, v0
	v_add_u32_e32 v51, 0xb0, v1
	v_add_u32_e32 v52, 0, v1
	s_mov_b64 s[6:7], 0
	v_pk_mov_b32 v[46:47], 0, 0
.LBB21_19:                              ; =>This Inner Loop Header: Depth=1
	buffer_load_dword v54, v52, s[0:3], 0 offen
	buffer_load_dword v55, v52, s[0:3], 0 offen offset:4
	ds_read_b64 v[56:57], v51
	v_add_u32_e32 v50, 1, v50
	v_cmp_lt_u32_e32 vcc, 1, v50
	v_add_u32_e32 v51, 8, v51
	v_add_u32_e32 v52, 8, v52
	s_or_b64 s[6:7], vcc, s[6:7]
	s_waitcnt vmcnt(0) lgkmcnt(0)
	v_fmac_f64_e32 v[46:47], v[54:55], v[56:57]
	s_andn2_b64 exec, exec, s[6:7]
	s_cbranch_execnz .LBB21_19
; %bb.20:
	s_or_b64 exec, exec, s[6:7]
	v_mov_b32_e32 v50, 0
	ds_read_b64 v[50:51], v50 offset:24
	s_waitcnt lgkmcnt(0)
	v_mul_f64 v[46:47], v[46:47], v[50:51]
	buffer_store_dword v47, off, s[0:3], 0 offset:28
	buffer_store_dword v46, off, s[0:3], 0 offset:24
.LBB21_21:
	s_or_b64 exec, exec, s[4:5]
	s_waitcnt lgkmcnt(0)
	; wave barrier
	buffer_load_dword v46, off, s[0:3], 0 offset:32
	buffer_load_dword v47, off, s[0:3], 0 offset:36
	v_cmp_gt_u32_e32 vcc, 4, v0
	s_waitcnt vmcnt(0)
	ds_write_b64 v48, v[46:47]
	s_waitcnt lgkmcnt(0)
	; wave barrier
	s_waitcnt lgkmcnt(0)
	s_and_saveexec_b64 s[4:5], vcc
	s_cbranch_execz .LBB21_25
; %bb.22:
	v_add_u32_e32 v50, -1, v0
	v_add_u32_e32 v51, 0xb0, v1
	v_add_u32_e32 v52, 0, v1
	s_mov_b64 s[6:7], 0
	v_pk_mov_b32 v[46:47], 0, 0
.LBB21_23:                              ; =>This Inner Loop Header: Depth=1
	buffer_load_dword v54, v52, s[0:3], 0 offen
	buffer_load_dword v55, v52, s[0:3], 0 offen offset:4
	ds_read_b64 v[56:57], v51
	v_add_u32_e32 v50, 1, v50
	v_cmp_lt_u32_e32 vcc, 2, v50
	v_add_u32_e32 v51, 8, v51
	v_add_u32_e32 v52, 8, v52
	s_or_b64 s[6:7], vcc, s[6:7]
	s_waitcnt vmcnt(0) lgkmcnt(0)
	v_fmac_f64_e32 v[46:47], v[54:55], v[56:57]
	s_andn2_b64 exec, exec, s[6:7]
	s_cbranch_execnz .LBB21_23
; %bb.24:
	s_or_b64 exec, exec, s[6:7]
	v_mov_b32_e32 v50, 0
	ds_read_b64 v[50:51], v50 offset:32
	s_waitcnt lgkmcnt(0)
	v_mul_f64 v[46:47], v[46:47], v[50:51]
	buffer_store_dword v47, off, s[0:3], 0 offset:36
	buffer_store_dword v46, off, s[0:3], 0 offset:32
.LBB21_25:
	s_or_b64 exec, exec, s[4:5]
	s_waitcnt lgkmcnt(0)
	; wave barrier
	buffer_load_dword v46, off, s[0:3], 0 offset:40
	buffer_load_dword v47, off, s[0:3], 0 offset:44
	v_cmp_gt_u32_e32 vcc, 5, v0
	s_waitcnt vmcnt(0)
	ds_write_b64 v48, v[46:47]
	s_waitcnt lgkmcnt(0)
	; wave barrier
	s_waitcnt lgkmcnt(0)
	s_and_saveexec_b64 s[4:5], vcc
	s_cbranch_execz .LBB21_29
; %bb.26:
	v_add_u32_e32 v50, -1, v0
	v_add_u32_e32 v51, 0xb0, v1
	v_add_u32_e32 v52, 0, v1
	s_mov_b64 s[6:7], 0
	v_pk_mov_b32 v[46:47], 0, 0
.LBB21_27:                              ; =>This Inner Loop Header: Depth=1
	buffer_load_dword v54, v52, s[0:3], 0 offen
	buffer_load_dword v55, v52, s[0:3], 0 offen offset:4
	ds_read_b64 v[56:57], v51
	v_add_u32_e32 v50, 1, v50
	v_cmp_lt_u32_e32 vcc, 3, v50
	v_add_u32_e32 v51, 8, v51
	v_add_u32_e32 v52, 8, v52
	s_or_b64 s[6:7], vcc, s[6:7]
	s_waitcnt vmcnt(0) lgkmcnt(0)
	v_fmac_f64_e32 v[46:47], v[54:55], v[56:57]
	s_andn2_b64 exec, exec, s[6:7]
	s_cbranch_execnz .LBB21_27
; %bb.28:
	s_or_b64 exec, exec, s[6:7]
	v_mov_b32_e32 v50, 0
	ds_read_b64 v[50:51], v50 offset:40
	s_waitcnt lgkmcnt(0)
	v_mul_f64 v[46:47], v[46:47], v[50:51]
	buffer_store_dword v47, off, s[0:3], 0 offset:44
	buffer_store_dword v46, off, s[0:3], 0 offset:40
.LBB21_29:
	s_or_b64 exec, exec, s[4:5]
	s_waitcnt lgkmcnt(0)
	; wave barrier
	buffer_load_dword v46, off, s[0:3], 0 offset:48
	buffer_load_dword v47, off, s[0:3], 0 offset:52
	v_cmp_gt_u32_e32 vcc, 6, v0
	s_waitcnt vmcnt(0)
	ds_write_b64 v48, v[46:47]
	s_waitcnt lgkmcnt(0)
	; wave barrier
	s_waitcnt lgkmcnt(0)
	s_and_saveexec_b64 s[4:5], vcc
	s_cbranch_execz .LBB21_33
; %bb.30:
	v_add_u32_e32 v50, -1, v0
	v_add_u32_e32 v51, 0xb0, v1
	v_add_u32_e32 v52, 0, v1
	s_mov_b64 s[6:7], 0
	v_pk_mov_b32 v[46:47], 0, 0
.LBB21_31:                              ; =>This Inner Loop Header: Depth=1
	buffer_load_dword v54, v52, s[0:3], 0 offen
	buffer_load_dword v55, v52, s[0:3], 0 offen offset:4
	ds_read_b64 v[56:57], v51
	v_add_u32_e32 v50, 1, v50
	v_cmp_lt_u32_e32 vcc, 4, v50
	v_add_u32_e32 v51, 8, v51
	v_add_u32_e32 v52, 8, v52
	s_or_b64 s[6:7], vcc, s[6:7]
	s_waitcnt vmcnt(0) lgkmcnt(0)
	v_fmac_f64_e32 v[46:47], v[54:55], v[56:57]
	s_andn2_b64 exec, exec, s[6:7]
	s_cbranch_execnz .LBB21_31
; %bb.32:
	s_or_b64 exec, exec, s[6:7]
	v_mov_b32_e32 v50, 0
	ds_read_b64 v[50:51], v50 offset:48
	s_waitcnt lgkmcnt(0)
	v_mul_f64 v[46:47], v[46:47], v[50:51]
	buffer_store_dword v47, off, s[0:3], 0 offset:52
	buffer_store_dword v46, off, s[0:3], 0 offset:48
.LBB21_33:
	s_or_b64 exec, exec, s[4:5]
	s_waitcnt lgkmcnt(0)
	; wave barrier
	buffer_load_dword v46, off, s[0:3], 0 offset:56
	buffer_load_dword v47, off, s[0:3], 0 offset:60
	v_cmp_gt_u32_e32 vcc, 7, v0
	s_waitcnt vmcnt(0)
	ds_write_b64 v48, v[46:47]
	s_waitcnt lgkmcnt(0)
	; wave barrier
	s_waitcnt lgkmcnt(0)
	s_and_saveexec_b64 s[4:5], vcc
	s_cbranch_execz .LBB21_37
; %bb.34:
	v_add_u32_e32 v50, -1, v0
	v_add_u32_e32 v51, 0xb0, v1
	v_add_u32_e32 v52, 0, v1
	s_mov_b64 s[6:7], 0
	v_pk_mov_b32 v[46:47], 0, 0
.LBB21_35:                              ; =>This Inner Loop Header: Depth=1
	buffer_load_dword v54, v52, s[0:3], 0 offen
	buffer_load_dword v55, v52, s[0:3], 0 offen offset:4
	ds_read_b64 v[56:57], v51
	v_add_u32_e32 v50, 1, v50
	v_cmp_lt_u32_e32 vcc, 5, v50
	v_add_u32_e32 v51, 8, v51
	v_add_u32_e32 v52, 8, v52
	s_or_b64 s[6:7], vcc, s[6:7]
	s_waitcnt vmcnt(0) lgkmcnt(0)
	v_fmac_f64_e32 v[46:47], v[54:55], v[56:57]
	s_andn2_b64 exec, exec, s[6:7]
	s_cbranch_execnz .LBB21_35
; %bb.36:
	s_or_b64 exec, exec, s[6:7]
	v_mov_b32_e32 v50, 0
	ds_read_b64 v[50:51], v50 offset:56
	s_waitcnt lgkmcnt(0)
	v_mul_f64 v[46:47], v[46:47], v[50:51]
	buffer_store_dword v47, off, s[0:3], 0 offset:60
	buffer_store_dword v46, off, s[0:3], 0 offset:56
.LBB21_37:
	s_or_b64 exec, exec, s[4:5]
	s_waitcnt lgkmcnt(0)
	; wave barrier
	buffer_load_dword v46, off, s[0:3], 0 offset:64
	buffer_load_dword v47, off, s[0:3], 0 offset:68
	v_cmp_gt_u32_e32 vcc, 8, v0
	s_waitcnt vmcnt(0)
	ds_write_b64 v48, v[46:47]
	s_waitcnt lgkmcnt(0)
	; wave barrier
	s_waitcnt lgkmcnt(0)
	s_and_saveexec_b64 s[4:5], vcc
	s_cbranch_execz .LBB21_41
; %bb.38:
	v_add_u32_e32 v50, -1, v0
	v_add_u32_e32 v51, 0xb0, v1
	v_add_u32_e32 v52, 0, v1
	s_mov_b64 s[6:7], 0
	v_pk_mov_b32 v[46:47], 0, 0
.LBB21_39:                              ; =>This Inner Loop Header: Depth=1
	buffer_load_dword v54, v52, s[0:3], 0 offen
	buffer_load_dword v55, v52, s[0:3], 0 offen offset:4
	ds_read_b64 v[56:57], v51
	v_add_u32_e32 v50, 1, v50
	v_cmp_lt_u32_e32 vcc, 6, v50
	v_add_u32_e32 v51, 8, v51
	v_add_u32_e32 v52, 8, v52
	s_or_b64 s[6:7], vcc, s[6:7]
	s_waitcnt vmcnt(0) lgkmcnt(0)
	v_fmac_f64_e32 v[46:47], v[54:55], v[56:57]
	s_andn2_b64 exec, exec, s[6:7]
	s_cbranch_execnz .LBB21_39
; %bb.40:
	s_or_b64 exec, exec, s[6:7]
	v_mov_b32_e32 v50, 0
	ds_read_b64 v[50:51], v50 offset:64
	s_waitcnt lgkmcnt(0)
	v_mul_f64 v[46:47], v[46:47], v[50:51]
	buffer_store_dword v47, off, s[0:3], 0 offset:68
	buffer_store_dword v46, off, s[0:3], 0 offset:64
.LBB21_41:
	s_or_b64 exec, exec, s[4:5]
	s_waitcnt lgkmcnt(0)
	; wave barrier
	buffer_load_dword v46, off, s[0:3], 0 offset:72
	buffer_load_dword v47, off, s[0:3], 0 offset:76
	v_cmp_gt_u32_e32 vcc, 9, v0
	s_waitcnt vmcnt(0)
	ds_write_b64 v48, v[46:47]
	s_waitcnt lgkmcnt(0)
	; wave barrier
	s_waitcnt lgkmcnt(0)
	s_and_saveexec_b64 s[4:5], vcc
	s_cbranch_execz .LBB21_45
; %bb.42:
	v_add_u32_e32 v50, -1, v0
	v_add_u32_e32 v51, 0xb0, v1
	v_add_u32_e32 v52, 0, v1
	s_mov_b64 s[6:7], 0
	v_pk_mov_b32 v[46:47], 0, 0
.LBB21_43:                              ; =>This Inner Loop Header: Depth=1
	buffer_load_dword v54, v52, s[0:3], 0 offen
	buffer_load_dword v55, v52, s[0:3], 0 offen offset:4
	ds_read_b64 v[56:57], v51
	v_add_u32_e32 v50, 1, v50
	v_cmp_lt_u32_e32 vcc, 7, v50
	v_add_u32_e32 v51, 8, v51
	v_add_u32_e32 v52, 8, v52
	s_or_b64 s[6:7], vcc, s[6:7]
	s_waitcnt vmcnt(0) lgkmcnt(0)
	v_fmac_f64_e32 v[46:47], v[54:55], v[56:57]
	s_andn2_b64 exec, exec, s[6:7]
	s_cbranch_execnz .LBB21_43
; %bb.44:
	s_or_b64 exec, exec, s[6:7]
	v_mov_b32_e32 v50, 0
	ds_read_b64 v[50:51], v50 offset:72
	s_waitcnt lgkmcnt(0)
	v_mul_f64 v[46:47], v[46:47], v[50:51]
	buffer_store_dword v47, off, s[0:3], 0 offset:76
	buffer_store_dword v46, off, s[0:3], 0 offset:72
.LBB21_45:
	s_or_b64 exec, exec, s[4:5]
	s_waitcnt lgkmcnt(0)
	; wave barrier
	buffer_load_dword v46, off, s[0:3], 0 offset:80
	buffer_load_dword v47, off, s[0:3], 0 offset:84
	v_cmp_gt_u32_e32 vcc, 10, v0
	s_waitcnt vmcnt(0)
	ds_write_b64 v48, v[46:47]
	s_waitcnt lgkmcnt(0)
	; wave barrier
	s_waitcnt lgkmcnt(0)
	s_and_saveexec_b64 s[4:5], vcc
	s_cbranch_execz .LBB21_49
; %bb.46:
	v_add_u32_e32 v50, -1, v0
	v_add_u32_e32 v51, 0xb0, v1
	v_add_u32_e32 v52, 0, v1
	s_mov_b64 s[6:7], 0
	v_pk_mov_b32 v[46:47], 0, 0
.LBB21_47:                              ; =>This Inner Loop Header: Depth=1
	buffer_load_dword v54, v52, s[0:3], 0 offen
	buffer_load_dword v55, v52, s[0:3], 0 offen offset:4
	ds_read_b64 v[56:57], v51
	v_add_u32_e32 v50, 1, v50
	v_cmp_lt_u32_e32 vcc, 8, v50
	v_add_u32_e32 v51, 8, v51
	v_add_u32_e32 v52, 8, v52
	s_or_b64 s[6:7], vcc, s[6:7]
	s_waitcnt vmcnt(0) lgkmcnt(0)
	v_fmac_f64_e32 v[46:47], v[54:55], v[56:57]
	s_andn2_b64 exec, exec, s[6:7]
	s_cbranch_execnz .LBB21_47
; %bb.48:
	s_or_b64 exec, exec, s[6:7]
	v_mov_b32_e32 v50, 0
	ds_read_b64 v[50:51], v50 offset:80
	s_waitcnt lgkmcnt(0)
	v_mul_f64 v[46:47], v[46:47], v[50:51]
	buffer_store_dword v47, off, s[0:3], 0 offset:84
	buffer_store_dword v46, off, s[0:3], 0 offset:80
.LBB21_49:
	s_or_b64 exec, exec, s[4:5]
	s_waitcnt lgkmcnt(0)
	; wave barrier
	buffer_load_dword v46, off, s[0:3], 0 offset:88
	buffer_load_dword v47, off, s[0:3], 0 offset:92
	v_cmp_gt_u32_e32 vcc, 11, v0
	s_waitcnt vmcnt(0)
	ds_write_b64 v48, v[46:47]
	s_waitcnt lgkmcnt(0)
	; wave barrier
	s_waitcnt lgkmcnt(0)
	s_and_saveexec_b64 s[4:5], vcc
	s_cbranch_execz .LBB21_53
; %bb.50:
	v_add_u32_e32 v50, -1, v0
	v_add_u32_e32 v51, 0xb0, v1
	v_add_u32_e32 v52, 0, v1
	s_mov_b64 s[6:7], 0
	v_pk_mov_b32 v[46:47], 0, 0
.LBB21_51:                              ; =>This Inner Loop Header: Depth=1
	buffer_load_dword v54, v52, s[0:3], 0 offen
	buffer_load_dword v55, v52, s[0:3], 0 offen offset:4
	ds_read_b64 v[56:57], v51
	v_add_u32_e32 v50, 1, v50
	v_cmp_lt_u32_e32 vcc, 9, v50
	v_add_u32_e32 v51, 8, v51
	v_add_u32_e32 v52, 8, v52
	s_or_b64 s[6:7], vcc, s[6:7]
	s_waitcnt vmcnt(0) lgkmcnt(0)
	v_fmac_f64_e32 v[46:47], v[54:55], v[56:57]
	s_andn2_b64 exec, exec, s[6:7]
	s_cbranch_execnz .LBB21_51
; %bb.52:
	s_or_b64 exec, exec, s[6:7]
	v_mov_b32_e32 v50, 0
	ds_read_b64 v[50:51], v50 offset:88
	s_waitcnt lgkmcnt(0)
	v_mul_f64 v[46:47], v[46:47], v[50:51]
	buffer_store_dword v47, off, s[0:3], 0 offset:92
	buffer_store_dword v46, off, s[0:3], 0 offset:88
.LBB21_53:
	s_or_b64 exec, exec, s[4:5]
	s_waitcnt lgkmcnt(0)
	; wave barrier
	buffer_load_dword v46, off, s[0:3], 0 offset:96
	buffer_load_dword v47, off, s[0:3], 0 offset:100
	v_cmp_gt_u32_e32 vcc, 12, v0
	s_waitcnt vmcnt(0)
	ds_write_b64 v48, v[46:47]
	s_waitcnt lgkmcnt(0)
	; wave barrier
	s_waitcnt lgkmcnt(0)
	s_and_saveexec_b64 s[4:5], vcc
	s_cbranch_execz .LBB21_57
; %bb.54:
	v_add_u32_e32 v50, -1, v0
	v_add_u32_e32 v51, 0xb0, v1
	v_add_u32_e32 v52, 0, v1
	s_mov_b64 s[6:7], 0
	v_pk_mov_b32 v[46:47], 0, 0
.LBB21_55:                              ; =>This Inner Loop Header: Depth=1
	buffer_load_dword v54, v52, s[0:3], 0 offen
	buffer_load_dword v55, v52, s[0:3], 0 offen offset:4
	ds_read_b64 v[56:57], v51
	v_add_u32_e32 v50, 1, v50
	v_cmp_lt_u32_e32 vcc, 10, v50
	v_add_u32_e32 v51, 8, v51
	v_add_u32_e32 v52, 8, v52
	s_or_b64 s[6:7], vcc, s[6:7]
	s_waitcnt vmcnt(0) lgkmcnt(0)
	v_fmac_f64_e32 v[46:47], v[54:55], v[56:57]
	s_andn2_b64 exec, exec, s[6:7]
	s_cbranch_execnz .LBB21_55
; %bb.56:
	s_or_b64 exec, exec, s[6:7]
	v_mov_b32_e32 v50, 0
	ds_read_b64 v[50:51], v50 offset:96
	s_waitcnt lgkmcnt(0)
	v_mul_f64 v[46:47], v[46:47], v[50:51]
	buffer_store_dword v47, off, s[0:3], 0 offset:100
	buffer_store_dword v46, off, s[0:3], 0 offset:96
.LBB21_57:
	s_or_b64 exec, exec, s[4:5]
	s_waitcnt lgkmcnt(0)
	; wave barrier
	buffer_load_dword v46, off, s[0:3], 0 offset:104
	buffer_load_dword v47, off, s[0:3], 0 offset:108
	v_cmp_gt_u32_e32 vcc, 13, v0
	s_waitcnt vmcnt(0)
	ds_write_b64 v48, v[46:47]
	s_waitcnt lgkmcnt(0)
	; wave barrier
	s_waitcnt lgkmcnt(0)
	s_and_saveexec_b64 s[4:5], vcc
	s_cbranch_execz .LBB21_61
; %bb.58:
	v_add_u32_e32 v50, -1, v0
	v_add_u32_e32 v51, 0xb0, v1
	v_add_u32_e32 v52, 0, v1
	s_mov_b64 s[6:7], 0
	v_pk_mov_b32 v[46:47], 0, 0
.LBB21_59:                              ; =>This Inner Loop Header: Depth=1
	buffer_load_dword v54, v52, s[0:3], 0 offen
	buffer_load_dword v55, v52, s[0:3], 0 offen offset:4
	ds_read_b64 v[56:57], v51
	v_add_u32_e32 v50, 1, v50
	v_cmp_lt_u32_e32 vcc, 11, v50
	v_add_u32_e32 v51, 8, v51
	v_add_u32_e32 v52, 8, v52
	s_or_b64 s[6:7], vcc, s[6:7]
	s_waitcnt vmcnt(0) lgkmcnt(0)
	v_fmac_f64_e32 v[46:47], v[54:55], v[56:57]
	s_andn2_b64 exec, exec, s[6:7]
	s_cbranch_execnz .LBB21_59
; %bb.60:
	s_or_b64 exec, exec, s[6:7]
	v_mov_b32_e32 v50, 0
	ds_read_b64 v[50:51], v50 offset:104
	s_waitcnt lgkmcnt(0)
	v_mul_f64 v[46:47], v[46:47], v[50:51]
	buffer_store_dword v47, off, s[0:3], 0 offset:108
	buffer_store_dword v46, off, s[0:3], 0 offset:104
.LBB21_61:
	s_or_b64 exec, exec, s[4:5]
	s_waitcnt lgkmcnt(0)
	; wave barrier
	buffer_load_dword v46, off, s[0:3], 0 offset:112
	buffer_load_dword v47, off, s[0:3], 0 offset:116
	v_cmp_gt_u32_e32 vcc, 14, v0
	s_waitcnt vmcnt(0)
	ds_write_b64 v48, v[46:47]
	s_waitcnt lgkmcnt(0)
	; wave barrier
	s_waitcnt lgkmcnt(0)
	s_and_saveexec_b64 s[4:5], vcc
	s_cbranch_execz .LBB21_65
; %bb.62:
	v_add_u32_e32 v50, -1, v0
	v_add_u32_e32 v51, 0xb0, v1
	v_add_u32_e32 v52, 0, v1
	s_mov_b64 s[6:7], 0
	v_pk_mov_b32 v[46:47], 0, 0
.LBB21_63:                              ; =>This Inner Loop Header: Depth=1
	buffer_load_dword v54, v52, s[0:3], 0 offen
	buffer_load_dword v55, v52, s[0:3], 0 offen offset:4
	ds_read_b64 v[56:57], v51
	v_add_u32_e32 v50, 1, v50
	v_cmp_lt_u32_e32 vcc, 12, v50
	v_add_u32_e32 v51, 8, v51
	v_add_u32_e32 v52, 8, v52
	s_or_b64 s[6:7], vcc, s[6:7]
	s_waitcnt vmcnt(0) lgkmcnt(0)
	v_fmac_f64_e32 v[46:47], v[54:55], v[56:57]
	s_andn2_b64 exec, exec, s[6:7]
	s_cbranch_execnz .LBB21_63
; %bb.64:
	s_or_b64 exec, exec, s[6:7]
	v_mov_b32_e32 v50, 0
	ds_read_b64 v[50:51], v50 offset:112
	s_waitcnt lgkmcnt(0)
	v_mul_f64 v[46:47], v[46:47], v[50:51]
	buffer_store_dword v47, off, s[0:3], 0 offset:116
	buffer_store_dword v46, off, s[0:3], 0 offset:112
.LBB21_65:
	s_or_b64 exec, exec, s[4:5]
	s_waitcnt lgkmcnt(0)
	; wave barrier
	buffer_load_dword v46, off, s[0:3], 0 offset:120
	buffer_load_dword v47, off, s[0:3], 0 offset:124
	v_cmp_gt_u32_e32 vcc, 15, v0
	s_waitcnt vmcnt(0)
	ds_write_b64 v48, v[46:47]
	s_waitcnt lgkmcnt(0)
	; wave barrier
	s_waitcnt lgkmcnt(0)
	s_and_saveexec_b64 s[4:5], vcc
	s_cbranch_execz .LBB21_69
; %bb.66:
	v_add_u32_e32 v50, -1, v0
	v_add_u32_e32 v51, 0xb0, v1
	v_add_u32_e32 v52, 0, v1
	s_mov_b64 s[6:7], 0
	v_pk_mov_b32 v[46:47], 0, 0
.LBB21_67:                              ; =>This Inner Loop Header: Depth=1
	buffer_load_dword v54, v52, s[0:3], 0 offen
	buffer_load_dword v55, v52, s[0:3], 0 offen offset:4
	ds_read_b64 v[56:57], v51
	v_add_u32_e32 v50, 1, v50
	v_cmp_lt_u32_e32 vcc, 13, v50
	v_add_u32_e32 v51, 8, v51
	v_add_u32_e32 v52, 8, v52
	s_or_b64 s[6:7], vcc, s[6:7]
	s_waitcnt vmcnt(0) lgkmcnt(0)
	v_fmac_f64_e32 v[46:47], v[54:55], v[56:57]
	s_andn2_b64 exec, exec, s[6:7]
	s_cbranch_execnz .LBB21_67
; %bb.68:
	s_or_b64 exec, exec, s[6:7]
	v_mov_b32_e32 v50, 0
	ds_read_b64 v[50:51], v50 offset:120
	s_waitcnt lgkmcnt(0)
	v_mul_f64 v[46:47], v[46:47], v[50:51]
	buffer_store_dword v47, off, s[0:3], 0 offset:124
	buffer_store_dword v46, off, s[0:3], 0 offset:120
.LBB21_69:
	s_or_b64 exec, exec, s[4:5]
	s_waitcnt lgkmcnt(0)
	; wave barrier
	buffer_load_dword v46, off, s[0:3], 0 offset:128
	buffer_load_dword v47, off, s[0:3], 0 offset:132
	v_cmp_gt_u32_e32 vcc, 16, v0
	s_waitcnt vmcnt(0)
	ds_write_b64 v48, v[46:47]
	s_waitcnt lgkmcnt(0)
	; wave barrier
	s_waitcnt lgkmcnt(0)
	s_and_saveexec_b64 s[4:5], vcc
	s_cbranch_execz .LBB21_73
; %bb.70:
	v_add_u32_e32 v50, -1, v0
	v_add_u32_e32 v51, 0xb0, v1
	v_add_u32_e32 v52, 0, v1
	s_mov_b64 s[6:7], 0
	v_pk_mov_b32 v[46:47], 0, 0
.LBB21_71:                              ; =>This Inner Loop Header: Depth=1
	buffer_load_dword v54, v52, s[0:3], 0 offen
	buffer_load_dword v55, v52, s[0:3], 0 offen offset:4
	ds_read_b64 v[56:57], v51
	v_add_u32_e32 v50, 1, v50
	v_cmp_lt_u32_e32 vcc, 14, v50
	v_add_u32_e32 v51, 8, v51
	v_add_u32_e32 v52, 8, v52
	s_or_b64 s[6:7], vcc, s[6:7]
	s_waitcnt vmcnt(0) lgkmcnt(0)
	v_fmac_f64_e32 v[46:47], v[54:55], v[56:57]
	s_andn2_b64 exec, exec, s[6:7]
	s_cbranch_execnz .LBB21_71
; %bb.72:
	s_or_b64 exec, exec, s[6:7]
	v_mov_b32_e32 v50, 0
	ds_read_b64 v[50:51], v50 offset:128
	s_waitcnt lgkmcnt(0)
	v_mul_f64 v[46:47], v[46:47], v[50:51]
	buffer_store_dword v47, off, s[0:3], 0 offset:132
	buffer_store_dword v46, off, s[0:3], 0 offset:128
.LBB21_73:
	s_or_b64 exec, exec, s[4:5]
	s_waitcnt lgkmcnt(0)
	; wave barrier
	buffer_load_dword v46, off, s[0:3], 0 offset:136
	buffer_load_dword v47, off, s[0:3], 0 offset:140
	v_cmp_gt_u32_e32 vcc, 17, v0
	s_waitcnt vmcnt(0)
	ds_write_b64 v48, v[46:47]
	s_waitcnt lgkmcnt(0)
	; wave barrier
	s_waitcnt lgkmcnt(0)
	s_and_saveexec_b64 s[4:5], vcc
	s_cbranch_execz .LBB21_77
; %bb.74:
	v_add_u32_e32 v50, -1, v0
	v_add_u32_e32 v51, 0xb0, v1
	v_add_u32_e32 v52, 0, v1
	s_mov_b64 s[6:7], 0
	v_pk_mov_b32 v[46:47], 0, 0
.LBB21_75:                              ; =>This Inner Loop Header: Depth=1
	buffer_load_dword v54, v52, s[0:3], 0 offen
	buffer_load_dword v55, v52, s[0:3], 0 offen offset:4
	ds_read_b64 v[56:57], v51
	v_add_u32_e32 v50, 1, v50
	v_cmp_lt_u32_e32 vcc, 15, v50
	v_add_u32_e32 v51, 8, v51
	v_add_u32_e32 v52, 8, v52
	s_or_b64 s[6:7], vcc, s[6:7]
	s_waitcnt vmcnt(0) lgkmcnt(0)
	v_fmac_f64_e32 v[46:47], v[54:55], v[56:57]
	s_andn2_b64 exec, exec, s[6:7]
	s_cbranch_execnz .LBB21_75
; %bb.76:
	s_or_b64 exec, exec, s[6:7]
	v_mov_b32_e32 v50, 0
	ds_read_b64 v[50:51], v50 offset:136
	s_waitcnt lgkmcnt(0)
	v_mul_f64 v[46:47], v[46:47], v[50:51]
	buffer_store_dword v47, off, s[0:3], 0 offset:140
	buffer_store_dword v46, off, s[0:3], 0 offset:136
.LBB21_77:
	s_or_b64 exec, exec, s[4:5]
	s_waitcnt lgkmcnt(0)
	; wave barrier
	buffer_load_dword v46, off, s[0:3], 0 offset:144
	buffer_load_dword v47, off, s[0:3], 0 offset:148
	v_cmp_gt_u32_e32 vcc, 18, v0
	s_waitcnt vmcnt(0)
	ds_write_b64 v48, v[46:47]
	s_waitcnt lgkmcnt(0)
	; wave barrier
	s_waitcnt lgkmcnt(0)
	s_and_saveexec_b64 s[4:5], vcc
	s_cbranch_execz .LBB21_81
; %bb.78:
	v_add_u32_e32 v50, -1, v0
	v_add_u32_e32 v51, 0xb0, v1
	v_add_u32_e32 v52, 0, v1
	s_mov_b64 s[6:7], 0
	v_pk_mov_b32 v[46:47], 0, 0
.LBB21_79:                              ; =>This Inner Loop Header: Depth=1
	buffer_load_dword v54, v52, s[0:3], 0 offen
	buffer_load_dword v55, v52, s[0:3], 0 offen offset:4
	ds_read_b64 v[56:57], v51
	v_add_u32_e32 v50, 1, v50
	v_cmp_lt_u32_e32 vcc, 16, v50
	v_add_u32_e32 v51, 8, v51
	v_add_u32_e32 v52, 8, v52
	s_or_b64 s[6:7], vcc, s[6:7]
	s_waitcnt vmcnt(0) lgkmcnt(0)
	v_fmac_f64_e32 v[46:47], v[54:55], v[56:57]
	s_andn2_b64 exec, exec, s[6:7]
	s_cbranch_execnz .LBB21_79
; %bb.80:
	s_or_b64 exec, exec, s[6:7]
	v_mov_b32_e32 v50, 0
	ds_read_b64 v[50:51], v50 offset:144
	s_waitcnt lgkmcnt(0)
	v_mul_f64 v[46:47], v[46:47], v[50:51]
	buffer_store_dword v47, off, s[0:3], 0 offset:148
	buffer_store_dword v46, off, s[0:3], 0 offset:144
.LBB21_81:
	s_or_b64 exec, exec, s[4:5]
	s_waitcnt lgkmcnt(0)
	; wave barrier
	buffer_load_dword v46, off, s[0:3], 0 offset:152
	buffer_load_dword v47, off, s[0:3], 0 offset:156
	v_cmp_gt_u32_e32 vcc, 19, v0
	s_waitcnt vmcnt(0)
	ds_write_b64 v48, v[46:47]
	s_waitcnt lgkmcnt(0)
	; wave barrier
	s_waitcnt lgkmcnt(0)
	s_and_saveexec_b64 s[4:5], vcc
	s_cbranch_execz .LBB21_85
; %bb.82:
	v_add_u32_e32 v50, -1, v0
	v_add_u32_e32 v51, 0xb0, v1
	v_add_u32_e32 v52, 0, v1
	s_mov_b64 s[6:7], 0
	v_pk_mov_b32 v[46:47], 0, 0
.LBB21_83:                              ; =>This Inner Loop Header: Depth=1
	buffer_load_dword v54, v52, s[0:3], 0 offen
	buffer_load_dword v55, v52, s[0:3], 0 offen offset:4
	ds_read_b64 v[56:57], v51
	v_add_u32_e32 v50, 1, v50
	v_cmp_lt_u32_e32 vcc, 17, v50
	v_add_u32_e32 v51, 8, v51
	v_add_u32_e32 v52, 8, v52
	s_or_b64 s[6:7], vcc, s[6:7]
	s_waitcnt vmcnt(0) lgkmcnt(0)
	v_fmac_f64_e32 v[46:47], v[54:55], v[56:57]
	s_andn2_b64 exec, exec, s[6:7]
	s_cbranch_execnz .LBB21_83
; %bb.84:
	s_or_b64 exec, exec, s[6:7]
	v_mov_b32_e32 v50, 0
	ds_read_b64 v[50:51], v50 offset:152
	s_waitcnt lgkmcnt(0)
	v_mul_f64 v[46:47], v[46:47], v[50:51]
	buffer_store_dword v47, off, s[0:3], 0 offset:156
	buffer_store_dword v46, off, s[0:3], 0 offset:152
.LBB21_85:
	s_or_b64 exec, exec, s[4:5]
	s_waitcnt lgkmcnt(0)
	; wave barrier
	buffer_load_dword v46, off, s[0:3], 0 offset:160
	buffer_load_dword v47, off, s[0:3], 0 offset:164
	v_cmp_gt_u32_e32 vcc, 20, v0
	s_waitcnt vmcnt(0)
	ds_write_b64 v48, v[46:47]
	s_waitcnt lgkmcnt(0)
	; wave barrier
	s_waitcnt lgkmcnt(0)
	s_and_saveexec_b64 s[4:5], vcc
	s_cbranch_execz .LBB21_89
; %bb.86:
	v_add_u32_e32 v50, -1, v0
	v_add_u32_e32 v51, 0xb0, v1
	v_add_u32_e32 v52, 0, v1
	s_mov_b64 s[6:7], 0
	v_pk_mov_b32 v[46:47], 0, 0
.LBB21_87:                              ; =>This Inner Loop Header: Depth=1
	buffer_load_dword v54, v52, s[0:3], 0 offen
	buffer_load_dword v55, v52, s[0:3], 0 offen offset:4
	ds_read_b64 v[56:57], v51
	v_add_u32_e32 v50, 1, v50
	v_cmp_lt_u32_e32 vcc, 18, v50
	v_add_u32_e32 v51, 8, v51
	v_add_u32_e32 v52, 8, v52
	s_or_b64 s[6:7], vcc, s[6:7]
	s_waitcnt vmcnt(0) lgkmcnt(0)
	v_fmac_f64_e32 v[46:47], v[54:55], v[56:57]
	s_andn2_b64 exec, exec, s[6:7]
	s_cbranch_execnz .LBB21_87
; %bb.88:
	s_or_b64 exec, exec, s[6:7]
	v_mov_b32_e32 v50, 0
	ds_read_b64 v[50:51], v50 offset:160
	s_waitcnt lgkmcnt(0)
	v_mul_f64 v[46:47], v[46:47], v[50:51]
	buffer_store_dword v47, off, s[0:3], 0 offset:164
	buffer_store_dword v46, off, s[0:3], 0 offset:160
.LBB21_89:
	s_or_b64 exec, exec, s[4:5]
	s_waitcnt lgkmcnt(0)
	; wave barrier
	buffer_load_dword v46, off, s[0:3], 0 offset:168
	buffer_load_dword v47, off, s[0:3], 0 offset:172
	v_cmp_ne_u32_e32 vcc, 21, v0
	s_waitcnt vmcnt(0)
	ds_write_b64 v48, v[46:47]
	s_waitcnt lgkmcnt(0)
	; wave barrier
	s_waitcnt lgkmcnt(0)
	s_and_saveexec_b64 s[4:5], vcc
	s_cbranch_execz .LBB21_93
; %bb.90:
	v_add_u32_e32 v48, 0xb0, v1
	v_add_u32_e32 v1, 0, v1
	s_mov_b64 s[6:7], 0
	v_pk_mov_b32 v[46:47], 0, 0
.LBB21_91:                              ; =>This Inner Loop Header: Depth=1
	buffer_load_dword v50, v1, s[0:3], 0 offen
	buffer_load_dword v51, v1, s[0:3], 0 offen offset:4
	ds_read_b64 v[52:53], v48
	v_add_u32_e32 v49, 1, v49
	v_cmp_lt_u32_e32 vcc, 19, v49
	v_add_u32_e32 v48, 8, v48
	v_add_u32_e32 v1, 8, v1
	s_or_b64 s[6:7], vcc, s[6:7]
	s_waitcnt vmcnt(0) lgkmcnt(0)
	v_fmac_f64_e32 v[46:47], v[50:51], v[52:53]
	s_andn2_b64 exec, exec, s[6:7]
	s_cbranch_execnz .LBB21_91
; %bb.92:
	s_or_b64 exec, exec, s[6:7]
	v_mov_b32_e32 v1, 0
	ds_read_b64 v[48:49], v1 offset:168
	s_waitcnt lgkmcnt(0)
	v_mul_f64 v[46:47], v[46:47], v[48:49]
	buffer_store_dword v47, off, s[0:3], 0 offset:172
	buffer_store_dword v46, off, s[0:3], 0 offset:168
.LBB21_93:
	s_or_b64 exec, exec, s[4:5]
	s_mov_b64 s[6:7], -1
	s_waitcnt lgkmcnt(0)
	; wave barrier
.LBB21_94:
	s_and_b64 vcc, exec, s[6:7]
	s_cbranch_vccz .LBB21_96
; %bb.95:
	s_lshl_b64 s[4:5], s[8:9], 2
	s_add_u32 s4, s14, s4
	s_addc_u32 s5, s15, s5
	v_mov_b32_e32 v1, 0
	global_load_dword v1, v1, s[4:5]
	s_waitcnt vmcnt(0)
	v_cmp_ne_u32_e32 vcc, 0, v1
	s_cbranch_vccz .LBB21_97
.LBB21_96:
	s_endpgm
.LBB21_97:
	v_mov_b32_e32 v1, 0xb0
	v_lshl_add_u32 v1, v0, 3, v1
	v_cmp_eq_u32_e32 vcc, 21, v0
	s_and_saveexec_b64 s[4:5], vcc
	s_cbranch_execz .LBB21_99
; %bb.98:
	buffer_load_dword v46, off, s[0:3], 0 offset:160
	buffer_load_dword v47, off, s[0:3], 0 offset:164
	v_mov_b32_e32 v48, 0
	buffer_store_dword v48, off, s[0:3], 0 offset:160
	buffer_store_dword v48, off, s[0:3], 0 offset:164
	s_waitcnt vmcnt(2)
	ds_write_b64 v1, v[46:47]
.LBB21_99:
	s_or_b64 exec, exec, s[4:5]
	s_waitcnt lgkmcnt(0)
	; wave barrier
	s_waitcnt lgkmcnt(0)
	buffer_load_dword v48, off, s[0:3], 0 offset:168
	buffer_load_dword v49, off, s[0:3], 0 offset:172
	;; [unrolled: 1-line block ×4, first 2 shown]
	v_mov_b32_e32 v46, 0
	ds_read_b64 v[52:53], v46 offset:344
	v_cmp_lt_u32_e32 vcc, 19, v0
	s_waitcnt vmcnt(2) lgkmcnt(0)
	v_fma_f64 v[48:49], v[48:49], v[52:53], 0
	s_waitcnt vmcnt(0)
	v_add_f64 v[48:49], v[50:51], -v[48:49]
	buffer_store_dword v48, off, s[0:3], 0 offset:160
	buffer_store_dword v49, off, s[0:3], 0 offset:164
	s_and_saveexec_b64 s[4:5], vcc
	s_cbranch_execz .LBB21_101
; %bb.100:
	buffer_load_dword v48, off, s[0:3], 0 offset:152
	buffer_load_dword v49, off, s[0:3], 0 offset:156
	s_waitcnt vmcnt(0)
	ds_write_b64 v1, v[48:49]
	buffer_store_dword v46, off, s[0:3], 0 offset:152
	buffer_store_dword v46, off, s[0:3], 0 offset:156
.LBB21_101:
	s_or_b64 exec, exec, s[4:5]
	s_waitcnt lgkmcnt(0)
	; wave barrier
	s_waitcnt lgkmcnt(0)
	buffer_load_dword v50, off, s[0:3], 0 offset:160
	buffer_load_dword v51, off, s[0:3], 0 offset:164
	;; [unrolled: 1-line block ×6, first 2 shown]
	ds_read_b128 v[46:49], v46 offset:336
	v_cmp_lt_u32_e32 vcc, 18, v0
	s_waitcnt vmcnt(4) lgkmcnt(0)
	v_fma_f64 v[46:47], v[50:51], v[46:47], 0
	s_waitcnt vmcnt(2)
	v_fmac_f64_e32 v[46:47], v[52:53], v[48:49]
	s_waitcnt vmcnt(0)
	v_add_f64 v[46:47], v[54:55], -v[46:47]
	buffer_store_dword v46, off, s[0:3], 0 offset:152
	buffer_store_dword v47, off, s[0:3], 0 offset:156
	s_and_saveexec_b64 s[4:5], vcc
	s_cbranch_execz .LBB21_103
; %bb.102:
	buffer_load_dword v46, off, s[0:3], 0 offset:144
	buffer_load_dword v47, off, s[0:3], 0 offset:148
	v_mov_b32_e32 v48, 0
	buffer_store_dword v48, off, s[0:3], 0 offset:144
	buffer_store_dword v48, off, s[0:3], 0 offset:148
	s_waitcnt vmcnt(2)
	ds_write_b64 v1, v[46:47]
.LBB21_103:
	s_or_b64 exec, exec, s[4:5]
	s_waitcnt lgkmcnt(0)
	; wave barrier
	s_waitcnt lgkmcnt(0)
	buffer_load_dword v52, off, s[0:3], 0 offset:152
	buffer_load_dword v53, off, s[0:3], 0 offset:156
	;; [unrolled: 1-line block ×8, first 2 shown]
	v_mov_b32_e32 v46, 0
	ds_read2_b64 v[48:51], v46 offset0:41 offset1:42
	ds_read_b64 v[60:61], v46 offset:344
	v_cmp_lt_u32_e32 vcc, 17, v0
	s_waitcnt vmcnt(6) lgkmcnt(1)
	v_fma_f64 v[48:49], v[52:53], v[48:49], 0
	s_waitcnt vmcnt(4)
	v_fmac_f64_e32 v[48:49], v[54:55], v[50:51]
	s_waitcnt vmcnt(2) lgkmcnt(0)
	v_fmac_f64_e32 v[48:49], v[56:57], v[60:61]
	s_waitcnt vmcnt(0)
	v_add_f64 v[48:49], v[58:59], -v[48:49]
	buffer_store_dword v48, off, s[0:3], 0 offset:144
	buffer_store_dword v49, off, s[0:3], 0 offset:148
	s_and_saveexec_b64 s[4:5], vcc
	s_cbranch_execz .LBB21_105
; %bb.104:
	buffer_load_dword v48, off, s[0:3], 0 offset:136
	buffer_load_dword v49, off, s[0:3], 0 offset:140
	s_waitcnt vmcnt(0)
	ds_write_b64 v1, v[48:49]
	buffer_store_dword v46, off, s[0:3], 0 offset:136
	buffer_store_dword v46, off, s[0:3], 0 offset:140
.LBB21_105:
	s_or_b64 exec, exec, s[4:5]
	s_waitcnt lgkmcnt(0)
	; wave barrier
	s_waitcnt lgkmcnt(0)
	buffer_load_dword v56, off, s[0:3], 0 offset:144
	buffer_load_dword v57, off, s[0:3], 0 offset:148
	;; [unrolled: 1-line block ×10, first 2 shown]
	ds_read_b128 v[48:51], v46 offset:320
	ds_read_b128 v[52:55], v46 offset:336
	v_cmp_lt_u32_e32 vcc, 16, v0
	s_waitcnt vmcnt(8) lgkmcnt(1)
	v_fma_f64 v[46:47], v[56:57], v[48:49], 0
	s_waitcnt vmcnt(6)
	v_fmac_f64_e32 v[46:47], v[58:59], v[50:51]
	s_waitcnt vmcnt(4) lgkmcnt(0)
	v_fmac_f64_e32 v[46:47], v[60:61], v[52:53]
	s_waitcnt vmcnt(2)
	v_fmac_f64_e32 v[46:47], v[62:63], v[54:55]
	s_waitcnt vmcnt(0)
	v_add_f64 v[46:47], v[64:65], -v[46:47]
	buffer_store_dword v46, off, s[0:3], 0 offset:136
	buffer_store_dword v47, off, s[0:3], 0 offset:140
	s_and_saveexec_b64 s[4:5], vcc
	s_cbranch_execz .LBB21_107
; %bb.106:
	buffer_load_dword v46, off, s[0:3], 0 offset:128
	buffer_load_dword v47, off, s[0:3], 0 offset:132
	v_mov_b32_e32 v48, 0
	buffer_store_dword v48, off, s[0:3], 0 offset:128
	buffer_store_dword v48, off, s[0:3], 0 offset:132
	s_waitcnt vmcnt(2)
	ds_write_b64 v1, v[46:47]
.LBB21_107:
	s_or_b64 exec, exec, s[4:5]
	s_waitcnt lgkmcnt(0)
	; wave barrier
	s_waitcnt lgkmcnt(0)
	buffer_load_dword v56, off, s[0:3], 0 offset:136
	buffer_load_dword v57, off, s[0:3], 0 offset:140
	;; [unrolled: 1-line block ×12, first 2 shown]
	v_mov_b32_e32 v46, 0
	ds_read2_b64 v[48:51], v46 offset0:39 offset1:40
	ds_read2_b64 v[52:55], v46 offset0:41 offset1:42
	ds_read_b64 v[68:69], v46 offset:344
	v_cmp_lt_u32_e32 vcc, 15, v0
	s_waitcnt vmcnt(10) lgkmcnt(2)
	v_fma_f64 v[48:49], v[56:57], v[48:49], 0
	s_waitcnt vmcnt(8)
	v_fmac_f64_e32 v[48:49], v[58:59], v[50:51]
	s_waitcnt vmcnt(6) lgkmcnt(1)
	v_fmac_f64_e32 v[48:49], v[60:61], v[52:53]
	s_waitcnt vmcnt(4)
	v_fmac_f64_e32 v[48:49], v[62:63], v[54:55]
	s_waitcnt vmcnt(2) lgkmcnt(0)
	v_fmac_f64_e32 v[48:49], v[64:65], v[68:69]
	s_waitcnt vmcnt(0)
	v_add_f64 v[48:49], v[66:67], -v[48:49]
	buffer_store_dword v48, off, s[0:3], 0 offset:128
	buffer_store_dword v49, off, s[0:3], 0 offset:132
	s_and_saveexec_b64 s[4:5], vcc
	s_cbranch_execz .LBB21_109
; %bb.108:
	buffer_load_dword v48, off, s[0:3], 0 offset:120
	buffer_load_dword v49, off, s[0:3], 0 offset:124
	s_waitcnt vmcnt(0)
	ds_write_b64 v1, v[48:49]
	buffer_store_dword v46, off, s[0:3], 0 offset:120
	buffer_store_dword v46, off, s[0:3], 0 offset:124
.LBB21_109:
	s_or_b64 exec, exec, s[4:5]
	s_waitcnt lgkmcnt(0)
	; wave barrier
	s_waitcnt lgkmcnt(0)
	buffer_load_dword v60, off, s[0:3], 0 offset:128
	buffer_load_dword v61, off, s[0:3], 0 offset:132
	;; [unrolled: 1-line block ×14, first 2 shown]
	ds_read_b128 v[48:51], v46 offset:304
	ds_read_b128 v[52:55], v46 offset:320
	;; [unrolled: 1-line block ×3, first 2 shown]
	v_cmp_lt_u32_e32 vcc, 14, v0
	s_waitcnt vmcnt(12) lgkmcnt(2)
	v_fma_f64 v[46:47], v[60:61], v[48:49], 0
	s_waitcnt vmcnt(10)
	v_fmac_f64_e32 v[46:47], v[62:63], v[50:51]
	s_waitcnt vmcnt(8) lgkmcnt(1)
	v_fmac_f64_e32 v[46:47], v[64:65], v[52:53]
	s_waitcnt vmcnt(6)
	v_fmac_f64_e32 v[46:47], v[66:67], v[54:55]
	s_waitcnt vmcnt(4) lgkmcnt(0)
	v_fmac_f64_e32 v[46:47], v[68:69], v[56:57]
	s_waitcnt vmcnt(2)
	v_fmac_f64_e32 v[46:47], v[70:71], v[58:59]
	s_waitcnt vmcnt(0)
	v_add_f64 v[46:47], v[72:73], -v[46:47]
	buffer_store_dword v46, off, s[0:3], 0 offset:120
	buffer_store_dword v47, off, s[0:3], 0 offset:124
	s_and_saveexec_b64 s[4:5], vcc
	s_cbranch_execz .LBB21_111
; %bb.110:
	buffer_load_dword v46, off, s[0:3], 0 offset:112
	buffer_load_dword v47, off, s[0:3], 0 offset:116
	v_mov_b32_e32 v48, 0
	buffer_store_dword v48, off, s[0:3], 0 offset:112
	buffer_store_dword v48, off, s[0:3], 0 offset:116
	s_waitcnt vmcnt(2)
	ds_write_b64 v1, v[46:47]
.LBB21_111:
	s_or_b64 exec, exec, s[4:5]
	s_waitcnt lgkmcnt(0)
	; wave barrier
	s_waitcnt lgkmcnt(0)
	buffer_load_dword v60, off, s[0:3], 0 offset:120
	buffer_load_dword v61, off, s[0:3], 0 offset:124
	;; [unrolled: 1-line block ×16, first 2 shown]
	v_mov_b32_e32 v46, 0
	ds_read2_b64 v[48:51], v46 offset0:37 offset1:38
	ds_read2_b64 v[52:55], v46 offset0:39 offset1:40
	;; [unrolled: 1-line block ×3, first 2 shown]
	ds_read_b64 v[76:77], v46 offset:344
	v_cmp_lt_u32_e32 vcc, 13, v0
	s_waitcnt vmcnt(14) lgkmcnt(3)
	v_fma_f64 v[48:49], v[60:61], v[48:49], 0
	s_waitcnt vmcnt(12)
	v_fmac_f64_e32 v[48:49], v[62:63], v[50:51]
	s_waitcnt vmcnt(10) lgkmcnt(2)
	v_fmac_f64_e32 v[48:49], v[64:65], v[52:53]
	s_waitcnt vmcnt(8)
	v_fmac_f64_e32 v[48:49], v[66:67], v[54:55]
	s_waitcnt vmcnt(6) lgkmcnt(1)
	v_fmac_f64_e32 v[48:49], v[68:69], v[56:57]
	;; [unrolled: 4-line block ×3, first 2 shown]
	s_waitcnt vmcnt(0)
	v_add_f64 v[48:49], v[74:75], -v[48:49]
	buffer_store_dword v48, off, s[0:3], 0 offset:112
	buffer_store_dword v49, off, s[0:3], 0 offset:116
	s_and_saveexec_b64 s[4:5], vcc
	s_cbranch_execz .LBB21_113
; %bb.112:
	buffer_load_dword v48, off, s[0:3], 0 offset:104
	buffer_load_dword v49, off, s[0:3], 0 offset:108
	s_waitcnt vmcnt(0)
	ds_write_b64 v1, v[48:49]
	buffer_store_dword v46, off, s[0:3], 0 offset:104
	buffer_store_dword v46, off, s[0:3], 0 offset:108
.LBB21_113:
	s_or_b64 exec, exec, s[4:5]
	s_waitcnt lgkmcnt(0)
	; wave barrier
	s_waitcnt lgkmcnt(0)
	buffer_load_dword v64, off, s[0:3], 0 offset:112
	buffer_load_dword v65, off, s[0:3], 0 offset:116
	;; [unrolled: 1-line block ×18, first 2 shown]
	ds_read_b128 v[48:51], v46 offset:288
	ds_read_b128 v[52:55], v46 offset:304
	;; [unrolled: 1-line block ×4, first 2 shown]
	v_cmp_lt_u32_e32 vcc, 12, v0
	s_waitcnt vmcnt(16) lgkmcnt(3)
	v_fma_f64 v[46:47], v[64:65], v[48:49], 0
	s_waitcnt vmcnt(14)
	v_fmac_f64_e32 v[46:47], v[66:67], v[50:51]
	s_waitcnt vmcnt(12) lgkmcnt(2)
	v_fmac_f64_e32 v[46:47], v[68:69], v[52:53]
	s_waitcnt vmcnt(10)
	v_fmac_f64_e32 v[46:47], v[70:71], v[54:55]
	s_waitcnt vmcnt(8) lgkmcnt(1)
	v_fmac_f64_e32 v[46:47], v[72:73], v[56:57]
	;; [unrolled: 4-line block ×3, first 2 shown]
	s_waitcnt vmcnt(2)
	v_fmac_f64_e32 v[46:47], v[78:79], v[62:63]
	s_waitcnt vmcnt(0)
	v_add_f64 v[46:47], v[80:81], -v[46:47]
	buffer_store_dword v46, off, s[0:3], 0 offset:104
	buffer_store_dword v47, off, s[0:3], 0 offset:108
	s_and_saveexec_b64 s[4:5], vcc
	s_cbranch_execz .LBB21_115
; %bb.114:
	buffer_load_dword v46, off, s[0:3], 0 offset:96
	buffer_load_dword v47, off, s[0:3], 0 offset:100
	v_mov_b32_e32 v48, 0
	buffer_store_dword v48, off, s[0:3], 0 offset:96
	buffer_store_dword v48, off, s[0:3], 0 offset:100
	s_waitcnt vmcnt(2)
	ds_write_b64 v1, v[46:47]
.LBB21_115:
	s_or_b64 exec, exec, s[4:5]
	s_waitcnt lgkmcnt(0)
	; wave barrier
	s_waitcnt lgkmcnt(0)
	buffer_load_dword v64, off, s[0:3], 0 offset:104
	buffer_load_dword v65, off, s[0:3], 0 offset:108
	;; [unrolled: 1-line block ×20, first 2 shown]
	v_mov_b32_e32 v46, 0
	ds_read2_b64 v[48:51], v46 offset0:35 offset1:36
	ds_read2_b64 v[52:55], v46 offset0:37 offset1:38
	;; [unrolled: 1-line block ×4, first 2 shown]
	ds_read_b64 v[84:85], v46 offset:344
	v_cmp_lt_u32_e32 vcc, 11, v0
	s_waitcnt vmcnt(18) lgkmcnt(4)
	v_fma_f64 v[48:49], v[64:65], v[48:49], 0
	s_waitcnt vmcnt(16)
	v_fmac_f64_e32 v[48:49], v[66:67], v[50:51]
	s_waitcnt vmcnt(14) lgkmcnt(3)
	v_fmac_f64_e32 v[48:49], v[68:69], v[52:53]
	s_waitcnt vmcnt(12)
	v_fmac_f64_e32 v[48:49], v[70:71], v[54:55]
	s_waitcnt vmcnt(10) lgkmcnt(2)
	v_fmac_f64_e32 v[48:49], v[72:73], v[56:57]
	;; [unrolled: 4-line block ×3, first 2 shown]
	s_waitcnt vmcnt(2)
	v_fmac_f64_e32 v[48:49], v[80:81], v[62:63]
	s_waitcnt lgkmcnt(0)
	v_fmac_f64_e32 v[48:49], v[78:79], v[84:85]
	s_waitcnt vmcnt(0)
	v_add_f64 v[48:49], v[82:83], -v[48:49]
	buffer_store_dword v48, off, s[0:3], 0 offset:96
	buffer_store_dword v49, off, s[0:3], 0 offset:100
	s_and_saveexec_b64 s[4:5], vcc
	s_cbranch_execz .LBB21_117
; %bb.116:
	buffer_load_dword v48, off, s[0:3], 0 offset:88
	buffer_load_dword v49, off, s[0:3], 0 offset:92
	s_waitcnt vmcnt(0)
	ds_write_b64 v1, v[48:49]
	buffer_store_dword v46, off, s[0:3], 0 offset:88
	buffer_store_dword v46, off, s[0:3], 0 offset:92
.LBB21_117:
	s_or_b64 exec, exec, s[4:5]
	s_waitcnt lgkmcnt(0)
	; wave barrier
	s_waitcnt lgkmcnt(0)
	buffer_load_dword v68, off, s[0:3], 0 offset:96
	buffer_load_dword v69, off, s[0:3], 0 offset:100
	;; [unrolled: 1-line block ×22, first 2 shown]
	ds_read_b128 v[48:51], v46 offset:272
	ds_read_b128 v[52:55], v46 offset:288
	;; [unrolled: 1-line block ×5, first 2 shown]
	v_cmp_lt_u32_e32 vcc, 10, v0
	s_waitcnt vmcnt(20) lgkmcnt(4)
	v_fma_f64 v[46:47], v[68:69], v[48:49], 0
	s_waitcnt vmcnt(18)
	v_fmac_f64_e32 v[46:47], v[70:71], v[50:51]
	s_waitcnt vmcnt(16) lgkmcnt(3)
	v_fmac_f64_e32 v[46:47], v[72:73], v[52:53]
	s_waitcnt vmcnt(14)
	v_fmac_f64_e32 v[46:47], v[74:75], v[54:55]
	s_waitcnt vmcnt(12) lgkmcnt(2)
	v_fmac_f64_e32 v[46:47], v[76:77], v[56:57]
	;; [unrolled: 4-line block ×3, first 2 shown]
	s_waitcnt vmcnt(3)
	v_fmac_f64_e32 v[46:47], v[86:87], v[62:63]
	s_waitcnt lgkmcnt(0)
	v_fmac_f64_e32 v[46:47], v[84:85], v[64:65]
	s_waitcnt vmcnt(2)
	v_fmac_f64_e32 v[46:47], v[82:83], v[66:67]
	s_waitcnt vmcnt(0)
	v_add_f64 v[46:47], v[88:89], -v[46:47]
	buffer_store_dword v46, off, s[0:3], 0 offset:88
	buffer_store_dword v47, off, s[0:3], 0 offset:92
	s_and_saveexec_b64 s[4:5], vcc
	s_cbranch_execz .LBB21_119
; %bb.118:
	buffer_load_dword v46, off, s[0:3], 0 offset:80
	buffer_load_dword v47, off, s[0:3], 0 offset:84
	v_mov_b32_e32 v48, 0
	buffer_store_dword v48, off, s[0:3], 0 offset:80
	buffer_store_dword v48, off, s[0:3], 0 offset:84
	s_waitcnt vmcnt(2)
	ds_write_b64 v1, v[46:47]
.LBB21_119:
	s_or_b64 exec, exec, s[4:5]
	s_waitcnt lgkmcnt(0)
	; wave barrier
	s_waitcnt lgkmcnt(0)
	buffer_load_dword v68, off, s[0:3], 0 offset:88
	buffer_load_dword v69, off, s[0:3], 0 offset:92
	buffer_load_dword v70, off, s[0:3], 0 offset:96
	buffer_load_dword v71, off, s[0:3], 0 offset:100
	buffer_load_dword v72, off, s[0:3], 0 offset:104
	buffer_load_dword v73, off, s[0:3], 0 offset:108
	buffer_load_dword v74, off, s[0:3], 0 offset:112
	buffer_load_dword v75, off, s[0:3], 0 offset:116
	buffer_load_dword v76, off, s[0:3], 0 offset:120
	buffer_load_dword v77, off, s[0:3], 0 offset:124
	buffer_load_dword v78, off, s[0:3], 0 offset:128
	buffer_load_dword v79, off, s[0:3], 0 offset:132
	buffer_load_dword v80, off, s[0:3], 0 offset:136
	buffer_load_dword v81, off, s[0:3], 0 offset:140
	buffer_load_dword v82, off, s[0:3], 0 offset:168
	buffer_load_dword v84, off, s[0:3], 0 offset:160
	buffer_load_dword v87, off, s[0:3], 0 offset:156
	buffer_load_dword v86, off, s[0:3], 0 offset:152
	buffer_load_dword v89, off, s[0:3], 0 offset:148
	buffer_load_dword v88, off, s[0:3], 0 offset:144
	buffer_load_dword v85, off, s[0:3], 0 offset:164
	buffer_load_dword v83, off, s[0:3], 0 offset:172
	buffer_load_dword v90, off, s[0:3], 0 offset:80
	buffer_load_dword v91, off, s[0:3], 0 offset:84
	v_mov_b32_e32 v46, 0
	ds_read2_b64 v[48:51], v46 offset0:33 offset1:34
	ds_read2_b64 v[52:55], v46 offset0:35 offset1:36
	;; [unrolled: 1-line block ×5, first 2 shown]
	ds_read_b64 v[92:93], v46 offset:344
	v_cmp_lt_u32_e32 vcc, 9, v0
	s_waitcnt vmcnt(22) lgkmcnt(5)
	v_fma_f64 v[48:49], v[68:69], v[48:49], 0
	s_waitcnt vmcnt(20)
	v_fmac_f64_e32 v[48:49], v[70:71], v[50:51]
	s_waitcnt vmcnt(18) lgkmcnt(4)
	v_fmac_f64_e32 v[48:49], v[72:73], v[52:53]
	s_waitcnt vmcnt(16)
	v_fmac_f64_e32 v[48:49], v[74:75], v[54:55]
	s_waitcnt vmcnt(14) lgkmcnt(3)
	v_fmac_f64_e32 v[48:49], v[76:77], v[56:57]
	;; [unrolled: 4-line block ×3, first 2 shown]
	s_waitcnt vmcnt(4)
	v_fmac_f64_e32 v[48:49], v[88:89], v[62:63]
	s_waitcnt lgkmcnt(1)
	v_fmac_f64_e32 v[48:49], v[86:87], v[64:65]
	s_waitcnt vmcnt(3)
	v_fmac_f64_e32 v[48:49], v[84:85], v[66:67]
	s_waitcnt vmcnt(2) lgkmcnt(0)
	v_fmac_f64_e32 v[48:49], v[82:83], v[92:93]
	s_waitcnt vmcnt(0)
	v_add_f64 v[48:49], v[90:91], -v[48:49]
	buffer_store_dword v49, off, s[0:3], 0 offset:84
	buffer_store_dword v48, off, s[0:3], 0 offset:80
	s_and_saveexec_b64 s[4:5], vcc
	s_cbranch_execz .LBB21_121
; %bb.120:
	buffer_load_dword v48, off, s[0:3], 0 offset:72
	buffer_load_dword v49, off, s[0:3], 0 offset:76
	s_waitcnt vmcnt(0)
	ds_write_b64 v1, v[48:49]
	buffer_store_dword v46, off, s[0:3], 0 offset:72
	buffer_store_dword v46, off, s[0:3], 0 offset:76
.LBB21_121:
	s_or_b64 exec, exec, s[4:5]
	s_waitcnt lgkmcnt(0)
	; wave barrier
	s_waitcnt lgkmcnt(0)
	buffer_load_dword v72, off, s[0:3], 0 offset:80
	buffer_load_dword v73, off, s[0:3], 0 offset:84
	;; [unrolled: 1-line block ×26, first 2 shown]
	ds_read_b128 v[48:51], v46 offset:256
	ds_read_b128 v[52:55], v46 offset:272
	;; [unrolled: 1-line block ×6, first 2 shown]
	v_cmp_lt_u32_e32 vcc, 8, v0
	s_waitcnt vmcnt(24) lgkmcnt(5)
	v_fma_f64 v[46:47], v[72:73], v[48:49], 0
	s_waitcnt vmcnt(22)
	v_fmac_f64_e32 v[46:47], v[74:75], v[50:51]
	s_waitcnt vmcnt(20) lgkmcnt(4)
	v_fmac_f64_e32 v[46:47], v[76:77], v[52:53]
	s_waitcnt vmcnt(18)
	v_fmac_f64_e32 v[46:47], v[78:79], v[54:55]
	s_waitcnt vmcnt(16) lgkmcnt(3)
	v_fmac_f64_e32 v[46:47], v[80:81], v[56:57]
	;; [unrolled: 4-line block ×3, first 2 shown]
	s_waitcnt vmcnt(5)
	v_fmac_f64_e32 v[46:47], v[92:93], v[62:63]
	s_waitcnt lgkmcnt(1)
	v_fmac_f64_e32 v[46:47], v[90:91], v[64:65]
	v_fmac_f64_e32 v[46:47], v[88:89], v[66:67]
	s_waitcnt vmcnt(4) lgkmcnt(0)
	v_fmac_f64_e32 v[46:47], v[86:87], v[68:69]
	s_waitcnt vmcnt(2)
	v_fmac_f64_e32 v[46:47], v[94:95], v[70:71]
	s_waitcnt vmcnt(0)
	v_add_f64 v[46:47], v[96:97], -v[46:47]
	buffer_store_dword v47, off, s[0:3], 0 offset:76
	buffer_store_dword v46, off, s[0:3], 0 offset:72
	s_and_saveexec_b64 s[4:5], vcc
	s_cbranch_execz .LBB21_123
; %bb.122:
	buffer_load_dword v46, off, s[0:3], 0 offset:64
	buffer_load_dword v47, off, s[0:3], 0 offset:68
	v_mov_b32_e32 v48, 0
	buffer_store_dword v48, off, s[0:3], 0 offset:64
	buffer_store_dword v48, off, s[0:3], 0 offset:68
	s_waitcnt vmcnt(2)
	ds_write_b64 v1, v[46:47]
.LBB21_123:
	s_or_b64 exec, exec, s[4:5]
	s_waitcnt lgkmcnt(0)
	; wave barrier
	s_waitcnt lgkmcnt(0)
	buffer_load_dword v72, off, s[0:3], 0 offset:72
	buffer_load_dword v73, off, s[0:3], 0 offset:76
	;; [unrolled: 1-line block ×28, first 2 shown]
	v_mov_b32_e32 v46, 0
	ds_read2_b64 v[48:51], v46 offset0:31 offset1:32
	ds_read2_b64 v[52:55], v46 offset0:33 offset1:34
	;; [unrolled: 1-line block ×6, first 2 shown]
	ds_read_b64 v[100:101], v46 offset:344
	v_cmp_lt_u32_e32 vcc, 7, v0
	s_waitcnt vmcnt(26) lgkmcnt(6)
	v_fma_f64 v[48:49], v[72:73], v[48:49], 0
	s_waitcnt vmcnt(24)
	v_fmac_f64_e32 v[48:49], v[74:75], v[50:51]
	s_waitcnt vmcnt(22) lgkmcnt(5)
	v_fmac_f64_e32 v[48:49], v[76:77], v[52:53]
	s_waitcnt vmcnt(20)
	v_fmac_f64_e32 v[48:49], v[78:79], v[54:55]
	s_waitcnt vmcnt(18) lgkmcnt(4)
	v_fmac_f64_e32 v[48:49], v[80:81], v[56:57]
	;; [unrolled: 4-line block ×3, first 2 shown]
	s_waitcnt vmcnt(6)
	v_fmac_f64_e32 v[48:49], v[92:93], v[62:63]
	s_waitcnt lgkmcnt(2)
	v_fmac_f64_e32 v[48:49], v[90:91], v[64:65]
	v_fmac_f64_e32 v[48:49], v[88:89], v[66:67]
	s_waitcnt lgkmcnt(1)
	v_fmac_f64_e32 v[48:49], v[86:87], v[68:69]
	s_waitcnt vmcnt(2)
	v_fmac_f64_e32 v[48:49], v[96:97], v[70:71]
	s_waitcnt lgkmcnt(0)
	v_fmac_f64_e32 v[48:49], v[94:95], v[100:101]
	s_waitcnt vmcnt(0)
	v_add_f64 v[48:49], v[98:99], -v[48:49]
	buffer_store_dword v49, off, s[0:3], 0 offset:68
	buffer_store_dword v48, off, s[0:3], 0 offset:64
	s_and_saveexec_b64 s[4:5], vcc
	s_cbranch_execz .LBB21_125
; %bb.124:
	buffer_load_dword v48, off, s[0:3], 0 offset:56
	buffer_load_dword v49, off, s[0:3], 0 offset:60
	s_waitcnt vmcnt(0)
	ds_write_b64 v1, v[48:49]
	buffer_store_dword v46, off, s[0:3], 0 offset:56
	buffer_store_dword v46, off, s[0:3], 0 offset:60
.LBB21_125:
	s_or_b64 exec, exec, s[4:5]
	s_waitcnt lgkmcnt(0)
	; wave barrier
	s_waitcnt lgkmcnt(0)
	buffer_load_dword v76, off, s[0:3], 0 offset:64
	buffer_load_dword v77, off, s[0:3], 0 offset:68
	;; [unrolled: 1-line block ×30, first 2 shown]
	ds_read_b128 v[48:51], v46 offset:240
	ds_read_b128 v[52:55], v46 offset:256
	;; [unrolled: 1-line block ×7, first 2 shown]
	v_cmp_lt_u32_e32 vcc, 6, v0
	s_waitcnt vmcnt(28) lgkmcnt(6)
	v_fma_f64 v[46:47], v[76:77], v[48:49], 0
	s_waitcnt vmcnt(26)
	v_fmac_f64_e32 v[46:47], v[78:79], v[50:51]
	s_waitcnt vmcnt(24) lgkmcnt(5)
	v_fmac_f64_e32 v[46:47], v[80:81], v[52:53]
	s_waitcnt vmcnt(22)
	v_fmac_f64_e32 v[46:47], v[82:83], v[54:55]
	s_waitcnt vmcnt(20) lgkmcnt(4)
	v_fmac_f64_e32 v[46:47], v[84:85], v[56:57]
	s_waitcnt vmcnt(18)
	v_fmac_f64_e32 v[46:47], v[86:87], v[58:59]
	s_waitcnt vmcnt(16) lgkmcnt(3)
	v_fmac_f64_e32 v[46:47], v[88:89], v[60:61]
	s_waitcnt vmcnt(8)
	v_fmac_f64_e32 v[46:47], v[96:97], v[62:63]
	s_waitcnt lgkmcnt(2)
	v_fmac_f64_e32 v[46:47], v[94:95], v[64:65]
	v_fmac_f64_e32 v[46:47], v[92:93], v[66:67]
	s_waitcnt lgkmcnt(1)
	v_fmac_f64_e32 v[46:47], v[90:91], v[68:69]
	s_waitcnt vmcnt(3)
	v_fmac_f64_e32 v[46:47], v[102:103], v[70:71]
	s_waitcnt lgkmcnt(0)
	v_fmac_f64_e32 v[46:47], v[100:101], v[72:73]
	s_waitcnt vmcnt(2)
	v_fmac_f64_e32 v[46:47], v[98:99], v[74:75]
	s_waitcnt vmcnt(0)
	v_add_f64 v[46:47], v[104:105], -v[46:47]
	buffer_store_dword v47, off, s[0:3], 0 offset:60
	buffer_store_dword v46, off, s[0:3], 0 offset:56
	s_and_saveexec_b64 s[4:5], vcc
	s_cbranch_execz .LBB21_127
; %bb.126:
	buffer_load_dword v46, off, s[0:3], 0 offset:48
	buffer_load_dword v47, off, s[0:3], 0 offset:52
	v_mov_b32_e32 v48, 0
	buffer_store_dword v48, off, s[0:3], 0 offset:48
	buffer_store_dword v48, off, s[0:3], 0 offset:52
	s_waitcnt vmcnt(2)
	ds_write_b64 v1, v[46:47]
.LBB21_127:
	s_or_b64 exec, exec, s[4:5]
	s_waitcnt lgkmcnt(0)
	; wave barrier
	s_waitcnt lgkmcnt(0)
	buffer_load_dword v76, off, s[0:3], 0 offset:56
	buffer_load_dword v77, off, s[0:3], 0 offset:60
	;; [unrolled: 1-line block ×32, first 2 shown]
	v_mov_b32_e32 v46, 0
	ds_read2_b64 v[48:51], v46 offset0:29 offset1:30
	ds_read2_b64 v[52:55], v46 offset0:31 offset1:32
	;; [unrolled: 1-line block ×7, first 2 shown]
	ds_read_b64 v[108:109], v46 offset:344
	v_cmp_lt_u32_e32 vcc, 5, v0
	s_waitcnt vmcnt(30) lgkmcnt(7)
	v_fma_f64 v[48:49], v[76:77], v[48:49], 0
	s_waitcnt vmcnt(28)
	v_fmac_f64_e32 v[48:49], v[78:79], v[50:51]
	s_waitcnt vmcnt(26) lgkmcnt(6)
	v_fmac_f64_e32 v[48:49], v[80:81], v[52:53]
	s_waitcnt vmcnt(24)
	v_fmac_f64_e32 v[48:49], v[82:83], v[54:55]
	s_waitcnt vmcnt(22) lgkmcnt(5)
	v_fmac_f64_e32 v[48:49], v[84:85], v[56:57]
	;; [unrolled: 4-line block ×3, first 2 shown]
	s_waitcnt vmcnt(10)
	v_fmac_f64_e32 v[48:49], v[96:97], v[62:63]
	s_waitcnt lgkmcnt(3)
	v_fmac_f64_e32 v[48:49], v[94:95], v[64:65]
	v_fmac_f64_e32 v[48:49], v[92:93], v[66:67]
	s_waitcnt lgkmcnt(2)
	v_fmac_f64_e32 v[48:49], v[90:91], v[68:69]
	s_waitcnt vmcnt(4)
	v_fmac_f64_e32 v[48:49], v[104:105], v[70:71]
	s_waitcnt lgkmcnt(1)
	v_fmac_f64_e32 v[48:49], v[102:103], v[72:73]
	s_waitcnt vmcnt(3)
	v_fmac_f64_e32 v[48:49], v[100:101], v[74:75]
	s_waitcnt vmcnt(2) lgkmcnt(0)
	v_fmac_f64_e32 v[48:49], v[98:99], v[108:109]
	s_waitcnt vmcnt(0)
	v_add_f64 v[48:49], v[106:107], -v[48:49]
	buffer_store_dword v49, off, s[0:3], 0 offset:52
	buffer_store_dword v48, off, s[0:3], 0 offset:48
	s_and_saveexec_b64 s[4:5], vcc
	s_cbranch_execz .LBB21_129
; %bb.128:
	buffer_load_dword v48, off, s[0:3], 0 offset:40
	buffer_load_dword v49, off, s[0:3], 0 offset:44
	s_waitcnt vmcnt(0)
	ds_write_b64 v1, v[48:49]
	buffer_store_dword v46, off, s[0:3], 0 offset:40
	buffer_store_dword v46, off, s[0:3], 0 offset:44
.LBB21_129:
	s_or_b64 exec, exec, s[4:5]
	s_waitcnt lgkmcnt(0)
	; wave barrier
	s_waitcnt lgkmcnt(0)
	buffer_load_dword v80, off, s[0:3], 0 offset:48
	buffer_load_dword v81, off, s[0:3], 0 offset:52
	;; [unrolled: 1-line block ×34, first 2 shown]
	ds_read_b128 v[48:51], v46 offset:224
	ds_read_b128 v[52:55], v46 offset:240
	;; [unrolled: 1-line block ×8, first 2 shown]
	v_cmp_lt_u32_e32 vcc, 4, v0
	s_waitcnt vmcnt(32) lgkmcnt(7)
	v_fma_f64 v[46:47], v[80:81], v[48:49], 0
	s_waitcnt vmcnt(30)
	v_fmac_f64_e32 v[46:47], v[82:83], v[50:51]
	s_waitcnt vmcnt(28) lgkmcnt(6)
	v_fmac_f64_e32 v[46:47], v[84:85], v[52:53]
	s_waitcnt vmcnt(26)
	v_fmac_f64_e32 v[46:47], v[86:87], v[54:55]
	s_waitcnt vmcnt(24) lgkmcnt(5)
	v_fmac_f64_e32 v[46:47], v[88:89], v[56:57]
	;; [unrolled: 4-line block ×3, first 2 shown]
	s_waitcnt vmcnt(12)
	v_fmac_f64_e32 v[46:47], v[100:101], v[62:63]
	s_waitcnt lgkmcnt(3)
	v_fmac_f64_e32 v[46:47], v[98:99], v[64:65]
	v_fmac_f64_e32 v[46:47], v[96:97], v[66:67]
	s_waitcnt lgkmcnt(2)
	v_fmac_f64_e32 v[46:47], v[94:95], v[68:69]
	s_waitcnt vmcnt(5)
	v_fmac_f64_e32 v[46:47], v[108:109], v[70:71]
	s_waitcnt lgkmcnt(1)
	v_fmac_f64_e32 v[46:47], v[106:107], v[72:73]
	v_fmac_f64_e32 v[46:47], v[104:105], v[74:75]
	s_waitcnt vmcnt(4) lgkmcnt(0)
	v_fmac_f64_e32 v[46:47], v[102:103], v[76:77]
	s_waitcnt vmcnt(2)
	v_fmac_f64_e32 v[46:47], v[110:111], v[78:79]
	s_waitcnt vmcnt(0)
	v_add_f64 v[46:47], v[112:113], -v[46:47]
	buffer_store_dword v47, off, s[0:3], 0 offset:44
	buffer_store_dword v46, off, s[0:3], 0 offset:40
	s_and_saveexec_b64 s[4:5], vcc
	s_cbranch_execz .LBB21_131
; %bb.130:
	buffer_load_dword v46, off, s[0:3], 0 offset:32
	buffer_load_dword v47, off, s[0:3], 0 offset:36
	v_mov_b32_e32 v48, 0
	buffer_store_dword v48, off, s[0:3], 0 offset:32
	buffer_store_dword v48, off, s[0:3], 0 offset:36
	s_waitcnt vmcnt(2)
	ds_write_b64 v1, v[46:47]
.LBB21_131:
	s_or_b64 exec, exec, s[4:5]
	s_waitcnt lgkmcnt(0)
	; wave barrier
	s_waitcnt lgkmcnt(0)
	buffer_load_dword v80, off, s[0:3], 0 offset:40
	buffer_load_dword v81, off, s[0:3], 0 offset:44
	;; [unrolled: 1-line block ×36, first 2 shown]
	v_mov_b32_e32 v46, 0
	ds_read2_b64 v[48:51], v46 offset0:27 offset1:28
	ds_read2_b64 v[52:55], v46 offset0:29 offset1:30
	;; [unrolled: 1-line block ×8, first 2 shown]
	ds_read_b64 v[116:117], v46 offset:344
	v_cmp_lt_u32_e32 vcc, 3, v0
	s_waitcnt vmcnt(34) lgkmcnt(8)
	v_fma_f64 v[48:49], v[80:81], v[48:49], 0
	s_waitcnt vmcnt(32)
	v_fmac_f64_e32 v[48:49], v[82:83], v[50:51]
	s_waitcnt vmcnt(30) lgkmcnt(7)
	v_fmac_f64_e32 v[48:49], v[84:85], v[52:53]
	s_waitcnt vmcnt(28)
	v_fmac_f64_e32 v[48:49], v[86:87], v[54:55]
	s_waitcnt vmcnt(26) lgkmcnt(6)
	v_fmac_f64_e32 v[48:49], v[88:89], v[56:57]
	;; [unrolled: 4-line block ×3, first 2 shown]
	s_waitcnt vmcnt(14)
	v_fmac_f64_e32 v[48:49], v[100:101], v[62:63]
	s_waitcnt lgkmcnt(4)
	v_fmac_f64_e32 v[48:49], v[98:99], v[64:65]
	v_fmac_f64_e32 v[48:49], v[96:97], v[66:67]
	s_waitcnt lgkmcnt(3)
	v_fmac_f64_e32 v[48:49], v[94:95], v[68:69]
	s_waitcnt vmcnt(6)
	v_fmac_f64_e32 v[48:49], v[108:109], v[70:71]
	s_waitcnt lgkmcnt(2)
	v_fmac_f64_e32 v[48:49], v[106:107], v[72:73]
	v_fmac_f64_e32 v[48:49], v[104:105], v[74:75]
	s_waitcnt lgkmcnt(1)
	v_fmac_f64_e32 v[48:49], v[102:103], v[76:77]
	s_waitcnt vmcnt(2)
	v_fmac_f64_e32 v[48:49], v[112:113], v[78:79]
	s_waitcnt lgkmcnt(0)
	v_fmac_f64_e32 v[48:49], v[110:111], v[116:117]
	s_waitcnt vmcnt(0)
	v_add_f64 v[48:49], v[114:115], -v[48:49]
	buffer_store_dword v49, off, s[0:3], 0 offset:36
	buffer_store_dword v48, off, s[0:3], 0 offset:32
	s_and_saveexec_b64 s[4:5], vcc
	s_cbranch_execz .LBB21_133
; %bb.132:
	buffer_load_dword v48, off, s[0:3], 0 offset:24
	buffer_load_dword v49, off, s[0:3], 0 offset:28
	s_waitcnt vmcnt(0)
	ds_write_b64 v1, v[48:49]
	buffer_store_dword v46, off, s[0:3], 0 offset:24
	buffer_store_dword v46, off, s[0:3], 0 offset:28
.LBB21_133:
	s_or_b64 exec, exec, s[4:5]
	s_waitcnt lgkmcnt(0)
	; wave barrier
	s_waitcnt lgkmcnt(0)
	buffer_load_dword v84, off, s[0:3], 0 offset:32
	buffer_load_dword v85, off, s[0:3], 0 offset:36
	;; [unrolled: 1-line block ×38, first 2 shown]
	ds_read_b128 v[48:51], v46 offset:208
	ds_read_b128 v[52:55], v46 offset:224
	;; [unrolled: 1-line block ×9, first 2 shown]
	v_cmp_lt_u32_e32 vcc, 2, v0
	s_waitcnt vmcnt(36) lgkmcnt(8)
	v_fma_f64 v[46:47], v[84:85], v[48:49], 0
	s_waitcnt vmcnt(34)
	v_fmac_f64_e32 v[46:47], v[86:87], v[50:51]
	s_waitcnt vmcnt(32) lgkmcnt(7)
	v_fmac_f64_e32 v[46:47], v[88:89], v[52:53]
	s_waitcnt vmcnt(30)
	v_fmac_f64_e32 v[46:47], v[90:91], v[54:55]
	s_waitcnt vmcnt(28) lgkmcnt(6)
	v_fmac_f64_e32 v[46:47], v[92:93], v[56:57]
	s_waitcnt vmcnt(26)
	v_fmac_f64_e32 v[46:47], v[94:95], v[58:59]
	s_waitcnt vmcnt(24) lgkmcnt(5)
	v_fmac_f64_e32 v[46:47], v[96:97], v[60:61]
	s_waitcnt vmcnt(16)
	v_fmac_f64_e32 v[46:47], v[104:105], v[62:63]
	s_waitcnt lgkmcnt(4)
	v_fmac_f64_e32 v[46:47], v[102:103], v[64:65]
	v_fmac_f64_e32 v[46:47], v[100:101], v[66:67]
	s_waitcnt lgkmcnt(3)
	v_fmac_f64_e32 v[46:47], v[98:99], v[68:69]
	s_waitcnt vmcnt(8)
	v_fmac_f64_e32 v[46:47], v[112:113], v[70:71]
	s_waitcnt lgkmcnt(2)
	v_fmac_f64_e32 v[46:47], v[110:111], v[72:73]
	v_fmac_f64_e32 v[46:47], v[108:109], v[74:75]
	s_waitcnt lgkmcnt(1)
	v_fmac_f64_e32 v[46:47], v[106:107], v[76:77]
	s_waitcnt vmcnt(3)
	v_fmac_f64_e32 v[46:47], v[118:119], v[78:79]
	s_waitcnt lgkmcnt(0)
	v_fmac_f64_e32 v[46:47], v[116:117], v[80:81]
	s_waitcnt vmcnt(2)
	v_fmac_f64_e32 v[46:47], v[114:115], v[82:83]
	s_waitcnt vmcnt(0)
	v_add_f64 v[46:47], v[120:121], -v[46:47]
	buffer_store_dword v47, off, s[0:3], 0 offset:28
	buffer_store_dword v46, off, s[0:3], 0 offset:24
	s_and_saveexec_b64 s[4:5], vcc
	s_cbranch_execz .LBB21_135
; %bb.134:
	buffer_load_dword v46, off, s[0:3], 0 offset:16
	buffer_load_dword v47, off, s[0:3], 0 offset:20
	v_mov_b32_e32 v48, 0
	buffer_store_dword v48, off, s[0:3], 0 offset:16
	buffer_store_dword v48, off, s[0:3], 0 offset:20
	s_waitcnt vmcnt(2)
	ds_write_b64 v1, v[46:47]
.LBB21_135:
	s_or_b64 exec, exec, s[4:5]
	s_waitcnt lgkmcnt(0)
	; wave barrier
	s_waitcnt lgkmcnt(0)
	buffer_load_dword v84, off, s[0:3], 0 offset:24
	buffer_load_dword v85, off, s[0:3], 0 offset:28
	;; [unrolled: 1-line block ×40, first 2 shown]
	v_mov_b32_e32 v50, 0
	ds_read2_b64 v[46:49], v50 offset0:25 offset1:26
	ds_read2_b64 v[52:55], v50 offset0:27 offset1:28
	;; [unrolled: 1-line block ×9, first 2 shown]
	ds_read_b64 v[124:125], v50 offset:344
	v_cmp_lt_u32_e32 vcc, 1, v0
	s_waitcnt vmcnt(38) lgkmcnt(9)
	v_fma_f64 v[46:47], v[84:85], v[46:47], 0
	s_waitcnt vmcnt(36)
	v_fmac_f64_e32 v[46:47], v[86:87], v[48:49]
	s_waitcnt vmcnt(34) lgkmcnt(8)
	v_fmac_f64_e32 v[46:47], v[88:89], v[52:53]
	s_waitcnt vmcnt(32)
	v_fmac_f64_e32 v[46:47], v[90:91], v[54:55]
	s_waitcnt vmcnt(30) lgkmcnt(7)
	v_fmac_f64_e32 v[46:47], v[92:93], v[56:57]
	;; [unrolled: 4-line block ×3, first 2 shown]
	s_waitcnt vmcnt(18)
	v_fmac_f64_e32 v[46:47], v[104:105], v[62:63]
	s_waitcnt lgkmcnt(5)
	v_fmac_f64_e32 v[46:47], v[102:103], v[64:65]
	v_fmac_f64_e32 v[46:47], v[100:101], v[66:67]
	s_waitcnt lgkmcnt(4)
	v_fmac_f64_e32 v[46:47], v[98:99], v[68:69]
	s_waitcnt vmcnt(10)
	v_fmac_f64_e32 v[46:47], v[112:113], v[70:71]
	s_waitcnt lgkmcnt(3)
	v_fmac_f64_e32 v[46:47], v[110:111], v[72:73]
	v_fmac_f64_e32 v[46:47], v[108:109], v[74:75]
	s_waitcnt lgkmcnt(2)
	v_fmac_f64_e32 v[46:47], v[106:107], v[76:77]
	s_waitcnt vmcnt(4)
	v_fmac_f64_e32 v[46:47], v[120:121], v[78:79]
	s_waitcnt lgkmcnt(1)
	v_fmac_f64_e32 v[46:47], v[118:119], v[80:81]
	s_waitcnt vmcnt(3)
	v_fmac_f64_e32 v[46:47], v[116:117], v[82:83]
	s_waitcnt vmcnt(2) lgkmcnt(0)
	v_fmac_f64_e32 v[46:47], v[114:115], v[124:125]
	s_waitcnt vmcnt(0)
	v_add_f64 v[46:47], v[122:123], -v[46:47]
	buffer_store_dword v47, off, s[0:3], 0 offset:20
	buffer_store_dword v46, off, s[0:3], 0 offset:16
	s_and_saveexec_b64 s[4:5], vcc
	s_cbranch_execz .LBB21_137
; %bb.136:
	buffer_load_dword v46, off, s[0:3], 0 offset:8
	buffer_load_dword v47, off, s[0:3], 0 offset:12
	s_waitcnt vmcnt(0)
	ds_write_b64 v1, v[46:47]
	buffer_store_dword v50, off, s[0:3], 0 offset:8
	buffer_store_dword v50, off, s[0:3], 0 offset:12
.LBB21_137:
	s_or_b64 exec, exec, s[4:5]
	s_waitcnt lgkmcnt(0)
	; wave barrier
	s_waitcnt lgkmcnt(0)
	buffer_load_dword v46, off, s[0:3], 0 offset:8
	buffer_load_dword v47, off, s[0:3], 0 offset:12
	;; [unrolled: 1-line block ×16, first 2 shown]
	ds_read_b128 v[52:55], v50 offset:192
	ds_read_b128 v[56:59], v50 offset:208
	;; [unrolled: 1-line block ×4, first 2 shown]
	v_cmp_ne_u32_e32 vcc, 0, v0
	s_waitcnt vmcnt(12) lgkmcnt(3)
	v_fma_f64 v[48:49], v[48:49], v[52:53], 0
	buffer_load_dword v53, off, s[0:3], 0 offset:76
	buffer_load_dword v52, off, s[0:3], 0 offset:72
	s_waitcnt vmcnt(12)
	v_fmac_f64_e32 v[48:49], v[68:69], v[54:55]
	s_waitcnt vmcnt(10) lgkmcnt(2)
	v_fmac_f64_e32 v[48:49], v[70:71], v[56:57]
	buffer_load_dword v57, off, s[0:3], 0 offset:84
	buffer_load_dword v56, off, s[0:3], 0 offset:80
	s_waitcnt vmcnt(10)
	v_fmac_f64_e32 v[48:49], v[72:73], v[58:59]
	s_waitcnt vmcnt(8) lgkmcnt(1)
	v_fmac_f64_e32 v[48:49], v[74:75], v[60:61]
	s_waitcnt vmcnt(6)
	v_fmac_f64_e32 v[48:49], v[76:77], v[62:63]
	s_waitcnt vmcnt(4) lgkmcnt(0)
	v_fmac_f64_e32 v[48:49], v[78:79], v[64:65]
	s_waitcnt vmcnt(2)
	v_fmac_f64_e32 v[48:49], v[52:53], v[66:67]
	ds_read_b128 v[52:55], v50 offset:256
	s_waitcnt vmcnt(0) lgkmcnt(0)
	v_fmac_f64_e32 v[48:49], v[56:57], v[52:53]
	buffer_load_dword v53, off, s[0:3], 0 offset:92
	buffer_load_dword v52, off, s[0:3], 0 offset:88
	buffer_load_dword v57, off, s[0:3], 0 offset:100
	buffer_load_dword v56, off, s[0:3], 0 offset:96
	s_waitcnt vmcnt(2)
	v_fmac_f64_e32 v[48:49], v[52:53], v[54:55]
	ds_read_b128 v[52:55], v50 offset:272
	s_waitcnt vmcnt(0) lgkmcnt(0)
	v_fmac_f64_e32 v[48:49], v[56:57], v[52:53]
	buffer_load_dword v53, off, s[0:3], 0 offset:108
	buffer_load_dword v52, off, s[0:3], 0 offset:104
	buffer_load_dword v57, off, s[0:3], 0 offset:116
	buffer_load_dword v56, off, s[0:3], 0 offset:112
	;; [unrolled: 9-line block ×4, first 2 shown]
	s_waitcnt vmcnt(2)
	v_fmac_f64_e32 v[48:49], v[52:53], v[54:55]
	ds_read_b128 v[52:55], v50 offset:320
	s_waitcnt vmcnt(0) lgkmcnt(0)
	v_fmac_f64_e32 v[48:49], v[56:57], v[52:53]
	buffer_load_dword v53, off, s[0:3], 0 offset:156
	buffer_load_dword v52, off, s[0:3], 0 offset:152
	s_waitcnt vmcnt(0)
	v_fmac_f64_e32 v[48:49], v[52:53], v[54:55]
	buffer_load_dword v55, off, s[0:3], 0 offset:164
	buffer_load_dword v54, off, s[0:3], 0 offset:160
	ds_read_b128 v[50:53], v50 offset:336
	s_waitcnt vmcnt(0) lgkmcnt(0)
	v_fmac_f64_e32 v[48:49], v[54:55], v[50:51]
	buffer_load_dword v51, off, s[0:3], 0 offset:172
	buffer_load_dword v50, off, s[0:3], 0 offset:168
	s_waitcnt vmcnt(0)
	v_fmac_f64_e32 v[48:49], v[50:51], v[52:53]
	v_add_f64 v[46:47], v[46:47], -v[48:49]
	buffer_store_dword v47, off, s[0:3], 0 offset:12
	buffer_store_dword v46, off, s[0:3], 0 offset:8
	s_and_saveexec_b64 s[4:5], vcc
	s_cbranch_execz .LBB21_139
; %bb.138:
	buffer_load_dword v46, off, s[0:3], 0
	buffer_load_dword v47, off, s[0:3], 0 offset:4
	v_mov_b32_e32 v0, 0
	buffer_store_dword v0, off, s[0:3], 0
	buffer_store_dword v0, off, s[0:3], 0 offset:4
	s_waitcnt vmcnt(2)
	ds_write_b64 v1, v[46:47]
.LBB21_139:
	s_or_b64 exec, exec, s[4:5]
	s_waitcnt lgkmcnt(0)
	; wave barrier
	s_waitcnt lgkmcnt(0)
	buffer_load_dword v0, off, s[0:3], 0
	buffer_load_dword v1, off, s[0:3], 0 offset:4
	buffer_load_dword v50, off, s[0:3], 0 offset:8
	buffer_load_dword v51, off, s[0:3], 0 offset:12
	buffer_load_dword v52, off, s[0:3], 0 offset:16
	buffer_load_dword v53, off, s[0:3], 0 offset:20
	buffer_load_dword v54, off, s[0:3], 0 offset:24
	buffer_load_dword v55, off, s[0:3], 0 offset:28
	buffer_load_dword v56, off, s[0:3], 0 offset:32
	buffer_load_dword v57, off, s[0:3], 0 offset:36
	buffer_load_dword v58, off, s[0:3], 0 offset:40
	buffer_load_dword v59, off, s[0:3], 0 offset:44
	buffer_load_dword v60, off, s[0:3], 0 offset:48
	buffer_load_dword v61, off, s[0:3], 0 offset:52
	buffer_load_dword v62, off, s[0:3], 0 offset:56
	buffer_load_dword v63, off, s[0:3], 0 offset:60
	v_mov_b32_e32 v64, 0
	ds_read2_b64 v[46:49], v64 offset0:23 offset1:24
	s_and_b64 vcc, exec, s[20:21]
	s_waitcnt vmcnt(12) lgkmcnt(0)
	v_fma_f64 v[46:47], v[50:51], v[46:47], 0
	s_waitcnt vmcnt(10)
	v_fmac_f64_e32 v[46:47], v[52:53], v[48:49]
	ds_read2_b64 v[48:51], v64 offset0:25 offset1:26
	s_waitcnt vmcnt(8) lgkmcnt(0)
	v_fmac_f64_e32 v[46:47], v[54:55], v[48:49]
	s_waitcnt vmcnt(6)
	v_fmac_f64_e32 v[46:47], v[56:57], v[50:51]
	ds_read2_b64 v[48:51], v64 offset0:27 offset1:28
	s_waitcnt vmcnt(4) lgkmcnt(0)
	v_fmac_f64_e32 v[46:47], v[58:59], v[48:49]
	;; [unrolled: 5-line block ×3, first 2 shown]
	buffer_load_dword v49, off, s[0:3], 0 offset:68
	buffer_load_dword v48, off, s[0:3], 0 offset:64
	buffer_load_dword v53, off, s[0:3], 0 offset:76
	buffer_load_dword v52, off, s[0:3], 0 offset:72
	s_waitcnt vmcnt(2)
	v_fmac_f64_e32 v[46:47], v[48:49], v[50:51]
	ds_read2_b64 v[48:51], v64 offset0:31 offset1:32
	s_waitcnt vmcnt(0) lgkmcnt(0)
	v_fmac_f64_e32 v[46:47], v[52:53], v[48:49]
	buffer_load_dword v49, off, s[0:3], 0 offset:84
	buffer_load_dword v48, off, s[0:3], 0 offset:80
	buffer_load_dword v53, off, s[0:3], 0 offset:92
	buffer_load_dword v52, off, s[0:3], 0 offset:88
	s_waitcnt vmcnt(2)
	v_fmac_f64_e32 v[46:47], v[48:49], v[50:51]
	ds_read2_b64 v[48:51], v64 offset0:33 offset1:34
	s_waitcnt vmcnt(0) lgkmcnt(0)
	v_fmac_f64_e32 v[46:47], v[52:53], v[48:49]
	;; [unrolled: 9-line block ×6, first 2 shown]
	buffer_load_dword v49, off, s[0:3], 0 offset:164
	buffer_load_dword v48, off, s[0:3], 0 offset:160
	s_waitcnt vmcnt(0)
	v_fmac_f64_e32 v[46:47], v[48:49], v[50:51]
	buffer_load_dword v51, off, s[0:3], 0 offset:172
	buffer_load_dword v50, off, s[0:3], 0 offset:168
	ds_read_b64 v[52:53], v64 offset:344
	s_waitcnt vmcnt(0) lgkmcnt(0)
	v_fmac_f64_e32 v[46:47], v[50:51], v[52:53]
	v_add_f64 v[0:1], v[0:1], -v[46:47]
	buffer_store_dword v1, off, s[0:3], 0 offset:4
	buffer_store_dword v0, off, s[0:3], 0
	s_cbranch_vccz .LBB21_183
; %bb.140:
	v_pk_mov_b32 v[0:1], s[10:11], s[10:11] op_sel:[0,1]
	flat_load_dword v0, v[0:1] offset:80
	s_waitcnt vmcnt(0) lgkmcnt(0)
	v_add_u32_e32 v0, -1, v0
	v_cmp_ne_u32_e32 vcc, 20, v0
	s_and_saveexec_b64 s[4:5], vcc
	s_cbranch_execz .LBB21_142
; %bb.141:
	v_mov_b32_e32 v1, 0
	v_lshl_add_u32 v0, v0, 3, v1
	buffer_load_dword v1, v0, s[0:3], 0 offen offset:4
	buffer_load_dword v46, v0, s[0:3], 0 offen
	s_waitcnt vmcnt(1)
	buffer_store_dword v1, off, s[0:3], 0 offset:164
	s_waitcnt vmcnt(1)
	buffer_store_dword v46, off, s[0:3], 0 offset:160
	buffer_store_dword v49, v0, s[0:3], 0 offen offset:4
	buffer_store_dword v48, v0, s[0:3], 0 offen
.LBB21_142:
	s_or_b64 exec, exec, s[4:5]
	v_pk_mov_b32 v[0:1], s[10:11], s[10:11] op_sel:[0,1]
	flat_load_dword v0, v[0:1] offset:76
	s_waitcnt vmcnt(0) lgkmcnt(0)
	v_add_u32_e32 v0, -1, v0
	v_cmp_ne_u32_e32 vcc, 19, v0
	s_and_saveexec_b64 s[4:5], vcc
	s_cbranch_execz .LBB21_144
; %bb.143:
	v_mov_b32_e32 v1, 0
	v_lshl_add_u32 v0, v0, 3, v1
	buffer_load_dword v1, v0, s[0:3], 0 offen
	buffer_load_dword v46, v0, s[0:3], 0 offen offset:4
	buffer_load_dword v47, off, s[0:3], 0 offset:152
	buffer_load_dword v48, off, s[0:3], 0 offset:156
	s_waitcnt vmcnt(3)
	buffer_store_dword v1, off, s[0:3], 0 offset:152
	s_waitcnt vmcnt(3)
	buffer_store_dword v46, off, s[0:3], 0 offset:156
	s_waitcnt vmcnt(3)
	buffer_store_dword v47, v0, s[0:3], 0 offen
	s_waitcnt vmcnt(3)
	buffer_store_dword v48, v0, s[0:3], 0 offen offset:4
.LBB21_144:
	s_or_b64 exec, exec, s[4:5]
	v_pk_mov_b32 v[0:1], s[10:11], s[10:11] op_sel:[0,1]
	flat_load_dword v0, v[0:1] offset:72
	s_waitcnt vmcnt(0) lgkmcnt(0)
	v_add_u32_e32 v0, -1, v0
	v_cmp_ne_u32_e32 vcc, 18, v0
	s_and_saveexec_b64 s[4:5], vcc
	s_cbranch_execz .LBB21_146
; %bb.145:
	v_mov_b32_e32 v1, 0
	v_lshl_add_u32 v0, v0, 3, v1
	buffer_load_dword v1, v0, s[0:3], 0 offen
	buffer_load_dword v46, v0, s[0:3], 0 offen offset:4
	buffer_load_dword v47, off, s[0:3], 0 offset:148
	buffer_load_dword v48, off, s[0:3], 0 offset:144
	s_waitcnt vmcnt(3)
	buffer_store_dword v1, off, s[0:3], 0 offset:144
	s_waitcnt vmcnt(3)
	buffer_store_dword v46, off, s[0:3], 0 offset:148
	s_waitcnt vmcnt(3)
	buffer_store_dword v47, v0, s[0:3], 0 offen offset:4
	s_waitcnt vmcnt(3)
	buffer_store_dword v48, v0, s[0:3], 0 offen
.LBB21_146:
	s_or_b64 exec, exec, s[4:5]
	v_pk_mov_b32 v[0:1], s[10:11], s[10:11] op_sel:[0,1]
	flat_load_dword v0, v[0:1] offset:68
	s_waitcnt vmcnt(0) lgkmcnt(0)
	v_add_u32_e32 v0, -1, v0
	v_cmp_ne_u32_e32 vcc, 17, v0
	s_and_saveexec_b64 s[4:5], vcc
	s_cbranch_execz .LBB21_148
; %bb.147:
	v_mov_b32_e32 v1, 0
	v_lshl_add_u32 v0, v0, 3, v1
	buffer_load_dword v1, v0, s[0:3], 0 offen
	buffer_load_dword v46, v0, s[0:3], 0 offen offset:4
	buffer_load_dword v47, off, s[0:3], 0 offset:136
	buffer_load_dword v48, off, s[0:3], 0 offset:140
	s_waitcnt vmcnt(3)
	buffer_store_dword v1, off, s[0:3], 0 offset:136
	s_waitcnt vmcnt(3)
	buffer_store_dword v46, off, s[0:3], 0 offset:140
	s_waitcnt vmcnt(3)
	buffer_store_dword v47, v0, s[0:3], 0 offen
	s_waitcnt vmcnt(3)
	buffer_store_dword v48, v0, s[0:3], 0 offen offset:4
.LBB21_148:
	s_or_b64 exec, exec, s[4:5]
	v_pk_mov_b32 v[0:1], s[10:11], s[10:11] op_sel:[0,1]
	flat_load_dword v0, v[0:1] offset:64
	s_waitcnt vmcnt(0) lgkmcnt(0)
	v_add_u32_e32 v0, -1, v0
	v_cmp_ne_u32_e32 vcc, 16, v0
	s_and_saveexec_b64 s[4:5], vcc
	s_cbranch_execz .LBB21_150
; %bb.149:
	v_mov_b32_e32 v1, 0
	v_lshl_add_u32 v0, v0, 3, v1
	buffer_load_dword v1, v0, s[0:3], 0 offen
	buffer_load_dword v46, v0, s[0:3], 0 offen offset:4
	buffer_load_dword v47, off, s[0:3], 0 offset:132
	buffer_load_dword v48, off, s[0:3], 0 offset:128
	s_waitcnt vmcnt(3)
	buffer_store_dword v1, off, s[0:3], 0 offset:128
	s_waitcnt vmcnt(3)
	buffer_store_dword v46, off, s[0:3], 0 offset:132
	s_waitcnt vmcnt(3)
	buffer_store_dword v47, v0, s[0:3], 0 offen offset:4
	s_waitcnt vmcnt(3)
	buffer_store_dword v48, v0, s[0:3], 0 offen
.LBB21_150:
	s_or_b64 exec, exec, s[4:5]
	v_pk_mov_b32 v[0:1], s[10:11], s[10:11] op_sel:[0,1]
	flat_load_dword v0, v[0:1] offset:60
	s_waitcnt vmcnt(0) lgkmcnt(0)
	v_add_u32_e32 v0, -1, v0
	v_cmp_ne_u32_e32 vcc, 15, v0
	s_and_saveexec_b64 s[4:5], vcc
	s_cbranch_execz .LBB21_152
; %bb.151:
	v_mov_b32_e32 v1, 0
	v_lshl_add_u32 v0, v0, 3, v1
	buffer_load_dword v1, v0, s[0:3], 0 offen
	buffer_load_dword v46, v0, s[0:3], 0 offen offset:4
	buffer_load_dword v47, off, s[0:3], 0 offset:120
	buffer_load_dword v48, off, s[0:3], 0 offset:124
	s_waitcnt vmcnt(3)
	buffer_store_dword v1, off, s[0:3], 0 offset:120
	s_waitcnt vmcnt(3)
	buffer_store_dword v46, off, s[0:3], 0 offset:124
	s_waitcnt vmcnt(3)
	buffer_store_dword v47, v0, s[0:3], 0 offen
	s_waitcnt vmcnt(3)
	buffer_store_dword v48, v0, s[0:3], 0 offen offset:4
.LBB21_152:
	s_or_b64 exec, exec, s[4:5]
	v_pk_mov_b32 v[0:1], s[10:11], s[10:11] op_sel:[0,1]
	flat_load_dword v0, v[0:1] offset:56
	s_waitcnt vmcnt(0) lgkmcnt(0)
	v_add_u32_e32 v0, -1, v0
	v_cmp_ne_u32_e32 vcc, 14, v0
	s_and_saveexec_b64 s[4:5], vcc
	s_cbranch_execz .LBB21_154
; %bb.153:
	v_mov_b32_e32 v1, 0
	v_lshl_add_u32 v0, v0, 3, v1
	buffer_load_dword v1, v0, s[0:3], 0 offen
	buffer_load_dword v46, v0, s[0:3], 0 offen offset:4
	buffer_load_dword v47, off, s[0:3], 0 offset:116
	buffer_load_dword v48, off, s[0:3], 0 offset:112
	s_waitcnt vmcnt(3)
	buffer_store_dword v1, off, s[0:3], 0 offset:112
	s_waitcnt vmcnt(3)
	buffer_store_dword v46, off, s[0:3], 0 offset:116
	s_waitcnt vmcnt(3)
	buffer_store_dword v47, v0, s[0:3], 0 offen offset:4
	s_waitcnt vmcnt(3)
	buffer_store_dword v48, v0, s[0:3], 0 offen
.LBB21_154:
	s_or_b64 exec, exec, s[4:5]
	v_pk_mov_b32 v[0:1], s[10:11], s[10:11] op_sel:[0,1]
	flat_load_dword v0, v[0:1] offset:52
	s_waitcnt vmcnt(0) lgkmcnt(0)
	v_add_u32_e32 v0, -1, v0
	v_cmp_ne_u32_e32 vcc, 13, v0
	s_and_saveexec_b64 s[4:5], vcc
	s_cbranch_execz .LBB21_156
; %bb.155:
	v_mov_b32_e32 v1, 0
	v_lshl_add_u32 v0, v0, 3, v1
	buffer_load_dword v1, v0, s[0:3], 0 offen
	buffer_load_dword v46, v0, s[0:3], 0 offen offset:4
	buffer_load_dword v47, off, s[0:3], 0 offset:104
	buffer_load_dword v48, off, s[0:3], 0 offset:108
	s_waitcnt vmcnt(3)
	buffer_store_dword v1, off, s[0:3], 0 offset:104
	s_waitcnt vmcnt(3)
	buffer_store_dword v46, off, s[0:3], 0 offset:108
	s_waitcnt vmcnt(3)
	buffer_store_dword v47, v0, s[0:3], 0 offen
	s_waitcnt vmcnt(3)
	buffer_store_dword v48, v0, s[0:3], 0 offen offset:4
.LBB21_156:
	s_or_b64 exec, exec, s[4:5]
	v_pk_mov_b32 v[0:1], s[10:11], s[10:11] op_sel:[0,1]
	flat_load_dword v0, v[0:1] offset:48
	s_waitcnt vmcnt(0) lgkmcnt(0)
	v_add_u32_e32 v0, -1, v0
	v_cmp_ne_u32_e32 vcc, 12, v0
	s_and_saveexec_b64 s[4:5], vcc
	s_cbranch_execz .LBB21_158
; %bb.157:
	v_mov_b32_e32 v1, 0
	v_lshl_add_u32 v0, v0, 3, v1
	buffer_load_dword v1, v0, s[0:3], 0 offen
	buffer_load_dword v46, v0, s[0:3], 0 offen offset:4
	buffer_load_dword v47, off, s[0:3], 0 offset:100
	buffer_load_dword v48, off, s[0:3], 0 offset:96
	s_waitcnt vmcnt(3)
	buffer_store_dword v1, off, s[0:3], 0 offset:96
	s_waitcnt vmcnt(3)
	buffer_store_dword v46, off, s[0:3], 0 offset:100
	s_waitcnt vmcnt(3)
	buffer_store_dword v47, v0, s[0:3], 0 offen offset:4
	s_waitcnt vmcnt(3)
	buffer_store_dword v48, v0, s[0:3], 0 offen
.LBB21_158:
	s_or_b64 exec, exec, s[4:5]
	v_pk_mov_b32 v[0:1], s[10:11], s[10:11] op_sel:[0,1]
	flat_load_dword v0, v[0:1] offset:44
	s_waitcnt vmcnt(0) lgkmcnt(0)
	v_add_u32_e32 v0, -1, v0
	v_cmp_ne_u32_e32 vcc, 11, v0
	s_and_saveexec_b64 s[4:5], vcc
	s_cbranch_execz .LBB21_160
; %bb.159:
	v_mov_b32_e32 v1, 0
	v_lshl_add_u32 v0, v0, 3, v1
	buffer_load_dword v1, v0, s[0:3], 0 offen
	buffer_load_dword v46, v0, s[0:3], 0 offen offset:4
	buffer_load_dword v47, off, s[0:3], 0 offset:88
	buffer_load_dword v48, off, s[0:3], 0 offset:92
	s_waitcnt vmcnt(3)
	buffer_store_dword v1, off, s[0:3], 0 offset:88
	s_waitcnt vmcnt(3)
	buffer_store_dword v46, off, s[0:3], 0 offset:92
	s_waitcnt vmcnt(3)
	buffer_store_dword v47, v0, s[0:3], 0 offen
	s_waitcnt vmcnt(3)
	buffer_store_dword v48, v0, s[0:3], 0 offen offset:4
.LBB21_160:
	s_or_b64 exec, exec, s[4:5]
	v_pk_mov_b32 v[0:1], s[10:11], s[10:11] op_sel:[0,1]
	flat_load_dword v0, v[0:1] offset:40
	s_waitcnt vmcnt(0) lgkmcnt(0)
	v_add_u32_e32 v0, -1, v0
	v_cmp_ne_u32_e32 vcc, 10, v0
	s_and_saveexec_b64 s[4:5], vcc
	s_cbranch_execz .LBB21_162
; %bb.161:
	v_mov_b32_e32 v1, 0
	v_lshl_add_u32 v0, v0, 3, v1
	buffer_load_dword v1, v0, s[0:3], 0 offen
	buffer_load_dword v46, v0, s[0:3], 0 offen offset:4
	buffer_load_dword v47, off, s[0:3], 0 offset:84
	buffer_load_dword v48, off, s[0:3], 0 offset:80
	s_waitcnt vmcnt(3)
	buffer_store_dword v1, off, s[0:3], 0 offset:80
	s_waitcnt vmcnt(3)
	buffer_store_dword v46, off, s[0:3], 0 offset:84
	s_waitcnt vmcnt(3)
	buffer_store_dword v47, v0, s[0:3], 0 offen offset:4
	s_waitcnt vmcnt(3)
	buffer_store_dword v48, v0, s[0:3], 0 offen
.LBB21_162:
	s_or_b64 exec, exec, s[4:5]
	v_pk_mov_b32 v[0:1], s[10:11], s[10:11] op_sel:[0,1]
	flat_load_dword v0, v[0:1] offset:36
	s_waitcnt vmcnt(0) lgkmcnt(0)
	v_add_u32_e32 v0, -1, v0
	v_cmp_ne_u32_e32 vcc, 9, v0
	s_and_saveexec_b64 s[4:5], vcc
	s_cbranch_execz .LBB21_164
; %bb.163:
	v_mov_b32_e32 v1, 0
	v_lshl_add_u32 v0, v0, 3, v1
	buffer_load_dword v1, v0, s[0:3], 0 offen
	buffer_load_dword v46, v0, s[0:3], 0 offen offset:4
	buffer_load_dword v47, off, s[0:3], 0 offset:72
	buffer_load_dword v48, off, s[0:3], 0 offset:76
	s_waitcnt vmcnt(3)
	buffer_store_dword v1, off, s[0:3], 0 offset:72
	s_waitcnt vmcnt(3)
	buffer_store_dword v46, off, s[0:3], 0 offset:76
	s_waitcnt vmcnt(3)
	buffer_store_dword v47, v0, s[0:3], 0 offen
	s_waitcnt vmcnt(3)
	buffer_store_dword v48, v0, s[0:3], 0 offen offset:4
.LBB21_164:
	s_or_b64 exec, exec, s[4:5]
	v_pk_mov_b32 v[0:1], s[10:11], s[10:11] op_sel:[0,1]
	flat_load_dword v0, v[0:1] offset:32
	s_waitcnt vmcnt(0) lgkmcnt(0)
	v_add_u32_e32 v0, -1, v0
	v_cmp_ne_u32_e32 vcc, 8, v0
	s_and_saveexec_b64 s[4:5], vcc
	s_cbranch_execz .LBB21_166
; %bb.165:
	v_mov_b32_e32 v1, 0
	v_lshl_add_u32 v0, v0, 3, v1
	buffer_load_dword v1, v0, s[0:3], 0 offen
	buffer_load_dword v46, v0, s[0:3], 0 offen offset:4
	buffer_load_dword v47, off, s[0:3], 0 offset:68
	buffer_load_dword v48, off, s[0:3], 0 offset:64
	s_waitcnt vmcnt(3)
	buffer_store_dword v1, off, s[0:3], 0 offset:64
	s_waitcnt vmcnt(3)
	buffer_store_dword v46, off, s[0:3], 0 offset:68
	s_waitcnt vmcnt(3)
	buffer_store_dword v47, v0, s[0:3], 0 offen offset:4
	s_waitcnt vmcnt(3)
	buffer_store_dword v48, v0, s[0:3], 0 offen
.LBB21_166:
	s_or_b64 exec, exec, s[4:5]
	v_pk_mov_b32 v[0:1], s[10:11], s[10:11] op_sel:[0,1]
	flat_load_dword v0, v[0:1] offset:28
	s_waitcnt vmcnt(0) lgkmcnt(0)
	v_add_u32_e32 v0, -1, v0
	v_cmp_ne_u32_e32 vcc, 7, v0
	s_and_saveexec_b64 s[4:5], vcc
	s_cbranch_execz .LBB21_168
; %bb.167:
	v_mov_b32_e32 v1, 0
	v_lshl_add_u32 v0, v0, 3, v1
	buffer_load_dword v1, v0, s[0:3], 0 offen
	buffer_load_dword v46, v0, s[0:3], 0 offen offset:4
	buffer_load_dword v47, off, s[0:3], 0 offset:56
	buffer_load_dword v48, off, s[0:3], 0 offset:60
	s_waitcnt vmcnt(3)
	buffer_store_dword v1, off, s[0:3], 0 offset:56
	s_waitcnt vmcnt(3)
	buffer_store_dword v46, off, s[0:3], 0 offset:60
	s_waitcnt vmcnt(3)
	buffer_store_dword v47, v0, s[0:3], 0 offen
	s_waitcnt vmcnt(3)
	buffer_store_dword v48, v0, s[0:3], 0 offen offset:4
.LBB21_168:
	s_or_b64 exec, exec, s[4:5]
	v_pk_mov_b32 v[0:1], s[10:11], s[10:11] op_sel:[0,1]
	flat_load_dword v0, v[0:1] offset:24
	s_waitcnt vmcnt(0) lgkmcnt(0)
	v_add_u32_e32 v0, -1, v0
	v_cmp_ne_u32_e32 vcc, 6, v0
	s_and_saveexec_b64 s[4:5], vcc
	s_cbranch_execz .LBB21_170
; %bb.169:
	v_mov_b32_e32 v1, 0
	v_lshl_add_u32 v0, v0, 3, v1
	buffer_load_dword v1, v0, s[0:3], 0 offen
	buffer_load_dword v46, v0, s[0:3], 0 offen offset:4
	buffer_load_dword v47, off, s[0:3], 0 offset:52
	buffer_load_dword v48, off, s[0:3], 0 offset:48
	s_waitcnt vmcnt(3)
	buffer_store_dword v1, off, s[0:3], 0 offset:48
	s_waitcnt vmcnt(3)
	buffer_store_dword v46, off, s[0:3], 0 offset:52
	s_waitcnt vmcnt(3)
	buffer_store_dword v47, v0, s[0:3], 0 offen offset:4
	s_waitcnt vmcnt(3)
	buffer_store_dword v48, v0, s[0:3], 0 offen
.LBB21_170:
	s_or_b64 exec, exec, s[4:5]
	v_pk_mov_b32 v[0:1], s[10:11], s[10:11] op_sel:[0,1]
	flat_load_dword v0, v[0:1] offset:20
	s_waitcnt vmcnt(0) lgkmcnt(0)
	v_add_u32_e32 v0, -1, v0
	v_cmp_ne_u32_e32 vcc, 5, v0
	s_and_saveexec_b64 s[4:5], vcc
	s_cbranch_execz .LBB21_172
; %bb.171:
	v_mov_b32_e32 v1, 0
	v_lshl_add_u32 v0, v0, 3, v1
	buffer_load_dword v1, v0, s[0:3], 0 offen
	buffer_load_dword v46, v0, s[0:3], 0 offen offset:4
	buffer_load_dword v47, off, s[0:3], 0 offset:40
	buffer_load_dword v48, off, s[0:3], 0 offset:44
	s_waitcnt vmcnt(3)
	buffer_store_dword v1, off, s[0:3], 0 offset:40
	s_waitcnt vmcnt(3)
	buffer_store_dword v46, off, s[0:3], 0 offset:44
	s_waitcnt vmcnt(3)
	buffer_store_dword v47, v0, s[0:3], 0 offen
	s_waitcnt vmcnt(3)
	buffer_store_dword v48, v0, s[0:3], 0 offen offset:4
.LBB21_172:
	s_or_b64 exec, exec, s[4:5]
	v_pk_mov_b32 v[0:1], s[10:11], s[10:11] op_sel:[0,1]
	flat_load_dword v0, v[0:1] offset:16
	s_waitcnt vmcnt(0) lgkmcnt(0)
	v_add_u32_e32 v0, -1, v0
	v_cmp_ne_u32_e32 vcc, 4, v0
	s_and_saveexec_b64 s[4:5], vcc
	s_cbranch_execz .LBB21_174
; %bb.173:
	v_mov_b32_e32 v1, 0
	v_lshl_add_u32 v0, v0, 3, v1
	buffer_load_dword v1, v0, s[0:3], 0 offen
	buffer_load_dword v46, v0, s[0:3], 0 offen offset:4
	buffer_load_dword v47, off, s[0:3], 0 offset:36
	buffer_load_dword v48, off, s[0:3], 0 offset:32
	s_waitcnt vmcnt(3)
	buffer_store_dword v1, off, s[0:3], 0 offset:32
	s_waitcnt vmcnt(3)
	buffer_store_dword v46, off, s[0:3], 0 offset:36
	s_waitcnt vmcnt(3)
	buffer_store_dword v47, v0, s[0:3], 0 offen offset:4
	s_waitcnt vmcnt(3)
	buffer_store_dword v48, v0, s[0:3], 0 offen
.LBB21_174:
	s_or_b64 exec, exec, s[4:5]
	v_pk_mov_b32 v[0:1], s[10:11], s[10:11] op_sel:[0,1]
	flat_load_dword v0, v[0:1] offset:12
	s_waitcnt vmcnt(0) lgkmcnt(0)
	v_add_u32_e32 v0, -1, v0
	v_cmp_ne_u32_e32 vcc, 3, v0
	s_and_saveexec_b64 s[4:5], vcc
	s_cbranch_execz .LBB21_176
; %bb.175:
	v_mov_b32_e32 v1, 0
	v_lshl_add_u32 v0, v0, 3, v1
	buffer_load_dword v1, v0, s[0:3], 0 offen
	buffer_load_dword v46, v0, s[0:3], 0 offen offset:4
	buffer_load_dword v47, off, s[0:3], 0 offset:24
	buffer_load_dword v48, off, s[0:3], 0 offset:28
	s_waitcnt vmcnt(3)
	buffer_store_dword v1, off, s[0:3], 0 offset:24
	s_waitcnt vmcnt(3)
	buffer_store_dword v46, off, s[0:3], 0 offset:28
	s_waitcnt vmcnt(3)
	buffer_store_dword v47, v0, s[0:3], 0 offen
	s_waitcnt vmcnt(3)
	buffer_store_dword v48, v0, s[0:3], 0 offen offset:4
.LBB21_176:
	s_or_b64 exec, exec, s[4:5]
	v_pk_mov_b32 v[0:1], s[10:11], s[10:11] op_sel:[0,1]
	flat_load_dword v0, v[0:1] offset:8
	s_waitcnt vmcnt(0) lgkmcnt(0)
	v_add_u32_e32 v0, -1, v0
	v_cmp_ne_u32_e32 vcc, 2, v0
	s_and_saveexec_b64 s[4:5], vcc
	s_cbranch_execz .LBB21_178
; %bb.177:
	v_mov_b32_e32 v1, 0
	v_lshl_add_u32 v0, v0, 3, v1
	buffer_load_dword v1, v0, s[0:3], 0 offen
	buffer_load_dword v46, v0, s[0:3], 0 offen offset:4
	buffer_load_dword v47, off, s[0:3], 0 offset:20
	buffer_load_dword v48, off, s[0:3], 0 offset:16
	s_waitcnt vmcnt(3)
	buffer_store_dword v1, off, s[0:3], 0 offset:16
	s_waitcnt vmcnt(3)
	buffer_store_dword v46, off, s[0:3], 0 offset:20
	s_waitcnt vmcnt(3)
	buffer_store_dword v47, v0, s[0:3], 0 offen offset:4
	s_waitcnt vmcnt(3)
	buffer_store_dword v48, v0, s[0:3], 0 offen
.LBB21_178:
	s_or_b64 exec, exec, s[4:5]
	v_pk_mov_b32 v[0:1], s[10:11], s[10:11] op_sel:[0,1]
	flat_load_dword v0, v[0:1] offset:4
	s_waitcnt vmcnt(0) lgkmcnt(0)
	v_add_u32_e32 v0, -1, v0
	v_cmp_ne_u32_e32 vcc, 1, v0
	s_and_saveexec_b64 s[4:5], vcc
	s_cbranch_execz .LBB21_180
; %bb.179:
	v_mov_b32_e32 v1, 0
	v_lshl_add_u32 v0, v0, 3, v1
	buffer_load_dword v1, v0, s[0:3], 0 offen
	buffer_load_dword v46, v0, s[0:3], 0 offen offset:4
	buffer_load_dword v47, off, s[0:3], 0 offset:8
	buffer_load_dword v48, off, s[0:3], 0 offset:12
	s_waitcnt vmcnt(3)
	buffer_store_dword v1, off, s[0:3], 0 offset:8
	s_waitcnt vmcnt(3)
	buffer_store_dword v46, off, s[0:3], 0 offset:12
	s_waitcnt vmcnt(3)
	buffer_store_dword v47, v0, s[0:3], 0 offen
	s_waitcnt vmcnt(3)
	buffer_store_dword v48, v0, s[0:3], 0 offen offset:4
.LBB21_180:
	s_or_b64 exec, exec, s[4:5]
	v_pk_mov_b32 v[0:1], s[10:11], s[10:11] op_sel:[0,1]
	flat_load_dword v46, v[0:1]
	s_nop 0
	buffer_load_dword v0, off, s[0:3], 0
	buffer_load_dword v1, off, s[0:3], 0 offset:4
	s_waitcnt vmcnt(0) lgkmcnt(0)
	v_add_u32_e32 v46, -1, v46
	v_cmp_ne_u32_e32 vcc, 0, v46
	s_and_saveexec_b64 s[4:5], vcc
	s_cbranch_execz .LBB21_182
; %bb.181:
	v_mov_b32_e32 v47, 0
	v_lshl_add_u32 v46, v46, 3, v47
	buffer_load_dword v47, v46, s[0:3], 0 offen offset:4
	buffer_load_dword v48, v46, s[0:3], 0 offen
	s_waitcnt vmcnt(1)
	buffer_store_dword v47, off, s[0:3], 0 offset:4
	s_waitcnt vmcnt(1)
	buffer_store_dword v48, off, s[0:3], 0
	buffer_store_dword v1, v46, s[0:3], 0 offen offset:4
	buffer_store_dword v0, v46, s[0:3], 0 offen
	buffer_load_dword v0, off, s[0:3], 0
	s_nop 0
	buffer_load_dword v1, off, s[0:3], 0 offset:4
.LBB21_182:
	s_or_b64 exec, exec, s[4:5]
.LBB21_183:
	buffer_load_dword v46, off, s[0:3], 0 offset:8
	buffer_load_dword v47, off, s[0:3], 0 offset:12
	;; [unrolled: 1-line block ×42, first 2 shown]
	s_waitcnt vmcnt(42)
	global_store_dwordx2 v[2:3], v[0:1], off
	s_waitcnt vmcnt(41)
	global_store_dwordx2 v[4:5], v[46:47], off
	;; [unrolled: 2-line block ×22, first 2 shown]
	s_endpgm
	.section	.rodata,"a",@progbits
	.p2align	6, 0x0
	.amdhsa_kernel _ZN9rocsolver6v33100L18getri_kernel_smallILi22EdPdEEvT1_iilPiilS4_bb
		.amdhsa_group_segment_fixed_size 360
		.amdhsa_private_segment_fixed_size 192
		.amdhsa_kernarg_size 60
		.amdhsa_user_sgpr_count 8
		.amdhsa_user_sgpr_private_segment_buffer 1
		.amdhsa_user_sgpr_dispatch_ptr 0
		.amdhsa_user_sgpr_queue_ptr 0
		.amdhsa_user_sgpr_kernarg_segment_ptr 1
		.amdhsa_user_sgpr_dispatch_id 0
		.amdhsa_user_sgpr_flat_scratch_init 1
		.amdhsa_user_sgpr_kernarg_preload_length 0
		.amdhsa_user_sgpr_kernarg_preload_offset 0
		.amdhsa_user_sgpr_private_segment_size 0
		.amdhsa_uses_dynamic_stack 0
		.amdhsa_system_sgpr_private_segment_wavefront_offset 1
		.amdhsa_system_sgpr_workgroup_id_x 1
		.amdhsa_system_sgpr_workgroup_id_y 0
		.amdhsa_system_sgpr_workgroup_id_z 0
		.amdhsa_system_sgpr_workgroup_info 0
		.amdhsa_system_vgpr_workitem_id 0
		.amdhsa_next_free_vgpr 126
		.amdhsa_next_free_sgpr 23
		.amdhsa_accum_offset 128
		.amdhsa_reserve_vcc 1
		.amdhsa_reserve_flat_scratch 1
		.amdhsa_float_round_mode_32 0
		.amdhsa_float_round_mode_16_64 0
		.amdhsa_float_denorm_mode_32 3
		.amdhsa_float_denorm_mode_16_64 3
		.amdhsa_dx10_clamp 1
		.amdhsa_ieee_mode 1
		.amdhsa_fp16_overflow 0
		.amdhsa_tg_split 0
		.amdhsa_exception_fp_ieee_invalid_op 0
		.amdhsa_exception_fp_denorm_src 0
		.amdhsa_exception_fp_ieee_div_zero 0
		.amdhsa_exception_fp_ieee_overflow 0
		.amdhsa_exception_fp_ieee_underflow 0
		.amdhsa_exception_fp_ieee_inexact 0
		.amdhsa_exception_int_div_zero 0
	.end_amdhsa_kernel
	.section	.text._ZN9rocsolver6v33100L18getri_kernel_smallILi22EdPdEEvT1_iilPiilS4_bb,"axG",@progbits,_ZN9rocsolver6v33100L18getri_kernel_smallILi22EdPdEEvT1_iilPiilS4_bb,comdat
.Lfunc_end21:
	.size	_ZN9rocsolver6v33100L18getri_kernel_smallILi22EdPdEEvT1_iilPiilS4_bb, .Lfunc_end21-_ZN9rocsolver6v33100L18getri_kernel_smallILi22EdPdEEvT1_iilPiilS4_bb
                                        ; -- End function
	.section	.AMDGPU.csdata,"",@progbits
; Kernel info:
; codeLenInByte = 18136
; NumSgprs: 29
; NumVgprs: 126
; NumAgprs: 0
; TotalNumVgprs: 126
; ScratchSize: 192
; MemoryBound: 0
; FloatMode: 240
; IeeeMode: 1
; LDSByteSize: 360 bytes/workgroup (compile time only)
; SGPRBlocks: 3
; VGPRBlocks: 15
; NumSGPRsForWavesPerEU: 29
; NumVGPRsForWavesPerEU: 126
; AccumOffset: 128
; Occupancy: 4
; WaveLimiterHint : 1
; COMPUTE_PGM_RSRC2:SCRATCH_EN: 1
; COMPUTE_PGM_RSRC2:USER_SGPR: 8
; COMPUTE_PGM_RSRC2:TRAP_HANDLER: 0
; COMPUTE_PGM_RSRC2:TGID_X_EN: 1
; COMPUTE_PGM_RSRC2:TGID_Y_EN: 0
; COMPUTE_PGM_RSRC2:TGID_Z_EN: 0
; COMPUTE_PGM_RSRC2:TIDIG_COMP_CNT: 0
; COMPUTE_PGM_RSRC3_GFX90A:ACCUM_OFFSET: 31
; COMPUTE_PGM_RSRC3_GFX90A:TG_SPLIT: 0
	.section	.text._ZN9rocsolver6v33100L18getri_kernel_smallILi23EdPdEEvT1_iilPiilS4_bb,"axG",@progbits,_ZN9rocsolver6v33100L18getri_kernel_smallILi23EdPdEEvT1_iilPiilS4_bb,comdat
	.globl	_ZN9rocsolver6v33100L18getri_kernel_smallILi23EdPdEEvT1_iilPiilS4_bb ; -- Begin function _ZN9rocsolver6v33100L18getri_kernel_smallILi23EdPdEEvT1_iilPiilS4_bb
	.p2align	8
	.type	_ZN9rocsolver6v33100L18getri_kernel_smallILi23EdPdEEvT1_iilPiilS4_bb,@function
_ZN9rocsolver6v33100L18getri_kernel_smallILi23EdPdEEvT1_iilPiilS4_bb: ; @_ZN9rocsolver6v33100L18getri_kernel_smallILi23EdPdEEvT1_iilPiilS4_bb
; %bb.0:
	s_add_u32 flat_scratch_lo, s6, s9
	s_addc_u32 flat_scratch_hi, s7, 0
	s_add_u32 s0, s0, s9
	s_addc_u32 s1, s1, 0
	v_cmp_gt_u32_e32 vcc, 23, v0
	s_and_saveexec_b64 s[6:7], vcc
	s_cbranch_execz .LBB22_100
; %bb.1:
	s_load_dword s22, s[4:5], 0x38
	s_load_dwordx4 s[16:19], s[4:5], 0x10
	s_load_dwordx4 s[12:15], s[4:5], 0x28
                                        ; implicit-def: $sgpr10_sgpr11
	s_waitcnt lgkmcnt(0)
	s_bitcmp1_b32 s22, 8
	s_cselect_b64 s[20:21], -1, 0
	s_ashr_i32 s9, s8, 31
	s_bfe_u32 s6, s22, 0x10008
	s_cmp_eq_u32 s6, 0
	s_cbranch_scc1 .LBB22_3
; %bb.2:
	s_load_dword s6, s[4:5], 0x20
	s_mul_i32 s7, s8, s13
	s_mul_hi_u32 s10, s8, s12
	s_mul_i32 s11, s9, s12
	s_add_i32 s10, s10, s7
	s_add_i32 s11, s10, s11
	s_mul_i32 s10, s8, s12
	s_waitcnt lgkmcnt(0)
	s_ashr_i32 s7, s6, 31
	s_lshl_b64 s[10:11], s[10:11], 2
	s_add_u32 s10, s18, s10
	s_addc_u32 s11, s19, s11
	s_lshl_b64 s[6:7], s[6:7], 2
	s_add_u32 s10, s10, s6
	s_addc_u32 s11, s11, s7
.LBB22_3:
	s_load_dwordx4 s[4:7], s[4:5], 0x0
	s_mul_i32 s12, s8, s17
	s_mul_hi_u32 s13, s8, s16
	s_add_i32 s17, s13, s12
	v_lshlrev_b32_e32 v1, 3, v0
	s_waitcnt lgkmcnt(0)
	s_ashr_i32 s13, s6, 31
	s_mov_b32 s12, s6
	s_mul_i32 s6, s9, s16
	s_add_i32 s17, s17, s6
	s_mul_i32 s16, s8, s16
	s_lshl_b64 s[16:17], s[16:17], 3
	s_add_u32 s6, s4, s16
	s_addc_u32 s16, s5, s17
	s_lshl_b64 s[4:5], s[12:13], 3
	s_add_u32 s4, s6, s4
	s_addc_u32 s5, s16, s5
	v_mov_b32_e32 v3, s5
	v_add_co_u32_e32 v2, vcc, s4, v1
	s_ashr_i32 s13, s7, 31
	s_mov_b32 s12, s7
	s_add_i32 s6, s7, s7
	v_addc_co_u32_e32 v3, vcc, 0, v3, vcc
	s_lshl_b64 s[12:13], s[12:13], 3
	v_add_u32_e32 v8, s6, v0
	v_mov_b32_e32 v5, s13
	v_add_co_u32_e32 v4, vcc, s12, v2
	v_ashrrev_i32_e32 v9, 31, v8
	v_addc_co_u32_e32 v5, vcc, v3, v5, vcc
	v_lshlrev_b64 v[6:7], 3, v[8:9]
	v_add_u32_e32 v10, s7, v8
	v_mov_b32_e32 v9, s5
	v_add_co_u32_e32 v6, vcc, s4, v6
	v_ashrrev_i32_e32 v11, 31, v10
	v_addc_co_u32_e32 v7, vcc, v9, v7, vcc
	v_lshlrev_b64 v[8:9], 3, v[10:11]
	;; [unrolled: 6-line block ×3, first 2 shown]
	v_mov_b32_e32 v13, s5
	v_add_co_u32_e32 v10, vcc, s4, v10
	v_add_u32_e32 v12, s7, v12
	v_addc_co_u32_e32 v11, vcc, v13, v11, vcc
	v_ashrrev_i32_e32 v13, 31, v12
	v_add_u32_e32 v14, s7, v12
	v_lshlrev_b64 v[12:13], 3, v[12:13]
	v_mov_b32_e32 v15, s5
	v_add_co_u32_e32 v12, vcc, s4, v12
	v_addc_co_u32_e32 v13, vcc, v15, v13, vcc
	v_ashrrev_i32_e32 v15, 31, v14
	v_add_u32_e32 v16, s7, v14
	v_lshlrev_b64 v[14:15], 3, v[14:15]
	v_mov_b32_e32 v17, s5
	v_add_co_u32_e32 v14, vcc, s4, v14
	;; [unrolled: 6-line block ×17, first 2 shown]
	global_load_dwordx2 v[48:49], v1, s[4:5]
	global_load_dwordx2 v[50:51], v[4:5], off
	global_load_dwordx2 v[52:53], v[6:7], off
	;; [unrolled: 1-line block ×17, first 2 shown]
	v_addc_co_u32_e32 v45, vcc, v84, v45, vcc
	global_load_dwordx2 v[84:85], v[38:39], off
	global_load_dwordx2 v[86:87], v[40:41], off
	;; [unrolled: 1-line block ×4, first 2 shown]
	v_ashrrev_i32_e32 v47, 31, v46
	v_lshlrev_b64 v[46:47], 3, v[46:47]
	v_mov_b32_e32 v92, s5
	v_add_co_u32_e32 v46, vcc, s4, v46
	v_addc_co_u32_e32 v47, vcc, v92, v47, vcc
	global_load_dwordx2 v[92:93], v[46:47], off
	s_bitcmp0_b32 s22, 0
	s_mov_b64 s[6:7], -1
	s_waitcnt vmcnt(22)
	buffer_store_dword v49, off, s[0:3], 0 offset:4
	buffer_store_dword v48, off, s[0:3], 0
	s_waitcnt vmcnt(23)
	buffer_store_dword v51, off, s[0:3], 0 offset:12
	buffer_store_dword v50, off, s[0:3], 0 offset:8
	s_waitcnt vmcnt(24)
	buffer_store_dword v53, off, s[0:3], 0 offset:20
	buffer_store_dword v52, off, s[0:3], 0 offset:16
	s_waitcnt vmcnt(25)
	buffer_store_dword v55, off, s[0:3], 0 offset:28
	buffer_store_dword v54, off, s[0:3], 0 offset:24
	s_waitcnt vmcnt(26)
	buffer_store_dword v57, off, s[0:3], 0 offset:36
	buffer_store_dword v56, off, s[0:3], 0 offset:32
	s_waitcnt vmcnt(27)
	buffer_store_dword v59, off, s[0:3], 0 offset:44
	buffer_store_dword v58, off, s[0:3], 0 offset:40
	s_waitcnt vmcnt(28)
	buffer_store_dword v61, off, s[0:3], 0 offset:52
	buffer_store_dword v60, off, s[0:3], 0 offset:48
	s_waitcnt vmcnt(29)
	buffer_store_dword v63, off, s[0:3], 0 offset:60
	buffer_store_dword v62, off, s[0:3], 0 offset:56
	s_waitcnt vmcnt(30)
	buffer_store_dword v65, off, s[0:3], 0 offset:68
	buffer_store_dword v64, off, s[0:3], 0 offset:64
	s_waitcnt vmcnt(31)
	buffer_store_dword v66, off, s[0:3], 0 offset:72
	buffer_store_dword v67, off, s[0:3], 0 offset:76
	s_waitcnt vmcnt(32)
	buffer_store_dword v68, off, s[0:3], 0 offset:80
	buffer_store_dword v69, off, s[0:3], 0 offset:84
	s_waitcnt vmcnt(33)
	buffer_store_dword v70, off, s[0:3], 0 offset:88
	buffer_store_dword v71, off, s[0:3], 0 offset:92
	s_waitcnt vmcnt(34)
	buffer_store_dword v72, off, s[0:3], 0 offset:96
	buffer_store_dword v73, off, s[0:3], 0 offset:100
	s_waitcnt vmcnt(35)
	buffer_store_dword v74, off, s[0:3], 0 offset:104
	buffer_store_dword v75, off, s[0:3], 0 offset:108
	s_waitcnt vmcnt(36)
	buffer_store_dword v77, off, s[0:3], 0 offset:116
	buffer_store_dword v76, off, s[0:3], 0 offset:112
	s_waitcnt vmcnt(37)
	buffer_store_dword v78, off, s[0:3], 0 offset:120
	buffer_store_dword v79, off, s[0:3], 0 offset:124
	s_waitcnt vmcnt(38)
	buffer_store_dword v80, off, s[0:3], 0 offset:128
	buffer_store_dword v81, off, s[0:3], 0 offset:132
	s_waitcnt vmcnt(39)
	buffer_store_dword v82, off, s[0:3], 0 offset:136
	buffer_store_dword v83, off, s[0:3], 0 offset:140
	s_waitcnt vmcnt(40)
	buffer_store_dword v84, off, s[0:3], 0 offset:144
	buffer_store_dword v85, off, s[0:3], 0 offset:148
	s_waitcnt vmcnt(41)
	buffer_store_dword v87, off, s[0:3], 0 offset:156
	buffer_store_dword v86, off, s[0:3], 0 offset:152
	s_waitcnt vmcnt(42)
	buffer_store_dword v89, off, s[0:3], 0 offset:164
	buffer_store_dword v88, off, s[0:3], 0 offset:160
	s_waitcnt vmcnt(43)
	buffer_store_dword v90, off, s[0:3], 0 offset:168
	buffer_store_dword v91, off, s[0:3], 0 offset:172
	s_waitcnt vmcnt(44)
	buffer_store_dword v92, off, s[0:3], 0 offset:176
	buffer_store_dword v93, off, s[0:3], 0 offset:180
	s_cbranch_scc1 .LBB22_98
; %bb.4:
	v_cmp_eq_u32_e64 s[4:5], 0, v0
	s_and_saveexec_b64 s[6:7], s[4:5]
	s_cbranch_execz .LBB22_6
; %bb.5:
	v_mov_b32_e32 v48, 0
	ds_write_b32 v48, v48 offset:184
.LBB22_6:
	s_or_b64 exec, exec, s[6:7]
	v_mov_b32_e32 v48, 0
	v_lshl_add_u32 v48, v0, 3, v48
	s_waitcnt lgkmcnt(0)
	; wave barrier
	s_waitcnt lgkmcnt(0)
	buffer_load_dword v50, v48, s[0:3], 0 offen
	buffer_load_dword v51, v48, s[0:3], 0 offen offset:4
	s_waitcnt vmcnt(0)
	v_cmp_eq_f64_e32 vcc, 0, v[50:51]
	s_and_saveexec_b64 s[12:13], vcc
	s_cbranch_execz .LBB22_10
; %bb.7:
	v_mov_b32_e32 v49, 0
	ds_read_b32 v51, v49 offset:184
	v_add_u32_e32 v50, 1, v0
	s_waitcnt lgkmcnt(0)
	v_readfirstlane_b32 s6, v51
	s_cmp_eq_u32 s6, 0
	s_cselect_b64 s[16:17], -1, 0
	v_cmp_gt_i32_e32 vcc, s6, v50
	s_or_b64 s[16:17], s[16:17], vcc
	s_and_b64 exec, exec, s[16:17]
	s_cbranch_execz .LBB22_10
; %bb.8:
	s_mov_b64 s[16:17], 0
	v_mov_b32_e32 v51, s6
.LBB22_9:                               ; =>This Inner Loop Header: Depth=1
	ds_cmpst_rtn_b32 v51, v49, v51, v50 offset:184
	s_waitcnt lgkmcnt(0)
	v_cmp_ne_u32_e32 vcc, 0, v51
	v_cmp_le_i32_e64 s[6:7], v51, v50
	s_and_b64 s[6:7], vcc, s[6:7]
	s_and_b64 s[6:7], exec, s[6:7]
	s_or_b64 s[16:17], s[6:7], s[16:17]
	s_andn2_b64 exec, exec, s[16:17]
	s_cbranch_execnz .LBB22_9
.LBB22_10:
	s_or_b64 exec, exec, s[12:13]
	v_mov_b32_e32 v50, 0
	s_waitcnt lgkmcnt(0)
	; wave barrier
	ds_read_b32 v49, v50 offset:184
	s_and_saveexec_b64 s[6:7], s[4:5]
	s_cbranch_execz .LBB22_12
; %bb.11:
	s_lshl_b64 s[12:13], s[8:9], 2
	s_add_u32 s12, s14, s12
	s_addc_u32 s13, s15, s13
	s_waitcnt lgkmcnt(0)
	global_store_dword v50, v49, s[12:13]
.LBB22_12:
	s_or_b64 exec, exec, s[6:7]
	s_waitcnt lgkmcnt(0)
	v_cmp_ne_u32_e32 vcc, 0, v49
	s_mov_b64 s[6:7], 0
	s_cbranch_vccnz .LBB22_98
; %bb.13:
	buffer_load_dword v50, v48, s[0:3], 0 offen
	buffer_load_dword v51, v48, s[0:3], 0 offen offset:4
	s_waitcnt vmcnt(0)
	v_div_scale_f64 v[52:53], s[6:7], v[50:51], v[50:51], 1.0
	v_rcp_f64_e32 v[54:55], v[52:53]
	v_div_scale_f64 v[56:57], vcc, 1.0, v[50:51], 1.0
	v_fma_f64 v[58:59], -v[52:53], v[54:55], 1.0
	v_fmac_f64_e32 v[54:55], v[54:55], v[58:59]
	v_fma_f64 v[58:59], -v[52:53], v[54:55], 1.0
	v_fmac_f64_e32 v[54:55], v[54:55], v[58:59]
	v_mul_f64 v[58:59], v[56:57], v[54:55]
	v_fma_f64 v[52:53], -v[52:53], v[58:59], v[56:57]
	v_div_fmas_f64 v[52:53], v[52:53], v[54:55], v[58:59]
	v_div_fixup_f64 v[52:53], v[52:53], v[50:51], 1.0
	buffer_store_dword v53, v48, s[0:3], 0 offen offset:4
	buffer_store_dword v52, v48, s[0:3], 0 offen
	buffer_load_dword v55, off, s[0:3], 0 offset:12
	buffer_load_dword v54, off, s[0:3], 0 offset:8
	v_add_u32_e32 v50, 0xc0, v1
	v_xor_b32_e32 v53, 0x80000000, v53
	s_waitcnt vmcnt(0)
	ds_write2_b64 v1, v[52:53], v[54:55] offset1:24
	s_waitcnt lgkmcnt(0)
	; wave barrier
	s_waitcnt lgkmcnt(0)
	s_and_saveexec_b64 s[6:7], s[4:5]
	s_cbranch_execz .LBB22_15
; %bb.14:
	buffer_load_dword v52, v48, s[0:3], 0 offen
	buffer_load_dword v53, v48, s[0:3], 0 offen offset:4
	v_mov_b32_e32 v49, 0
	ds_read_b64 v[54:55], v50
	ds_read_b64 v[56:57], v49 offset:8
	s_waitcnt vmcnt(0) lgkmcnt(1)
	v_fma_f64 v[52:53], v[52:53], v[54:55], 0
	s_waitcnt lgkmcnt(0)
	v_mul_f64 v[52:53], v[52:53], v[56:57]
	buffer_store_dword v52, off, s[0:3], 0 offset:8
	buffer_store_dword v53, off, s[0:3], 0 offset:12
.LBB22_15:
	s_or_b64 exec, exec, s[6:7]
	s_waitcnt lgkmcnt(0)
	; wave barrier
	buffer_load_dword v52, off, s[0:3], 0 offset:16
	buffer_load_dword v53, off, s[0:3], 0 offset:20
	v_cmp_gt_u32_e32 vcc, 2, v0
	s_waitcnt vmcnt(0)
	ds_write_b64 v50, v[52:53]
	s_waitcnt lgkmcnt(0)
	; wave barrier
	s_waitcnt lgkmcnt(0)
	s_and_saveexec_b64 s[6:7], vcc
	s_cbranch_execz .LBB22_17
; %bb.16:
	buffer_load_dword v49, v48, s[0:3], 0 offen offset:4
	buffer_load_dword v56, off, s[0:3], 0 offset:8
	s_nop 0
	buffer_load_dword v48, v48, s[0:3], 0 offen
	s_nop 0
	buffer_load_dword v57, off, s[0:3], 0 offset:12
	ds_read_b64 v[58:59], v50
	v_mov_b32_e32 v51, 0
	ds_read2_b64 v[52:55], v51 offset0:2 offset1:25
	s_waitcnt vmcnt(1) lgkmcnt(1)
	v_fma_f64 v[48:49], v[48:49], v[58:59], 0
	s_waitcnt vmcnt(0) lgkmcnt(0)
	v_fma_f64 v[54:55], v[56:57], v[54:55], v[48:49]
	v_cndmask_b32_e64 v49, v49, v55, s[4:5]
	v_cndmask_b32_e64 v48, v48, v54, s[4:5]
	v_mul_f64 v[48:49], v[48:49], v[52:53]
	buffer_store_dword v49, off, s[0:3], 0 offset:20
	buffer_store_dword v48, off, s[0:3], 0 offset:16
.LBB22_17:
	s_or_b64 exec, exec, s[6:7]
	s_waitcnt lgkmcnt(0)
	; wave barrier
	buffer_load_dword v48, off, s[0:3], 0 offset:24
	buffer_load_dword v49, off, s[0:3], 0 offset:28
	v_cmp_gt_u32_e32 vcc, 3, v0
	v_add_u32_e32 v51, -1, v0
	s_waitcnt vmcnt(0)
	ds_write_b64 v50, v[48:49]
	s_waitcnt lgkmcnt(0)
	; wave barrier
	s_waitcnt lgkmcnt(0)
	s_and_saveexec_b64 s[4:5], vcc
	s_cbranch_execz .LBB22_21
; %bb.18:
	v_add_u32_e32 v52, -1, v0
	v_add_u32_e32 v53, 0xc0, v1
	v_add_u32_e32 v54, 0, v1
	s_mov_b64 s[6:7], 0
	v_pk_mov_b32 v[48:49], 0, 0
.LBB22_19:                              ; =>This Inner Loop Header: Depth=1
	buffer_load_dword v56, v54, s[0:3], 0 offen
	buffer_load_dword v57, v54, s[0:3], 0 offen offset:4
	ds_read_b64 v[58:59], v53
	v_add_u32_e32 v52, 1, v52
	v_cmp_lt_u32_e32 vcc, 1, v52
	v_add_u32_e32 v53, 8, v53
	v_add_u32_e32 v54, 8, v54
	s_or_b64 s[6:7], vcc, s[6:7]
	s_waitcnt vmcnt(0) lgkmcnt(0)
	v_fmac_f64_e32 v[48:49], v[56:57], v[58:59]
	s_andn2_b64 exec, exec, s[6:7]
	s_cbranch_execnz .LBB22_19
; %bb.20:
	s_or_b64 exec, exec, s[6:7]
	v_mov_b32_e32 v52, 0
	ds_read_b64 v[52:53], v52 offset:24
	s_waitcnt lgkmcnt(0)
	v_mul_f64 v[48:49], v[48:49], v[52:53]
	buffer_store_dword v49, off, s[0:3], 0 offset:28
	buffer_store_dword v48, off, s[0:3], 0 offset:24
.LBB22_21:
	s_or_b64 exec, exec, s[4:5]
	s_waitcnt lgkmcnt(0)
	; wave barrier
	buffer_load_dword v48, off, s[0:3], 0 offset:32
	buffer_load_dword v49, off, s[0:3], 0 offset:36
	v_cmp_gt_u32_e32 vcc, 4, v0
	s_waitcnt vmcnt(0)
	ds_write_b64 v50, v[48:49]
	s_waitcnt lgkmcnt(0)
	; wave barrier
	s_waitcnt lgkmcnt(0)
	s_and_saveexec_b64 s[4:5], vcc
	s_cbranch_execz .LBB22_25
; %bb.22:
	v_add_u32_e32 v52, -1, v0
	v_add_u32_e32 v53, 0xc0, v1
	v_add_u32_e32 v54, 0, v1
	s_mov_b64 s[6:7], 0
	v_pk_mov_b32 v[48:49], 0, 0
.LBB22_23:                              ; =>This Inner Loop Header: Depth=1
	buffer_load_dword v56, v54, s[0:3], 0 offen
	buffer_load_dword v57, v54, s[0:3], 0 offen offset:4
	ds_read_b64 v[58:59], v53
	v_add_u32_e32 v52, 1, v52
	v_cmp_lt_u32_e32 vcc, 2, v52
	v_add_u32_e32 v53, 8, v53
	v_add_u32_e32 v54, 8, v54
	s_or_b64 s[6:7], vcc, s[6:7]
	s_waitcnt vmcnt(0) lgkmcnt(0)
	v_fmac_f64_e32 v[48:49], v[56:57], v[58:59]
	s_andn2_b64 exec, exec, s[6:7]
	s_cbranch_execnz .LBB22_23
; %bb.24:
	s_or_b64 exec, exec, s[6:7]
	v_mov_b32_e32 v52, 0
	ds_read_b64 v[52:53], v52 offset:32
	s_waitcnt lgkmcnt(0)
	v_mul_f64 v[48:49], v[48:49], v[52:53]
	buffer_store_dword v49, off, s[0:3], 0 offset:36
	buffer_store_dword v48, off, s[0:3], 0 offset:32
.LBB22_25:
	s_or_b64 exec, exec, s[4:5]
	s_waitcnt lgkmcnt(0)
	; wave barrier
	buffer_load_dword v48, off, s[0:3], 0 offset:40
	buffer_load_dword v49, off, s[0:3], 0 offset:44
	v_cmp_gt_u32_e32 vcc, 5, v0
	;; [unrolled: 41-line block ×18, first 2 shown]
	s_waitcnt vmcnt(0)
	ds_write_b64 v50, v[48:49]
	s_waitcnt lgkmcnt(0)
	; wave barrier
	s_waitcnt lgkmcnt(0)
	s_and_saveexec_b64 s[4:5], vcc
	s_cbranch_execz .LBB22_93
; %bb.90:
	v_add_u32_e32 v52, -1, v0
	v_add_u32_e32 v53, 0xc0, v1
	v_add_u32_e32 v54, 0, v1
	s_mov_b64 s[6:7], 0
	v_pk_mov_b32 v[48:49], 0, 0
.LBB22_91:                              ; =>This Inner Loop Header: Depth=1
	buffer_load_dword v56, v54, s[0:3], 0 offen
	buffer_load_dword v57, v54, s[0:3], 0 offen offset:4
	ds_read_b64 v[58:59], v53
	v_add_u32_e32 v52, 1, v52
	v_cmp_lt_u32_e32 vcc, 19, v52
	v_add_u32_e32 v53, 8, v53
	v_add_u32_e32 v54, 8, v54
	s_or_b64 s[6:7], vcc, s[6:7]
	s_waitcnt vmcnt(0) lgkmcnt(0)
	v_fmac_f64_e32 v[48:49], v[56:57], v[58:59]
	s_andn2_b64 exec, exec, s[6:7]
	s_cbranch_execnz .LBB22_91
; %bb.92:
	s_or_b64 exec, exec, s[6:7]
	v_mov_b32_e32 v52, 0
	ds_read_b64 v[52:53], v52 offset:168
	s_waitcnt lgkmcnt(0)
	v_mul_f64 v[48:49], v[48:49], v[52:53]
	buffer_store_dword v49, off, s[0:3], 0 offset:172
	buffer_store_dword v48, off, s[0:3], 0 offset:168
.LBB22_93:
	s_or_b64 exec, exec, s[4:5]
	s_waitcnt lgkmcnt(0)
	; wave barrier
	buffer_load_dword v48, off, s[0:3], 0 offset:176
	buffer_load_dword v49, off, s[0:3], 0 offset:180
	v_cmp_ne_u32_e32 vcc, 22, v0
	s_waitcnt vmcnt(0)
	ds_write_b64 v50, v[48:49]
	s_waitcnt lgkmcnt(0)
	; wave barrier
	s_waitcnt lgkmcnt(0)
	s_and_saveexec_b64 s[4:5], vcc
	s_cbranch_execz .LBB22_97
; %bb.94:
	v_add_u32_e32 v50, 0xc0, v1
	v_add_u32_e32 v1, 0, v1
	s_mov_b64 s[6:7], 0
	v_pk_mov_b32 v[48:49], 0, 0
.LBB22_95:                              ; =>This Inner Loop Header: Depth=1
	buffer_load_dword v52, v1, s[0:3], 0 offen
	buffer_load_dword v53, v1, s[0:3], 0 offen offset:4
	ds_read_b64 v[54:55], v50
	v_add_u32_e32 v51, 1, v51
	v_cmp_lt_u32_e32 vcc, 20, v51
	v_add_u32_e32 v50, 8, v50
	v_add_u32_e32 v1, 8, v1
	s_or_b64 s[6:7], vcc, s[6:7]
	s_waitcnt vmcnt(0) lgkmcnt(0)
	v_fmac_f64_e32 v[48:49], v[52:53], v[54:55]
	s_andn2_b64 exec, exec, s[6:7]
	s_cbranch_execnz .LBB22_95
; %bb.96:
	s_or_b64 exec, exec, s[6:7]
	v_mov_b32_e32 v1, 0
	ds_read_b64 v[50:51], v1 offset:176
	s_waitcnt lgkmcnt(0)
	v_mul_f64 v[48:49], v[48:49], v[50:51]
	buffer_store_dword v49, off, s[0:3], 0 offset:180
	buffer_store_dword v48, off, s[0:3], 0 offset:176
.LBB22_97:
	s_or_b64 exec, exec, s[4:5]
	s_mov_b64 s[6:7], -1
	s_waitcnt lgkmcnt(0)
	; wave barrier
.LBB22_98:
	s_and_b64 vcc, exec, s[6:7]
	s_cbranch_vccz .LBB22_100
; %bb.99:
	s_lshl_b64 s[4:5], s[8:9], 2
	s_add_u32 s4, s14, s4
	s_addc_u32 s5, s15, s5
	v_mov_b32_e32 v1, 0
	global_load_dword v1, v1, s[4:5]
	s_waitcnt vmcnt(0)
	v_cmp_ne_u32_e32 vcc, 0, v1
	s_cbranch_vccz .LBB22_101
.LBB22_100:
	s_endpgm
.LBB22_101:
	v_mov_b32_e32 v1, 0xc0
	v_lshl_add_u32 v1, v0, 3, v1
	v_cmp_eq_u32_e32 vcc, 22, v0
	s_and_saveexec_b64 s[4:5], vcc
	s_cbranch_execz .LBB22_103
; %bb.102:
	buffer_load_dword v48, off, s[0:3], 0 offset:168
	buffer_load_dword v49, off, s[0:3], 0 offset:172
	v_mov_b32_e32 v50, 0
	buffer_store_dword v50, off, s[0:3], 0 offset:168
	buffer_store_dword v50, off, s[0:3], 0 offset:172
	s_waitcnt vmcnt(2)
	ds_write_b64 v1, v[48:49]
.LBB22_103:
	s_or_b64 exec, exec, s[4:5]
	s_waitcnt lgkmcnt(0)
	; wave barrier
	s_waitcnt lgkmcnt(0)
	buffer_load_dword v50, off, s[0:3], 0 offset:176
	buffer_load_dword v51, off, s[0:3], 0 offset:180
	;; [unrolled: 1-line block ×4, first 2 shown]
	v_mov_b32_e32 v48, 0
	ds_read_b64 v[54:55], v48 offset:368
	v_cmp_lt_u32_e32 vcc, 20, v0
	s_waitcnt vmcnt(2) lgkmcnt(0)
	v_fma_f64 v[50:51], v[50:51], v[54:55], 0
	s_waitcnt vmcnt(0)
	v_add_f64 v[50:51], v[52:53], -v[50:51]
	buffer_store_dword v50, off, s[0:3], 0 offset:168
	buffer_store_dword v51, off, s[0:3], 0 offset:172
	s_and_saveexec_b64 s[4:5], vcc
	s_cbranch_execz .LBB22_105
; %bb.104:
	buffer_load_dword v50, off, s[0:3], 0 offset:160
	buffer_load_dword v51, off, s[0:3], 0 offset:164
	s_waitcnt vmcnt(0)
	ds_write_b64 v1, v[50:51]
	buffer_store_dword v48, off, s[0:3], 0 offset:160
	buffer_store_dword v48, off, s[0:3], 0 offset:164
.LBB22_105:
	s_or_b64 exec, exec, s[4:5]
	s_waitcnt lgkmcnt(0)
	; wave barrier
	s_waitcnt lgkmcnt(0)
	buffer_load_dword v52, off, s[0:3], 0 offset:168
	buffer_load_dword v53, off, s[0:3], 0 offset:172
	buffer_load_dword v54, off, s[0:3], 0 offset:176
	buffer_load_dword v55, off, s[0:3], 0 offset:180
	buffer_load_dword v56, off, s[0:3], 0 offset:160
	buffer_load_dword v57, off, s[0:3], 0 offset:164
	ds_read2_b64 v[48:51], v48 offset0:45 offset1:46
	v_cmp_lt_u32_e32 vcc, 19, v0
	s_waitcnt vmcnt(4) lgkmcnt(0)
	v_fma_f64 v[48:49], v[52:53], v[48:49], 0
	s_waitcnt vmcnt(2)
	v_fmac_f64_e32 v[48:49], v[54:55], v[50:51]
	s_waitcnt vmcnt(0)
	v_add_f64 v[48:49], v[56:57], -v[48:49]
	buffer_store_dword v48, off, s[0:3], 0 offset:160
	buffer_store_dword v49, off, s[0:3], 0 offset:164
	s_and_saveexec_b64 s[4:5], vcc
	s_cbranch_execz .LBB22_107
; %bb.106:
	buffer_load_dword v48, off, s[0:3], 0 offset:152
	buffer_load_dword v49, off, s[0:3], 0 offset:156
	v_mov_b32_e32 v50, 0
	buffer_store_dword v50, off, s[0:3], 0 offset:152
	buffer_store_dword v50, off, s[0:3], 0 offset:156
	s_waitcnt vmcnt(2)
	ds_write_b64 v1, v[48:49]
.LBB22_107:
	s_or_b64 exec, exec, s[4:5]
	s_waitcnt lgkmcnt(0)
	; wave barrier
	s_waitcnt lgkmcnt(0)
	buffer_load_dword v54, off, s[0:3], 0 offset:160
	buffer_load_dword v55, off, s[0:3], 0 offset:164
	;; [unrolled: 1-line block ×8, first 2 shown]
	v_mov_b32_e32 v48, 0
	ds_read_b128 v[50:53], v48 offset:352
	ds_read_b64 v[62:63], v48 offset:368
	v_cmp_lt_u32_e32 vcc, 18, v0
	s_waitcnt vmcnt(6) lgkmcnt(1)
	v_fma_f64 v[50:51], v[54:55], v[50:51], 0
	s_waitcnt vmcnt(4)
	v_fmac_f64_e32 v[50:51], v[56:57], v[52:53]
	s_waitcnt vmcnt(2) lgkmcnt(0)
	v_fmac_f64_e32 v[50:51], v[58:59], v[62:63]
	s_waitcnt vmcnt(0)
	v_add_f64 v[50:51], v[60:61], -v[50:51]
	buffer_store_dword v50, off, s[0:3], 0 offset:152
	buffer_store_dword v51, off, s[0:3], 0 offset:156
	s_and_saveexec_b64 s[4:5], vcc
	s_cbranch_execz .LBB22_109
; %bb.108:
	buffer_load_dword v50, off, s[0:3], 0 offset:144
	buffer_load_dword v51, off, s[0:3], 0 offset:148
	s_waitcnt vmcnt(0)
	ds_write_b64 v1, v[50:51]
	buffer_store_dword v48, off, s[0:3], 0 offset:144
	buffer_store_dword v48, off, s[0:3], 0 offset:148
.LBB22_109:
	s_or_b64 exec, exec, s[4:5]
	s_waitcnt lgkmcnt(0)
	; wave barrier
	s_waitcnt lgkmcnt(0)
	buffer_load_dword v58, off, s[0:3], 0 offset:152
	buffer_load_dword v59, off, s[0:3], 0 offset:156
	;; [unrolled: 1-line block ×10, first 2 shown]
	ds_read2_b64 v[50:53], v48 offset0:43 offset1:44
	ds_read2_b64 v[54:57], v48 offset0:45 offset1:46
	v_cmp_lt_u32_e32 vcc, 17, v0
	s_waitcnt vmcnt(8) lgkmcnt(1)
	v_fma_f64 v[48:49], v[58:59], v[50:51], 0
	s_waitcnt vmcnt(6)
	v_fmac_f64_e32 v[48:49], v[60:61], v[52:53]
	s_waitcnt vmcnt(4) lgkmcnt(0)
	v_fmac_f64_e32 v[48:49], v[62:63], v[54:55]
	s_waitcnt vmcnt(2)
	v_fmac_f64_e32 v[48:49], v[64:65], v[56:57]
	s_waitcnt vmcnt(0)
	v_add_f64 v[48:49], v[66:67], -v[48:49]
	buffer_store_dword v48, off, s[0:3], 0 offset:144
	buffer_store_dword v49, off, s[0:3], 0 offset:148
	s_and_saveexec_b64 s[4:5], vcc
	s_cbranch_execz .LBB22_111
; %bb.110:
	buffer_load_dword v48, off, s[0:3], 0 offset:136
	buffer_load_dword v49, off, s[0:3], 0 offset:140
	v_mov_b32_e32 v50, 0
	buffer_store_dword v50, off, s[0:3], 0 offset:136
	buffer_store_dword v50, off, s[0:3], 0 offset:140
	s_waitcnt vmcnt(2)
	ds_write_b64 v1, v[48:49]
.LBB22_111:
	s_or_b64 exec, exec, s[4:5]
	s_waitcnt lgkmcnt(0)
	; wave barrier
	s_waitcnt lgkmcnt(0)
	buffer_load_dword v58, off, s[0:3], 0 offset:144
	buffer_load_dword v59, off, s[0:3], 0 offset:148
	;; [unrolled: 1-line block ×12, first 2 shown]
	v_mov_b32_e32 v48, 0
	ds_read_b128 v[50:53], v48 offset:336
	ds_read_b128 v[54:57], v48 offset:352
	ds_read_b64 v[70:71], v48 offset:368
	v_cmp_lt_u32_e32 vcc, 16, v0
	s_waitcnt vmcnt(10) lgkmcnt(2)
	v_fma_f64 v[50:51], v[58:59], v[50:51], 0
	s_waitcnt vmcnt(8)
	v_fmac_f64_e32 v[50:51], v[60:61], v[52:53]
	s_waitcnt vmcnt(6) lgkmcnt(1)
	v_fmac_f64_e32 v[50:51], v[62:63], v[54:55]
	s_waitcnt vmcnt(4)
	v_fmac_f64_e32 v[50:51], v[64:65], v[56:57]
	s_waitcnt vmcnt(2) lgkmcnt(0)
	v_fmac_f64_e32 v[50:51], v[66:67], v[70:71]
	s_waitcnt vmcnt(0)
	v_add_f64 v[50:51], v[68:69], -v[50:51]
	buffer_store_dword v50, off, s[0:3], 0 offset:136
	buffer_store_dword v51, off, s[0:3], 0 offset:140
	s_and_saveexec_b64 s[4:5], vcc
	s_cbranch_execz .LBB22_113
; %bb.112:
	buffer_load_dword v50, off, s[0:3], 0 offset:128
	buffer_load_dword v51, off, s[0:3], 0 offset:132
	s_waitcnt vmcnt(0)
	ds_write_b64 v1, v[50:51]
	buffer_store_dword v48, off, s[0:3], 0 offset:128
	buffer_store_dword v48, off, s[0:3], 0 offset:132
.LBB22_113:
	s_or_b64 exec, exec, s[4:5]
	s_waitcnt lgkmcnt(0)
	; wave barrier
	s_waitcnt lgkmcnt(0)
	buffer_load_dword v62, off, s[0:3], 0 offset:136
	buffer_load_dword v63, off, s[0:3], 0 offset:140
	;; [unrolled: 1-line block ×14, first 2 shown]
	ds_read2_b64 v[50:53], v48 offset0:41 offset1:42
	ds_read2_b64 v[54:57], v48 offset0:43 offset1:44
	;; [unrolled: 1-line block ×3, first 2 shown]
	v_cmp_lt_u32_e32 vcc, 15, v0
	s_waitcnt vmcnt(12) lgkmcnt(2)
	v_fma_f64 v[48:49], v[62:63], v[50:51], 0
	s_waitcnt vmcnt(10)
	v_fmac_f64_e32 v[48:49], v[64:65], v[52:53]
	s_waitcnt vmcnt(8) lgkmcnt(1)
	v_fmac_f64_e32 v[48:49], v[66:67], v[54:55]
	s_waitcnt vmcnt(6)
	v_fmac_f64_e32 v[48:49], v[68:69], v[56:57]
	s_waitcnt vmcnt(4) lgkmcnt(0)
	v_fmac_f64_e32 v[48:49], v[70:71], v[58:59]
	s_waitcnt vmcnt(2)
	v_fmac_f64_e32 v[48:49], v[72:73], v[60:61]
	s_waitcnt vmcnt(0)
	v_add_f64 v[48:49], v[74:75], -v[48:49]
	buffer_store_dword v48, off, s[0:3], 0 offset:128
	buffer_store_dword v49, off, s[0:3], 0 offset:132
	s_and_saveexec_b64 s[4:5], vcc
	s_cbranch_execz .LBB22_115
; %bb.114:
	buffer_load_dword v48, off, s[0:3], 0 offset:120
	buffer_load_dword v49, off, s[0:3], 0 offset:124
	v_mov_b32_e32 v50, 0
	buffer_store_dword v50, off, s[0:3], 0 offset:120
	buffer_store_dword v50, off, s[0:3], 0 offset:124
	s_waitcnt vmcnt(2)
	ds_write_b64 v1, v[48:49]
.LBB22_115:
	s_or_b64 exec, exec, s[4:5]
	s_waitcnt lgkmcnt(0)
	; wave barrier
	s_waitcnt lgkmcnt(0)
	buffer_load_dword v62, off, s[0:3], 0 offset:128
	buffer_load_dword v63, off, s[0:3], 0 offset:132
	;; [unrolled: 1-line block ×16, first 2 shown]
	v_mov_b32_e32 v48, 0
	ds_read_b128 v[50:53], v48 offset:320
	ds_read_b128 v[54:57], v48 offset:336
	;; [unrolled: 1-line block ×3, first 2 shown]
	ds_read_b64 v[78:79], v48 offset:368
	v_cmp_lt_u32_e32 vcc, 14, v0
	s_waitcnt vmcnt(14) lgkmcnt(3)
	v_fma_f64 v[50:51], v[62:63], v[50:51], 0
	s_waitcnt vmcnt(12)
	v_fmac_f64_e32 v[50:51], v[64:65], v[52:53]
	s_waitcnt vmcnt(10) lgkmcnt(2)
	v_fmac_f64_e32 v[50:51], v[66:67], v[54:55]
	s_waitcnt vmcnt(8)
	v_fmac_f64_e32 v[50:51], v[68:69], v[56:57]
	s_waitcnt vmcnt(6) lgkmcnt(1)
	v_fmac_f64_e32 v[50:51], v[70:71], v[58:59]
	s_waitcnt vmcnt(4)
	v_fmac_f64_e32 v[50:51], v[72:73], v[60:61]
	s_waitcnt vmcnt(2) lgkmcnt(0)
	v_fmac_f64_e32 v[50:51], v[74:75], v[78:79]
	s_waitcnt vmcnt(0)
	v_add_f64 v[50:51], v[76:77], -v[50:51]
	buffer_store_dword v50, off, s[0:3], 0 offset:120
	buffer_store_dword v51, off, s[0:3], 0 offset:124
	s_and_saveexec_b64 s[4:5], vcc
	s_cbranch_execz .LBB22_117
; %bb.116:
	buffer_load_dword v50, off, s[0:3], 0 offset:112
	buffer_load_dword v51, off, s[0:3], 0 offset:116
	s_waitcnt vmcnt(0)
	ds_write_b64 v1, v[50:51]
	buffer_store_dword v48, off, s[0:3], 0 offset:112
	buffer_store_dword v48, off, s[0:3], 0 offset:116
.LBB22_117:
	s_or_b64 exec, exec, s[4:5]
	s_waitcnt lgkmcnt(0)
	; wave barrier
	s_waitcnt lgkmcnt(0)
	buffer_load_dword v66, off, s[0:3], 0 offset:120
	buffer_load_dword v67, off, s[0:3], 0 offset:124
	;; [unrolled: 1-line block ×18, first 2 shown]
	ds_read2_b64 v[50:53], v48 offset0:39 offset1:40
	ds_read2_b64 v[54:57], v48 offset0:41 offset1:42
	;; [unrolled: 1-line block ×4, first 2 shown]
	v_cmp_lt_u32_e32 vcc, 13, v0
	s_waitcnt vmcnt(16) lgkmcnt(3)
	v_fma_f64 v[48:49], v[66:67], v[50:51], 0
	s_waitcnt vmcnt(14)
	v_fmac_f64_e32 v[48:49], v[68:69], v[52:53]
	s_waitcnt vmcnt(12) lgkmcnt(2)
	v_fmac_f64_e32 v[48:49], v[70:71], v[54:55]
	s_waitcnt vmcnt(10)
	v_fmac_f64_e32 v[48:49], v[72:73], v[56:57]
	s_waitcnt vmcnt(8) lgkmcnt(1)
	v_fmac_f64_e32 v[48:49], v[74:75], v[58:59]
	;; [unrolled: 4-line block ×3, first 2 shown]
	s_waitcnt vmcnt(2)
	v_fmac_f64_e32 v[48:49], v[80:81], v[64:65]
	s_waitcnt vmcnt(0)
	v_add_f64 v[48:49], v[82:83], -v[48:49]
	buffer_store_dword v48, off, s[0:3], 0 offset:112
	buffer_store_dword v49, off, s[0:3], 0 offset:116
	s_and_saveexec_b64 s[4:5], vcc
	s_cbranch_execz .LBB22_119
; %bb.118:
	buffer_load_dword v48, off, s[0:3], 0 offset:104
	buffer_load_dword v49, off, s[0:3], 0 offset:108
	v_mov_b32_e32 v50, 0
	buffer_store_dword v50, off, s[0:3], 0 offset:104
	buffer_store_dword v50, off, s[0:3], 0 offset:108
	s_waitcnt vmcnt(2)
	ds_write_b64 v1, v[48:49]
.LBB22_119:
	s_or_b64 exec, exec, s[4:5]
	s_waitcnt lgkmcnt(0)
	; wave barrier
	s_waitcnt lgkmcnt(0)
	buffer_load_dword v66, off, s[0:3], 0 offset:112
	buffer_load_dword v67, off, s[0:3], 0 offset:116
	;; [unrolled: 1-line block ×20, first 2 shown]
	v_mov_b32_e32 v48, 0
	ds_read_b128 v[50:53], v48 offset:304
	ds_read_b128 v[54:57], v48 offset:320
	;; [unrolled: 1-line block ×4, first 2 shown]
	ds_read_b64 v[86:87], v48 offset:368
	v_cmp_lt_u32_e32 vcc, 12, v0
	s_waitcnt vmcnt(18) lgkmcnt(4)
	v_fma_f64 v[50:51], v[66:67], v[50:51], 0
	s_waitcnt vmcnt(16)
	v_fmac_f64_e32 v[50:51], v[68:69], v[52:53]
	s_waitcnt vmcnt(14) lgkmcnt(3)
	v_fmac_f64_e32 v[50:51], v[70:71], v[54:55]
	s_waitcnt vmcnt(12)
	v_fmac_f64_e32 v[50:51], v[72:73], v[56:57]
	s_waitcnt vmcnt(10) lgkmcnt(2)
	v_fmac_f64_e32 v[50:51], v[74:75], v[58:59]
	;; [unrolled: 4-line block ×3, first 2 shown]
	s_waitcnt vmcnt(2)
	v_fmac_f64_e32 v[50:51], v[82:83], v[64:65]
	s_waitcnt lgkmcnt(0)
	v_fmac_f64_e32 v[50:51], v[80:81], v[86:87]
	s_waitcnt vmcnt(0)
	v_add_f64 v[50:51], v[84:85], -v[50:51]
	buffer_store_dword v50, off, s[0:3], 0 offset:104
	buffer_store_dword v51, off, s[0:3], 0 offset:108
	s_and_saveexec_b64 s[4:5], vcc
	s_cbranch_execz .LBB22_121
; %bb.120:
	buffer_load_dword v50, off, s[0:3], 0 offset:96
	buffer_load_dword v51, off, s[0:3], 0 offset:100
	s_waitcnt vmcnt(0)
	ds_write_b64 v1, v[50:51]
	buffer_store_dword v48, off, s[0:3], 0 offset:96
	buffer_store_dword v48, off, s[0:3], 0 offset:100
.LBB22_121:
	s_or_b64 exec, exec, s[4:5]
	s_waitcnt lgkmcnt(0)
	; wave barrier
	s_waitcnt lgkmcnt(0)
	buffer_load_dword v70, off, s[0:3], 0 offset:104
	buffer_load_dword v71, off, s[0:3], 0 offset:108
	;; [unrolled: 1-line block ×22, first 2 shown]
	ds_read2_b64 v[50:53], v48 offset0:37 offset1:38
	ds_read2_b64 v[54:57], v48 offset0:39 offset1:40
	;; [unrolled: 1-line block ×5, first 2 shown]
	v_cmp_lt_u32_e32 vcc, 11, v0
	s_waitcnt vmcnt(20) lgkmcnt(4)
	v_fma_f64 v[48:49], v[70:71], v[50:51], 0
	s_waitcnt vmcnt(18)
	v_fmac_f64_e32 v[48:49], v[72:73], v[52:53]
	s_waitcnt vmcnt(16) lgkmcnt(3)
	v_fmac_f64_e32 v[48:49], v[74:75], v[54:55]
	s_waitcnt vmcnt(14)
	v_fmac_f64_e32 v[48:49], v[76:77], v[56:57]
	s_waitcnt vmcnt(12) lgkmcnt(2)
	v_fmac_f64_e32 v[48:49], v[78:79], v[58:59]
	;; [unrolled: 4-line block ×3, first 2 shown]
	s_waitcnt vmcnt(3)
	v_fmac_f64_e32 v[48:49], v[88:89], v[64:65]
	s_waitcnt lgkmcnt(0)
	v_fmac_f64_e32 v[48:49], v[86:87], v[66:67]
	s_waitcnt vmcnt(2)
	v_fmac_f64_e32 v[48:49], v[84:85], v[68:69]
	s_waitcnt vmcnt(0)
	v_add_f64 v[48:49], v[90:91], -v[48:49]
	buffer_store_dword v48, off, s[0:3], 0 offset:96
	buffer_store_dword v49, off, s[0:3], 0 offset:100
	s_and_saveexec_b64 s[4:5], vcc
	s_cbranch_execz .LBB22_123
; %bb.122:
	buffer_load_dword v48, off, s[0:3], 0 offset:88
	buffer_load_dword v49, off, s[0:3], 0 offset:92
	v_mov_b32_e32 v50, 0
	buffer_store_dword v50, off, s[0:3], 0 offset:88
	buffer_store_dword v50, off, s[0:3], 0 offset:92
	s_waitcnt vmcnt(2)
	ds_write_b64 v1, v[48:49]
.LBB22_123:
	s_or_b64 exec, exec, s[4:5]
	s_waitcnt lgkmcnt(0)
	; wave barrier
	s_waitcnt lgkmcnt(0)
	buffer_load_dword v70, off, s[0:3], 0 offset:96
	buffer_load_dword v71, off, s[0:3], 0 offset:100
	;; [unrolled: 1-line block ×24, first 2 shown]
	v_mov_b32_e32 v48, 0
	ds_read_b128 v[50:53], v48 offset:288
	ds_read_b128 v[54:57], v48 offset:304
	;; [unrolled: 1-line block ×5, first 2 shown]
	ds_read_b64 v[94:95], v48 offset:368
	v_cmp_lt_u32_e32 vcc, 10, v0
	s_waitcnt vmcnt(22) lgkmcnt(5)
	v_fma_f64 v[50:51], v[70:71], v[50:51], 0
	s_waitcnt vmcnt(20)
	v_fmac_f64_e32 v[50:51], v[72:73], v[52:53]
	s_waitcnt vmcnt(18) lgkmcnt(4)
	v_fmac_f64_e32 v[50:51], v[74:75], v[54:55]
	s_waitcnt vmcnt(16)
	v_fmac_f64_e32 v[50:51], v[76:77], v[56:57]
	s_waitcnt vmcnt(14) lgkmcnt(3)
	v_fmac_f64_e32 v[50:51], v[78:79], v[58:59]
	;; [unrolled: 4-line block ×3, first 2 shown]
	s_waitcnt vmcnt(4)
	v_fmac_f64_e32 v[50:51], v[90:91], v[64:65]
	s_waitcnt lgkmcnt(1)
	v_fmac_f64_e32 v[50:51], v[88:89], v[66:67]
	s_waitcnt vmcnt(3)
	v_fmac_f64_e32 v[50:51], v[86:87], v[68:69]
	s_waitcnt vmcnt(2) lgkmcnt(0)
	v_fmac_f64_e32 v[50:51], v[84:85], v[94:95]
	s_waitcnt vmcnt(0)
	v_add_f64 v[50:51], v[92:93], -v[50:51]
	buffer_store_dword v51, off, s[0:3], 0 offset:92
	buffer_store_dword v50, off, s[0:3], 0 offset:88
	s_and_saveexec_b64 s[4:5], vcc
	s_cbranch_execz .LBB22_125
; %bb.124:
	buffer_load_dword v50, off, s[0:3], 0 offset:80
	buffer_load_dword v51, off, s[0:3], 0 offset:84
	s_waitcnt vmcnt(0)
	ds_write_b64 v1, v[50:51]
	buffer_store_dword v48, off, s[0:3], 0 offset:80
	buffer_store_dword v48, off, s[0:3], 0 offset:84
.LBB22_125:
	s_or_b64 exec, exec, s[4:5]
	s_waitcnt lgkmcnt(0)
	; wave barrier
	s_waitcnt lgkmcnt(0)
	buffer_load_dword v74, off, s[0:3], 0 offset:88
	buffer_load_dword v75, off, s[0:3], 0 offset:92
	;; [unrolled: 1-line block ×26, first 2 shown]
	ds_read2_b64 v[50:53], v48 offset0:35 offset1:36
	ds_read2_b64 v[54:57], v48 offset0:37 offset1:38
	;; [unrolled: 1-line block ×6, first 2 shown]
	v_cmp_lt_u32_e32 vcc, 9, v0
	s_waitcnt vmcnt(24) lgkmcnt(5)
	v_fma_f64 v[48:49], v[74:75], v[50:51], 0
	s_waitcnt vmcnt(22)
	v_fmac_f64_e32 v[48:49], v[76:77], v[52:53]
	s_waitcnt vmcnt(20) lgkmcnt(4)
	v_fmac_f64_e32 v[48:49], v[78:79], v[54:55]
	s_waitcnt vmcnt(18)
	v_fmac_f64_e32 v[48:49], v[80:81], v[56:57]
	s_waitcnt vmcnt(16) lgkmcnt(3)
	v_fmac_f64_e32 v[48:49], v[82:83], v[58:59]
	;; [unrolled: 4-line block ×3, first 2 shown]
	s_waitcnt vmcnt(5)
	v_fmac_f64_e32 v[48:49], v[94:95], v[64:65]
	s_waitcnt lgkmcnt(1)
	v_fmac_f64_e32 v[48:49], v[92:93], v[66:67]
	v_fmac_f64_e32 v[48:49], v[90:91], v[68:69]
	s_waitcnt vmcnt(4) lgkmcnt(0)
	v_fmac_f64_e32 v[48:49], v[88:89], v[70:71]
	s_waitcnt vmcnt(2)
	v_fmac_f64_e32 v[48:49], v[96:97], v[72:73]
	s_waitcnt vmcnt(0)
	v_add_f64 v[48:49], v[98:99], -v[48:49]
	buffer_store_dword v49, off, s[0:3], 0 offset:84
	buffer_store_dword v48, off, s[0:3], 0 offset:80
	s_and_saveexec_b64 s[4:5], vcc
	s_cbranch_execz .LBB22_127
; %bb.126:
	buffer_load_dword v48, off, s[0:3], 0 offset:72
	buffer_load_dword v49, off, s[0:3], 0 offset:76
	v_mov_b32_e32 v50, 0
	buffer_store_dword v50, off, s[0:3], 0 offset:72
	buffer_store_dword v50, off, s[0:3], 0 offset:76
	s_waitcnt vmcnt(2)
	ds_write_b64 v1, v[48:49]
.LBB22_127:
	s_or_b64 exec, exec, s[4:5]
	s_waitcnt lgkmcnt(0)
	; wave barrier
	s_waitcnt lgkmcnt(0)
	buffer_load_dword v74, off, s[0:3], 0 offset:80
	buffer_load_dword v75, off, s[0:3], 0 offset:84
	;; [unrolled: 1-line block ×28, first 2 shown]
	v_mov_b32_e32 v48, 0
	ds_read_b128 v[50:53], v48 offset:272
	ds_read_b128 v[54:57], v48 offset:288
	;; [unrolled: 1-line block ×6, first 2 shown]
	ds_read_b64 v[102:103], v48 offset:368
	v_cmp_lt_u32_e32 vcc, 8, v0
	s_waitcnt vmcnt(26) lgkmcnt(6)
	v_fma_f64 v[50:51], v[74:75], v[50:51], 0
	s_waitcnt vmcnt(24)
	v_fmac_f64_e32 v[50:51], v[76:77], v[52:53]
	s_waitcnt vmcnt(22) lgkmcnt(5)
	v_fmac_f64_e32 v[50:51], v[78:79], v[54:55]
	s_waitcnt vmcnt(20)
	v_fmac_f64_e32 v[50:51], v[80:81], v[56:57]
	s_waitcnt vmcnt(18) lgkmcnt(4)
	v_fmac_f64_e32 v[50:51], v[82:83], v[58:59]
	;; [unrolled: 4-line block ×3, first 2 shown]
	s_waitcnt vmcnt(6)
	v_fmac_f64_e32 v[50:51], v[94:95], v[64:65]
	s_waitcnt lgkmcnt(2)
	v_fmac_f64_e32 v[50:51], v[92:93], v[66:67]
	v_fmac_f64_e32 v[50:51], v[90:91], v[68:69]
	s_waitcnt lgkmcnt(1)
	v_fmac_f64_e32 v[50:51], v[88:89], v[70:71]
	s_waitcnt vmcnt(2)
	v_fmac_f64_e32 v[50:51], v[98:99], v[72:73]
	s_waitcnt lgkmcnt(0)
	v_fmac_f64_e32 v[50:51], v[96:97], v[102:103]
	s_waitcnt vmcnt(0)
	v_add_f64 v[50:51], v[100:101], -v[50:51]
	buffer_store_dword v51, off, s[0:3], 0 offset:76
	buffer_store_dword v50, off, s[0:3], 0 offset:72
	s_and_saveexec_b64 s[4:5], vcc
	s_cbranch_execz .LBB22_129
; %bb.128:
	buffer_load_dword v50, off, s[0:3], 0 offset:64
	buffer_load_dword v51, off, s[0:3], 0 offset:68
	s_waitcnt vmcnt(0)
	ds_write_b64 v1, v[50:51]
	buffer_store_dword v48, off, s[0:3], 0 offset:64
	buffer_store_dword v48, off, s[0:3], 0 offset:68
.LBB22_129:
	s_or_b64 exec, exec, s[4:5]
	s_waitcnt lgkmcnt(0)
	; wave barrier
	s_waitcnt lgkmcnt(0)
	buffer_load_dword v78, off, s[0:3], 0 offset:72
	buffer_load_dword v79, off, s[0:3], 0 offset:76
	;; [unrolled: 1-line block ×30, first 2 shown]
	ds_read2_b64 v[50:53], v48 offset0:33 offset1:34
	ds_read2_b64 v[54:57], v48 offset0:35 offset1:36
	;; [unrolled: 1-line block ×7, first 2 shown]
	v_cmp_lt_u32_e32 vcc, 7, v0
	s_waitcnt vmcnt(28) lgkmcnt(6)
	v_fma_f64 v[48:49], v[78:79], v[50:51], 0
	s_waitcnt vmcnt(26)
	v_fmac_f64_e32 v[48:49], v[80:81], v[52:53]
	s_waitcnt vmcnt(24) lgkmcnt(5)
	v_fmac_f64_e32 v[48:49], v[82:83], v[54:55]
	s_waitcnt vmcnt(22)
	v_fmac_f64_e32 v[48:49], v[84:85], v[56:57]
	s_waitcnt vmcnt(20) lgkmcnt(4)
	v_fmac_f64_e32 v[48:49], v[86:87], v[58:59]
	;; [unrolled: 4-line block ×3, first 2 shown]
	s_waitcnt vmcnt(8)
	v_fmac_f64_e32 v[48:49], v[98:99], v[64:65]
	s_waitcnt lgkmcnt(2)
	v_fmac_f64_e32 v[48:49], v[96:97], v[66:67]
	v_fmac_f64_e32 v[48:49], v[94:95], v[68:69]
	s_waitcnt lgkmcnt(1)
	v_fmac_f64_e32 v[48:49], v[92:93], v[70:71]
	s_waitcnt vmcnt(3)
	v_fmac_f64_e32 v[48:49], v[104:105], v[72:73]
	s_waitcnt lgkmcnt(0)
	v_fmac_f64_e32 v[48:49], v[102:103], v[74:75]
	s_waitcnt vmcnt(2)
	v_fmac_f64_e32 v[48:49], v[100:101], v[76:77]
	s_waitcnt vmcnt(0)
	v_add_f64 v[48:49], v[106:107], -v[48:49]
	buffer_store_dword v49, off, s[0:3], 0 offset:68
	buffer_store_dword v48, off, s[0:3], 0 offset:64
	s_and_saveexec_b64 s[4:5], vcc
	s_cbranch_execz .LBB22_131
; %bb.130:
	buffer_load_dword v48, off, s[0:3], 0 offset:56
	buffer_load_dword v49, off, s[0:3], 0 offset:60
	v_mov_b32_e32 v50, 0
	buffer_store_dword v50, off, s[0:3], 0 offset:56
	buffer_store_dword v50, off, s[0:3], 0 offset:60
	s_waitcnt vmcnt(2)
	ds_write_b64 v1, v[48:49]
.LBB22_131:
	s_or_b64 exec, exec, s[4:5]
	s_waitcnt lgkmcnt(0)
	; wave barrier
	s_waitcnt lgkmcnt(0)
	buffer_load_dword v78, off, s[0:3], 0 offset:64
	buffer_load_dword v79, off, s[0:3], 0 offset:68
	;; [unrolled: 1-line block ×32, first 2 shown]
	v_mov_b32_e32 v48, 0
	ds_read_b128 v[50:53], v48 offset:256
	ds_read_b128 v[54:57], v48 offset:272
	;; [unrolled: 1-line block ×7, first 2 shown]
	ds_read_b64 v[110:111], v48 offset:368
	v_cmp_lt_u32_e32 vcc, 6, v0
	s_waitcnt vmcnt(30) lgkmcnt(7)
	v_fma_f64 v[50:51], v[78:79], v[50:51], 0
	s_waitcnt vmcnt(28)
	v_fmac_f64_e32 v[50:51], v[80:81], v[52:53]
	s_waitcnt vmcnt(26) lgkmcnt(6)
	v_fmac_f64_e32 v[50:51], v[82:83], v[54:55]
	s_waitcnt vmcnt(24)
	v_fmac_f64_e32 v[50:51], v[84:85], v[56:57]
	s_waitcnt vmcnt(22) lgkmcnt(5)
	v_fmac_f64_e32 v[50:51], v[86:87], v[58:59]
	;; [unrolled: 4-line block ×3, first 2 shown]
	s_waitcnt vmcnt(10)
	v_fmac_f64_e32 v[50:51], v[98:99], v[64:65]
	s_waitcnt lgkmcnt(3)
	v_fmac_f64_e32 v[50:51], v[96:97], v[66:67]
	v_fmac_f64_e32 v[50:51], v[94:95], v[68:69]
	s_waitcnt lgkmcnt(2)
	v_fmac_f64_e32 v[50:51], v[92:93], v[70:71]
	s_waitcnt vmcnt(4)
	v_fmac_f64_e32 v[50:51], v[106:107], v[72:73]
	s_waitcnt lgkmcnt(1)
	v_fmac_f64_e32 v[50:51], v[104:105], v[74:75]
	s_waitcnt vmcnt(3)
	v_fmac_f64_e32 v[50:51], v[102:103], v[76:77]
	s_waitcnt vmcnt(2) lgkmcnt(0)
	v_fmac_f64_e32 v[50:51], v[100:101], v[110:111]
	s_waitcnt vmcnt(0)
	v_add_f64 v[50:51], v[108:109], -v[50:51]
	buffer_store_dword v51, off, s[0:3], 0 offset:60
	buffer_store_dword v50, off, s[0:3], 0 offset:56
	s_and_saveexec_b64 s[4:5], vcc
	s_cbranch_execz .LBB22_133
; %bb.132:
	buffer_load_dword v50, off, s[0:3], 0 offset:48
	buffer_load_dword v51, off, s[0:3], 0 offset:52
	s_waitcnt vmcnt(0)
	ds_write_b64 v1, v[50:51]
	buffer_store_dword v48, off, s[0:3], 0 offset:48
	buffer_store_dword v48, off, s[0:3], 0 offset:52
.LBB22_133:
	s_or_b64 exec, exec, s[4:5]
	s_waitcnt lgkmcnt(0)
	; wave barrier
	s_waitcnt lgkmcnt(0)
	buffer_load_dword v82, off, s[0:3], 0 offset:56
	buffer_load_dword v83, off, s[0:3], 0 offset:60
	;; [unrolled: 1-line block ×34, first 2 shown]
	ds_read2_b64 v[50:53], v48 offset0:31 offset1:32
	ds_read2_b64 v[54:57], v48 offset0:33 offset1:34
	;; [unrolled: 1-line block ×8, first 2 shown]
	v_cmp_lt_u32_e32 vcc, 5, v0
	s_waitcnt vmcnt(32) lgkmcnt(7)
	v_fma_f64 v[48:49], v[82:83], v[50:51], 0
	s_waitcnt vmcnt(30)
	v_fmac_f64_e32 v[48:49], v[84:85], v[52:53]
	s_waitcnt vmcnt(28) lgkmcnt(6)
	v_fmac_f64_e32 v[48:49], v[86:87], v[54:55]
	s_waitcnt vmcnt(26)
	v_fmac_f64_e32 v[48:49], v[88:89], v[56:57]
	s_waitcnt vmcnt(24) lgkmcnt(5)
	v_fmac_f64_e32 v[48:49], v[90:91], v[58:59]
	;; [unrolled: 4-line block ×3, first 2 shown]
	s_waitcnt vmcnt(12)
	v_fmac_f64_e32 v[48:49], v[102:103], v[64:65]
	s_waitcnt lgkmcnt(3)
	v_fmac_f64_e32 v[48:49], v[100:101], v[66:67]
	v_fmac_f64_e32 v[48:49], v[98:99], v[68:69]
	s_waitcnt lgkmcnt(2)
	v_fmac_f64_e32 v[48:49], v[96:97], v[70:71]
	s_waitcnt vmcnt(5)
	v_fmac_f64_e32 v[48:49], v[110:111], v[72:73]
	s_waitcnt lgkmcnt(1)
	v_fmac_f64_e32 v[48:49], v[108:109], v[74:75]
	v_fmac_f64_e32 v[48:49], v[106:107], v[76:77]
	s_waitcnt vmcnt(4) lgkmcnt(0)
	v_fmac_f64_e32 v[48:49], v[104:105], v[78:79]
	s_waitcnt vmcnt(2)
	v_fmac_f64_e32 v[48:49], v[112:113], v[80:81]
	s_waitcnt vmcnt(0)
	v_add_f64 v[48:49], v[114:115], -v[48:49]
	buffer_store_dword v49, off, s[0:3], 0 offset:52
	buffer_store_dword v48, off, s[0:3], 0 offset:48
	s_and_saveexec_b64 s[4:5], vcc
	s_cbranch_execz .LBB22_135
; %bb.134:
	buffer_load_dword v48, off, s[0:3], 0 offset:40
	buffer_load_dword v49, off, s[0:3], 0 offset:44
	v_mov_b32_e32 v50, 0
	buffer_store_dword v50, off, s[0:3], 0 offset:40
	buffer_store_dword v50, off, s[0:3], 0 offset:44
	s_waitcnt vmcnt(2)
	ds_write_b64 v1, v[48:49]
.LBB22_135:
	s_or_b64 exec, exec, s[4:5]
	s_waitcnt lgkmcnt(0)
	; wave barrier
	s_waitcnt lgkmcnt(0)
	buffer_load_dword v82, off, s[0:3], 0 offset:48
	buffer_load_dword v83, off, s[0:3], 0 offset:52
	;; [unrolled: 1-line block ×36, first 2 shown]
	v_mov_b32_e32 v48, 0
	ds_read_b128 v[50:53], v48 offset:240
	ds_read_b128 v[54:57], v48 offset:256
	;; [unrolled: 1-line block ×8, first 2 shown]
	ds_read_b64 v[118:119], v48 offset:368
	v_cmp_lt_u32_e32 vcc, 4, v0
	s_waitcnt vmcnt(34) lgkmcnt(8)
	v_fma_f64 v[50:51], v[82:83], v[50:51], 0
	s_waitcnt vmcnt(32)
	v_fmac_f64_e32 v[50:51], v[84:85], v[52:53]
	s_waitcnt vmcnt(30) lgkmcnt(7)
	v_fmac_f64_e32 v[50:51], v[86:87], v[54:55]
	s_waitcnt vmcnt(28)
	v_fmac_f64_e32 v[50:51], v[88:89], v[56:57]
	s_waitcnt vmcnt(26) lgkmcnt(6)
	v_fmac_f64_e32 v[50:51], v[90:91], v[58:59]
	;; [unrolled: 4-line block ×3, first 2 shown]
	s_waitcnt vmcnt(14)
	v_fmac_f64_e32 v[50:51], v[102:103], v[64:65]
	s_waitcnt lgkmcnt(4)
	v_fmac_f64_e32 v[50:51], v[100:101], v[66:67]
	v_fmac_f64_e32 v[50:51], v[98:99], v[68:69]
	s_waitcnt lgkmcnt(3)
	v_fmac_f64_e32 v[50:51], v[96:97], v[70:71]
	s_waitcnt vmcnt(6)
	v_fmac_f64_e32 v[50:51], v[110:111], v[72:73]
	s_waitcnt lgkmcnt(2)
	v_fmac_f64_e32 v[50:51], v[108:109], v[74:75]
	v_fmac_f64_e32 v[50:51], v[106:107], v[76:77]
	s_waitcnt lgkmcnt(1)
	v_fmac_f64_e32 v[50:51], v[104:105], v[78:79]
	s_waitcnt vmcnt(2)
	v_fmac_f64_e32 v[50:51], v[114:115], v[80:81]
	s_waitcnt lgkmcnt(0)
	v_fmac_f64_e32 v[50:51], v[112:113], v[118:119]
	s_waitcnt vmcnt(0)
	v_add_f64 v[50:51], v[116:117], -v[50:51]
	buffer_store_dword v51, off, s[0:3], 0 offset:44
	buffer_store_dword v50, off, s[0:3], 0 offset:40
	s_and_saveexec_b64 s[4:5], vcc
	s_cbranch_execz .LBB22_137
; %bb.136:
	buffer_load_dword v50, off, s[0:3], 0 offset:32
	buffer_load_dword v51, off, s[0:3], 0 offset:36
	s_waitcnt vmcnt(0)
	ds_write_b64 v1, v[50:51]
	buffer_store_dword v48, off, s[0:3], 0 offset:32
	buffer_store_dword v48, off, s[0:3], 0 offset:36
.LBB22_137:
	s_or_b64 exec, exec, s[4:5]
	s_waitcnt lgkmcnt(0)
	; wave barrier
	s_waitcnt lgkmcnt(0)
	buffer_load_dword v86, off, s[0:3], 0 offset:40
	buffer_load_dword v87, off, s[0:3], 0 offset:44
	;; [unrolled: 1-line block ×38, first 2 shown]
	ds_read2_b64 v[50:53], v48 offset0:29 offset1:30
	ds_read2_b64 v[54:57], v48 offset0:31 offset1:32
	;; [unrolled: 1-line block ×9, first 2 shown]
	v_cmp_lt_u32_e32 vcc, 3, v0
	s_waitcnt vmcnt(36) lgkmcnt(8)
	v_fma_f64 v[48:49], v[86:87], v[50:51], 0
	s_waitcnt vmcnt(34)
	v_fmac_f64_e32 v[48:49], v[88:89], v[52:53]
	s_waitcnt vmcnt(32) lgkmcnt(7)
	v_fmac_f64_e32 v[48:49], v[90:91], v[54:55]
	s_waitcnt vmcnt(30)
	v_fmac_f64_e32 v[48:49], v[92:93], v[56:57]
	s_waitcnt vmcnt(28) lgkmcnt(6)
	v_fmac_f64_e32 v[48:49], v[94:95], v[58:59]
	;; [unrolled: 4-line block ×3, first 2 shown]
	s_waitcnt vmcnt(16)
	v_fmac_f64_e32 v[48:49], v[106:107], v[64:65]
	s_waitcnt lgkmcnt(4)
	v_fmac_f64_e32 v[48:49], v[104:105], v[66:67]
	v_fmac_f64_e32 v[48:49], v[102:103], v[68:69]
	s_waitcnt lgkmcnt(3)
	v_fmac_f64_e32 v[48:49], v[100:101], v[70:71]
	s_waitcnt vmcnt(8)
	v_fmac_f64_e32 v[48:49], v[114:115], v[72:73]
	s_waitcnt lgkmcnt(2)
	v_fmac_f64_e32 v[48:49], v[112:113], v[74:75]
	v_fmac_f64_e32 v[48:49], v[110:111], v[76:77]
	s_waitcnt lgkmcnt(1)
	v_fmac_f64_e32 v[48:49], v[108:109], v[78:79]
	s_waitcnt vmcnt(3)
	v_fmac_f64_e32 v[48:49], v[120:121], v[80:81]
	s_waitcnt lgkmcnt(0)
	v_fmac_f64_e32 v[48:49], v[118:119], v[82:83]
	s_waitcnt vmcnt(2)
	v_fmac_f64_e32 v[48:49], v[116:117], v[84:85]
	s_waitcnt vmcnt(0)
	v_add_f64 v[48:49], v[122:123], -v[48:49]
	buffer_store_dword v49, off, s[0:3], 0 offset:36
	buffer_store_dword v48, off, s[0:3], 0 offset:32
	s_and_saveexec_b64 s[4:5], vcc
	s_cbranch_execz .LBB22_139
; %bb.138:
	buffer_load_dword v48, off, s[0:3], 0 offset:24
	buffer_load_dword v49, off, s[0:3], 0 offset:28
	v_mov_b32_e32 v50, 0
	buffer_store_dword v50, off, s[0:3], 0 offset:24
	buffer_store_dword v50, off, s[0:3], 0 offset:28
	s_waitcnt vmcnt(2)
	ds_write_b64 v1, v[48:49]
.LBB22_139:
	s_or_b64 exec, exec, s[4:5]
	s_waitcnt lgkmcnt(0)
	; wave barrier
	s_waitcnt lgkmcnt(0)
	buffer_load_dword v48, off, s[0:3], 0 offset:24
	buffer_load_dword v49, off, s[0:3], 0 offset:28
	;; [unrolled: 1-line block ×16, first 2 shown]
	v_mov_b32_e32 v52, 0
	ds_read_b128 v[54:57], v52 offset:224
	ds_read_b128 v[58:61], v52 offset:240
	;; [unrolled: 1-line block ×4, first 2 shown]
	v_cmp_lt_u32_e32 vcc, 2, v0
	s_waitcnt vmcnt(12) lgkmcnt(3)
	v_fma_f64 v[50:51], v[50:51], v[54:55], 0
	buffer_load_dword v55, off, s[0:3], 0 offset:92
	buffer_load_dword v54, off, s[0:3], 0 offset:88
	s_waitcnt vmcnt(12)
	v_fmac_f64_e32 v[50:51], v[70:71], v[56:57]
	s_waitcnt vmcnt(10) lgkmcnt(2)
	v_fmac_f64_e32 v[50:51], v[72:73], v[58:59]
	buffer_load_dword v59, off, s[0:3], 0 offset:100
	buffer_load_dword v58, off, s[0:3], 0 offset:96
	s_waitcnt vmcnt(10)
	v_fmac_f64_e32 v[50:51], v[74:75], v[60:61]
	s_waitcnt vmcnt(8) lgkmcnt(1)
	v_fmac_f64_e32 v[50:51], v[76:77], v[62:63]
	s_waitcnt vmcnt(6)
	v_fmac_f64_e32 v[50:51], v[78:79], v[64:65]
	s_waitcnt vmcnt(4) lgkmcnt(0)
	v_fmac_f64_e32 v[50:51], v[80:81], v[66:67]
	s_waitcnt vmcnt(2)
	v_fmac_f64_e32 v[50:51], v[54:55], v[68:69]
	ds_read_b128 v[54:57], v52 offset:288
	s_waitcnt vmcnt(0) lgkmcnt(0)
	v_fmac_f64_e32 v[50:51], v[58:59], v[54:55]
	buffer_load_dword v55, off, s[0:3], 0 offset:108
	buffer_load_dword v54, off, s[0:3], 0 offset:104
	buffer_load_dword v59, off, s[0:3], 0 offset:116
	buffer_load_dword v58, off, s[0:3], 0 offset:112
	s_waitcnt vmcnt(2)
	v_fmac_f64_e32 v[50:51], v[54:55], v[56:57]
	ds_read_b128 v[54:57], v52 offset:304
	s_waitcnt vmcnt(0) lgkmcnt(0)
	v_fmac_f64_e32 v[50:51], v[58:59], v[54:55]
	buffer_load_dword v55, off, s[0:3], 0 offset:124
	buffer_load_dword v54, off, s[0:3], 0 offset:120
	buffer_load_dword v59, off, s[0:3], 0 offset:132
	buffer_load_dword v58, off, s[0:3], 0 offset:128
	;; [unrolled: 9-line block ×4, first 2 shown]
	s_waitcnt vmcnt(2)
	v_fmac_f64_e32 v[50:51], v[54:55], v[56:57]
	ds_read_b128 v[54:57], v52 offset:352
	s_waitcnt vmcnt(0) lgkmcnt(0)
	v_fmac_f64_e32 v[50:51], v[58:59], v[54:55]
	buffer_load_dword v55, off, s[0:3], 0 offset:172
	buffer_load_dword v54, off, s[0:3], 0 offset:168
	s_waitcnt vmcnt(0)
	v_fmac_f64_e32 v[50:51], v[54:55], v[56:57]
	buffer_load_dword v55, off, s[0:3], 0 offset:180
	buffer_load_dword v54, off, s[0:3], 0 offset:176
	ds_read_b64 v[56:57], v52 offset:368
	s_waitcnt vmcnt(0) lgkmcnt(0)
	v_fmac_f64_e32 v[50:51], v[54:55], v[56:57]
	v_add_f64 v[48:49], v[48:49], -v[50:51]
	buffer_store_dword v49, off, s[0:3], 0 offset:28
	buffer_store_dword v48, off, s[0:3], 0 offset:24
	s_and_saveexec_b64 s[4:5], vcc
	s_cbranch_execz .LBB22_141
; %bb.140:
	buffer_load_dword v48, off, s[0:3], 0 offset:16
	buffer_load_dword v49, off, s[0:3], 0 offset:20
	s_waitcnt vmcnt(0)
	ds_write_b64 v1, v[48:49]
	buffer_store_dword v52, off, s[0:3], 0 offset:16
	buffer_store_dword v52, off, s[0:3], 0 offset:20
.LBB22_141:
	s_or_b64 exec, exec, s[4:5]
	s_waitcnt lgkmcnt(0)
	; wave barrier
	s_waitcnt lgkmcnt(0)
	buffer_load_dword v48, off, s[0:3], 0 offset:16
	buffer_load_dword v49, off, s[0:3], 0 offset:20
	;; [unrolled: 1-line block ×16, first 2 shown]
	ds_read2_b64 v[54:57], v52 offset0:27 offset1:28
	v_cmp_lt_u32_e32 vcc, 1, v0
	s_waitcnt vmcnt(12) lgkmcnt(0)
	v_fma_f64 v[50:51], v[50:51], v[54:55], 0
	s_waitcnt vmcnt(10)
	v_fmac_f64_e32 v[50:51], v[58:59], v[56:57]
	ds_read2_b64 v[54:57], v52 offset0:29 offset1:30
	s_waitcnt vmcnt(8) lgkmcnt(0)
	v_fmac_f64_e32 v[50:51], v[60:61], v[54:55]
	s_waitcnt vmcnt(6)
	v_fmac_f64_e32 v[50:51], v[62:63], v[56:57]
	ds_read2_b64 v[54:57], v52 offset0:31 offset1:32
	s_waitcnt vmcnt(4) lgkmcnt(0)
	v_fmac_f64_e32 v[50:51], v[64:65], v[54:55]
	;; [unrolled: 5-line block ×3, first 2 shown]
	buffer_load_dword v55, off, s[0:3], 0 offset:84
	buffer_load_dword v54, off, s[0:3], 0 offset:80
	buffer_load_dword v59, off, s[0:3], 0 offset:92
	buffer_load_dword v58, off, s[0:3], 0 offset:88
	s_waitcnt vmcnt(2)
	v_fmac_f64_e32 v[50:51], v[54:55], v[56:57]
	ds_read2_b64 v[54:57], v52 offset0:35 offset1:36
	s_waitcnt vmcnt(0) lgkmcnt(0)
	v_fmac_f64_e32 v[50:51], v[58:59], v[54:55]
	buffer_load_dword v55, off, s[0:3], 0 offset:100
	buffer_load_dword v54, off, s[0:3], 0 offset:96
	buffer_load_dword v59, off, s[0:3], 0 offset:108
	buffer_load_dword v58, off, s[0:3], 0 offset:104
	s_waitcnt vmcnt(2)
	v_fmac_f64_e32 v[50:51], v[54:55], v[56:57]
	ds_read2_b64 v[54:57], v52 offset0:37 offset1:38
	s_waitcnt vmcnt(0) lgkmcnt(0)
	v_fmac_f64_e32 v[50:51], v[58:59], v[54:55]
	;; [unrolled: 9-line block ×5, first 2 shown]
	buffer_load_dword v55, off, s[0:3], 0 offset:164
	buffer_load_dword v54, off, s[0:3], 0 offset:160
	s_waitcnt vmcnt(0)
	v_fmac_f64_e32 v[50:51], v[54:55], v[56:57]
	buffer_load_dword v57, off, s[0:3], 0 offset:172
	buffer_load_dword v56, off, s[0:3], 0 offset:168
	ds_read2_b64 v[52:55], v52 offset0:45 offset1:46
	s_waitcnt vmcnt(0) lgkmcnt(0)
	v_fmac_f64_e32 v[50:51], v[56:57], v[52:53]
	buffer_load_dword v53, off, s[0:3], 0 offset:180
	buffer_load_dword v52, off, s[0:3], 0 offset:176
	s_waitcnt vmcnt(0)
	v_fmac_f64_e32 v[50:51], v[52:53], v[54:55]
	v_add_f64 v[48:49], v[48:49], -v[50:51]
	buffer_store_dword v49, off, s[0:3], 0 offset:20
	buffer_store_dword v48, off, s[0:3], 0 offset:16
	s_and_saveexec_b64 s[4:5], vcc
	s_cbranch_execz .LBB22_143
; %bb.142:
	buffer_load_dword v48, off, s[0:3], 0 offset:8
	buffer_load_dword v49, off, s[0:3], 0 offset:12
	v_mov_b32_e32 v50, 0
	buffer_store_dword v50, off, s[0:3], 0 offset:8
	buffer_store_dword v50, off, s[0:3], 0 offset:12
	s_waitcnt vmcnt(2)
	ds_write_b64 v1, v[48:49]
.LBB22_143:
	s_or_b64 exec, exec, s[4:5]
	s_waitcnt lgkmcnt(0)
	; wave barrier
	s_waitcnt lgkmcnt(0)
	buffer_load_dword v48, off, s[0:3], 0 offset:8
	buffer_load_dword v49, off, s[0:3], 0 offset:12
	;; [unrolled: 1-line block ×16, first 2 shown]
	v_mov_b32_e32 v52, 0
	ds_read_b128 v[54:57], v52 offset:208
	ds_read_b128 v[58:61], v52 offset:224
	;; [unrolled: 1-line block ×4, first 2 shown]
	v_cmp_ne_u32_e32 vcc, 0, v0
	s_waitcnt vmcnt(12) lgkmcnt(3)
	v_fma_f64 v[50:51], v[50:51], v[54:55], 0
	buffer_load_dword v55, off, s[0:3], 0 offset:76
	buffer_load_dword v54, off, s[0:3], 0 offset:72
	s_waitcnt vmcnt(12)
	v_fmac_f64_e32 v[50:51], v[70:71], v[56:57]
	s_waitcnt vmcnt(10) lgkmcnt(2)
	v_fmac_f64_e32 v[50:51], v[72:73], v[58:59]
	buffer_load_dword v59, off, s[0:3], 0 offset:84
	buffer_load_dword v58, off, s[0:3], 0 offset:80
	s_waitcnt vmcnt(10)
	v_fmac_f64_e32 v[50:51], v[74:75], v[60:61]
	s_waitcnt vmcnt(8) lgkmcnt(1)
	v_fmac_f64_e32 v[50:51], v[76:77], v[62:63]
	s_waitcnt vmcnt(6)
	v_fmac_f64_e32 v[50:51], v[78:79], v[64:65]
	s_waitcnt vmcnt(4) lgkmcnt(0)
	v_fmac_f64_e32 v[50:51], v[80:81], v[66:67]
	s_waitcnt vmcnt(2)
	v_fmac_f64_e32 v[50:51], v[54:55], v[68:69]
	ds_read_b128 v[54:57], v52 offset:272
	s_waitcnt vmcnt(0) lgkmcnt(0)
	v_fmac_f64_e32 v[50:51], v[58:59], v[54:55]
	buffer_load_dword v55, off, s[0:3], 0 offset:92
	buffer_load_dword v54, off, s[0:3], 0 offset:88
	buffer_load_dword v59, off, s[0:3], 0 offset:100
	buffer_load_dword v58, off, s[0:3], 0 offset:96
	s_waitcnt vmcnt(2)
	v_fmac_f64_e32 v[50:51], v[54:55], v[56:57]
	ds_read_b128 v[54:57], v52 offset:288
	s_waitcnt vmcnt(0) lgkmcnt(0)
	v_fmac_f64_e32 v[50:51], v[58:59], v[54:55]
	buffer_load_dword v55, off, s[0:3], 0 offset:108
	buffer_load_dword v54, off, s[0:3], 0 offset:104
	buffer_load_dword v59, off, s[0:3], 0 offset:116
	buffer_load_dword v58, off, s[0:3], 0 offset:112
	;; [unrolled: 9-line block ×5, first 2 shown]
	s_waitcnt vmcnt(2)
	v_fmac_f64_e32 v[50:51], v[54:55], v[56:57]
	ds_read_b128 v[54:57], v52 offset:352
	s_waitcnt vmcnt(0) lgkmcnt(0)
	v_fmac_f64_e32 v[50:51], v[58:59], v[54:55]
	buffer_load_dword v55, off, s[0:3], 0 offset:172
	buffer_load_dword v54, off, s[0:3], 0 offset:168
	s_waitcnt vmcnt(0)
	v_fmac_f64_e32 v[50:51], v[54:55], v[56:57]
	buffer_load_dword v55, off, s[0:3], 0 offset:180
	buffer_load_dword v54, off, s[0:3], 0 offset:176
	ds_read_b64 v[56:57], v52 offset:368
	s_waitcnt vmcnt(0) lgkmcnt(0)
	v_fmac_f64_e32 v[50:51], v[54:55], v[56:57]
	v_add_f64 v[48:49], v[48:49], -v[50:51]
	buffer_store_dword v49, off, s[0:3], 0 offset:12
	buffer_store_dword v48, off, s[0:3], 0 offset:8
	s_and_saveexec_b64 s[4:5], vcc
	s_cbranch_execz .LBB22_145
; %bb.144:
	buffer_load_dword v48, off, s[0:3], 0
	buffer_load_dword v49, off, s[0:3], 0 offset:4
	s_waitcnt vmcnt(0)
	ds_write_b64 v1, v[48:49]
	buffer_store_dword v52, off, s[0:3], 0
	buffer_store_dword v52, off, s[0:3], 0 offset:4
.LBB22_145:
	s_or_b64 exec, exec, s[4:5]
	s_waitcnt lgkmcnt(0)
	; wave barrier
	s_waitcnt lgkmcnt(0)
	buffer_load_dword v0, off, s[0:3], 0
	buffer_load_dword v1, off, s[0:3], 0 offset:4
	buffer_load_dword v54, off, s[0:3], 0 offset:8
	;; [unrolled: 1-line block ×15, first 2 shown]
	ds_read2_b64 v[48:51], v52 offset0:25 offset1:26
	s_and_b64 vcc, exec, s[20:21]
	s_waitcnt vmcnt(12) lgkmcnt(0)
	v_fma_f64 v[48:49], v[54:55], v[48:49], 0
	s_waitcnt vmcnt(10)
	v_fmac_f64_e32 v[48:49], v[56:57], v[50:51]
	ds_read2_b64 v[54:57], v52 offset0:27 offset1:28
	s_waitcnt vmcnt(8) lgkmcnt(0)
	v_fmac_f64_e32 v[48:49], v[58:59], v[54:55]
	s_waitcnt vmcnt(6)
	v_fmac_f64_e32 v[48:49], v[60:61], v[56:57]
	ds_read2_b64 v[54:57], v52 offset0:29 offset1:30
	s_waitcnt vmcnt(4) lgkmcnt(0)
	v_fmac_f64_e32 v[48:49], v[62:63], v[54:55]
	s_waitcnt vmcnt(2)
	v_fmac_f64_e32 v[48:49], v[64:65], v[56:57]
	ds_read2_b64 v[54:57], v52 offset0:31 offset1:32
	buffer_load_dword v51, off, s[0:3], 0 offset:68
	buffer_load_dword v50, off, s[0:3], 0 offset:64
	s_waitcnt vmcnt(2) lgkmcnt(0)
	v_fmac_f64_e32 v[48:49], v[66:67], v[54:55]
	s_waitcnt vmcnt(0)
	v_fmac_f64_e32 v[48:49], v[50:51], v[56:57]
	buffer_load_dword v51, off, s[0:3], 0 offset:76
	buffer_load_dword v50, off, s[0:3], 0 offset:72
	ds_read2_b64 v[54:57], v52 offset0:33 offset1:34
	s_waitcnt vmcnt(0) lgkmcnt(0)
	v_fmac_f64_e32 v[48:49], v[50:51], v[54:55]
	buffer_load_dword v51, off, s[0:3], 0 offset:84
	buffer_load_dword v50, off, s[0:3], 0 offset:80
	s_waitcnt vmcnt(0)
	v_fmac_f64_e32 v[48:49], v[50:51], v[56:57]
	buffer_load_dword v51, off, s[0:3], 0 offset:92
	buffer_load_dword v50, off, s[0:3], 0 offset:88
	ds_read2_b64 v[54:57], v52 offset0:35 offset1:36
	s_waitcnt vmcnt(0) lgkmcnt(0)
	v_fmac_f64_e32 v[48:49], v[50:51], v[54:55]
	buffer_load_dword v51, off, s[0:3], 0 offset:100
	buffer_load_dword v50, off, s[0:3], 0 offset:96
	;; [unrolled: 9-line block ×7, first 2 shown]
	s_waitcnt vmcnt(0)
	v_fmac_f64_e32 v[48:49], v[52:53], v[54:55]
	v_add_f64 v[0:1], v[0:1], -v[48:49]
	buffer_store_dword v1, off, s[0:3], 0 offset:4
	buffer_store_dword v0, off, s[0:3], 0
	s_cbranch_vccz .LBB22_191
; %bb.146:
	v_pk_mov_b32 v[0:1], s[10:11], s[10:11] op_sel:[0,1]
	flat_load_dword v0, v[0:1] offset:84
	s_waitcnt vmcnt(0) lgkmcnt(0)
	v_add_u32_e32 v0, -1, v0
	v_cmp_ne_u32_e32 vcc, 21, v0
	s_and_saveexec_b64 s[4:5], vcc
	s_cbranch_execz .LBB22_148
; %bb.147:
	v_mov_b32_e32 v1, 0
	v_lshl_add_u32 v0, v0, 3, v1
	buffer_load_dword v1, v0, s[0:3], 0 offen
	buffer_load_dword v48, v0, s[0:3], 0 offen offset:4
	s_waitcnt vmcnt(1)
	buffer_store_dword v1, off, s[0:3], 0 offset:168
	s_waitcnt vmcnt(1)
	buffer_store_dword v48, off, s[0:3], 0 offset:172
	buffer_store_dword v50, v0, s[0:3], 0 offen
	buffer_store_dword v51, v0, s[0:3], 0 offen offset:4
.LBB22_148:
	s_or_b64 exec, exec, s[4:5]
	v_pk_mov_b32 v[0:1], s[10:11], s[10:11] op_sel:[0,1]
	flat_load_dword v0, v[0:1] offset:80
	s_waitcnt vmcnt(0) lgkmcnt(0)
	v_add_u32_e32 v0, -1, v0
	v_cmp_ne_u32_e32 vcc, 20, v0
	s_and_saveexec_b64 s[4:5], vcc
	s_cbranch_execz .LBB22_150
; %bb.149:
	v_mov_b32_e32 v1, 0
	v_lshl_add_u32 v0, v0, 3, v1
	buffer_load_dword v1, v0, s[0:3], 0 offen
	buffer_load_dword v48, v0, s[0:3], 0 offen offset:4
	buffer_load_dword v49, off, s[0:3], 0 offset:164
	buffer_load_dword v50, off, s[0:3], 0 offset:160
	s_waitcnt vmcnt(3)
	buffer_store_dword v1, off, s[0:3], 0 offset:160
	s_waitcnt vmcnt(3)
	buffer_store_dword v48, off, s[0:3], 0 offset:164
	s_waitcnt vmcnt(3)
	buffer_store_dword v49, v0, s[0:3], 0 offen offset:4
	s_waitcnt vmcnt(3)
	buffer_store_dword v50, v0, s[0:3], 0 offen
.LBB22_150:
	s_or_b64 exec, exec, s[4:5]
	v_pk_mov_b32 v[0:1], s[10:11], s[10:11] op_sel:[0,1]
	flat_load_dword v0, v[0:1] offset:76
	s_waitcnt vmcnt(0) lgkmcnt(0)
	v_add_u32_e32 v0, -1, v0
	v_cmp_ne_u32_e32 vcc, 19, v0
	s_and_saveexec_b64 s[4:5], vcc
	s_cbranch_execz .LBB22_152
; %bb.151:
	v_mov_b32_e32 v1, 0
	v_lshl_add_u32 v0, v0, 3, v1
	buffer_load_dword v1, v0, s[0:3], 0 offen
	buffer_load_dword v48, v0, s[0:3], 0 offen offset:4
	buffer_load_dword v49, off, s[0:3], 0 offset:152
	buffer_load_dword v50, off, s[0:3], 0 offset:156
	s_waitcnt vmcnt(3)
	buffer_store_dword v1, off, s[0:3], 0 offset:152
	s_waitcnt vmcnt(3)
	buffer_store_dword v48, off, s[0:3], 0 offset:156
	s_waitcnt vmcnt(3)
	buffer_store_dword v49, v0, s[0:3], 0 offen
	s_waitcnt vmcnt(3)
	buffer_store_dword v50, v0, s[0:3], 0 offen offset:4
.LBB22_152:
	s_or_b64 exec, exec, s[4:5]
	v_pk_mov_b32 v[0:1], s[10:11], s[10:11] op_sel:[0,1]
	flat_load_dword v0, v[0:1] offset:72
	s_waitcnt vmcnt(0) lgkmcnt(0)
	v_add_u32_e32 v0, -1, v0
	v_cmp_ne_u32_e32 vcc, 18, v0
	s_and_saveexec_b64 s[4:5], vcc
	s_cbranch_execz .LBB22_154
; %bb.153:
	v_mov_b32_e32 v1, 0
	v_lshl_add_u32 v0, v0, 3, v1
	buffer_load_dword v1, v0, s[0:3], 0 offen
	buffer_load_dword v48, v0, s[0:3], 0 offen offset:4
	buffer_load_dword v49, off, s[0:3], 0 offset:148
	buffer_load_dword v50, off, s[0:3], 0 offset:144
	s_waitcnt vmcnt(3)
	buffer_store_dword v1, off, s[0:3], 0 offset:144
	s_waitcnt vmcnt(3)
	buffer_store_dword v48, off, s[0:3], 0 offset:148
	s_waitcnt vmcnt(3)
	buffer_store_dword v49, v0, s[0:3], 0 offen offset:4
	s_waitcnt vmcnt(3)
	buffer_store_dword v50, v0, s[0:3], 0 offen
.LBB22_154:
	s_or_b64 exec, exec, s[4:5]
	v_pk_mov_b32 v[0:1], s[10:11], s[10:11] op_sel:[0,1]
	flat_load_dword v0, v[0:1] offset:68
	s_waitcnt vmcnt(0) lgkmcnt(0)
	v_add_u32_e32 v0, -1, v0
	v_cmp_ne_u32_e32 vcc, 17, v0
	s_and_saveexec_b64 s[4:5], vcc
	s_cbranch_execz .LBB22_156
; %bb.155:
	v_mov_b32_e32 v1, 0
	v_lshl_add_u32 v0, v0, 3, v1
	buffer_load_dword v1, v0, s[0:3], 0 offen
	buffer_load_dword v48, v0, s[0:3], 0 offen offset:4
	buffer_load_dword v49, off, s[0:3], 0 offset:136
	buffer_load_dword v50, off, s[0:3], 0 offset:140
	s_waitcnt vmcnt(3)
	buffer_store_dword v1, off, s[0:3], 0 offset:136
	s_waitcnt vmcnt(3)
	buffer_store_dword v48, off, s[0:3], 0 offset:140
	s_waitcnt vmcnt(3)
	buffer_store_dword v49, v0, s[0:3], 0 offen
	s_waitcnt vmcnt(3)
	buffer_store_dword v50, v0, s[0:3], 0 offen offset:4
.LBB22_156:
	s_or_b64 exec, exec, s[4:5]
	v_pk_mov_b32 v[0:1], s[10:11], s[10:11] op_sel:[0,1]
	flat_load_dword v0, v[0:1] offset:64
	s_waitcnt vmcnt(0) lgkmcnt(0)
	v_add_u32_e32 v0, -1, v0
	v_cmp_ne_u32_e32 vcc, 16, v0
	s_and_saveexec_b64 s[4:5], vcc
	s_cbranch_execz .LBB22_158
; %bb.157:
	v_mov_b32_e32 v1, 0
	v_lshl_add_u32 v0, v0, 3, v1
	buffer_load_dword v1, v0, s[0:3], 0 offen
	buffer_load_dword v48, v0, s[0:3], 0 offen offset:4
	buffer_load_dword v49, off, s[0:3], 0 offset:132
	buffer_load_dword v50, off, s[0:3], 0 offset:128
	s_waitcnt vmcnt(3)
	buffer_store_dword v1, off, s[0:3], 0 offset:128
	s_waitcnt vmcnt(3)
	buffer_store_dword v48, off, s[0:3], 0 offset:132
	s_waitcnt vmcnt(3)
	buffer_store_dword v49, v0, s[0:3], 0 offen offset:4
	s_waitcnt vmcnt(3)
	buffer_store_dword v50, v0, s[0:3], 0 offen
.LBB22_158:
	s_or_b64 exec, exec, s[4:5]
	v_pk_mov_b32 v[0:1], s[10:11], s[10:11] op_sel:[0,1]
	flat_load_dword v0, v[0:1] offset:60
	s_waitcnt vmcnt(0) lgkmcnt(0)
	v_add_u32_e32 v0, -1, v0
	v_cmp_ne_u32_e32 vcc, 15, v0
	s_and_saveexec_b64 s[4:5], vcc
	s_cbranch_execz .LBB22_160
; %bb.159:
	v_mov_b32_e32 v1, 0
	v_lshl_add_u32 v0, v0, 3, v1
	buffer_load_dword v1, v0, s[0:3], 0 offen
	buffer_load_dword v48, v0, s[0:3], 0 offen offset:4
	buffer_load_dword v49, off, s[0:3], 0 offset:120
	buffer_load_dword v50, off, s[0:3], 0 offset:124
	s_waitcnt vmcnt(3)
	buffer_store_dword v1, off, s[0:3], 0 offset:120
	s_waitcnt vmcnt(3)
	buffer_store_dword v48, off, s[0:3], 0 offset:124
	s_waitcnt vmcnt(3)
	buffer_store_dword v49, v0, s[0:3], 0 offen
	s_waitcnt vmcnt(3)
	buffer_store_dword v50, v0, s[0:3], 0 offen offset:4
.LBB22_160:
	s_or_b64 exec, exec, s[4:5]
	v_pk_mov_b32 v[0:1], s[10:11], s[10:11] op_sel:[0,1]
	flat_load_dword v0, v[0:1] offset:56
	s_waitcnt vmcnt(0) lgkmcnt(0)
	v_add_u32_e32 v0, -1, v0
	v_cmp_ne_u32_e32 vcc, 14, v0
	s_and_saveexec_b64 s[4:5], vcc
	s_cbranch_execz .LBB22_162
; %bb.161:
	v_mov_b32_e32 v1, 0
	v_lshl_add_u32 v0, v0, 3, v1
	buffer_load_dword v1, v0, s[0:3], 0 offen
	buffer_load_dword v48, v0, s[0:3], 0 offen offset:4
	buffer_load_dword v49, off, s[0:3], 0 offset:116
	buffer_load_dword v50, off, s[0:3], 0 offset:112
	s_waitcnt vmcnt(3)
	buffer_store_dword v1, off, s[0:3], 0 offset:112
	s_waitcnt vmcnt(3)
	buffer_store_dword v48, off, s[0:3], 0 offset:116
	s_waitcnt vmcnt(3)
	buffer_store_dword v49, v0, s[0:3], 0 offen offset:4
	s_waitcnt vmcnt(3)
	buffer_store_dword v50, v0, s[0:3], 0 offen
.LBB22_162:
	s_or_b64 exec, exec, s[4:5]
	v_pk_mov_b32 v[0:1], s[10:11], s[10:11] op_sel:[0,1]
	flat_load_dword v0, v[0:1] offset:52
	s_waitcnt vmcnt(0) lgkmcnt(0)
	v_add_u32_e32 v0, -1, v0
	v_cmp_ne_u32_e32 vcc, 13, v0
	s_and_saveexec_b64 s[4:5], vcc
	s_cbranch_execz .LBB22_164
; %bb.163:
	v_mov_b32_e32 v1, 0
	v_lshl_add_u32 v0, v0, 3, v1
	buffer_load_dword v1, v0, s[0:3], 0 offen
	buffer_load_dword v48, v0, s[0:3], 0 offen offset:4
	buffer_load_dword v49, off, s[0:3], 0 offset:104
	buffer_load_dword v50, off, s[0:3], 0 offset:108
	s_waitcnt vmcnt(3)
	buffer_store_dword v1, off, s[0:3], 0 offset:104
	s_waitcnt vmcnt(3)
	buffer_store_dword v48, off, s[0:3], 0 offset:108
	s_waitcnt vmcnt(3)
	buffer_store_dword v49, v0, s[0:3], 0 offen
	s_waitcnt vmcnt(3)
	buffer_store_dword v50, v0, s[0:3], 0 offen offset:4
.LBB22_164:
	s_or_b64 exec, exec, s[4:5]
	v_pk_mov_b32 v[0:1], s[10:11], s[10:11] op_sel:[0,1]
	flat_load_dword v0, v[0:1] offset:48
	s_waitcnt vmcnt(0) lgkmcnt(0)
	v_add_u32_e32 v0, -1, v0
	v_cmp_ne_u32_e32 vcc, 12, v0
	s_and_saveexec_b64 s[4:5], vcc
	s_cbranch_execz .LBB22_166
; %bb.165:
	v_mov_b32_e32 v1, 0
	v_lshl_add_u32 v0, v0, 3, v1
	buffer_load_dword v1, v0, s[0:3], 0 offen
	buffer_load_dword v48, v0, s[0:3], 0 offen offset:4
	buffer_load_dword v49, off, s[0:3], 0 offset:100
	buffer_load_dword v50, off, s[0:3], 0 offset:96
	s_waitcnt vmcnt(3)
	buffer_store_dword v1, off, s[0:3], 0 offset:96
	s_waitcnt vmcnt(3)
	buffer_store_dword v48, off, s[0:3], 0 offset:100
	s_waitcnt vmcnt(3)
	buffer_store_dword v49, v0, s[0:3], 0 offen offset:4
	s_waitcnt vmcnt(3)
	buffer_store_dword v50, v0, s[0:3], 0 offen
.LBB22_166:
	s_or_b64 exec, exec, s[4:5]
	v_pk_mov_b32 v[0:1], s[10:11], s[10:11] op_sel:[0,1]
	flat_load_dword v0, v[0:1] offset:44
	s_waitcnt vmcnt(0) lgkmcnt(0)
	v_add_u32_e32 v0, -1, v0
	v_cmp_ne_u32_e32 vcc, 11, v0
	s_and_saveexec_b64 s[4:5], vcc
	s_cbranch_execz .LBB22_168
; %bb.167:
	v_mov_b32_e32 v1, 0
	v_lshl_add_u32 v0, v0, 3, v1
	buffer_load_dword v1, v0, s[0:3], 0 offen
	buffer_load_dword v48, v0, s[0:3], 0 offen offset:4
	buffer_load_dword v49, off, s[0:3], 0 offset:88
	buffer_load_dword v50, off, s[0:3], 0 offset:92
	s_waitcnt vmcnt(3)
	buffer_store_dword v1, off, s[0:3], 0 offset:88
	s_waitcnt vmcnt(3)
	buffer_store_dword v48, off, s[0:3], 0 offset:92
	s_waitcnt vmcnt(3)
	buffer_store_dword v49, v0, s[0:3], 0 offen
	s_waitcnt vmcnt(3)
	buffer_store_dword v50, v0, s[0:3], 0 offen offset:4
.LBB22_168:
	s_or_b64 exec, exec, s[4:5]
	v_pk_mov_b32 v[0:1], s[10:11], s[10:11] op_sel:[0,1]
	flat_load_dword v0, v[0:1] offset:40
	s_waitcnt vmcnt(0) lgkmcnt(0)
	v_add_u32_e32 v0, -1, v0
	v_cmp_ne_u32_e32 vcc, 10, v0
	s_and_saveexec_b64 s[4:5], vcc
	s_cbranch_execz .LBB22_170
; %bb.169:
	v_mov_b32_e32 v1, 0
	v_lshl_add_u32 v0, v0, 3, v1
	buffer_load_dword v1, v0, s[0:3], 0 offen
	buffer_load_dword v48, v0, s[0:3], 0 offen offset:4
	buffer_load_dword v49, off, s[0:3], 0 offset:84
	buffer_load_dword v50, off, s[0:3], 0 offset:80
	s_waitcnt vmcnt(3)
	buffer_store_dword v1, off, s[0:3], 0 offset:80
	s_waitcnt vmcnt(3)
	buffer_store_dword v48, off, s[0:3], 0 offset:84
	s_waitcnt vmcnt(3)
	buffer_store_dword v49, v0, s[0:3], 0 offen offset:4
	s_waitcnt vmcnt(3)
	buffer_store_dword v50, v0, s[0:3], 0 offen
.LBB22_170:
	s_or_b64 exec, exec, s[4:5]
	v_pk_mov_b32 v[0:1], s[10:11], s[10:11] op_sel:[0,1]
	flat_load_dword v0, v[0:1] offset:36
	s_waitcnt vmcnt(0) lgkmcnt(0)
	v_add_u32_e32 v0, -1, v0
	v_cmp_ne_u32_e32 vcc, 9, v0
	s_and_saveexec_b64 s[4:5], vcc
	s_cbranch_execz .LBB22_172
; %bb.171:
	v_mov_b32_e32 v1, 0
	v_lshl_add_u32 v0, v0, 3, v1
	buffer_load_dword v1, v0, s[0:3], 0 offen
	buffer_load_dword v48, v0, s[0:3], 0 offen offset:4
	buffer_load_dword v49, off, s[0:3], 0 offset:72
	buffer_load_dword v50, off, s[0:3], 0 offset:76
	s_waitcnt vmcnt(3)
	buffer_store_dword v1, off, s[0:3], 0 offset:72
	s_waitcnt vmcnt(3)
	buffer_store_dword v48, off, s[0:3], 0 offset:76
	s_waitcnt vmcnt(3)
	buffer_store_dword v49, v0, s[0:3], 0 offen
	s_waitcnt vmcnt(3)
	buffer_store_dword v50, v0, s[0:3], 0 offen offset:4
.LBB22_172:
	s_or_b64 exec, exec, s[4:5]
	v_pk_mov_b32 v[0:1], s[10:11], s[10:11] op_sel:[0,1]
	flat_load_dword v0, v[0:1] offset:32
	s_waitcnt vmcnt(0) lgkmcnt(0)
	v_add_u32_e32 v0, -1, v0
	v_cmp_ne_u32_e32 vcc, 8, v0
	s_and_saveexec_b64 s[4:5], vcc
	s_cbranch_execz .LBB22_174
; %bb.173:
	v_mov_b32_e32 v1, 0
	v_lshl_add_u32 v0, v0, 3, v1
	buffer_load_dword v1, v0, s[0:3], 0 offen
	buffer_load_dword v48, v0, s[0:3], 0 offen offset:4
	buffer_load_dword v49, off, s[0:3], 0 offset:68
	buffer_load_dword v50, off, s[0:3], 0 offset:64
	s_waitcnt vmcnt(3)
	buffer_store_dword v1, off, s[0:3], 0 offset:64
	s_waitcnt vmcnt(3)
	buffer_store_dword v48, off, s[0:3], 0 offset:68
	s_waitcnt vmcnt(3)
	buffer_store_dword v49, v0, s[0:3], 0 offen offset:4
	s_waitcnt vmcnt(3)
	buffer_store_dword v50, v0, s[0:3], 0 offen
.LBB22_174:
	s_or_b64 exec, exec, s[4:5]
	v_pk_mov_b32 v[0:1], s[10:11], s[10:11] op_sel:[0,1]
	flat_load_dword v0, v[0:1] offset:28
	s_waitcnt vmcnt(0) lgkmcnt(0)
	v_add_u32_e32 v0, -1, v0
	v_cmp_ne_u32_e32 vcc, 7, v0
	s_and_saveexec_b64 s[4:5], vcc
	s_cbranch_execz .LBB22_176
; %bb.175:
	v_mov_b32_e32 v1, 0
	v_lshl_add_u32 v0, v0, 3, v1
	buffer_load_dword v1, v0, s[0:3], 0 offen
	buffer_load_dword v48, v0, s[0:3], 0 offen offset:4
	buffer_load_dword v49, off, s[0:3], 0 offset:56
	buffer_load_dword v50, off, s[0:3], 0 offset:60
	s_waitcnt vmcnt(3)
	buffer_store_dword v1, off, s[0:3], 0 offset:56
	s_waitcnt vmcnt(3)
	buffer_store_dword v48, off, s[0:3], 0 offset:60
	s_waitcnt vmcnt(3)
	buffer_store_dword v49, v0, s[0:3], 0 offen
	s_waitcnt vmcnt(3)
	buffer_store_dword v50, v0, s[0:3], 0 offen offset:4
.LBB22_176:
	s_or_b64 exec, exec, s[4:5]
	v_pk_mov_b32 v[0:1], s[10:11], s[10:11] op_sel:[0,1]
	flat_load_dword v0, v[0:1] offset:24
	s_waitcnt vmcnt(0) lgkmcnt(0)
	v_add_u32_e32 v0, -1, v0
	v_cmp_ne_u32_e32 vcc, 6, v0
	s_and_saveexec_b64 s[4:5], vcc
	s_cbranch_execz .LBB22_178
; %bb.177:
	v_mov_b32_e32 v1, 0
	v_lshl_add_u32 v0, v0, 3, v1
	buffer_load_dword v1, v0, s[0:3], 0 offen
	buffer_load_dword v48, v0, s[0:3], 0 offen offset:4
	buffer_load_dword v49, off, s[0:3], 0 offset:52
	buffer_load_dword v50, off, s[0:3], 0 offset:48
	s_waitcnt vmcnt(3)
	buffer_store_dword v1, off, s[0:3], 0 offset:48
	s_waitcnt vmcnt(3)
	buffer_store_dword v48, off, s[0:3], 0 offset:52
	s_waitcnt vmcnt(3)
	buffer_store_dword v49, v0, s[0:3], 0 offen offset:4
	s_waitcnt vmcnt(3)
	buffer_store_dword v50, v0, s[0:3], 0 offen
.LBB22_178:
	s_or_b64 exec, exec, s[4:5]
	v_pk_mov_b32 v[0:1], s[10:11], s[10:11] op_sel:[0,1]
	flat_load_dword v0, v[0:1] offset:20
	s_waitcnt vmcnt(0) lgkmcnt(0)
	v_add_u32_e32 v0, -1, v0
	v_cmp_ne_u32_e32 vcc, 5, v0
	s_and_saveexec_b64 s[4:5], vcc
	s_cbranch_execz .LBB22_180
; %bb.179:
	v_mov_b32_e32 v1, 0
	v_lshl_add_u32 v0, v0, 3, v1
	buffer_load_dword v1, v0, s[0:3], 0 offen
	buffer_load_dword v48, v0, s[0:3], 0 offen offset:4
	buffer_load_dword v49, off, s[0:3], 0 offset:40
	buffer_load_dword v50, off, s[0:3], 0 offset:44
	s_waitcnt vmcnt(3)
	buffer_store_dword v1, off, s[0:3], 0 offset:40
	s_waitcnt vmcnt(3)
	buffer_store_dword v48, off, s[0:3], 0 offset:44
	s_waitcnt vmcnt(3)
	buffer_store_dword v49, v0, s[0:3], 0 offen
	s_waitcnt vmcnt(3)
	buffer_store_dword v50, v0, s[0:3], 0 offen offset:4
.LBB22_180:
	s_or_b64 exec, exec, s[4:5]
	v_pk_mov_b32 v[0:1], s[10:11], s[10:11] op_sel:[0,1]
	flat_load_dword v0, v[0:1] offset:16
	s_waitcnt vmcnt(0) lgkmcnt(0)
	v_add_u32_e32 v0, -1, v0
	v_cmp_ne_u32_e32 vcc, 4, v0
	s_and_saveexec_b64 s[4:5], vcc
	s_cbranch_execz .LBB22_182
; %bb.181:
	v_mov_b32_e32 v1, 0
	v_lshl_add_u32 v0, v0, 3, v1
	buffer_load_dword v1, v0, s[0:3], 0 offen
	buffer_load_dword v48, v0, s[0:3], 0 offen offset:4
	buffer_load_dword v49, off, s[0:3], 0 offset:36
	buffer_load_dword v50, off, s[0:3], 0 offset:32
	s_waitcnt vmcnt(3)
	buffer_store_dword v1, off, s[0:3], 0 offset:32
	s_waitcnt vmcnt(3)
	buffer_store_dword v48, off, s[0:3], 0 offset:36
	s_waitcnt vmcnt(3)
	buffer_store_dword v49, v0, s[0:3], 0 offen offset:4
	s_waitcnt vmcnt(3)
	buffer_store_dword v50, v0, s[0:3], 0 offen
.LBB22_182:
	s_or_b64 exec, exec, s[4:5]
	v_pk_mov_b32 v[0:1], s[10:11], s[10:11] op_sel:[0,1]
	flat_load_dword v0, v[0:1] offset:12
	s_waitcnt vmcnt(0) lgkmcnt(0)
	v_add_u32_e32 v0, -1, v0
	v_cmp_ne_u32_e32 vcc, 3, v0
	s_and_saveexec_b64 s[4:5], vcc
	s_cbranch_execz .LBB22_184
; %bb.183:
	v_mov_b32_e32 v1, 0
	v_lshl_add_u32 v0, v0, 3, v1
	buffer_load_dword v1, v0, s[0:3], 0 offen
	buffer_load_dword v48, v0, s[0:3], 0 offen offset:4
	buffer_load_dword v49, off, s[0:3], 0 offset:24
	buffer_load_dword v50, off, s[0:3], 0 offset:28
	s_waitcnt vmcnt(3)
	buffer_store_dword v1, off, s[0:3], 0 offset:24
	s_waitcnt vmcnt(3)
	buffer_store_dword v48, off, s[0:3], 0 offset:28
	s_waitcnt vmcnt(3)
	buffer_store_dword v49, v0, s[0:3], 0 offen
	s_waitcnt vmcnt(3)
	buffer_store_dword v50, v0, s[0:3], 0 offen offset:4
.LBB22_184:
	s_or_b64 exec, exec, s[4:5]
	v_pk_mov_b32 v[0:1], s[10:11], s[10:11] op_sel:[0,1]
	flat_load_dword v0, v[0:1] offset:8
	s_waitcnt vmcnt(0) lgkmcnt(0)
	v_add_u32_e32 v0, -1, v0
	v_cmp_ne_u32_e32 vcc, 2, v0
	s_and_saveexec_b64 s[4:5], vcc
	s_cbranch_execz .LBB22_186
; %bb.185:
	v_mov_b32_e32 v1, 0
	v_lshl_add_u32 v0, v0, 3, v1
	buffer_load_dword v1, v0, s[0:3], 0 offen
	buffer_load_dword v48, v0, s[0:3], 0 offen offset:4
	buffer_load_dword v49, off, s[0:3], 0 offset:20
	buffer_load_dword v50, off, s[0:3], 0 offset:16
	s_waitcnt vmcnt(3)
	buffer_store_dword v1, off, s[0:3], 0 offset:16
	s_waitcnt vmcnt(3)
	buffer_store_dword v48, off, s[0:3], 0 offset:20
	s_waitcnt vmcnt(3)
	buffer_store_dword v49, v0, s[0:3], 0 offen offset:4
	s_waitcnt vmcnt(3)
	buffer_store_dword v50, v0, s[0:3], 0 offen
.LBB22_186:
	s_or_b64 exec, exec, s[4:5]
	v_pk_mov_b32 v[0:1], s[10:11], s[10:11] op_sel:[0,1]
	flat_load_dword v0, v[0:1] offset:4
	s_waitcnt vmcnt(0) lgkmcnt(0)
	v_add_u32_e32 v0, -1, v0
	v_cmp_ne_u32_e32 vcc, 1, v0
	s_and_saveexec_b64 s[4:5], vcc
	s_cbranch_execz .LBB22_188
; %bb.187:
	v_mov_b32_e32 v1, 0
	v_lshl_add_u32 v0, v0, 3, v1
	buffer_load_dword v1, v0, s[0:3], 0 offen
	buffer_load_dword v48, v0, s[0:3], 0 offen offset:4
	buffer_load_dword v49, off, s[0:3], 0 offset:8
	buffer_load_dword v50, off, s[0:3], 0 offset:12
	s_waitcnt vmcnt(3)
	buffer_store_dword v1, off, s[0:3], 0 offset:8
	s_waitcnt vmcnt(3)
	buffer_store_dword v48, off, s[0:3], 0 offset:12
	s_waitcnt vmcnt(3)
	buffer_store_dword v49, v0, s[0:3], 0 offen
	s_waitcnt vmcnt(3)
	buffer_store_dword v50, v0, s[0:3], 0 offen offset:4
.LBB22_188:
	s_or_b64 exec, exec, s[4:5]
	v_pk_mov_b32 v[0:1], s[10:11], s[10:11] op_sel:[0,1]
	flat_load_dword v48, v[0:1]
	s_nop 0
	buffer_load_dword v0, off, s[0:3], 0
	buffer_load_dword v1, off, s[0:3], 0 offset:4
	s_waitcnt vmcnt(0) lgkmcnt(0)
	v_add_u32_e32 v48, -1, v48
	v_cmp_ne_u32_e32 vcc, 0, v48
	s_and_saveexec_b64 s[4:5], vcc
	s_cbranch_execz .LBB22_190
; %bb.189:
	v_mov_b32_e32 v49, 0
	v_lshl_add_u32 v48, v48, 3, v49
	buffer_load_dword v49, v48, s[0:3], 0 offen offset:4
	buffer_load_dword v50, v48, s[0:3], 0 offen
	s_waitcnt vmcnt(1)
	buffer_store_dword v49, off, s[0:3], 0 offset:4
	s_waitcnt vmcnt(1)
	buffer_store_dword v50, off, s[0:3], 0
	buffer_store_dword v1, v48, s[0:3], 0 offen offset:4
	buffer_store_dword v0, v48, s[0:3], 0 offen
	buffer_load_dword v0, off, s[0:3], 0
	s_nop 0
	buffer_load_dword v1, off, s[0:3], 0 offset:4
.LBB22_190:
	s_or_b64 exec, exec, s[4:5]
.LBB22_191:
	buffer_load_dword v48, off, s[0:3], 0 offset:8
	buffer_load_dword v49, off, s[0:3], 0 offset:12
	;; [unrolled: 1-line block ×44, first 2 shown]
	s_waitcnt vmcnt(44)
	global_store_dwordx2 v[2:3], v[0:1], off
	s_waitcnt vmcnt(43)
	global_store_dwordx2 v[4:5], v[48:49], off
	;; [unrolled: 2-line block ×23, first 2 shown]
	s_endpgm
	.section	.rodata,"a",@progbits
	.p2align	6, 0x0
	.amdhsa_kernel _ZN9rocsolver6v33100L18getri_kernel_smallILi23EdPdEEvT1_iilPiilS4_bb
		.amdhsa_group_segment_fixed_size 376
		.amdhsa_private_segment_fixed_size 192
		.amdhsa_kernarg_size 60
		.amdhsa_user_sgpr_count 8
		.amdhsa_user_sgpr_private_segment_buffer 1
		.amdhsa_user_sgpr_dispatch_ptr 0
		.amdhsa_user_sgpr_queue_ptr 0
		.amdhsa_user_sgpr_kernarg_segment_ptr 1
		.amdhsa_user_sgpr_dispatch_id 0
		.amdhsa_user_sgpr_flat_scratch_init 1
		.amdhsa_user_sgpr_kernarg_preload_length 0
		.amdhsa_user_sgpr_kernarg_preload_offset 0
		.amdhsa_user_sgpr_private_segment_size 0
		.amdhsa_uses_dynamic_stack 0
		.amdhsa_system_sgpr_private_segment_wavefront_offset 1
		.amdhsa_system_sgpr_workgroup_id_x 1
		.amdhsa_system_sgpr_workgroup_id_y 0
		.amdhsa_system_sgpr_workgroup_id_z 0
		.amdhsa_system_sgpr_workgroup_info 0
		.amdhsa_system_vgpr_workitem_id 0
		.amdhsa_next_free_vgpr 124
		.amdhsa_next_free_sgpr 23
		.amdhsa_accum_offset 124
		.amdhsa_reserve_vcc 1
		.amdhsa_reserve_flat_scratch 1
		.amdhsa_float_round_mode_32 0
		.amdhsa_float_round_mode_16_64 0
		.amdhsa_float_denorm_mode_32 3
		.amdhsa_float_denorm_mode_16_64 3
		.amdhsa_dx10_clamp 1
		.amdhsa_ieee_mode 1
		.amdhsa_fp16_overflow 0
		.amdhsa_tg_split 0
		.amdhsa_exception_fp_ieee_invalid_op 0
		.amdhsa_exception_fp_denorm_src 0
		.amdhsa_exception_fp_ieee_div_zero 0
		.amdhsa_exception_fp_ieee_overflow 0
		.amdhsa_exception_fp_ieee_underflow 0
		.amdhsa_exception_fp_ieee_inexact 0
		.amdhsa_exception_int_div_zero 0
	.end_amdhsa_kernel
	.section	.text._ZN9rocsolver6v33100L18getri_kernel_smallILi23EdPdEEvT1_iilPiilS4_bb,"axG",@progbits,_ZN9rocsolver6v33100L18getri_kernel_smallILi23EdPdEEvT1_iilPiilS4_bb,comdat
.Lfunc_end22:
	.size	_ZN9rocsolver6v33100L18getri_kernel_smallILi23EdPdEEvT1_iilPiilS4_bb, .Lfunc_end22-_ZN9rocsolver6v33100L18getri_kernel_smallILi23EdPdEEvT1_iilPiilS4_bb
                                        ; -- End function
	.section	.AMDGPU.csdata,"",@progbits
; Kernel info:
; codeLenInByte = 19272
; NumSgprs: 29
; NumVgprs: 124
; NumAgprs: 0
; TotalNumVgprs: 124
; ScratchSize: 192
; MemoryBound: 0
; FloatMode: 240
; IeeeMode: 1
; LDSByteSize: 376 bytes/workgroup (compile time only)
; SGPRBlocks: 3
; VGPRBlocks: 15
; NumSGPRsForWavesPerEU: 29
; NumVGPRsForWavesPerEU: 124
; AccumOffset: 124
; Occupancy: 4
; WaveLimiterHint : 1
; COMPUTE_PGM_RSRC2:SCRATCH_EN: 1
; COMPUTE_PGM_RSRC2:USER_SGPR: 8
; COMPUTE_PGM_RSRC2:TRAP_HANDLER: 0
; COMPUTE_PGM_RSRC2:TGID_X_EN: 1
; COMPUTE_PGM_RSRC2:TGID_Y_EN: 0
; COMPUTE_PGM_RSRC2:TGID_Z_EN: 0
; COMPUTE_PGM_RSRC2:TIDIG_COMP_CNT: 0
; COMPUTE_PGM_RSRC3_GFX90A:ACCUM_OFFSET: 30
; COMPUTE_PGM_RSRC3_GFX90A:TG_SPLIT: 0
	.section	.text._ZN9rocsolver6v33100L18getri_kernel_smallILi24EdPdEEvT1_iilPiilS4_bb,"axG",@progbits,_ZN9rocsolver6v33100L18getri_kernel_smallILi24EdPdEEvT1_iilPiilS4_bb,comdat
	.globl	_ZN9rocsolver6v33100L18getri_kernel_smallILi24EdPdEEvT1_iilPiilS4_bb ; -- Begin function _ZN9rocsolver6v33100L18getri_kernel_smallILi24EdPdEEvT1_iilPiilS4_bb
	.p2align	8
	.type	_ZN9rocsolver6v33100L18getri_kernel_smallILi24EdPdEEvT1_iilPiilS4_bb,@function
_ZN9rocsolver6v33100L18getri_kernel_smallILi24EdPdEEvT1_iilPiilS4_bb: ; @_ZN9rocsolver6v33100L18getri_kernel_smallILi24EdPdEEvT1_iilPiilS4_bb
; %bb.0:
	s_add_u32 flat_scratch_lo, s6, s9
	s_addc_u32 flat_scratch_hi, s7, 0
	s_add_u32 s0, s0, s9
	s_addc_u32 s1, s1, 0
	v_cmp_gt_u32_e32 vcc, 24, v0
	s_and_saveexec_b64 s[6:7], vcc
	s_cbranch_execz .LBB23_104
; %bb.1:
	s_load_dword s22, s[4:5], 0x38
	s_load_dwordx4 s[16:19], s[4:5], 0x10
	s_load_dwordx4 s[12:15], s[4:5], 0x28
                                        ; implicit-def: $sgpr10_sgpr11
	s_waitcnt lgkmcnt(0)
	s_bitcmp1_b32 s22, 8
	s_cselect_b64 s[20:21], -1, 0
	s_ashr_i32 s9, s8, 31
	s_bfe_u32 s6, s22, 0x10008
	s_cmp_eq_u32 s6, 0
	s_cbranch_scc1 .LBB23_3
; %bb.2:
	s_load_dword s6, s[4:5], 0x20
	s_mul_i32 s7, s8, s13
	s_mul_hi_u32 s10, s8, s12
	s_mul_i32 s11, s9, s12
	s_add_i32 s10, s10, s7
	s_add_i32 s11, s10, s11
	s_mul_i32 s10, s8, s12
	s_waitcnt lgkmcnt(0)
	s_ashr_i32 s7, s6, 31
	s_lshl_b64 s[10:11], s[10:11], 2
	s_add_u32 s10, s18, s10
	s_addc_u32 s11, s19, s11
	s_lshl_b64 s[6:7], s[6:7], 2
	s_add_u32 s10, s10, s6
	s_addc_u32 s11, s11, s7
.LBB23_3:
	s_load_dwordx4 s[4:7], s[4:5], 0x0
	s_mul_i32 s12, s8, s17
	s_mul_hi_u32 s13, s8, s16
	s_add_i32 s17, s13, s12
	v_lshlrev_b32_e32 v1, 3, v0
	s_waitcnt lgkmcnt(0)
	s_ashr_i32 s13, s6, 31
	s_mov_b32 s12, s6
	s_mul_i32 s6, s9, s16
	s_add_i32 s17, s17, s6
	s_mul_i32 s16, s8, s16
	s_lshl_b64 s[16:17], s[16:17], 3
	s_add_u32 s6, s4, s16
	s_addc_u32 s16, s5, s17
	s_lshl_b64 s[4:5], s[12:13], 3
	s_add_u32 s4, s6, s4
	s_addc_u32 s5, s16, s5
	v_mov_b32_e32 v3, s5
	v_add_co_u32_e32 v2, vcc, s4, v1
	s_ashr_i32 s13, s7, 31
	s_mov_b32 s12, s7
	s_add_i32 s6, s7, s7
	v_addc_co_u32_e32 v3, vcc, 0, v3, vcc
	s_lshl_b64 s[12:13], s[12:13], 3
	v_add_u32_e32 v8, s6, v0
	v_mov_b32_e32 v5, s13
	v_add_co_u32_e32 v4, vcc, s12, v2
	v_ashrrev_i32_e32 v9, 31, v8
	v_addc_co_u32_e32 v5, vcc, v3, v5, vcc
	v_lshlrev_b64 v[6:7], 3, v[8:9]
	v_add_u32_e32 v10, s7, v8
	v_mov_b32_e32 v9, s5
	v_add_co_u32_e32 v6, vcc, s4, v6
	v_ashrrev_i32_e32 v11, 31, v10
	v_addc_co_u32_e32 v7, vcc, v9, v7, vcc
	v_lshlrev_b64 v[8:9], 3, v[10:11]
	;; [unrolled: 6-line block ×17, first 2 shown]
	v_mov_b32_e32 v41, s5
	v_add_co_u32_e32 v38, vcc, s4, v38
	v_add_u32_e32 v40, s7, v40
	v_addc_co_u32_e32 v39, vcc, v41, v39, vcc
	v_ashrrev_i32_e32 v41, 31, v40
	v_add_u32_e32 v42, s7, v40
	v_lshlrev_b64 v[40:41], 3, v[40:41]
	v_mov_b32_e32 v43, s5
	v_add_co_u32_e32 v40, vcc, s4, v40
	v_addc_co_u32_e32 v41, vcc, v43, v41, vcc
	v_ashrrev_i32_e32 v43, 31, v42
	v_add_u32_e32 v44, s7, v42
	v_lshlrev_b64 v[42:43], 3, v[42:43]
	v_mov_b32_e32 v45, s5
	v_add_co_u32_e32 v42, vcc, s4, v42
	;; [unrolled: 6-line block ×4, first 2 shown]
	global_load_dwordx2 v[50:51], v1, s[4:5]
	global_load_dwordx2 v[52:53], v[4:5], off
	global_load_dwordx2 v[54:55], v[6:7], off
	;; [unrolled: 1-line block ×18, first 2 shown]
	v_addc_co_u32_e32 v47, vcc, v88, v47, vcc
	global_load_dwordx2 v[88:89], v[40:41], off
	global_load_dwordx2 v[90:91], v[42:43], off
	global_load_dwordx2 v[92:93], v[44:45], off
	global_load_dwordx2 v[94:95], v[46:47], off
	v_ashrrev_i32_e32 v49, 31, v48
	v_lshlrev_b64 v[48:49], 3, v[48:49]
	v_mov_b32_e32 v96, s5
	v_add_co_u32_e32 v48, vcc, s4, v48
	v_addc_co_u32_e32 v49, vcc, v96, v49, vcc
	global_load_dwordx2 v[96:97], v[48:49], off
	s_bitcmp0_b32 s22, 0
	s_mov_b64 s[6:7], -1
	s_waitcnt vmcnt(23)
	buffer_store_dword v51, off, s[0:3], 0 offset:4
	buffer_store_dword v50, off, s[0:3], 0
	s_waitcnt vmcnt(24)
	buffer_store_dword v53, off, s[0:3], 0 offset:12
	buffer_store_dword v52, off, s[0:3], 0 offset:8
	s_waitcnt vmcnt(25)
	buffer_store_dword v55, off, s[0:3], 0 offset:20
	buffer_store_dword v54, off, s[0:3], 0 offset:16
	;; [unrolled: 3-line block ×23, first 2 shown]
	s_cbranch_scc1 .LBB23_102
; %bb.4:
	v_cmp_eq_u32_e64 s[4:5], 0, v0
	s_and_saveexec_b64 s[6:7], s[4:5]
	s_cbranch_execz .LBB23_6
; %bb.5:
	v_mov_b32_e32 v50, 0
	ds_write_b32 v50, v50 offset:384
.LBB23_6:
	s_or_b64 exec, exec, s[6:7]
	v_mov_b32_e32 v50, 0
	v_lshl_add_u32 v50, v0, 3, v50
	s_waitcnt lgkmcnt(0)
	; wave barrier
	s_waitcnt lgkmcnt(0)
	buffer_load_dword v52, v50, s[0:3], 0 offen
	buffer_load_dword v53, v50, s[0:3], 0 offen offset:4
	s_waitcnt vmcnt(0)
	v_cmp_eq_f64_e32 vcc, 0, v[52:53]
	s_and_saveexec_b64 s[12:13], vcc
	s_cbranch_execz .LBB23_10
; %bb.7:
	v_mov_b32_e32 v51, 0
	ds_read_b32 v53, v51 offset:384
	v_add_u32_e32 v52, 1, v0
	s_waitcnt lgkmcnt(0)
	v_readfirstlane_b32 s6, v53
	s_cmp_eq_u32 s6, 0
	s_cselect_b64 s[16:17], -1, 0
	v_cmp_gt_i32_e32 vcc, s6, v52
	s_or_b64 s[16:17], s[16:17], vcc
	s_and_b64 exec, exec, s[16:17]
	s_cbranch_execz .LBB23_10
; %bb.8:
	s_mov_b64 s[16:17], 0
	v_mov_b32_e32 v53, s6
.LBB23_9:                               ; =>This Inner Loop Header: Depth=1
	ds_cmpst_rtn_b32 v53, v51, v53, v52 offset:384
	s_waitcnt lgkmcnt(0)
	v_cmp_ne_u32_e32 vcc, 0, v53
	v_cmp_le_i32_e64 s[6:7], v53, v52
	s_and_b64 s[6:7], vcc, s[6:7]
	s_and_b64 s[6:7], exec, s[6:7]
	s_or_b64 s[16:17], s[6:7], s[16:17]
	s_andn2_b64 exec, exec, s[16:17]
	s_cbranch_execnz .LBB23_9
.LBB23_10:
	s_or_b64 exec, exec, s[12:13]
	v_mov_b32_e32 v52, 0
	s_waitcnt lgkmcnt(0)
	; wave barrier
	ds_read_b32 v51, v52 offset:384
	s_and_saveexec_b64 s[6:7], s[4:5]
	s_cbranch_execz .LBB23_12
; %bb.11:
	s_lshl_b64 s[12:13], s[8:9], 2
	s_add_u32 s12, s14, s12
	s_addc_u32 s13, s15, s13
	s_waitcnt lgkmcnt(0)
	global_store_dword v52, v51, s[12:13]
.LBB23_12:
	s_or_b64 exec, exec, s[6:7]
	s_waitcnt lgkmcnt(0)
	v_cmp_ne_u32_e32 vcc, 0, v51
	s_mov_b64 s[6:7], 0
	s_cbranch_vccnz .LBB23_102
; %bb.13:
	buffer_load_dword v52, v50, s[0:3], 0 offen
	buffer_load_dword v53, v50, s[0:3], 0 offen offset:4
	s_waitcnt vmcnt(0)
	v_div_scale_f64 v[54:55], s[6:7], v[52:53], v[52:53], 1.0
	v_rcp_f64_e32 v[56:57], v[54:55]
	v_div_scale_f64 v[58:59], vcc, 1.0, v[52:53], 1.0
	v_fma_f64 v[60:61], -v[54:55], v[56:57], 1.0
	v_fmac_f64_e32 v[56:57], v[56:57], v[60:61]
	v_fma_f64 v[60:61], -v[54:55], v[56:57], 1.0
	v_fmac_f64_e32 v[56:57], v[56:57], v[60:61]
	v_mul_f64 v[60:61], v[58:59], v[56:57]
	v_fma_f64 v[54:55], -v[54:55], v[60:61], v[58:59]
	v_div_fmas_f64 v[54:55], v[54:55], v[56:57], v[60:61]
	v_div_fixup_f64 v[54:55], v[54:55], v[52:53], 1.0
	buffer_store_dword v55, v50, s[0:3], 0 offen offset:4
	buffer_store_dword v54, v50, s[0:3], 0 offen
	buffer_load_dword v57, off, s[0:3], 0 offset:12
	buffer_load_dword v56, off, s[0:3], 0 offset:8
	v_add_u32_e32 v52, 0xc0, v1
	v_xor_b32_e32 v55, 0x80000000, v55
	s_waitcnt vmcnt(0)
	ds_write2_b64 v1, v[54:55], v[56:57] offset1:24
	s_waitcnt lgkmcnt(0)
	; wave barrier
	s_waitcnt lgkmcnt(0)
	s_and_saveexec_b64 s[6:7], s[4:5]
	s_cbranch_execz .LBB23_15
; %bb.14:
	buffer_load_dword v54, v50, s[0:3], 0 offen
	buffer_load_dword v55, v50, s[0:3], 0 offen offset:4
	v_mov_b32_e32 v51, 0
	ds_read_b64 v[56:57], v52
	ds_read_b64 v[58:59], v51 offset:8
	s_waitcnt vmcnt(0) lgkmcnt(1)
	v_fma_f64 v[54:55], v[54:55], v[56:57], 0
	s_waitcnt lgkmcnt(0)
	v_mul_f64 v[54:55], v[54:55], v[58:59]
	buffer_store_dword v54, off, s[0:3], 0 offset:8
	buffer_store_dword v55, off, s[0:3], 0 offset:12
.LBB23_15:
	s_or_b64 exec, exec, s[6:7]
	s_waitcnt lgkmcnt(0)
	; wave barrier
	buffer_load_dword v54, off, s[0:3], 0 offset:16
	buffer_load_dword v55, off, s[0:3], 0 offset:20
	v_cmp_gt_u32_e32 vcc, 2, v0
	s_waitcnt vmcnt(0)
	ds_write_b64 v52, v[54:55]
	s_waitcnt lgkmcnt(0)
	; wave barrier
	s_waitcnt lgkmcnt(0)
	s_and_saveexec_b64 s[6:7], vcc
	s_cbranch_execz .LBB23_17
; %bb.16:
	buffer_load_dword v51, v50, s[0:3], 0 offen offset:4
	buffer_load_dword v58, off, s[0:3], 0 offset:8
	s_nop 0
	buffer_load_dword v50, v50, s[0:3], 0 offen
	s_nop 0
	buffer_load_dword v59, off, s[0:3], 0 offset:12
	ds_read_b64 v[60:61], v52
	v_mov_b32_e32 v53, 0
	ds_read2_b64 v[54:57], v53 offset0:2 offset1:25
	s_waitcnt vmcnt(1) lgkmcnt(1)
	v_fma_f64 v[50:51], v[50:51], v[60:61], 0
	s_waitcnt vmcnt(0) lgkmcnt(0)
	v_fma_f64 v[56:57], v[58:59], v[56:57], v[50:51]
	v_cndmask_b32_e64 v51, v51, v57, s[4:5]
	v_cndmask_b32_e64 v50, v50, v56, s[4:5]
	v_mul_f64 v[50:51], v[50:51], v[54:55]
	buffer_store_dword v51, off, s[0:3], 0 offset:20
	buffer_store_dword v50, off, s[0:3], 0 offset:16
.LBB23_17:
	s_or_b64 exec, exec, s[6:7]
	s_waitcnt lgkmcnt(0)
	; wave barrier
	buffer_load_dword v50, off, s[0:3], 0 offset:24
	buffer_load_dword v51, off, s[0:3], 0 offset:28
	v_cmp_gt_u32_e32 vcc, 3, v0
	v_add_u32_e32 v53, -1, v0
	s_waitcnt vmcnt(0)
	ds_write_b64 v52, v[50:51]
	s_waitcnt lgkmcnt(0)
	; wave barrier
	s_waitcnt lgkmcnt(0)
	s_and_saveexec_b64 s[4:5], vcc
	s_cbranch_execz .LBB23_21
; %bb.18:
	v_add_u32_e32 v54, -1, v0
	v_add_u32_e32 v55, 0xc0, v1
	v_add_u32_e32 v56, 0, v1
	s_mov_b64 s[6:7], 0
	v_pk_mov_b32 v[50:51], 0, 0
.LBB23_19:                              ; =>This Inner Loop Header: Depth=1
	buffer_load_dword v58, v56, s[0:3], 0 offen
	buffer_load_dword v59, v56, s[0:3], 0 offen offset:4
	ds_read_b64 v[60:61], v55
	v_add_u32_e32 v54, 1, v54
	v_cmp_lt_u32_e32 vcc, 1, v54
	v_add_u32_e32 v55, 8, v55
	v_add_u32_e32 v56, 8, v56
	s_or_b64 s[6:7], vcc, s[6:7]
	s_waitcnt vmcnt(0) lgkmcnt(0)
	v_fmac_f64_e32 v[50:51], v[58:59], v[60:61]
	s_andn2_b64 exec, exec, s[6:7]
	s_cbranch_execnz .LBB23_19
; %bb.20:
	s_or_b64 exec, exec, s[6:7]
	v_mov_b32_e32 v54, 0
	ds_read_b64 v[54:55], v54 offset:24
	s_waitcnt lgkmcnt(0)
	v_mul_f64 v[50:51], v[50:51], v[54:55]
	buffer_store_dword v51, off, s[0:3], 0 offset:28
	buffer_store_dword v50, off, s[0:3], 0 offset:24
.LBB23_21:
	s_or_b64 exec, exec, s[4:5]
	s_waitcnt lgkmcnt(0)
	; wave barrier
	buffer_load_dword v50, off, s[0:3], 0 offset:32
	buffer_load_dword v51, off, s[0:3], 0 offset:36
	v_cmp_gt_u32_e32 vcc, 4, v0
	s_waitcnt vmcnt(0)
	ds_write_b64 v52, v[50:51]
	s_waitcnt lgkmcnt(0)
	; wave barrier
	s_waitcnt lgkmcnt(0)
	s_and_saveexec_b64 s[4:5], vcc
	s_cbranch_execz .LBB23_25
; %bb.22:
	v_add_u32_e32 v54, -1, v0
	v_add_u32_e32 v55, 0xc0, v1
	v_add_u32_e32 v56, 0, v1
	s_mov_b64 s[6:7], 0
	v_pk_mov_b32 v[50:51], 0, 0
.LBB23_23:                              ; =>This Inner Loop Header: Depth=1
	buffer_load_dword v58, v56, s[0:3], 0 offen
	buffer_load_dword v59, v56, s[0:3], 0 offen offset:4
	ds_read_b64 v[60:61], v55
	v_add_u32_e32 v54, 1, v54
	v_cmp_lt_u32_e32 vcc, 2, v54
	v_add_u32_e32 v55, 8, v55
	v_add_u32_e32 v56, 8, v56
	s_or_b64 s[6:7], vcc, s[6:7]
	s_waitcnt vmcnt(0) lgkmcnt(0)
	v_fmac_f64_e32 v[50:51], v[58:59], v[60:61]
	s_andn2_b64 exec, exec, s[6:7]
	s_cbranch_execnz .LBB23_23
; %bb.24:
	s_or_b64 exec, exec, s[6:7]
	v_mov_b32_e32 v54, 0
	ds_read_b64 v[54:55], v54 offset:32
	s_waitcnt lgkmcnt(0)
	v_mul_f64 v[50:51], v[50:51], v[54:55]
	buffer_store_dword v51, off, s[0:3], 0 offset:36
	buffer_store_dword v50, off, s[0:3], 0 offset:32
.LBB23_25:
	s_or_b64 exec, exec, s[4:5]
	s_waitcnt lgkmcnt(0)
	; wave barrier
	buffer_load_dword v50, off, s[0:3], 0 offset:40
	buffer_load_dword v51, off, s[0:3], 0 offset:44
	v_cmp_gt_u32_e32 vcc, 5, v0
	;; [unrolled: 41-line block ×19, first 2 shown]
	s_waitcnt vmcnt(0)
	ds_write_b64 v52, v[50:51]
	s_waitcnt lgkmcnt(0)
	; wave barrier
	s_waitcnt lgkmcnt(0)
	s_and_saveexec_b64 s[4:5], vcc
	s_cbranch_execz .LBB23_97
; %bb.94:
	v_add_u32_e32 v54, -1, v0
	v_add_u32_e32 v55, 0xc0, v1
	v_add_u32_e32 v56, 0, v1
	s_mov_b64 s[6:7], 0
	v_pk_mov_b32 v[50:51], 0, 0
.LBB23_95:                              ; =>This Inner Loop Header: Depth=1
	buffer_load_dword v58, v56, s[0:3], 0 offen
	buffer_load_dword v59, v56, s[0:3], 0 offen offset:4
	ds_read_b64 v[60:61], v55
	v_add_u32_e32 v54, 1, v54
	v_cmp_lt_u32_e32 vcc, 20, v54
	v_add_u32_e32 v55, 8, v55
	v_add_u32_e32 v56, 8, v56
	s_or_b64 s[6:7], vcc, s[6:7]
	s_waitcnt vmcnt(0) lgkmcnt(0)
	v_fmac_f64_e32 v[50:51], v[58:59], v[60:61]
	s_andn2_b64 exec, exec, s[6:7]
	s_cbranch_execnz .LBB23_95
; %bb.96:
	s_or_b64 exec, exec, s[6:7]
	v_mov_b32_e32 v54, 0
	ds_read_b64 v[54:55], v54 offset:176
	s_waitcnt lgkmcnt(0)
	v_mul_f64 v[50:51], v[50:51], v[54:55]
	buffer_store_dword v51, off, s[0:3], 0 offset:180
	buffer_store_dword v50, off, s[0:3], 0 offset:176
.LBB23_97:
	s_or_b64 exec, exec, s[4:5]
	s_waitcnt lgkmcnt(0)
	; wave barrier
	buffer_load_dword v50, off, s[0:3], 0 offset:184
	buffer_load_dword v51, off, s[0:3], 0 offset:188
	v_cmp_ne_u32_e32 vcc, 23, v0
	s_waitcnt vmcnt(0)
	ds_write_b64 v52, v[50:51]
	s_waitcnt lgkmcnt(0)
	; wave barrier
	s_waitcnt lgkmcnt(0)
	s_and_saveexec_b64 s[4:5], vcc
	s_cbranch_execz .LBB23_101
; %bb.98:
	v_add_u32_e32 v52, 0xc0, v1
	v_add_u32_e32 v1, 0, v1
	s_mov_b64 s[6:7], 0
	v_pk_mov_b32 v[50:51], 0, 0
.LBB23_99:                              ; =>This Inner Loop Header: Depth=1
	buffer_load_dword v54, v1, s[0:3], 0 offen
	buffer_load_dword v55, v1, s[0:3], 0 offen offset:4
	ds_read_b64 v[56:57], v52
	v_add_u32_e32 v53, 1, v53
	v_cmp_lt_u32_e32 vcc, 21, v53
	v_add_u32_e32 v52, 8, v52
	v_add_u32_e32 v1, 8, v1
	s_or_b64 s[6:7], vcc, s[6:7]
	s_waitcnt vmcnt(0) lgkmcnt(0)
	v_fmac_f64_e32 v[50:51], v[54:55], v[56:57]
	s_andn2_b64 exec, exec, s[6:7]
	s_cbranch_execnz .LBB23_99
; %bb.100:
	s_or_b64 exec, exec, s[6:7]
	v_mov_b32_e32 v1, 0
	ds_read_b64 v[52:53], v1 offset:184
	s_waitcnt lgkmcnt(0)
	v_mul_f64 v[50:51], v[50:51], v[52:53]
	buffer_store_dword v51, off, s[0:3], 0 offset:188
	buffer_store_dword v50, off, s[0:3], 0 offset:184
.LBB23_101:
	s_or_b64 exec, exec, s[4:5]
	s_mov_b64 s[6:7], -1
	s_waitcnt lgkmcnt(0)
	; wave barrier
.LBB23_102:
	s_and_b64 vcc, exec, s[6:7]
	s_cbranch_vccz .LBB23_104
; %bb.103:
	s_lshl_b64 s[4:5], s[8:9], 2
	s_add_u32 s4, s14, s4
	s_addc_u32 s5, s15, s5
	v_mov_b32_e32 v1, 0
	global_load_dword v1, v1, s[4:5]
	s_waitcnt vmcnt(0)
	v_cmp_ne_u32_e32 vcc, 0, v1
	s_cbranch_vccz .LBB23_105
.LBB23_104:
	s_endpgm
.LBB23_105:
	v_mov_b32_e32 v1, 0xc0
	v_lshl_add_u32 v1, v0, 3, v1
	v_cmp_eq_u32_e32 vcc, 23, v0
	s_and_saveexec_b64 s[4:5], vcc
	s_cbranch_execz .LBB23_107
; %bb.106:
	buffer_load_dword v50, off, s[0:3], 0 offset:176
	buffer_load_dword v51, off, s[0:3], 0 offset:180
	v_mov_b32_e32 v52, 0
	buffer_store_dword v52, off, s[0:3], 0 offset:176
	buffer_store_dword v52, off, s[0:3], 0 offset:180
	s_waitcnt vmcnt(2)
	ds_write_b64 v1, v[50:51]
.LBB23_107:
	s_or_b64 exec, exec, s[4:5]
	s_waitcnt lgkmcnt(0)
	; wave barrier
	s_waitcnt lgkmcnt(0)
	buffer_load_dword v52, off, s[0:3], 0 offset:184
	buffer_load_dword v53, off, s[0:3], 0 offset:188
	;; [unrolled: 1-line block ×4, first 2 shown]
	v_mov_b32_e32 v50, 0
	ds_read_b64 v[56:57], v50 offset:376
	v_cmp_lt_u32_e32 vcc, 21, v0
	s_waitcnt vmcnt(2) lgkmcnt(0)
	v_fma_f64 v[52:53], v[52:53], v[56:57], 0
	s_waitcnt vmcnt(0)
	v_add_f64 v[52:53], v[54:55], -v[52:53]
	buffer_store_dword v52, off, s[0:3], 0 offset:176
	buffer_store_dword v53, off, s[0:3], 0 offset:180
	s_and_saveexec_b64 s[4:5], vcc
	s_cbranch_execz .LBB23_109
; %bb.108:
	buffer_load_dword v52, off, s[0:3], 0 offset:168
	buffer_load_dword v53, off, s[0:3], 0 offset:172
	s_waitcnt vmcnt(0)
	ds_write_b64 v1, v[52:53]
	buffer_store_dword v50, off, s[0:3], 0 offset:168
	buffer_store_dword v50, off, s[0:3], 0 offset:172
.LBB23_109:
	s_or_b64 exec, exec, s[4:5]
	s_waitcnt lgkmcnt(0)
	; wave barrier
	s_waitcnt lgkmcnt(0)
	buffer_load_dword v54, off, s[0:3], 0 offset:176
	buffer_load_dword v55, off, s[0:3], 0 offset:180
	;; [unrolled: 1-line block ×6, first 2 shown]
	ds_read_b128 v[50:53], v50 offset:368
	v_cmp_lt_u32_e32 vcc, 20, v0
	s_waitcnt vmcnt(4) lgkmcnt(0)
	v_fma_f64 v[50:51], v[54:55], v[50:51], 0
	s_waitcnt vmcnt(2)
	v_fmac_f64_e32 v[50:51], v[56:57], v[52:53]
	s_waitcnt vmcnt(0)
	v_add_f64 v[50:51], v[58:59], -v[50:51]
	buffer_store_dword v50, off, s[0:3], 0 offset:168
	buffer_store_dword v51, off, s[0:3], 0 offset:172
	s_and_saveexec_b64 s[4:5], vcc
	s_cbranch_execz .LBB23_111
; %bb.110:
	buffer_load_dword v50, off, s[0:3], 0 offset:160
	buffer_load_dword v51, off, s[0:3], 0 offset:164
	v_mov_b32_e32 v52, 0
	buffer_store_dword v52, off, s[0:3], 0 offset:160
	buffer_store_dword v52, off, s[0:3], 0 offset:164
	s_waitcnt vmcnt(2)
	ds_write_b64 v1, v[50:51]
.LBB23_111:
	s_or_b64 exec, exec, s[4:5]
	s_waitcnt lgkmcnt(0)
	; wave barrier
	s_waitcnt lgkmcnt(0)
	buffer_load_dword v56, off, s[0:3], 0 offset:168
	buffer_load_dword v57, off, s[0:3], 0 offset:172
	;; [unrolled: 1-line block ×8, first 2 shown]
	v_mov_b32_e32 v50, 0
	ds_read2_b64 v[52:55], v50 offset0:45 offset1:46
	ds_read_b64 v[64:65], v50 offset:376
	v_cmp_lt_u32_e32 vcc, 19, v0
	s_waitcnt vmcnt(6) lgkmcnt(1)
	v_fma_f64 v[52:53], v[56:57], v[52:53], 0
	s_waitcnt vmcnt(4)
	v_fmac_f64_e32 v[52:53], v[58:59], v[54:55]
	s_waitcnt vmcnt(2) lgkmcnt(0)
	v_fmac_f64_e32 v[52:53], v[60:61], v[64:65]
	s_waitcnt vmcnt(0)
	v_add_f64 v[52:53], v[62:63], -v[52:53]
	buffer_store_dword v52, off, s[0:3], 0 offset:160
	buffer_store_dword v53, off, s[0:3], 0 offset:164
	s_and_saveexec_b64 s[4:5], vcc
	s_cbranch_execz .LBB23_113
; %bb.112:
	buffer_load_dword v52, off, s[0:3], 0 offset:152
	buffer_load_dword v53, off, s[0:3], 0 offset:156
	s_waitcnt vmcnt(0)
	ds_write_b64 v1, v[52:53]
	buffer_store_dword v50, off, s[0:3], 0 offset:152
	buffer_store_dword v50, off, s[0:3], 0 offset:156
.LBB23_113:
	s_or_b64 exec, exec, s[4:5]
	s_waitcnt lgkmcnt(0)
	; wave barrier
	s_waitcnt lgkmcnt(0)
	buffer_load_dword v60, off, s[0:3], 0 offset:160
	buffer_load_dword v61, off, s[0:3], 0 offset:164
	;; [unrolled: 1-line block ×10, first 2 shown]
	ds_read_b128 v[52:55], v50 offset:352
	ds_read_b128 v[56:59], v50 offset:368
	v_cmp_lt_u32_e32 vcc, 18, v0
	s_waitcnt vmcnt(8) lgkmcnt(1)
	v_fma_f64 v[50:51], v[60:61], v[52:53], 0
	s_waitcnt vmcnt(6)
	v_fmac_f64_e32 v[50:51], v[62:63], v[54:55]
	s_waitcnt vmcnt(4) lgkmcnt(0)
	v_fmac_f64_e32 v[50:51], v[64:65], v[56:57]
	s_waitcnt vmcnt(2)
	v_fmac_f64_e32 v[50:51], v[66:67], v[58:59]
	s_waitcnt vmcnt(0)
	v_add_f64 v[50:51], v[68:69], -v[50:51]
	buffer_store_dword v50, off, s[0:3], 0 offset:152
	buffer_store_dword v51, off, s[0:3], 0 offset:156
	s_and_saveexec_b64 s[4:5], vcc
	s_cbranch_execz .LBB23_115
; %bb.114:
	buffer_load_dword v50, off, s[0:3], 0 offset:144
	buffer_load_dword v51, off, s[0:3], 0 offset:148
	v_mov_b32_e32 v52, 0
	buffer_store_dword v52, off, s[0:3], 0 offset:144
	buffer_store_dword v52, off, s[0:3], 0 offset:148
	s_waitcnt vmcnt(2)
	ds_write_b64 v1, v[50:51]
.LBB23_115:
	s_or_b64 exec, exec, s[4:5]
	s_waitcnt lgkmcnt(0)
	; wave barrier
	s_waitcnt lgkmcnt(0)
	buffer_load_dword v60, off, s[0:3], 0 offset:152
	buffer_load_dword v61, off, s[0:3], 0 offset:156
	;; [unrolled: 1-line block ×12, first 2 shown]
	v_mov_b32_e32 v50, 0
	ds_read2_b64 v[52:55], v50 offset0:43 offset1:44
	ds_read2_b64 v[56:59], v50 offset0:45 offset1:46
	ds_read_b64 v[72:73], v50 offset:376
	v_cmp_lt_u32_e32 vcc, 17, v0
	s_waitcnt vmcnt(10) lgkmcnt(2)
	v_fma_f64 v[52:53], v[60:61], v[52:53], 0
	s_waitcnt vmcnt(8)
	v_fmac_f64_e32 v[52:53], v[62:63], v[54:55]
	s_waitcnt vmcnt(6) lgkmcnt(1)
	v_fmac_f64_e32 v[52:53], v[64:65], v[56:57]
	s_waitcnt vmcnt(4)
	v_fmac_f64_e32 v[52:53], v[66:67], v[58:59]
	s_waitcnt vmcnt(2) lgkmcnt(0)
	v_fmac_f64_e32 v[52:53], v[68:69], v[72:73]
	s_waitcnt vmcnt(0)
	v_add_f64 v[52:53], v[70:71], -v[52:53]
	buffer_store_dword v52, off, s[0:3], 0 offset:144
	buffer_store_dword v53, off, s[0:3], 0 offset:148
	s_and_saveexec_b64 s[4:5], vcc
	s_cbranch_execz .LBB23_117
; %bb.116:
	buffer_load_dword v52, off, s[0:3], 0 offset:136
	buffer_load_dword v53, off, s[0:3], 0 offset:140
	s_waitcnt vmcnt(0)
	ds_write_b64 v1, v[52:53]
	buffer_store_dword v50, off, s[0:3], 0 offset:136
	buffer_store_dword v50, off, s[0:3], 0 offset:140
.LBB23_117:
	s_or_b64 exec, exec, s[4:5]
	s_waitcnt lgkmcnt(0)
	; wave barrier
	s_waitcnt lgkmcnt(0)
	buffer_load_dword v64, off, s[0:3], 0 offset:144
	buffer_load_dword v65, off, s[0:3], 0 offset:148
	;; [unrolled: 1-line block ×14, first 2 shown]
	ds_read_b128 v[52:55], v50 offset:336
	ds_read_b128 v[56:59], v50 offset:352
	;; [unrolled: 1-line block ×3, first 2 shown]
	v_cmp_lt_u32_e32 vcc, 16, v0
	s_waitcnt vmcnt(12) lgkmcnt(2)
	v_fma_f64 v[50:51], v[64:65], v[52:53], 0
	s_waitcnt vmcnt(10)
	v_fmac_f64_e32 v[50:51], v[66:67], v[54:55]
	s_waitcnt vmcnt(8) lgkmcnt(1)
	v_fmac_f64_e32 v[50:51], v[68:69], v[56:57]
	s_waitcnt vmcnt(6)
	v_fmac_f64_e32 v[50:51], v[70:71], v[58:59]
	s_waitcnt vmcnt(4) lgkmcnt(0)
	v_fmac_f64_e32 v[50:51], v[72:73], v[60:61]
	s_waitcnt vmcnt(2)
	v_fmac_f64_e32 v[50:51], v[74:75], v[62:63]
	s_waitcnt vmcnt(0)
	v_add_f64 v[50:51], v[76:77], -v[50:51]
	buffer_store_dword v50, off, s[0:3], 0 offset:136
	buffer_store_dword v51, off, s[0:3], 0 offset:140
	s_and_saveexec_b64 s[4:5], vcc
	s_cbranch_execz .LBB23_119
; %bb.118:
	buffer_load_dword v50, off, s[0:3], 0 offset:128
	buffer_load_dword v51, off, s[0:3], 0 offset:132
	v_mov_b32_e32 v52, 0
	buffer_store_dword v52, off, s[0:3], 0 offset:128
	buffer_store_dword v52, off, s[0:3], 0 offset:132
	s_waitcnt vmcnt(2)
	ds_write_b64 v1, v[50:51]
.LBB23_119:
	s_or_b64 exec, exec, s[4:5]
	s_waitcnt lgkmcnt(0)
	; wave barrier
	s_waitcnt lgkmcnt(0)
	buffer_load_dword v64, off, s[0:3], 0 offset:136
	buffer_load_dword v65, off, s[0:3], 0 offset:140
	;; [unrolled: 1-line block ×16, first 2 shown]
	v_mov_b32_e32 v50, 0
	ds_read2_b64 v[52:55], v50 offset0:41 offset1:42
	ds_read2_b64 v[56:59], v50 offset0:43 offset1:44
	;; [unrolled: 1-line block ×3, first 2 shown]
	ds_read_b64 v[80:81], v50 offset:376
	v_cmp_lt_u32_e32 vcc, 15, v0
	s_waitcnt vmcnt(14) lgkmcnt(3)
	v_fma_f64 v[52:53], v[64:65], v[52:53], 0
	s_waitcnt vmcnt(12)
	v_fmac_f64_e32 v[52:53], v[66:67], v[54:55]
	s_waitcnt vmcnt(10) lgkmcnt(2)
	v_fmac_f64_e32 v[52:53], v[68:69], v[56:57]
	s_waitcnt vmcnt(8)
	v_fmac_f64_e32 v[52:53], v[70:71], v[58:59]
	s_waitcnt vmcnt(6) lgkmcnt(1)
	v_fmac_f64_e32 v[52:53], v[72:73], v[60:61]
	;; [unrolled: 4-line block ×3, first 2 shown]
	s_waitcnt vmcnt(0)
	v_add_f64 v[52:53], v[78:79], -v[52:53]
	buffer_store_dword v52, off, s[0:3], 0 offset:128
	buffer_store_dword v53, off, s[0:3], 0 offset:132
	s_and_saveexec_b64 s[4:5], vcc
	s_cbranch_execz .LBB23_121
; %bb.120:
	buffer_load_dword v52, off, s[0:3], 0 offset:120
	buffer_load_dword v53, off, s[0:3], 0 offset:124
	s_waitcnt vmcnt(0)
	ds_write_b64 v1, v[52:53]
	buffer_store_dword v50, off, s[0:3], 0 offset:120
	buffer_store_dword v50, off, s[0:3], 0 offset:124
.LBB23_121:
	s_or_b64 exec, exec, s[4:5]
	s_waitcnt lgkmcnt(0)
	; wave barrier
	s_waitcnt lgkmcnt(0)
	buffer_load_dword v68, off, s[0:3], 0 offset:128
	buffer_load_dword v69, off, s[0:3], 0 offset:132
	buffer_load_dword v70, off, s[0:3], 0 offset:136
	buffer_load_dword v71, off, s[0:3], 0 offset:140
	buffer_load_dword v72, off, s[0:3], 0 offset:144
	buffer_load_dword v73, off, s[0:3], 0 offset:148
	buffer_load_dword v74, off, s[0:3], 0 offset:152
	buffer_load_dword v75, off, s[0:3], 0 offset:156
	buffer_load_dword v76, off, s[0:3], 0 offset:160
	buffer_load_dword v77, off, s[0:3], 0 offset:164
	buffer_load_dword v78, off, s[0:3], 0 offset:168
	buffer_load_dword v79, off, s[0:3], 0 offset:172
	buffer_load_dword v80, off, s[0:3], 0 offset:176
	buffer_load_dword v81, off, s[0:3], 0 offset:180
	buffer_load_dword v83, off, s[0:3], 0 offset:188
	buffer_load_dword v82, off, s[0:3], 0 offset:184
	buffer_load_dword v84, off, s[0:3], 0 offset:120
	buffer_load_dword v85, off, s[0:3], 0 offset:124
	ds_read_b128 v[52:55], v50 offset:320
	ds_read_b128 v[56:59], v50 offset:336
	ds_read_b128 v[60:63], v50 offset:352
	ds_read_b128 v[64:67], v50 offset:368
	v_cmp_lt_u32_e32 vcc, 14, v0
	s_waitcnt vmcnt(16) lgkmcnt(3)
	v_fma_f64 v[50:51], v[68:69], v[52:53], 0
	s_waitcnt vmcnt(14)
	v_fmac_f64_e32 v[50:51], v[70:71], v[54:55]
	s_waitcnt vmcnt(12) lgkmcnt(2)
	v_fmac_f64_e32 v[50:51], v[72:73], v[56:57]
	s_waitcnt vmcnt(10)
	v_fmac_f64_e32 v[50:51], v[74:75], v[58:59]
	s_waitcnt vmcnt(8) lgkmcnt(1)
	v_fmac_f64_e32 v[50:51], v[76:77], v[60:61]
	;; [unrolled: 4-line block ×3, first 2 shown]
	s_waitcnt vmcnt(2)
	v_fmac_f64_e32 v[50:51], v[82:83], v[66:67]
	s_waitcnt vmcnt(0)
	v_add_f64 v[50:51], v[84:85], -v[50:51]
	buffer_store_dword v50, off, s[0:3], 0 offset:120
	buffer_store_dword v51, off, s[0:3], 0 offset:124
	s_and_saveexec_b64 s[4:5], vcc
	s_cbranch_execz .LBB23_123
; %bb.122:
	buffer_load_dword v50, off, s[0:3], 0 offset:112
	buffer_load_dword v51, off, s[0:3], 0 offset:116
	v_mov_b32_e32 v52, 0
	buffer_store_dword v52, off, s[0:3], 0 offset:112
	buffer_store_dword v52, off, s[0:3], 0 offset:116
	s_waitcnt vmcnt(2)
	ds_write_b64 v1, v[50:51]
.LBB23_123:
	s_or_b64 exec, exec, s[4:5]
	s_waitcnt lgkmcnt(0)
	; wave barrier
	s_waitcnt lgkmcnt(0)
	buffer_load_dword v68, off, s[0:3], 0 offset:120
	buffer_load_dword v69, off, s[0:3], 0 offset:124
	;; [unrolled: 1-line block ×20, first 2 shown]
	v_mov_b32_e32 v50, 0
	ds_read2_b64 v[52:55], v50 offset0:39 offset1:40
	ds_read2_b64 v[56:59], v50 offset0:41 offset1:42
	;; [unrolled: 1-line block ×4, first 2 shown]
	ds_read_b64 v[88:89], v50 offset:376
	v_cmp_lt_u32_e32 vcc, 13, v0
	s_waitcnt vmcnt(18) lgkmcnt(4)
	v_fma_f64 v[52:53], v[68:69], v[52:53], 0
	s_waitcnt vmcnt(16)
	v_fmac_f64_e32 v[52:53], v[70:71], v[54:55]
	s_waitcnt vmcnt(14) lgkmcnt(3)
	v_fmac_f64_e32 v[52:53], v[72:73], v[56:57]
	s_waitcnt vmcnt(12)
	v_fmac_f64_e32 v[52:53], v[74:75], v[58:59]
	s_waitcnt vmcnt(10) lgkmcnt(2)
	v_fmac_f64_e32 v[52:53], v[76:77], v[60:61]
	;; [unrolled: 4-line block ×3, first 2 shown]
	s_waitcnt vmcnt(2)
	v_fmac_f64_e32 v[52:53], v[84:85], v[66:67]
	s_waitcnt lgkmcnt(0)
	v_fmac_f64_e32 v[52:53], v[82:83], v[88:89]
	s_waitcnt vmcnt(0)
	v_add_f64 v[52:53], v[86:87], -v[52:53]
	buffer_store_dword v52, off, s[0:3], 0 offset:112
	buffer_store_dword v53, off, s[0:3], 0 offset:116
	s_and_saveexec_b64 s[4:5], vcc
	s_cbranch_execz .LBB23_125
; %bb.124:
	buffer_load_dword v52, off, s[0:3], 0 offset:104
	buffer_load_dword v53, off, s[0:3], 0 offset:108
	s_waitcnt vmcnt(0)
	ds_write_b64 v1, v[52:53]
	buffer_store_dword v50, off, s[0:3], 0 offset:104
	buffer_store_dword v50, off, s[0:3], 0 offset:108
.LBB23_125:
	s_or_b64 exec, exec, s[4:5]
	s_waitcnt lgkmcnt(0)
	; wave barrier
	s_waitcnt lgkmcnt(0)
	buffer_load_dword v72, off, s[0:3], 0 offset:112
	buffer_load_dword v73, off, s[0:3], 0 offset:116
	;; [unrolled: 1-line block ×22, first 2 shown]
	ds_read_b128 v[52:55], v50 offset:304
	ds_read_b128 v[56:59], v50 offset:320
	;; [unrolled: 1-line block ×5, first 2 shown]
	v_cmp_lt_u32_e32 vcc, 12, v0
	s_waitcnt vmcnt(20) lgkmcnt(4)
	v_fma_f64 v[50:51], v[72:73], v[52:53], 0
	s_waitcnt vmcnt(18)
	v_fmac_f64_e32 v[50:51], v[74:75], v[54:55]
	s_waitcnt vmcnt(16) lgkmcnt(3)
	v_fmac_f64_e32 v[50:51], v[76:77], v[56:57]
	s_waitcnt vmcnt(14)
	v_fmac_f64_e32 v[50:51], v[78:79], v[58:59]
	s_waitcnt vmcnt(12) lgkmcnt(2)
	v_fmac_f64_e32 v[50:51], v[80:81], v[60:61]
	;; [unrolled: 4-line block ×3, first 2 shown]
	s_waitcnt vmcnt(3)
	v_fmac_f64_e32 v[50:51], v[90:91], v[66:67]
	s_waitcnt lgkmcnt(0)
	v_fmac_f64_e32 v[50:51], v[88:89], v[68:69]
	s_waitcnt vmcnt(2)
	v_fmac_f64_e32 v[50:51], v[86:87], v[70:71]
	s_waitcnt vmcnt(0)
	v_add_f64 v[50:51], v[92:93], -v[50:51]
	buffer_store_dword v50, off, s[0:3], 0 offset:104
	buffer_store_dword v51, off, s[0:3], 0 offset:108
	s_and_saveexec_b64 s[4:5], vcc
	s_cbranch_execz .LBB23_127
; %bb.126:
	buffer_load_dword v50, off, s[0:3], 0 offset:96
	buffer_load_dword v51, off, s[0:3], 0 offset:100
	v_mov_b32_e32 v52, 0
	buffer_store_dword v52, off, s[0:3], 0 offset:96
	buffer_store_dword v52, off, s[0:3], 0 offset:100
	s_waitcnt vmcnt(2)
	ds_write_b64 v1, v[50:51]
.LBB23_127:
	s_or_b64 exec, exec, s[4:5]
	s_waitcnt lgkmcnt(0)
	; wave barrier
	s_waitcnt lgkmcnt(0)
	buffer_load_dword v72, off, s[0:3], 0 offset:104
	buffer_load_dword v73, off, s[0:3], 0 offset:108
	;; [unrolled: 1-line block ×24, first 2 shown]
	v_mov_b32_e32 v50, 0
	ds_read2_b64 v[52:55], v50 offset0:37 offset1:38
	ds_read2_b64 v[56:59], v50 offset0:39 offset1:40
	;; [unrolled: 1-line block ×5, first 2 shown]
	ds_read_b64 v[96:97], v50 offset:376
	v_cmp_lt_u32_e32 vcc, 11, v0
	s_waitcnt vmcnt(22) lgkmcnt(5)
	v_fma_f64 v[52:53], v[72:73], v[52:53], 0
	s_waitcnt vmcnt(20)
	v_fmac_f64_e32 v[52:53], v[74:75], v[54:55]
	s_waitcnt vmcnt(18) lgkmcnt(4)
	v_fmac_f64_e32 v[52:53], v[76:77], v[56:57]
	s_waitcnt vmcnt(16)
	v_fmac_f64_e32 v[52:53], v[78:79], v[58:59]
	s_waitcnt vmcnt(14) lgkmcnt(3)
	v_fmac_f64_e32 v[52:53], v[80:81], v[60:61]
	;; [unrolled: 4-line block ×3, first 2 shown]
	s_waitcnt vmcnt(4)
	v_fmac_f64_e32 v[52:53], v[92:93], v[66:67]
	s_waitcnt lgkmcnt(1)
	v_fmac_f64_e32 v[52:53], v[90:91], v[68:69]
	s_waitcnt vmcnt(3)
	v_fmac_f64_e32 v[52:53], v[88:89], v[70:71]
	s_waitcnt vmcnt(2) lgkmcnt(0)
	v_fmac_f64_e32 v[52:53], v[86:87], v[96:97]
	s_waitcnt vmcnt(0)
	v_add_f64 v[52:53], v[94:95], -v[52:53]
	buffer_store_dword v53, off, s[0:3], 0 offset:100
	buffer_store_dword v52, off, s[0:3], 0 offset:96
	s_and_saveexec_b64 s[4:5], vcc
	s_cbranch_execz .LBB23_129
; %bb.128:
	buffer_load_dword v52, off, s[0:3], 0 offset:88
	buffer_load_dword v53, off, s[0:3], 0 offset:92
	s_waitcnt vmcnt(0)
	ds_write_b64 v1, v[52:53]
	buffer_store_dword v50, off, s[0:3], 0 offset:88
	buffer_store_dword v50, off, s[0:3], 0 offset:92
.LBB23_129:
	s_or_b64 exec, exec, s[4:5]
	s_waitcnt lgkmcnt(0)
	; wave barrier
	s_waitcnt lgkmcnt(0)
	buffer_load_dword v76, off, s[0:3], 0 offset:96
	buffer_load_dword v77, off, s[0:3], 0 offset:100
	;; [unrolled: 1-line block ×26, first 2 shown]
	ds_read_b128 v[52:55], v50 offset:288
	ds_read_b128 v[56:59], v50 offset:304
	;; [unrolled: 1-line block ×6, first 2 shown]
	v_cmp_lt_u32_e32 vcc, 10, v0
	s_waitcnt vmcnt(24) lgkmcnt(5)
	v_fma_f64 v[50:51], v[76:77], v[52:53], 0
	s_waitcnt vmcnt(22)
	v_fmac_f64_e32 v[50:51], v[78:79], v[54:55]
	s_waitcnt vmcnt(20) lgkmcnt(4)
	v_fmac_f64_e32 v[50:51], v[80:81], v[56:57]
	s_waitcnt vmcnt(18)
	v_fmac_f64_e32 v[50:51], v[82:83], v[58:59]
	s_waitcnt vmcnt(16) lgkmcnt(3)
	v_fmac_f64_e32 v[50:51], v[84:85], v[60:61]
	;; [unrolled: 4-line block ×3, first 2 shown]
	s_waitcnt vmcnt(5)
	v_fmac_f64_e32 v[50:51], v[96:97], v[66:67]
	s_waitcnt lgkmcnt(1)
	v_fmac_f64_e32 v[50:51], v[94:95], v[68:69]
	v_fmac_f64_e32 v[50:51], v[92:93], v[70:71]
	s_waitcnt vmcnt(4) lgkmcnt(0)
	v_fmac_f64_e32 v[50:51], v[90:91], v[72:73]
	s_waitcnt vmcnt(2)
	v_fmac_f64_e32 v[50:51], v[98:99], v[74:75]
	s_waitcnt vmcnt(0)
	v_add_f64 v[50:51], v[100:101], -v[50:51]
	buffer_store_dword v51, off, s[0:3], 0 offset:92
	buffer_store_dword v50, off, s[0:3], 0 offset:88
	s_and_saveexec_b64 s[4:5], vcc
	s_cbranch_execz .LBB23_131
; %bb.130:
	buffer_load_dword v50, off, s[0:3], 0 offset:80
	buffer_load_dword v51, off, s[0:3], 0 offset:84
	v_mov_b32_e32 v52, 0
	buffer_store_dword v52, off, s[0:3], 0 offset:80
	buffer_store_dword v52, off, s[0:3], 0 offset:84
	s_waitcnt vmcnt(2)
	ds_write_b64 v1, v[50:51]
.LBB23_131:
	s_or_b64 exec, exec, s[4:5]
	s_waitcnt lgkmcnt(0)
	; wave barrier
	s_waitcnt lgkmcnt(0)
	buffer_load_dword v76, off, s[0:3], 0 offset:88
	buffer_load_dword v77, off, s[0:3], 0 offset:92
	;; [unrolled: 1-line block ×28, first 2 shown]
	v_mov_b32_e32 v50, 0
	ds_read2_b64 v[52:55], v50 offset0:35 offset1:36
	ds_read2_b64 v[56:59], v50 offset0:37 offset1:38
	;; [unrolled: 1-line block ×6, first 2 shown]
	ds_read_b64 v[104:105], v50 offset:376
	v_cmp_lt_u32_e32 vcc, 9, v0
	s_waitcnt vmcnt(26) lgkmcnt(6)
	v_fma_f64 v[52:53], v[76:77], v[52:53], 0
	s_waitcnt vmcnt(24)
	v_fmac_f64_e32 v[52:53], v[78:79], v[54:55]
	s_waitcnt vmcnt(22) lgkmcnt(5)
	v_fmac_f64_e32 v[52:53], v[80:81], v[56:57]
	s_waitcnt vmcnt(20)
	v_fmac_f64_e32 v[52:53], v[82:83], v[58:59]
	s_waitcnt vmcnt(18) lgkmcnt(4)
	v_fmac_f64_e32 v[52:53], v[84:85], v[60:61]
	;; [unrolled: 4-line block ×3, first 2 shown]
	s_waitcnt vmcnt(6)
	v_fmac_f64_e32 v[52:53], v[96:97], v[66:67]
	s_waitcnt lgkmcnt(2)
	v_fmac_f64_e32 v[52:53], v[94:95], v[68:69]
	v_fmac_f64_e32 v[52:53], v[92:93], v[70:71]
	s_waitcnt lgkmcnt(1)
	v_fmac_f64_e32 v[52:53], v[90:91], v[72:73]
	s_waitcnt vmcnt(2)
	v_fmac_f64_e32 v[52:53], v[100:101], v[74:75]
	s_waitcnt lgkmcnt(0)
	v_fmac_f64_e32 v[52:53], v[98:99], v[104:105]
	s_waitcnt vmcnt(0)
	v_add_f64 v[52:53], v[102:103], -v[52:53]
	buffer_store_dword v53, off, s[0:3], 0 offset:84
	buffer_store_dword v52, off, s[0:3], 0 offset:80
	s_and_saveexec_b64 s[4:5], vcc
	s_cbranch_execz .LBB23_133
; %bb.132:
	buffer_load_dword v52, off, s[0:3], 0 offset:72
	buffer_load_dword v53, off, s[0:3], 0 offset:76
	s_waitcnt vmcnt(0)
	ds_write_b64 v1, v[52:53]
	buffer_store_dword v50, off, s[0:3], 0 offset:72
	buffer_store_dword v50, off, s[0:3], 0 offset:76
.LBB23_133:
	s_or_b64 exec, exec, s[4:5]
	s_waitcnt lgkmcnt(0)
	; wave barrier
	s_waitcnt lgkmcnt(0)
	buffer_load_dword v80, off, s[0:3], 0 offset:80
	buffer_load_dword v81, off, s[0:3], 0 offset:84
	;; [unrolled: 1-line block ×30, first 2 shown]
	ds_read_b128 v[52:55], v50 offset:272
	ds_read_b128 v[56:59], v50 offset:288
	;; [unrolled: 1-line block ×7, first 2 shown]
	v_cmp_lt_u32_e32 vcc, 8, v0
	s_waitcnt vmcnt(28) lgkmcnt(6)
	v_fma_f64 v[50:51], v[80:81], v[52:53], 0
	s_waitcnt vmcnt(26)
	v_fmac_f64_e32 v[50:51], v[82:83], v[54:55]
	s_waitcnt vmcnt(24) lgkmcnt(5)
	v_fmac_f64_e32 v[50:51], v[84:85], v[56:57]
	s_waitcnt vmcnt(22)
	v_fmac_f64_e32 v[50:51], v[86:87], v[58:59]
	s_waitcnt vmcnt(20) lgkmcnt(4)
	v_fmac_f64_e32 v[50:51], v[88:89], v[60:61]
	;; [unrolled: 4-line block ×3, first 2 shown]
	s_waitcnt vmcnt(8)
	v_fmac_f64_e32 v[50:51], v[100:101], v[66:67]
	s_waitcnt lgkmcnt(2)
	v_fmac_f64_e32 v[50:51], v[98:99], v[68:69]
	v_fmac_f64_e32 v[50:51], v[96:97], v[70:71]
	s_waitcnt lgkmcnt(1)
	v_fmac_f64_e32 v[50:51], v[94:95], v[72:73]
	s_waitcnt vmcnt(3)
	v_fmac_f64_e32 v[50:51], v[106:107], v[74:75]
	s_waitcnt lgkmcnt(0)
	v_fmac_f64_e32 v[50:51], v[104:105], v[76:77]
	s_waitcnt vmcnt(2)
	v_fmac_f64_e32 v[50:51], v[102:103], v[78:79]
	s_waitcnt vmcnt(0)
	v_add_f64 v[50:51], v[108:109], -v[50:51]
	buffer_store_dword v51, off, s[0:3], 0 offset:76
	buffer_store_dword v50, off, s[0:3], 0 offset:72
	s_and_saveexec_b64 s[4:5], vcc
	s_cbranch_execz .LBB23_135
; %bb.134:
	buffer_load_dword v50, off, s[0:3], 0 offset:64
	buffer_load_dword v51, off, s[0:3], 0 offset:68
	v_mov_b32_e32 v52, 0
	buffer_store_dword v52, off, s[0:3], 0 offset:64
	buffer_store_dword v52, off, s[0:3], 0 offset:68
	s_waitcnt vmcnt(2)
	ds_write_b64 v1, v[50:51]
.LBB23_135:
	s_or_b64 exec, exec, s[4:5]
	s_waitcnt lgkmcnt(0)
	; wave barrier
	s_waitcnt lgkmcnt(0)
	buffer_load_dword v80, off, s[0:3], 0 offset:72
	buffer_load_dword v81, off, s[0:3], 0 offset:76
	;; [unrolled: 1-line block ×32, first 2 shown]
	v_mov_b32_e32 v50, 0
	ds_read2_b64 v[52:55], v50 offset0:33 offset1:34
	ds_read2_b64 v[56:59], v50 offset0:35 offset1:36
	;; [unrolled: 1-line block ×7, first 2 shown]
	ds_read_b64 v[112:113], v50 offset:376
	v_cmp_lt_u32_e32 vcc, 7, v0
	s_waitcnt vmcnt(30) lgkmcnt(7)
	v_fma_f64 v[52:53], v[80:81], v[52:53], 0
	s_waitcnt vmcnt(28)
	v_fmac_f64_e32 v[52:53], v[82:83], v[54:55]
	s_waitcnt vmcnt(26) lgkmcnt(6)
	v_fmac_f64_e32 v[52:53], v[84:85], v[56:57]
	s_waitcnt vmcnt(24)
	v_fmac_f64_e32 v[52:53], v[86:87], v[58:59]
	s_waitcnt vmcnt(22) lgkmcnt(5)
	v_fmac_f64_e32 v[52:53], v[88:89], v[60:61]
	;; [unrolled: 4-line block ×3, first 2 shown]
	s_waitcnt vmcnt(10)
	v_fmac_f64_e32 v[52:53], v[100:101], v[66:67]
	s_waitcnt lgkmcnt(3)
	v_fmac_f64_e32 v[52:53], v[98:99], v[68:69]
	v_fmac_f64_e32 v[52:53], v[96:97], v[70:71]
	s_waitcnt lgkmcnt(2)
	v_fmac_f64_e32 v[52:53], v[94:95], v[72:73]
	s_waitcnt vmcnt(4)
	v_fmac_f64_e32 v[52:53], v[108:109], v[74:75]
	s_waitcnt lgkmcnt(1)
	v_fmac_f64_e32 v[52:53], v[106:107], v[76:77]
	s_waitcnt vmcnt(3)
	v_fmac_f64_e32 v[52:53], v[104:105], v[78:79]
	s_waitcnt vmcnt(2) lgkmcnt(0)
	v_fmac_f64_e32 v[52:53], v[102:103], v[112:113]
	s_waitcnt vmcnt(0)
	v_add_f64 v[52:53], v[110:111], -v[52:53]
	buffer_store_dword v53, off, s[0:3], 0 offset:68
	buffer_store_dword v52, off, s[0:3], 0 offset:64
	s_and_saveexec_b64 s[4:5], vcc
	s_cbranch_execz .LBB23_137
; %bb.136:
	buffer_load_dword v52, off, s[0:3], 0 offset:56
	buffer_load_dword v53, off, s[0:3], 0 offset:60
	s_waitcnt vmcnt(0)
	ds_write_b64 v1, v[52:53]
	buffer_store_dword v50, off, s[0:3], 0 offset:56
	buffer_store_dword v50, off, s[0:3], 0 offset:60
.LBB23_137:
	s_or_b64 exec, exec, s[4:5]
	s_waitcnt lgkmcnt(0)
	; wave barrier
	s_waitcnt lgkmcnt(0)
	buffer_load_dword v84, off, s[0:3], 0 offset:64
	buffer_load_dword v85, off, s[0:3], 0 offset:68
	;; [unrolled: 1-line block ×34, first 2 shown]
	ds_read_b128 v[52:55], v50 offset:256
	ds_read_b128 v[56:59], v50 offset:272
	;; [unrolled: 1-line block ×8, first 2 shown]
	v_cmp_lt_u32_e32 vcc, 6, v0
	s_waitcnt vmcnt(32) lgkmcnt(7)
	v_fma_f64 v[50:51], v[84:85], v[52:53], 0
	s_waitcnt vmcnt(30)
	v_fmac_f64_e32 v[50:51], v[86:87], v[54:55]
	s_waitcnt vmcnt(28) lgkmcnt(6)
	v_fmac_f64_e32 v[50:51], v[88:89], v[56:57]
	s_waitcnt vmcnt(26)
	v_fmac_f64_e32 v[50:51], v[90:91], v[58:59]
	s_waitcnt vmcnt(24) lgkmcnt(5)
	v_fmac_f64_e32 v[50:51], v[92:93], v[60:61]
	;; [unrolled: 4-line block ×3, first 2 shown]
	s_waitcnt vmcnt(12)
	v_fmac_f64_e32 v[50:51], v[104:105], v[66:67]
	s_waitcnt lgkmcnt(3)
	v_fmac_f64_e32 v[50:51], v[102:103], v[68:69]
	v_fmac_f64_e32 v[50:51], v[100:101], v[70:71]
	s_waitcnt lgkmcnt(2)
	v_fmac_f64_e32 v[50:51], v[98:99], v[72:73]
	s_waitcnt vmcnt(5)
	v_fmac_f64_e32 v[50:51], v[112:113], v[74:75]
	s_waitcnt lgkmcnt(1)
	v_fmac_f64_e32 v[50:51], v[110:111], v[76:77]
	v_fmac_f64_e32 v[50:51], v[108:109], v[78:79]
	s_waitcnt vmcnt(4) lgkmcnt(0)
	v_fmac_f64_e32 v[50:51], v[106:107], v[80:81]
	s_waitcnt vmcnt(2)
	v_fmac_f64_e32 v[50:51], v[114:115], v[82:83]
	s_waitcnt vmcnt(0)
	v_add_f64 v[50:51], v[116:117], -v[50:51]
	buffer_store_dword v51, off, s[0:3], 0 offset:60
	buffer_store_dword v50, off, s[0:3], 0 offset:56
	s_and_saveexec_b64 s[4:5], vcc
	s_cbranch_execz .LBB23_139
; %bb.138:
	buffer_load_dword v50, off, s[0:3], 0 offset:48
	buffer_load_dword v51, off, s[0:3], 0 offset:52
	v_mov_b32_e32 v52, 0
	buffer_store_dword v52, off, s[0:3], 0 offset:48
	buffer_store_dword v52, off, s[0:3], 0 offset:52
	s_waitcnt vmcnt(2)
	ds_write_b64 v1, v[50:51]
.LBB23_139:
	s_or_b64 exec, exec, s[4:5]
	s_waitcnt lgkmcnt(0)
	; wave barrier
	s_waitcnt lgkmcnt(0)
	buffer_load_dword v84, off, s[0:3], 0 offset:56
	buffer_load_dword v85, off, s[0:3], 0 offset:60
	;; [unrolled: 1-line block ×36, first 2 shown]
	v_mov_b32_e32 v50, 0
	ds_read2_b64 v[52:55], v50 offset0:31 offset1:32
	ds_read2_b64 v[56:59], v50 offset0:33 offset1:34
	;; [unrolled: 1-line block ×8, first 2 shown]
	ds_read_b64 v[120:121], v50 offset:376
	v_cmp_lt_u32_e32 vcc, 5, v0
	s_waitcnt vmcnt(34) lgkmcnt(8)
	v_fma_f64 v[52:53], v[84:85], v[52:53], 0
	s_waitcnt vmcnt(32)
	v_fmac_f64_e32 v[52:53], v[86:87], v[54:55]
	s_waitcnt vmcnt(30) lgkmcnt(7)
	v_fmac_f64_e32 v[52:53], v[88:89], v[56:57]
	s_waitcnt vmcnt(28)
	v_fmac_f64_e32 v[52:53], v[90:91], v[58:59]
	s_waitcnt vmcnt(26) lgkmcnt(6)
	v_fmac_f64_e32 v[52:53], v[92:93], v[60:61]
	;; [unrolled: 4-line block ×3, first 2 shown]
	s_waitcnt vmcnt(14)
	v_fmac_f64_e32 v[52:53], v[104:105], v[66:67]
	s_waitcnt lgkmcnt(4)
	v_fmac_f64_e32 v[52:53], v[102:103], v[68:69]
	v_fmac_f64_e32 v[52:53], v[100:101], v[70:71]
	s_waitcnt lgkmcnt(3)
	v_fmac_f64_e32 v[52:53], v[98:99], v[72:73]
	s_waitcnt vmcnt(6)
	v_fmac_f64_e32 v[52:53], v[112:113], v[74:75]
	s_waitcnt lgkmcnt(2)
	v_fmac_f64_e32 v[52:53], v[110:111], v[76:77]
	v_fmac_f64_e32 v[52:53], v[108:109], v[78:79]
	s_waitcnt lgkmcnt(1)
	v_fmac_f64_e32 v[52:53], v[106:107], v[80:81]
	s_waitcnt vmcnt(2)
	v_fmac_f64_e32 v[52:53], v[116:117], v[82:83]
	s_waitcnt lgkmcnt(0)
	v_fmac_f64_e32 v[52:53], v[114:115], v[120:121]
	s_waitcnt vmcnt(0)
	v_add_f64 v[52:53], v[118:119], -v[52:53]
	buffer_store_dword v53, off, s[0:3], 0 offset:52
	buffer_store_dword v52, off, s[0:3], 0 offset:48
	s_and_saveexec_b64 s[4:5], vcc
	s_cbranch_execz .LBB23_141
; %bb.140:
	buffer_load_dword v52, off, s[0:3], 0 offset:40
	buffer_load_dword v53, off, s[0:3], 0 offset:44
	s_waitcnt vmcnt(0)
	ds_write_b64 v1, v[52:53]
	buffer_store_dword v50, off, s[0:3], 0 offset:40
	buffer_store_dword v50, off, s[0:3], 0 offset:44
.LBB23_141:
	s_or_b64 exec, exec, s[4:5]
	s_waitcnt lgkmcnt(0)
	; wave barrier
	s_waitcnt lgkmcnt(0)
	buffer_load_dword v88, off, s[0:3], 0 offset:48
	buffer_load_dword v89, off, s[0:3], 0 offset:52
	;; [unrolled: 1-line block ×38, first 2 shown]
	ds_read_b128 v[52:55], v50 offset:240
	ds_read_b128 v[56:59], v50 offset:256
	;; [unrolled: 1-line block ×9, first 2 shown]
	v_cmp_lt_u32_e32 vcc, 4, v0
	s_waitcnt vmcnt(36) lgkmcnt(8)
	v_fma_f64 v[50:51], v[88:89], v[52:53], 0
	s_waitcnt vmcnt(34)
	v_fmac_f64_e32 v[50:51], v[90:91], v[54:55]
	s_waitcnt vmcnt(32) lgkmcnt(7)
	v_fmac_f64_e32 v[50:51], v[92:93], v[56:57]
	s_waitcnt vmcnt(30)
	v_fmac_f64_e32 v[50:51], v[94:95], v[58:59]
	s_waitcnt vmcnt(28) lgkmcnt(6)
	v_fmac_f64_e32 v[50:51], v[96:97], v[60:61]
	;; [unrolled: 4-line block ×3, first 2 shown]
	s_waitcnt vmcnt(16)
	v_fmac_f64_e32 v[50:51], v[108:109], v[66:67]
	s_waitcnt lgkmcnt(4)
	v_fmac_f64_e32 v[50:51], v[106:107], v[68:69]
	v_fmac_f64_e32 v[50:51], v[104:105], v[70:71]
	s_waitcnt lgkmcnt(3)
	v_fmac_f64_e32 v[50:51], v[102:103], v[72:73]
	s_waitcnt vmcnt(8)
	v_fmac_f64_e32 v[50:51], v[116:117], v[74:75]
	s_waitcnt lgkmcnt(2)
	v_fmac_f64_e32 v[50:51], v[114:115], v[76:77]
	v_fmac_f64_e32 v[50:51], v[112:113], v[78:79]
	s_waitcnt lgkmcnt(1)
	v_fmac_f64_e32 v[50:51], v[110:111], v[80:81]
	s_waitcnt vmcnt(3)
	v_fmac_f64_e32 v[50:51], v[122:123], v[82:83]
	s_waitcnt lgkmcnt(0)
	v_fmac_f64_e32 v[50:51], v[120:121], v[84:85]
	s_waitcnt vmcnt(2)
	v_fmac_f64_e32 v[50:51], v[118:119], v[86:87]
	s_waitcnt vmcnt(0)
	v_add_f64 v[50:51], v[124:125], -v[50:51]
	buffer_store_dword v51, off, s[0:3], 0 offset:44
	buffer_store_dword v50, off, s[0:3], 0 offset:40
	s_and_saveexec_b64 s[4:5], vcc
	s_cbranch_execz .LBB23_143
; %bb.142:
	buffer_load_dword v50, off, s[0:3], 0 offset:32
	buffer_load_dword v51, off, s[0:3], 0 offset:36
	v_mov_b32_e32 v52, 0
	buffer_store_dword v52, off, s[0:3], 0 offset:32
	buffer_store_dword v52, off, s[0:3], 0 offset:36
	s_waitcnt vmcnt(2)
	ds_write_b64 v1, v[50:51]
.LBB23_143:
	s_or_b64 exec, exec, s[4:5]
	s_waitcnt lgkmcnt(0)
	; wave barrier
	s_waitcnt lgkmcnt(0)
	buffer_load_dword v50, off, s[0:3], 0 offset:32
	buffer_load_dword v51, off, s[0:3], 0 offset:36
	;; [unrolled: 1-line block ×16, first 2 shown]
	v_mov_b32_e32 v54, 0
	ds_read2_b64 v[56:59], v54 offset0:29 offset1:30
	v_cmp_lt_u32_e32 vcc, 3, v0
	s_waitcnt vmcnt(12) lgkmcnt(0)
	v_fma_f64 v[52:53], v[52:53], v[56:57], 0
	s_waitcnt vmcnt(10)
	v_fmac_f64_e32 v[52:53], v[60:61], v[58:59]
	ds_read2_b64 v[56:59], v54 offset0:31 offset1:32
	s_waitcnt vmcnt(8) lgkmcnt(0)
	v_fmac_f64_e32 v[52:53], v[62:63], v[56:57]
	s_waitcnt vmcnt(6)
	v_fmac_f64_e32 v[52:53], v[64:65], v[58:59]
	ds_read2_b64 v[56:59], v54 offset0:33 offset1:34
	s_waitcnt vmcnt(4) lgkmcnt(0)
	v_fmac_f64_e32 v[52:53], v[66:67], v[56:57]
	;; [unrolled: 5-line block ×3, first 2 shown]
	buffer_load_dword v57, off, s[0:3], 0 offset:100
	buffer_load_dword v56, off, s[0:3], 0 offset:96
	buffer_load_dword v61, off, s[0:3], 0 offset:108
	buffer_load_dword v60, off, s[0:3], 0 offset:104
	s_waitcnt vmcnt(2)
	v_fmac_f64_e32 v[52:53], v[56:57], v[58:59]
	ds_read2_b64 v[56:59], v54 offset0:37 offset1:38
	s_waitcnt vmcnt(0) lgkmcnt(0)
	v_fmac_f64_e32 v[52:53], v[60:61], v[56:57]
	buffer_load_dword v57, off, s[0:3], 0 offset:116
	buffer_load_dword v56, off, s[0:3], 0 offset:112
	buffer_load_dword v61, off, s[0:3], 0 offset:124
	buffer_load_dword v60, off, s[0:3], 0 offset:120
	s_waitcnt vmcnt(2)
	v_fmac_f64_e32 v[52:53], v[56:57], v[58:59]
	ds_read2_b64 v[56:59], v54 offset0:39 offset1:40
	s_waitcnt vmcnt(0) lgkmcnt(0)
	v_fmac_f64_e32 v[52:53], v[60:61], v[56:57]
	;; [unrolled: 9-line block ×5, first 2 shown]
	buffer_load_dword v57, off, s[0:3], 0 offset:180
	buffer_load_dword v56, off, s[0:3], 0 offset:176
	s_waitcnt vmcnt(0)
	v_fmac_f64_e32 v[52:53], v[56:57], v[58:59]
	buffer_load_dword v57, off, s[0:3], 0 offset:188
	buffer_load_dword v56, off, s[0:3], 0 offset:184
	ds_read_b64 v[58:59], v54 offset:376
	s_waitcnt vmcnt(0) lgkmcnt(0)
	v_fmac_f64_e32 v[52:53], v[56:57], v[58:59]
	v_add_f64 v[50:51], v[50:51], -v[52:53]
	buffer_store_dword v51, off, s[0:3], 0 offset:36
	buffer_store_dword v50, off, s[0:3], 0 offset:32
	s_and_saveexec_b64 s[4:5], vcc
	s_cbranch_execz .LBB23_145
; %bb.144:
	buffer_load_dword v50, off, s[0:3], 0 offset:24
	buffer_load_dword v51, off, s[0:3], 0 offset:28
	s_waitcnt vmcnt(0)
	ds_write_b64 v1, v[50:51]
	buffer_store_dword v54, off, s[0:3], 0 offset:24
	buffer_store_dword v54, off, s[0:3], 0 offset:28
.LBB23_145:
	s_or_b64 exec, exec, s[4:5]
	s_waitcnt lgkmcnt(0)
	; wave barrier
	s_waitcnt lgkmcnt(0)
	buffer_load_dword v50, off, s[0:3], 0 offset:24
	buffer_load_dword v51, off, s[0:3], 0 offset:28
	;; [unrolled: 1-line block ×16, first 2 shown]
	ds_read_b128 v[56:59], v54 offset:224
	ds_read_b128 v[60:63], v54 offset:240
	;; [unrolled: 1-line block ×4, first 2 shown]
	v_cmp_lt_u32_e32 vcc, 2, v0
	s_waitcnt vmcnt(12) lgkmcnt(3)
	v_fma_f64 v[52:53], v[52:53], v[56:57], 0
	buffer_load_dword v57, off, s[0:3], 0 offset:92
	buffer_load_dword v56, off, s[0:3], 0 offset:88
	s_waitcnt vmcnt(12)
	v_fmac_f64_e32 v[52:53], v[72:73], v[58:59]
	s_waitcnt vmcnt(10) lgkmcnt(2)
	v_fmac_f64_e32 v[52:53], v[74:75], v[60:61]
	buffer_load_dword v61, off, s[0:3], 0 offset:100
	buffer_load_dword v60, off, s[0:3], 0 offset:96
	s_waitcnt vmcnt(10)
	v_fmac_f64_e32 v[52:53], v[76:77], v[62:63]
	s_waitcnt vmcnt(8) lgkmcnt(1)
	v_fmac_f64_e32 v[52:53], v[78:79], v[64:65]
	s_waitcnt vmcnt(6)
	v_fmac_f64_e32 v[52:53], v[80:81], v[66:67]
	s_waitcnt vmcnt(4) lgkmcnt(0)
	v_fmac_f64_e32 v[52:53], v[82:83], v[68:69]
	s_waitcnt vmcnt(2)
	v_fmac_f64_e32 v[52:53], v[56:57], v[70:71]
	ds_read_b128 v[56:59], v54 offset:288
	s_waitcnt vmcnt(0) lgkmcnt(0)
	v_fmac_f64_e32 v[52:53], v[60:61], v[56:57]
	buffer_load_dword v57, off, s[0:3], 0 offset:108
	buffer_load_dword v56, off, s[0:3], 0 offset:104
	buffer_load_dword v61, off, s[0:3], 0 offset:116
	buffer_load_dword v60, off, s[0:3], 0 offset:112
	s_waitcnt vmcnt(2)
	v_fmac_f64_e32 v[52:53], v[56:57], v[58:59]
	ds_read_b128 v[56:59], v54 offset:304
	s_waitcnt vmcnt(0) lgkmcnt(0)
	v_fmac_f64_e32 v[52:53], v[60:61], v[56:57]
	buffer_load_dword v57, off, s[0:3], 0 offset:124
	buffer_load_dword v56, off, s[0:3], 0 offset:120
	buffer_load_dword v61, off, s[0:3], 0 offset:132
	buffer_load_dword v60, off, s[0:3], 0 offset:128
	;; [unrolled: 9-line block ×4, first 2 shown]
	s_waitcnt vmcnt(2)
	v_fmac_f64_e32 v[52:53], v[56:57], v[58:59]
	ds_read_b128 v[56:59], v54 offset:352
	s_waitcnt vmcnt(0) lgkmcnt(0)
	v_fmac_f64_e32 v[52:53], v[60:61], v[56:57]
	buffer_load_dword v57, off, s[0:3], 0 offset:172
	buffer_load_dword v56, off, s[0:3], 0 offset:168
	s_waitcnt vmcnt(0)
	v_fmac_f64_e32 v[52:53], v[56:57], v[58:59]
	buffer_load_dword v59, off, s[0:3], 0 offset:180
	buffer_load_dword v58, off, s[0:3], 0 offset:176
	ds_read_b128 v[54:57], v54 offset:368
	s_waitcnt vmcnt(0) lgkmcnt(0)
	v_fmac_f64_e32 v[52:53], v[58:59], v[54:55]
	buffer_load_dword v55, off, s[0:3], 0 offset:188
	buffer_load_dword v54, off, s[0:3], 0 offset:184
	s_waitcnt vmcnt(0)
	v_fmac_f64_e32 v[52:53], v[54:55], v[56:57]
	v_add_f64 v[50:51], v[50:51], -v[52:53]
	buffer_store_dword v51, off, s[0:3], 0 offset:28
	buffer_store_dword v50, off, s[0:3], 0 offset:24
	s_and_saveexec_b64 s[4:5], vcc
	s_cbranch_execz .LBB23_147
; %bb.146:
	buffer_load_dword v50, off, s[0:3], 0 offset:16
	buffer_load_dword v51, off, s[0:3], 0 offset:20
	v_mov_b32_e32 v52, 0
	buffer_store_dword v52, off, s[0:3], 0 offset:16
	buffer_store_dword v52, off, s[0:3], 0 offset:20
	s_waitcnt vmcnt(2)
	ds_write_b64 v1, v[50:51]
.LBB23_147:
	s_or_b64 exec, exec, s[4:5]
	s_waitcnt lgkmcnt(0)
	; wave barrier
	s_waitcnt lgkmcnt(0)
	buffer_load_dword v50, off, s[0:3], 0 offset:16
	buffer_load_dword v51, off, s[0:3], 0 offset:20
	;; [unrolled: 1-line block ×16, first 2 shown]
	v_mov_b32_e32 v54, 0
	ds_read2_b64 v[56:59], v54 offset0:27 offset1:28
	v_cmp_lt_u32_e32 vcc, 1, v0
	s_waitcnt vmcnt(12) lgkmcnt(0)
	v_fma_f64 v[52:53], v[52:53], v[56:57], 0
	s_waitcnt vmcnt(10)
	v_fmac_f64_e32 v[52:53], v[60:61], v[58:59]
	ds_read2_b64 v[56:59], v54 offset0:29 offset1:30
	s_waitcnt vmcnt(8) lgkmcnt(0)
	v_fmac_f64_e32 v[52:53], v[62:63], v[56:57]
	s_waitcnt vmcnt(6)
	v_fmac_f64_e32 v[52:53], v[64:65], v[58:59]
	ds_read2_b64 v[56:59], v54 offset0:31 offset1:32
	s_waitcnt vmcnt(4) lgkmcnt(0)
	v_fmac_f64_e32 v[52:53], v[66:67], v[56:57]
	;; [unrolled: 5-line block ×3, first 2 shown]
	buffer_load_dword v57, off, s[0:3], 0 offset:84
	buffer_load_dword v56, off, s[0:3], 0 offset:80
	buffer_load_dword v61, off, s[0:3], 0 offset:92
	buffer_load_dword v60, off, s[0:3], 0 offset:88
	s_waitcnt vmcnt(2)
	v_fmac_f64_e32 v[52:53], v[56:57], v[58:59]
	ds_read2_b64 v[56:59], v54 offset0:35 offset1:36
	s_waitcnt vmcnt(0) lgkmcnt(0)
	v_fmac_f64_e32 v[52:53], v[60:61], v[56:57]
	buffer_load_dword v57, off, s[0:3], 0 offset:100
	buffer_load_dword v56, off, s[0:3], 0 offset:96
	buffer_load_dword v61, off, s[0:3], 0 offset:108
	buffer_load_dword v60, off, s[0:3], 0 offset:104
	s_waitcnt vmcnt(2)
	v_fmac_f64_e32 v[52:53], v[56:57], v[58:59]
	ds_read2_b64 v[56:59], v54 offset0:37 offset1:38
	s_waitcnt vmcnt(0) lgkmcnt(0)
	v_fmac_f64_e32 v[52:53], v[60:61], v[56:57]
	;; [unrolled: 9-line block ×6, first 2 shown]
	buffer_load_dword v57, off, s[0:3], 0 offset:180
	buffer_load_dword v56, off, s[0:3], 0 offset:176
	s_waitcnt vmcnt(0)
	v_fmac_f64_e32 v[52:53], v[56:57], v[58:59]
	buffer_load_dword v57, off, s[0:3], 0 offset:188
	buffer_load_dword v56, off, s[0:3], 0 offset:184
	ds_read_b64 v[58:59], v54 offset:376
	s_waitcnt vmcnt(0) lgkmcnt(0)
	v_fmac_f64_e32 v[52:53], v[56:57], v[58:59]
	v_add_f64 v[50:51], v[50:51], -v[52:53]
	buffer_store_dword v51, off, s[0:3], 0 offset:20
	buffer_store_dword v50, off, s[0:3], 0 offset:16
	s_and_saveexec_b64 s[4:5], vcc
	s_cbranch_execz .LBB23_149
; %bb.148:
	buffer_load_dword v50, off, s[0:3], 0 offset:8
	buffer_load_dword v51, off, s[0:3], 0 offset:12
	s_waitcnt vmcnt(0)
	ds_write_b64 v1, v[50:51]
	buffer_store_dword v54, off, s[0:3], 0 offset:8
	buffer_store_dword v54, off, s[0:3], 0 offset:12
.LBB23_149:
	s_or_b64 exec, exec, s[4:5]
	s_waitcnt lgkmcnt(0)
	; wave barrier
	s_waitcnt lgkmcnt(0)
	buffer_load_dword v50, off, s[0:3], 0 offset:8
	buffer_load_dword v51, off, s[0:3], 0 offset:12
	;; [unrolled: 1-line block ×16, first 2 shown]
	ds_read_b128 v[56:59], v54 offset:208
	ds_read_b128 v[60:63], v54 offset:224
	;; [unrolled: 1-line block ×4, first 2 shown]
	v_cmp_ne_u32_e32 vcc, 0, v0
	s_waitcnt vmcnt(12) lgkmcnt(3)
	v_fma_f64 v[52:53], v[52:53], v[56:57], 0
	buffer_load_dword v57, off, s[0:3], 0 offset:76
	buffer_load_dword v56, off, s[0:3], 0 offset:72
	s_waitcnt vmcnt(12)
	v_fmac_f64_e32 v[52:53], v[72:73], v[58:59]
	s_waitcnt vmcnt(10) lgkmcnt(2)
	v_fmac_f64_e32 v[52:53], v[74:75], v[60:61]
	buffer_load_dword v61, off, s[0:3], 0 offset:84
	buffer_load_dword v60, off, s[0:3], 0 offset:80
	s_waitcnt vmcnt(10)
	v_fmac_f64_e32 v[52:53], v[76:77], v[62:63]
	s_waitcnt vmcnt(8) lgkmcnt(1)
	v_fmac_f64_e32 v[52:53], v[78:79], v[64:65]
	s_waitcnt vmcnt(6)
	v_fmac_f64_e32 v[52:53], v[80:81], v[66:67]
	s_waitcnt vmcnt(4) lgkmcnt(0)
	v_fmac_f64_e32 v[52:53], v[82:83], v[68:69]
	s_waitcnt vmcnt(2)
	v_fmac_f64_e32 v[52:53], v[56:57], v[70:71]
	ds_read_b128 v[56:59], v54 offset:272
	s_waitcnt vmcnt(0) lgkmcnt(0)
	v_fmac_f64_e32 v[52:53], v[60:61], v[56:57]
	buffer_load_dword v57, off, s[0:3], 0 offset:92
	buffer_load_dword v56, off, s[0:3], 0 offset:88
	buffer_load_dword v61, off, s[0:3], 0 offset:100
	buffer_load_dword v60, off, s[0:3], 0 offset:96
	s_waitcnt vmcnt(2)
	v_fmac_f64_e32 v[52:53], v[56:57], v[58:59]
	ds_read_b128 v[56:59], v54 offset:288
	s_waitcnt vmcnt(0) lgkmcnt(0)
	v_fmac_f64_e32 v[52:53], v[60:61], v[56:57]
	buffer_load_dword v57, off, s[0:3], 0 offset:108
	buffer_load_dword v56, off, s[0:3], 0 offset:104
	buffer_load_dword v61, off, s[0:3], 0 offset:116
	buffer_load_dword v60, off, s[0:3], 0 offset:112
	;; [unrolled: 9-line block ×5, first 2 shown]
	s_waitcnt vmcnt(2)
	v_fmac_f64_e32 v[52:53], v[56:57], v[58:59]
	ds_read_b128 v[56:59], v54 offset:352
	s_waitcnt vmcnt(0) lgkmcnt(0)
	v_fmac_f64_e32 v[52:53], v[60:61], v[56:57]
	buffer_load_dword v57, off, s[0:3], 0 offset:172
	buffer_load_dword v56, off, s[0:3], 0 offset:168
	s_waitcnt vmcnt(0)
	v_fmac_f64_e32 v[52:53], v[56:57], v[58:59]
	buffer_load_dword v59, off, s[0:3], 0 offset:180
	buffer_load_dword v58, off, s[0:3], 0 offset:176
	ds_read_b128 v[54:57], v54 offset:368
	s_waitcnt vmcnt(0) lgkmcnt(0)
	v_fmac_f64_e32 v[52:53], v[58:59], v[54:55]
	buffer_load_dword v55, off, s[0:3], 0 offset:188
	buffer_load_dword v54, off, s[0:3], 0 offset:184
	s_waitcnt vmcnt(0)
	v_fmac_f64_e32 v[52:53], v[54:55], v[56:57]
	v_add_f64 v[50:51], v[50:51], -v[52:53]
	buffer_store_dword v51, off, s[0:3], 0 offset:12
	buffer_store_dword v50, off, s[0:3], 0 offset:8
	s_and_saveexec_b64 s[4:5], vcc
	s_cbranch_execz .LBB23_151
; %bb.150:
	buffer_load_dword v50, off, s[0:3], 0
	buffer_load_dword v51, off, s[0:3], 0 offset:4
	v_mov_b32_e32 v0, 0
	buffer_store_dword v0, off, s[0:3], 0
	buffer_store_dword v0, off, s[0:3], 0 offset:4
	s_waitcnt vmcnt(2)
	ds_write_b64 v1, v[50:51]
.LBB23_151:
	s_or_b64 exec, exec, s[4:5]
	s_waitcnt lgkmcnt(0)
	; wave barrier
	s_waitcnt lgkmcnt(0)
	buffer_load_dword v0, off, s[0:3], 0
	buffer_load_dword v1, off, s[0:3], 0 offset:4
	buffer_load_dword v54, off, s[0:3], 0 offset:8
	;; [unrolled: 1-line block ×15, first 2 shown]
	v_mov_b32_e32 v68, 0
	ds_read2_b64 v[50:53], v68 offset0:25 offset1:26
	s_and_b64 vcc, exec, s[20:21]
	s_waitcnt vmcnt(12) lgkmcnt(0)
	v_fma_f64 v[50:51], v[54:55], v[50:51], 0
	s_waitcnt vmcnt(10)
	v_fmac_f64_e32 v[50:51], v[56:57], v[52:53]
	ds_read2_b64 v[52:55], v68 offset0:27 offset1:28
	s_waitcnt vmcnt(8) lgkmcnt(0)
	v_fmac_f64_e32 v[50:51], v[58:59], v[52:53]
	s_waitcnt vmcnt(6)
	v_fmac_f64_e32 v[50:51], v[60:61], v[54:55]
	ds_read2_b64 v[52:55], v68 offset0:29 offset1:30
	s_waitcnt vmcnt(4) lgkmcnt(0)
	v_fmac_f64_e32 v[50:51], v[62:63], v[52:53]
	;; [unrolled: 5-line block ×3, first 2 shown]
	buffer_load_dword v53, off, s[0:3], 0 offset:68
	buffer_load_dword v52, off, s[0:3], 0 offset:64
	buffer_load_dword v57, off, s[0:3], 0 offset:76
	buffer_load_dword v56, off, s[0:3], 0 offset:72
	s_waitcnt vmcnt(2)
	v_fmac_f64_e32 v[50:51], v[52:53], v[54:55]
	ds_read2_b64 v[52:55], v68 offset0:33 offset1:34
	s_waitcnt vmcnt(0) lgkmcnt(0)
	v_fmac_f64_e32 v[50:51], v[56:57], v[52:53]
	buffer_load_dword v53, off, s[0:3], 0 offset:84
	buffer_load_dword v52, off, s[0:3], 0 offset:80
	buffer_load_dword v57, off, s[0:3], 0 offset:92
	buffer_load_dword v56, off, s[0:3], 0 offset:88
	s_waitcnt vmcnt(2)
	v_fmac_f64_e32 v[50:51], v[52:53], v[54:55]
	ds_read2_b64 v[52:55], v68 offset0:35 offset1:36
	s_waitcnt vmcnt(0) lgkmcnt(0)
	v_fmac_f64_e32 v[50:51], v[56:57], v[52:53]
	;; [unrolled: 9-line block ×7, first 2 shown]
	buffer_load_dword v53, off, s[0:3], 0 offset:180
	buffer_load_dword v52, off, s[0:3], 0 offset:176
	s_waitcnt vmcnt(0)
	v_fmac_f64_e32 v[50:51], v[52:53], v[54:55]
	buffer_load_dword v55, off, s[0:3], 0 offset:188
	buffer_load_dword v54, off, s[0:3], 0 offset:184
	ds_read_b64 v[56:57], v68 offset:376
	s_waitcnt vmcnt(0) lgkmcnt(0)
	v_fmac_f64_e32 v[50:51], v[54:55], v[56:57]
	v_add_f64 v[0:1], v[0:1], -v[50:51]
	buffer_store_dword v1, off, s[0:3], 0 offset:4
	buffer_store_dword v0, off, s[0:3], 0
	s_cbranch_vccz .LBB23_199
; %bb.152:
	v_pk_mov_b32 v[0:1], s[10:11], s[10:11] op_sel:[0,1]
	flat_load_dword v0, v[0:1] offset:88
	s_waitcnt vmcnt(0) lgkmcnt(0)
	v_add_u32_e32 v0, -1, v0
	v_cmp_ne_u32_e32 vcc, 22, v0
	s_and_saveexec_b64 s[4:5], vcc
	s_cbranch_execz .LBB23_154
; %bb.153:
	v_mov_b32_e32 v1, 0
	v_lshl_add_u32 v0, v0, 3, v1
	buffer_load_dword v1, v0, s[0:3], 0 offen offset:4
	buffer_load_dword v50, v0, s[0:3], 0 offen
	s_waitcnt vmcnt(1)
	buffer_store_dword v1, off, s[0:3], 0 offset:180
	s_waitcnt vmcnt(1)
	buffer_store_dword v50, off, s[0:3], 0 offset:176
	buffer_store_dword v53, v0, s[0:3], 0 offen offset:4
	buffer_store_dword v52, v0, s[0:3], 0 offen
.LBB23_154:
	s_or_b64 exec, exec, s[4:5]
	v_pk_mov_b32 v[0:1], s[10:11], s[10:11] op_sel:[0,1]
	flat_load_dword v0, v[0:1] offset:84
	s_waitcnt vmcnt(0) lgkmcnt(0)
	v_add_u32_e32 v0, -1, v0
	v_cmp_ne_u32_e32 vcc, 21, v0
	s_and_saveexec_b64 s[4:5], vcc
	s_cbranch_execz .LBB23_156
; %bb.155:
	v_mov_b32_e32 v1, 0
	v_lshl_add_u32 v0, v0, 3, v1
	buffer_load_dword v1, v0, s[0:3], 0 offen
	buffer_load_dword v50, v0, s[0:3], 0 offen offset:4
	buffer_load_dword v51, off, s[0:3], 0 offset:168
	buffer_load_dword v52, off, s[0:3], 0 offset:172
	s_waitcnt vmcnt(3)
	buffer_store_dword v1, off, s[0:3], 0 offset:168
	s_waitcnt vmcnt(3)
	buffer_store_dword v50, off, s[0:3], 0 offset:172
	s_waitcnt vmcnt(3)
	buffer_store_dword v51, v0, s[0:3], 0 offen
	s_waitcnt vmcnt(3)
	buffer_store_dword v52, v0, s[0:3], 0 offen offset:4
.LBB23_156:
	s_or_b64 exec, exec, s[4:5]
	v_pk_mov_b32 v[0:1], s[10:11], s[10:11] op_sel:[0,1]
	flat_load_dword v0, v[0:1] offset:80
	s_waitcnt vmcnt(0) lgkmcnt(0)
	v_add_u32_e32 v0, -1, v0
	v_cmp_ne_u32_e32 vcc, 20, v0
	s_and_saveexec_b64 s[4:5], vcc
	s_cbranch_execz .LBB23_158
; %bb.157:
	v_mov_b32_e32 v1, 0
	v_lshl_add_u32 v0, v0, 3, v1
	buffer_load_dword v1, v0, s[0:3], 0 offen
	buffer_load_dword v50, v0, s[0:3], 0 offen offset:4
	buffer_load_dword v51, off, s[0:3], 0 offset:164
	buffer_load_dword v52, off, s[0:3], 0 offset:160
	s_waitcnt vmcnt(3)
	buffer_store_dword v1, off, s[0:3], 0 offset:160
	s_waitcnt vmcnt(3)
	buffer_store_dword v50, off, s[0:3], 0 offset:164
	s_waitcnt vmcnt(3)
	buffer_store_dword v51, v0, s[0:3], 0 offen offset:4
	s_waitcnt vmcnt(3)
	buffer_store_dword v52, v0, s[0:3], 0 offen
.LBB23_158:
	s_or_b64 exec, exec, s[4:5]
	v_pk_mov_b32 v[0:1], s[10:11], s[10:11] op_sel:[0,1]
	flat_load_dword v0, v[0:1] offset:76
	s_waitcnt vmcnt(0) lgkmcnt(0)
	v_add_u32_e32 v0, -1, v0
	v_cmp_ne_u32_e32 vcc, 19, v0
	s_and_saveexec_b64 s[4:5], vcc
	s_cbranch_execz .LBB23_160
; %bb.159:
	v_mov_b32_e32 v1, 0
	v_lshl_add_u32 v0, v0, 3, v1
	buffer_load_dword v1, v0, s[0:3], 0 offen
	buffer_load_dword v50, v0, s[0:3], 0 offen offset:4
	buffer_load_dword v51, off, s[0:3], 0 offset:152
	buffer_load_dword v52, off, s[0:3], 0 offset:156
	s_waitcnt vmcnt(3)
	buffer_store_dword v1, off, s[0:3], 0 offset:152
	s_waitcnt vmcnt(3)
	buffer_store_dword v50, off, s[0:3], 0 offset:156
	s_waitcnt vmcnt(3)
	buffer_store_dword v51, v0, s[0:3], 0 offen
	s_waitcnt vmcnt(3)
	buffer_store_dword v52, v0, s[0:3], 0 offen offset:4
.LBB23_160:
	s_or_b64 exec, exec, s[4:5]
	v_pk_mov_b32 v[0:1], s[10:11], s[10:11] op_sel:[0,1]
	flat_load_dword v0, v[0:1] offset:72
	s_waitcnt vmcnt(0) lgkmcnt(0)
	v_add_u32_e32 v0, -1, v0
	v_cmp_ne_u32_e32 vcc, 18, v0
	s_and_saveexec_b64 s[4:5], vcc
	s_cbranch_execz .LBB23_162
; %bb.161:
	v_mov_b32_e32 v1, 0
	v_lshl_add_u32 v0, v0, 3, v1
	buffer_load_dword v1, v0, s[0:3], 0 offen
	buffer_load_dword v50, v0, s[0:3], 0 offen offset:4
	buffer_load_dword v51, off, s[0:3], 0 offset:148
	buffer_load_dword v52, off, s[0:3], 0 offset:144
	s_waitcnt vmcnt(3)
	buffer_store_dword v1, off, s[0:3], 0 offset:144
	s_waitcnt vmcnt(3)
	buffer_store_dword v50, off, s[0:3], 0 offset:148
	s_waitcnt vmcnt(3)
	buffer_store_dword v51, v0, s[0:3], 0 offen offset:4
	s_waitcnt vmcnt(3)
	buffer_store_dword v52, v0, s[0:3], 0 offen
.LBB23_162:
	;; [unrolled: 48-line block ×10, first 2 shown]
	s_or_b64 exec, exec, s[4:5]
	v_pk_mov_b32 v[0:1], s[10:11], s[10:11] op_sel:[0,1]
	flat_load_dword v0, v[0:1] offset:4
	s_waitcnt vmcnt(0) lgkmcnt(0)
	v_add_u32_e32 v0, -1, v0
	v_cmp_ne_u32_e32 vcc, 1, v0
	s_and_saveexec_b64 s[4:5], vcc
	s_cbranch_execz .LBB23_196
; %bb.195:
	v_mov_b32_e32 v1, 0
	v_lshl_add_u32 v0, v0, 3, v1
	buffer_load_dword v1, v0, s[0:3], 0 offen
	buffer_load_dword v50, v0, s[0:3], 0 offen offset:4
	buffer_load_dword v51, off, s[0:3], 0 offset:8
	buffer_load_dword v52, off, s[0:3], 0 offset:12
	s_waitcnt vmcnt(3)
	buffer_store_dword v1, off, s[0:3], 0 offset:8
	s_waitcnt vmcnt(3)
	buffer_store_dword v50, off, s[0:3], 0 offset:12
	s_waitcnt vmcnt(3)
	buffer_store_dword v51, v0, s[0:3], 0 offen
	s_waitcnt vmcnt(3)
	buffer_store_dword v52, v0, s[0:3], 0 offen offset:4
.LBB23_196:
	s_or_b64 exec, exec, s[4:5]
	v_pk_mov_b32 v[0:1], s[10:11], s[10:11] op_sel:[0,1]
	flat_load_dword v50, v[0:1]
	s_nop 0
	buffer_load_dword v0, off, s[0:3], 0
	buffer_load_dword v1, off, s[0:3], 0 offset:4
	s_waitcnt vmcnt(0) lgkmcnt(0)
	v_add_u32_e32 v50, -1, v50
	v_cmp_ne_u32_e32 vcc, 0, v50
	s_and_saveexec_b64 s[4:5], vcc
	s_cbranch_execz .LBB23_198
; %bb.197:
	v_mov_b32_e32 v51, 0
	v_lshl_add_u32 v50, v50, 3, v51
	buffer_load_dword v51, v50, s[0:3], 0 offen offset:4
	buffer_load_dword v52, v50, s[0:3], 0 offen
	s_waitcnt vmcnt(1)
	buffer_store_dword v51, off, s[0:3], 0 offset:4
	s_waitcnt vmcnt(1)
	buffer_store_dword v52, off, s[0:3], 0
	buffer_store_dword v1, v50, s[0:3], 0 offen offset:4
	buffer_store_dword v0, v50, s[0:3], 0 offen
	buffer_load_dword v0, off, s[0:3], 0
	s_nop 0
	buffer_load_dword v1, off, s[0:3], 0 offset:4
.LBB23_198:
	s_or_b64 exec, exec, s[4:5]
.LBB23_199:
	buffer_load_dword v50, off, s[0:3], 0 offset:8
	buffer_load_dword v51, off, s[0:3], 0 offset:12
	buffer_load_dword v52, off, s[0:3], 0 offset:16
	buffer_load_dword v53, off, s[0:3], 0 offset:20
	buffer_load_dword v54, off, s[0:3], 0 offset:24
	buffer_load_dword v55, off, s[0:3], 0 offset:28
	buffer_load_dword v56, off, s[0:3], 0 offset:32
	buffer_load_dword v57, off, s[0:3], 0 offset:36
	buffer_load_dword v58, off, s[0:3], 0 offset:40
	buffer_load_dword v59, off, s[0:3], 0 offset:44
	buffer_load_dword v60, off, s[0:3], 0 offset:48
	buffer_load_dword v61, off, s[0:3], 0 offset:52
	buffer_load_dword v62, off, s[0:3], 0 offset:56
	buffer_load_dword v63, off, s[0:3], 0 offset:60
	buffer_load_dword v64, off, s[0:3], 0 offset:64
	buffer_load_dword v65, off, s[0:3], 0 offset:68
	buffer_load_dword v66, off, s[0:3], 0 offset:72
	buffer_load_dword v67, off, s[0:3], 0 offset:76
	buffer_load_dword v68, off, s[0:3], 0 offset:80
	buffer_load_dword v69, off, s[0:3], 0 offset:84
	buffer_load_dword v70, off, s[0:3], 0 offset:88
	buffer_load_dword v71, off, s[0:3], 0 offset:92
	buffer_load_dword v72, off, s[0:3], 0 offset:96
	buffer_load_dword v73, off, s[0:3], 0 offset:100
	buffer_load_dword v74, off, s[0:3], 0 offset:104
	buffer_load_dword v75, off, s[0:3], 0 offset:108
	buffer_load_dword v76, off, s[0:3], 0 offset:112
	buffer_load_dword v77, off, s[0:3], 0 offset:116
	buffer_load_dword v78, off, s[0:3], 0 offset:120
	buffer_load_dword v79, off, s[0:3], 0 offset:124
	buffer_load_dword v80, off, s[0:3], 0 offset:128
	buffer_load_dword v81, off, s[0:3], 0 offset:132
	buffer_load_dword v82, off, s[0:3], 0 offset:136
	buffer_load_dword v83, off, s[0:3], 0 offset:140
	buffer_load_dword v84, off, s[0:3], 0 offset:144
	buffer_load_dword v85, off, s[0:3], 0 offset:148
	buffer_load_dword v86, off, s[0:3], 0 offset:152
	buffer_load_dword v87, off, s[0:3], 0 offset:156
	buffer_load_dword v88, off, s[0:3], 0 offset:160
	buffer_load_dword v89, off, s[0:3], 0 offset:164
	buffer_load_dword v90, off, s[0:3], 0 offset:168
	buffer_load_dword v91, off, s[0:3], 0 offset:172
	buffer_load_dword v92, off, s[0:3], 0 offset:176
	buffer_load_dword v93, off, s[0:3], 0 offset:180
	buffer_load_dword v94, off, s[0:3], 0 offset:184
	buffer_load_dword v95, off, s[0:3], 0 offset:188
	s_waitcnt vmcnt(46)
	global_store_dwordx2 v[2:3], v[0:1], off
	s_waitcnt vmcnt(45)
	global_store_dwordx2 v[4:5], v[50:51], off
	;; [unrolled: 2-line block ×24, first 2 shown]
	s_endpgm
	.section	.rodata,"a",@progbits
	.p2align	6, 0x0
	.amdhsa_kernel _ZN9rocsolver6v33100L18getri_kernel_smallILi24EdPdEEvT1_iilPiilS4_bb
		.amdhsa_group_segment_fixed_size 392
		.amdhsa_private_segment_fixed_size 208
		.amdhsa_kernarg_size 60
		.amdhsa_user_sgpr_count 8
		.amdhsa_user_sgpr_private_segment_buffer 1
		.amdhsa_user_sgpr_dispatch_ptr 0
		.amdhsa_user_sgpr_queue_ptr 0
		.amdhsa_user_sgpr_kernarg_segment_ptr 1
		.amdhsa_user_sgpr_dispatch_id 0
		.amdhsa_user_sgpr_flat_scratch_init 1
		.amdhsa_user_sgpr_kernarg_preload_length 0
		.amdhsa_user_sgpr_kernarg_preload_offset 0
		.amdhsa_user_sgpr_private_segment_size 0
		.amdhsa_uses_dynamic_stack 0
		.amdhsa_system_sgpr_private_segment_wavefront_offset 1
		.amdhsa_system_sgpr_workgroup_id_x 1
		.amdhsa_system_sgpr_workgroup_id_y 0
		.amdhsa_system_sgpr_workgroup_id_z 0
		.amdhsa_system_sgpr_workgroup_info 0
		.amdhsa_system_vgpr_workitem_id 0
		.amdhsa_next_free_vgpr 126
		.amdhsa_next_free_sgpr 23
		.amdhsa_accum_offset 128
		.amdhsa_reserve_vcc 1
		.amdhsa_reserve_flat_scratch 1
		.amdhsa_float_round_mode_32 0
		.amdhsa_float_round_mode_16_64 0
		.amdhsa_float_denorm_mode_32 3
		.amdhsa_float_denorm_mode_16_64 3
		.amdhsa_dx10_clamp 1
		.amdhsa_ieee_mode 1
		.amdhsa_fp16_overflow 0
		.amdhsa_tg_split 0
		.amdhsa_exception_fp_ieee_invalid_op 0
		.amdhsa_exception_fp_denorm_src 0
		.amdhsa_exception_fp_ieee_div_zero 0
		.amdhsa_exception_fp_ieee_overflow 0
		.amdhsa_exception_fp_ieee_underflow 0
		.amdhsa_exception_fp_ieee_inexact 0
		.amdhsa_exception_int_div_zero 0
	.end_amdhsa_kernel
	.section	.text._ZN9rocsolver6v33100L18getri_kernel_smallILi24EdPdEEvT1_iilPiilS4_bb,"axG",@progbits,_ZN9rocsolver6v33100L18getri_kernel_smallILi24EdPdEEvT1_iilPiilS4_bb,comdat
.Lfunc_end23:
	.size	_ZN9rocsolver6v33100L18getri_kernel_smallILi24EdPdEEvT1_iilPiilS4_bb, .Lfunc_end23-_ZN9rocsolver6v33100L18getri_kernel_smallILi24EdPdEEvT1_iilPiilS4_bb
                                        ; -- End function
	.section	.AMDGPU.csdata,"",@progbits
; Kernel info:
; codeLenInByte = 20444
; NumSgprs: 29
; NumVgprs: 126
; NumAgprs: 0
; TotalNumVgprs: 126
; ScratchSize: 208
; MemoryBound: 0
; FloatMode: 240
; IeeeMode: 1
; LDSByteSize: 392 bytes/workgroup (compile time only)
; SGPRBlocks: 3
; VGPRBlocks: 15
; NumSGPRsForWavesPerEU: 29
; NumVGPRsForWavesPerEU: 126
; AccumOffset: 128
; Occupancy: 4
; WaveLimiterHint : 1
; COMPUTE_PGM_RSRC2:SCRATCH_EN: 1
; COMPUTE_PGM_RSRC2:USER_SGPR: 8
; COMPUTE_PGM_RSRC2:TRAP_HANDLER: 0
; COMPUTE_PGM_RSRC2:TGID_X_EN: 1
; COMPUTE_PGM_RSRC2:TGID_Y_EN: 0
; COMPUTE_PGM_RSRC2:TGID_Z_EN: 0
; COMPUTE_PGM_RSRC2:TIDIG_COMP_CNT: 0
; COMPUTE_PGM_RSRC3_GFX90A:ACCUM_OFFSET: 31
; COMPUTE_PGM_RSRC3_GFX90A:TG_SPLIT: 0
	.section	.text._ZN9rocsolver6v33100L18getri_kernel_smallILi25EdPdEEvT1_iilPiilS4_bb,"axG",@progbits,_ZN9rocsolver6v33100L18getri_kernel_smallILi25EdPdEEvT1_iilPiilS4_bb,comdat
	.globl	_ZN9rocsolver6v33100L18getri_kernel_smallILi25EdPdEEvT1_iilPiilS4_bb ; -- Begin function _ZN9rocsolver6v33100L18getri_kernel_smallILi25EdPdEEvT1_iilPiilS4_bb
	.p2align	8
	.type	_ZN9rocsolver6v33100L18getri_kernel_smallILi25EdPdEEvT1_iilPiilS4_bb,@function
_ZN9rocsolver6v33100L18getri_kernel_smallILi25EdPdEEvT1_iilPiilS4_bb: ; @_ZN9rocsolver6v33100L18getri_kernel_smallILi25EdPdEEvT1_iilPiilS4_bb
; %bb.0:
	s_add_u32 flat_scratch_lo, s6, s9
	s_addc_u32 flat_scratch_hi, s7, 0
	s_add_u32 s0, s0, s9
	s_addc_u32 s1, s1, 0
	v_cmp_gt_u32_e32 vcc, 25, v0
	s_and_saveexec_b64 s[6:7], vcc
	s_cbranch_execz .LBB24_108
; %bb.1:
	s_load_dword s22, s[4:5], 0x38
	s_load_dwordx4 s[16:19], s[4:5], 0x10
	s_load_dwordx4 s[12:15], s[4:5], 0x28
                                        ; implicit-def: $sgpr10_sgpr11
	s_waitcnt lgkmcnt(0)
	s_bitcmp1_b32 s22, 8
	s_cselect_b64 s[20:21], -1, 0
	s_ashr_i32 s9, s8, 31
	s_bfe_u32 s6, s22, 0x10008
	s_cmp_eq_u32 s6, 0
	s_cbranch_scc1 .LBB24_3
; %bb.2:
	s_load_dword s6, s[4:5], 0x20
	s_mul_i32 s7, s8, s13
	s_mul_hi_u32 s10, s8, s12
	s_mul_i32 s11, s9, s12
	s_add_i32 s10, s10, s7
	s_add_i32 s11, s10, s11
	s_mul_i32 s10, s8, s12
	s_waitcnt lgkmcnt(0)
	s_ashr_i32 s7, s6, 31
	s_lshl_b64 s[10:11], s[10:11], 2
	s_add_u32 s10, s18, s10
	s_addc_u32 s11, s19, s11
	s_lshl_b64 s[6:7], s[6:7], 2
	s_add_u32 s10, s10, s6
	s_addc_u32 s11, s11, s7
.LBB24_3:
	s_load_dwordx4 s[4:7], s[4:5], 0x0
	s_mul_i32 s12, s8, s17
	s_mul_hi_u32 s13, s8, s16
	s_add_i32 s17, s13, s12
	v_lshlrev_b32_e32 v1, 3, v0
	s_waitcnt lgkmcnt(0)
	s_ashr_i32 s13, s6, 31
	s_mov_b32 s12, s6
	s_mul_i32 s6, s9, s16
	s_add_i32 s17, s17, s6
	s_mul_i32 s16, s8, s16
	s_lshl_b64 s[16:17], s[16:17], 3
	s_add_u32 s6, s4, s16
	s_addc_u32 s16, s5, s17
	s_lshl_b64 s[4:5], s[12:13], 3
	s_add_u32 s4, s6, s4
	s_addc_u32 s5, s16, s5
	v_mov_b32_e32 v3, s5
	v_add_co_u32_e32 v2, vcc, s4, v1
	s_ashr_i32 s13, s7, 31
	s_mov_b32 s12, s7
	s_add_i32 s6, s7, s7
	v_addc_co_u32_e32 v3, vcc, 0, v3, vcc
	s_lshl_b64 s[12:13], s[12:13], 3
	v_add_u32_e32 v8, s6, v0
	v_mov_b32_e32 v5, s13
	v_add_co_u32_e32 v4, vcc, s12, v2
	v_ashrrev_i32_e32 v9, 31, v8
	v_addc_co_u32_e32 v5, vcc, v3, v5, vcc
	v_lshlrev_b64 v[6:7], 3, v[8:9]
	v_add_u32_e32 v10, s7, v8
	v_mov_b32_e32 v9, s5
	v_add_co_u32_e32 v6, vcc, s4, v6
	v_ashrrev_i32_e32 v11, 31, v10
	v_addc_co_u32_e32 v7, vcc, v9, v7, vcc
	v_lshlrev_b64 v[8:9], 3, v[10:11]
	;; [unrolled: 6-line block ×22, first 2 shown]
	v_mov_b32_e32 v51, s5
	v_add_co_u32_e32 v48, vcc, s4, v48
	global_load_dwordx2 v[52:53], v1, s[4:5]
	global_load_dwordx2 v[60:61], v[4:5], off
	global_load_dwordx2 v[56:57], v[6:7], off
	;; [unrolled: 1-line block ×20, first 2 shown]
	v_addc_co_u32_e32 v49, vcc, v51, v49, vcc
	global_load_dwordx2 v[94:95], v[44:45], off
	global_load_dwordx2 v[96:97], v[46:47], off
	;; [unrolled: 1-line block ×3, first 2 shown]
	v_add_u32_e32 v50, s7, v50
	v_ashrrev_i32_e32 v51, 31, v50
	v_lshlrev_b64 v[50:51], 3, v[50:51]
	v_mov_b32_e32 v100, s5
	v_add_co_u32_e32 v50, vcc, s4, v50
	v_addc_co_u32_e32 v51, vcc, v100, v51, vcc
	global_load_dwordx2 v[100:101], v[50:51], off
	s_bitcmp0_b32 s22, 0
	s_mov_b64 s[6:7], -1
	s_waitcnt vmcnt(24)
	buffer_store_dword v53, off, s[0:3], 0 offset:4
	buffer_store_dword v52, off, s[0:3], 0
	s_waitcnt vmcnt(25)
	buffer_store_dword v61, off, s[0:3], 0 offset:12
	buffer_store_dword v60, off, s[0:3], 0 offset:8
	s_waitcnt vmcnt(26)
	buffer_store_dword v57, off, s[0:3], 0 offset:20
	buffer_store_dword v56, off, s[0:3], 0 offset:16
	s_waitcnt vmcnt(27)
	buffer_store_dword v55, off, s[0:3], 0 offset:28
	buffer_store_dword v54, off, s[0:3], 0 offset:24
	s_waitcnt vmcnt(28)
	buffer_store_dword v59, off, s[0:3], 0 offset:36
	buffer_store_dword v58, off, s[0:3], 0 offset:32
	s_waitcnt vmcnt(29)
	buffer_store_dword v69, off, s[0:3], 0 offset:44
	buffer_store_dword v68, off, s[0:3], 0 offset:40
	s_waitcnt vmcnt(30)
	buffer_store_dword v65, off, s[0:3], 0 offset:52
	buffer_store_dword v64, off, s[0:3], 0 offset:48
	s_waitcnt vmcnt(31)
	buffer_store_dword v63, off, s[0:3], 0 offset:60
	buffer_store_dword v62, off, s[0:3], 0 offset:56
	s_waitcnt vmcnt(32)
	buffer_store_dword v67, off, s[0:3], 0 offset:68
	buffer_store_dword v66, off, s[0:3], 0 offset:64
	s_waitcnt vmcnt(33)
	buffer_store_dword v70, off, s[0:3], 0 offset:72
	buffer_store_dword v71, off, s[0:3], 0 offset:76
	s_waitcnt vmcnt(34)
	buffer_store_dword v72, off, s[0:3], 0 offset:80
	buffer_store_dword v73, off, s[0:3], 0 offset:84
	s_waitcnt vmcnt(35)
	buffer_store_dword v74, off, s[0:3], 0 offset:88
	buffer_store_dword v75, off, s[0:3], 0 offset:92
	s_waitcnt vmcnt(36)
	buffer_store_dword v76, off, s[0:3], 0 offset:96
	buffer_store_dword v77, off, s[0:3], 0 offset:100
	s_waitcnt vmcnt(37)
	buffer_store_dword v78, off, s[0:3], 0 offset:104
	buffer_store_dword v79, off, s[0:3], 0 offset:108
	s_waitcnt vmcnt(38)
	buffer_store_dword v81, off, s[0:3], 0 offset:116
	buffer_store_dword v80, off, s[0:3], 0 offset:112
	s_waitcnt vmcnt(39)
	buffer_store_dword v82, off, s[0:3], 0 offset:120
	buffer_store_dword v83, off, s[0:3], 0 offset:124
	s_waitcnt vmcnt(40)
	buffer_store_dword v84, off, s[0:3], 0 offset:128
	buffer_store_dword v85, off, s[0:3], 0 offset:132
	s_waitcnt vmcnt(41)
	buffer_store_dword v86, off, s[0:3], 0 offset:136
	buffer_store_dword v87, off, s[0:3], 0 offset:140
	s_waitcnt vmcnt(42)
	buffer_store_dword v88, off, s[0:3], 0 offset:144
	buffer_store_dword v89, off, s[0:3], 0 offset:148
	s_waitcnt vmcnt(43)
	buffer_store_dword v91, off, s[0:3], 0 offset:156
	buffer_store_dword v90, off, s[0:3], 0 offset:152
	s_waitcnt vmcnt(44)
	buffer_store_dword v93, off, s[0:3], 0 offset:164
	buffer_store_dword v92, off, s[0:3], 0 offset:160
	s_waitcnt vmcnt(45)
	buffer_store_dword v94, off, s[0:3], 0 offset:168
	buffer_store_dword v95, off, s[0:3], 0 offset:172
	s_waitcnt vmcnt(46)
	buffer_store_dword v96, off, s[0:3], 0 offset:176
	buffer_store_dword v97, off, s[0:3], 0 offset:180
	s_waitcnt vmcnt(47)
	buffer_store_dword v98, off, s[0:3], 0 offset:184
	buffer_store_dword v99, off, s[0:3], 0 offset:188
	s_waitcnt vmcnt(48)
	buffer_store_dword v100, off, s[0:3], 0 offset:192
	buffer_store_dword v101, off, s[0:3], 0 offset:196
	s_cbranch_scc1 .LBB24_106
; %bb.4:
	v_cmp_eq_u32_e64 s[4:5], 0, v0
	s_and_saveexec_b64 s[6:7], s[4:5]
	s_cbranch_execz .LBB24_6
; %bb.5:
	v_mov_b32_e32 v52, 0
	ds_write_b32 v52, v52 offset:200
.LBB24_6:
	s_or_b64 exec, exec, s[6:7]
	v_mov_b32_e32 v52, 0
	v_lshl_add_u32 v52, v0, 3, v52
	s_waitcnt lgkmcnt(0)
	; wave barrier
	s_waitcnt lgkmcnt(0)
	buffer_load_dword v54, v52, s[0:3], 0 offen
	buffer_load_dword v55, v52, s[0:3], 0 offen offset:4
	s_waitcnt vmcnt(0)
	v_cmp_eq_f64_e32 vcc, 0, v[54:55]
	s_and_saveexec_b64 s[12:13], vcc
	s_cbranch_execz .LBB24_10
; %bb.7:
	v_mov_b32_e32 v53, 0
	ds_read_b32 v55, v53 offset:200
	v_add_u32_e32 v54, 1, v0
	s_waitcnt lgkmcnt(0)
	v_readfirstlane_b32 s6, v55
	s_cmp_eq_u32 s6, 0
	s_cselect_b64 s[16:17], -1, 0
	v_cmp_gt_i32_e32 vcc, s6, v54
	s_or_b64 s[16:17], s[16:17], vcc
	s_and_b64 exec, exec, s[16:17]
	s_cbranch_execz .LBB24_10
; %bb.8:
	s_mov_b64 s[16:17], 0
	v_mov_b32_e32 v55, s6
.LBB24_9:                               ; =>This Inner Loop Header: Depth=1
	ds_cmpst_rtn_b32 v55, v53, v55, v54 offset:200
	s_waitcnt lgkmcnt(0)
	v_cmp_ne_u32_e32 vcc, 0, v55
	v_cmp_le_i32_e64 s[6:7], v55, v54
	s_and_b64 s[6:7], vcc, s[6:7]
	s_and_b64 s[6:7], exec, s[6:7]
	s_or_b64 s[16:17], s[6:7], s[16:17]
	s_andn2_b64 exec, exec, s[16:17]
	s_cbranch_execnz .LBB24_9
.LBB24_10:
	s_or_b64 exec, exec, s[12:13]
	v_mov_b32_e32 v54, 0
	s_waitcnt lgkmcnt(0)
	; wave barrier
	ds_read_b32 v53, v54 offset:200
	s_and_saveexec_b64 s[6:7], s[4:5]
	s_cbranch_execz .LBB24_12
; %bb.11:
	s_lshl_b64 s[12:13], s[8:9], 2
	s_add_u32 s12, s14, s12
	s_addc_u32 s13, s15, s13
	s_waitcnt lgkmcnt(0)
	global_store_dword v54, v53, s[12:13]
.LBB24_12:
	s_or_b64 exec, exec, s[6:7]
	s_waitcnt lgkmcnt(0)
	v_cmp_ne_u32_e32 vcc, 0, v53
	s_mov_b64 s[6:7], 0
	s_cbranch_vccnz .LBB24_106
; %bb.13:
	buffer_load_dword v54, v52, s[0:3], 0 offen
	buffer_load_dword v55, v52, s[0:3], 0 offen offset:4
	s_waitcnt vmcnt(0)
	v_div_scale_f64 v[56:57], s[6:7], v[54:55], v[54:55], 1.0
	v_rcp_f64_e32 v[58:59], v[56:57]
	v_div_scale_f64 v[60:61], vcc, 1.0, v[54:55], 1.0
	v_fma_f64 v[62:63], -v[56:57], v[58:59], 1.0
	v_fmac_f64_e32 v[58:59], v[58:59], v[62:63]
	v_fma_f64 v[62:63], -v[56:57], v[58:59], 1.0
	v_fmac_f64_e32 v[58:59], v[58:59], v[62:63]
	v_mul_f64 v[62:63], v[60:61], v[58:59]
	v_fma_f64 v[56:57], -v[56:57], v[62:63], v[60:61]
	v_div_fmas_f64 v[56:57], v[56:57], v[58:59], v[62:63]
	v_div_fixup_f64 v[56:57], v[56:57], v[54:55], 1.0
	buffer_store_dword v57, v52, s[0:3], 0 offen offset:4
	buffer_store_dword v56, v52, s[0:3], 0 offen
	buffer_load_dword v59, off, s[0:3], 0 offset:12
	buffer_load_dword v58, off, s[0:3], 0 offset:8
	v_add_u32_e32 v54, 0xd0, v1
	v_xor_b32_e32 v57, 0x80000000, v57
	s_waitcnt vmcnt(0)
	ds_write2_b64 v1, v[56:57], v[58:59] offset1:26
	s_waitcnt lgkmcnt(0)
	; wave barrier
	s_waitcnt lgkmcnt(0)
	s_and_saveexec_b64 s[6:7], s[4:5]
	s_cbranch_execz .LBB24_15
; %bb.14:
	buffer_load_dword v56, v52, s[0:3], 0 offen
	buffer_load_dword v57, v52, s[0:3], 0 offen offset:4
	v_mov_b32_e32 v53, 0
	ds_read_b64 v[58:59], v54
	ds_read_b64 v[60:61], v53 offset:8
	s_waitcnt vmcnt(0) lgkmcnt(1)
	v_fma_f64 v[56:57], v[56:57], v[58:59], 0
	s_waitcnt lgkmcnt(0)
	v_mul_f64 v[56:57], v[56:57], v[60:61]
	buffer_store_dword v56, off, s[0:3], 0 offset:8
	buffer_store_dword v57, off, s[0:3], 0 offset:12
.LBB24_15:
	s_or_b64 exec, exec, s[6:7]
	s_waitcnt lgkmcnt(0)
	; wave barrier
	buffer_load_dword v56, off, s[0:3], 0 offset:16
	buffer_load_dword v57, off, s[0:3], 0 offset:20
	v_cmp_gt_u32_e32 vcc, 2, v0
	s_waitcnt vmcnt(0)
	ds_write_b64 v54, v[56:57]
	s_waitcnt lgkmcnt(0)
	; wave barrier
	s_waitcnt lgkmcnt(0)
	s_and_saveexec_b64 s[6:7], vcc
	s_cbranch_execz .LBB24_17
; %bb.16:
	buffer_load_dword v53, v52, s[0:3], 0 offen offset:4
	buffer_load_dword v60, off, s[0:3], 0 offset:8
	s_nop 0
	buffer_load_dword v52, v52, s[0:3], 0 offen
	s_nop 0
	buffer_load_dword v61, off, s[0:3], 0 offset:12
	ds_read_b64 v[62:63], v54
	v_mov_b32_e32 v55, 0
	ds_read2_b64 v[56:59], v55 offset0:2 offset1:27
	s_waitcnt vmcnt(1) lgkmcnt(1)
	v_fma_f64 v[52:53], v[52:53], v[62:63], 0
	s_waitcnt vmcnt(0) lgkmcnt(0)
	v_fma_f64 v[58:59], v[60:61], v[58:59], v[52:53]
	v_cndmask_b32_e64 v53, v53, v59, s[4:5]
	v_cndmask_b32_e64 v52, v52, v58, s[4:5]
	v_mul_f64 v[52:53], v[52:53], v[56:57]
	buffer_store_dword v53, off, s[0:3], 0 offset:20
	buffer_store_dword v52, off, s[0:3], 0 offset:16
.LBB24_17:
	s_or_b64 exec, exec, s[6:7]
	s_waitcnt lgkmcnt(0)
	; wave barrier
	buffer_load_dword v52, off, s[0:3], 0 offset:24
	buffer_load_dword v53, off, s[0:3], 0 offset:28
	v_cmp_gt_u32_e32 vcc, 3, v0
	v_add_u32_e32 v55, -1, v0
	s_waitcnt vmcnt(0)
	ds_write_b64 v54, v[52:53]
	s_waitcnt lgkmcnt(0)
	; wave barrier
	s_waitcnt lgkmcnt(0)
	s_and_saveexec_b64 s[4:5], vcc
	s_cbranch_execz .LBB24_21
; %bb.18:
	v_add_u32_e32 v56, -1, v0
	v_add_u32_e32 v57, 0xd0, v1
	v_add_u32_e32 v58, 0, v1
	s_mov_b64 s[6:7], 0
	v_pk_mov_b32 v[52:53], 0, 0
.LBB24_19:                              ; =>This Inner Loop Header: Depth=1
	buffer_load_dword v60, v58, s[0:3], 0 offen
	buffer_load_dword v61, v58, s[0:3], 0 offen offset:4
	ds_read_b64 v[62:63], v57
	v_add_u32_e32 v56, 1, v56
	v_cmp_lt_u32_e32 vcc, 1, v56
	v_add_u32_e32 v57, 8, v57
	v_add_u32_e32 v58, 8, v58
	s_or_b64 s[6:7], vcc, s[6:7]
	s_waitcnt vmcnt(0) lgkmcnt(0)
	v_fmac_f64_e32 v[52:53], v[60:61], v[62:63]
	s_andn2_b64 exec, exec, s[6:7]
	s_cbranch_execnz .LBB24_19
; %bb.20:
	s_or_b64 exec, exec, s[6:7]
	v_mov_b32_e32 v56, 0
	ds_read_b64 v[56:57], v56 offset:24
	s_waitcnt lgkmcnt(0)
	v_mul_f64 v[52:53], v[52:53], v[56:57]
	buffer_store_dword v53, off, s[0:3], 0 offset:28
	buffer_store_dword v52, off, s[0:3], 0 offset:24
.LBB24_21:
	s_or_b64 exec, exec, s[4:5]
	s_waitcnt lgkmcnt(0)
	; wave barrier
	buffer_load_dword v52, off, s[0:3], 0 offset:32
	buffer_load_dword v53, off, s[0:3], 0 offset:36
	v_cmp_gt_u32_e32 vcc, 4, v0
	s_waitcnt vmcnt(0)
	ds_write_b64 v54, v[52:53]
	s_waitcnt lgkmcnt(0)
	; wave barrier
	s_waitcnt lgkmcnt(0)
	s_and_saveexec_b64 s[4:5], vcc
	s_cbranch_execz .LBB24_25
; %bb.22:
	v_add_u32_e32 v56, -1, v0
	v_add_u32_e32 v57, 0xd0, v1
	v_add_u32_e32 v58, 0, v1
	s_mov_b64 s[6:7], 0
	v_pk_mov_b32 v[52:53], 0, 0
.LBB24_23:                              ; =>This Inner Loop Header: Depth=1
	buffer_load_dword v60, v58, s[0:3], 0 offen
	buffer_load_dword v61, v58, s[0:3], 0 offen offset:4
	ds_read_b64 v[62:63], v57
	v_add_u32_e32 v56, 1, v56
	v_cmp_lt_u32_e32 vcc, 2, v56
	v_add_u32_e32 v57, 8, v57
	v_add_u32_e32 v58, 8, v58
	s_or_b64 s[6:7], vcc, s[6:7]
	s_waitcnt vmcnt(0) lgkmcnt(0)
	v_fmac_f64_e32 v[52:53], v[60:61], v[62:63]
	s_andn2_b64 exec, exec, s[6:7]
	s_cbranch_execnz .LBB24_23
; %bb.24:
	s_or_b64 exec, exec, s[6:7]
	v_mov_b32_e32 v56, 0
	ds_read_b64 v[56:57], v56 offset:32
	s_waitcnt lgkmcnt(0)
	v_mul_f64 v[52:53], v[52:53], v[56:57]
	buffer_store_dword v53, off, s[0:3], 0 offset:36
	buffer_store_dword v52, off, s[0:3], 0 offset:32
.LBB24_25:
	s_or_b64 exec, exec, s[4:5]
	s_waitcnt lgkmcnt(0)
	; wave barrier
	buffer_load_dword v52, off, s[0:3], 0 offset:40
	buffer_load_dword v53, off, s[0:3], 0 offset:44
	v_cmp_gt_u32_e32 vcc, 5, v0
	;; [unrolled: 41-line block ×20, first 2 shown]
	s_waitcnt vmcnt(0)
	ds_write_b64 v54, v[52:53]
	s_waitcnt lgkmcnt(0)
	; wave barrier
	s_waitcnt lgkmcnt(0)
	s_and_saveexec_b64 s[4:5], vcc
	s_cbranch_execz .LBB24_101
; %bb.98:
	v_add_u32_e32 v56, -1, v0
	v_add_u32_e32 v57, 0xd0, v1
	v_add_u32_e32 v58, 0, v1
	s_mov_b64 s[6:7], 0
	v_pk_mov_b32 v[52:53], 0, 0
.LBB24_99:                              ; =>This Inner Loop Header: Depth=1
	buffer_load_dword v60, v58, s[0:3], 0 offen
	buffer_load_dword v61, v58, s[0:3], 0 offen offset:4
	ds_read_b64 v[62:63], v57
	v_add_u32_e32 v56, 1, v56
	v_cmp_lt_u32_e32 vcc, 21, v56
	v_add_u32_e32 v57, 8, v57
	v_add_u32_e32 v58, 8, v58
	s_or_b64 s[6:7], vcc, s[6:7]
	s_waitcnt vmcnt(0) lgkmcnt(0)
	v_fmac_f64_e32 v[52:53], v[60:61], v[62:63]
	s_andn2_b64 exec, exec, s[6:7]
	s_cbranch_execnz .LBB24_99
; %bb.100:
	s_or_b64 exec, exec, s[6:7]
	v_mov_b32_e32 v56, 0
	ds_read_b64 v[56:57], v56 offset:184
	s_waitcnt lgkmcnt(0)
	v_mul_f64 v[52:53], v[52:53], v[56:57]
	buffer_store_dword v53, off, s[0:3], 0 offset:188
	buffer_store_dword v52, off, s[0:3], 0 offset:184
.LBB24_101:
	s_or_b64 exec, exec, s[4:5]
	s_waitcnt lgkmcnt(0)
	; wave barrier
	buffer_load_dword v52, off, s[0:3], 0 offset:192
	buffer_load_dword v53, off, s[0:3], 0 offset:196
	v_cmp_ne_u32_e32 vcc, 24, v0
	s_waitcnt vmcnt(0)
	ds_write_b64 v54, v[52:53]
	s_waitcnt lgkmcnt(0)
	; wave barrier
	s_waitcnt lgkmcnt(0)
	s_and_saveexec_b64 s[4:5], vcc
	s_cbranch_execz .LBB24_105
; %bb.102:
	v_add_u32_e32 v54, 0xd0, v1
	v_add_u32_e32 v1, 0, v1
	s_mov_b64 s[6:7], 0
	v_pk_mov_b32 v[52:53], 0, 0
.LBB24_103:                             ; =>This Inner Loop Header: Depth=1
	buffer_load_dword v56, v1, s[0:3], 0 offen
	buffer_load_dword v57, v1, s[0:3], 0 offen offset:4
	ds_read_b64 v[58:59], v54
	v_add_u32_e32 v55, 1, v55
	v_cmp_lt_u32_e32 vcc, 22, v55
	v_add_u32_e32 v54, 8, v54
	v_add_u32_e32 v1, 8, v1
	s_or_b64 s[6:7], vcc, s[6:7]
	s_waitcnt vmcnt(0) lgkmcnt(0)
	v_fmac_f64_e32 v[52:53], v[56:57], v[58:59]
	s_andn2_b64 exec, exec, s[6:7]
	s_cbranch_execnz .LBB24_103
; %bb.104:
	s_or_b64 exec, exec, s[6:7]
	v_mov_b32_e32 v1, 0
	ds_read_b64 v[54:55], v1 offset:192
	s_waitcnt lgkmcnt(0)
	v_mul_f64 v[52:53], v[52:53], v[54:55]
	buffer_store_dword v53, off, s[0:3], 0 offset:196
	buffer_store_dword v52, off, s[0:3], 0 offset:192
.LBB24_105:
	s_or_b64 exec, exec, s[4:5]
	s_mov_b64 s[6:7], -1
	s_waitcnt lgkmcnt(0)
	; wave barrier
.LBB24_106:
	s_and_b64 vcc, exec, s[6:7]
	s_cbranch_vccz .LBB24_108
; %bb.107:
	s_lshl_b64 s[4:5], s[8:9], 2
	s_add_u32 s4, s14, s4
	s_addc_u32 s5, s15, s5
	v_mov_b32_e32 v1, 0
	global_load_dword v1, v1, s[4:5]
	s_waitcnt vmcnt(0)
	v_cmp_ne_u32_e32 vcc, 0, v1
	s_cbranch_vccz .LBB24_109
.LBB24_108:
	s_endpgm
.LBB24_109:
	v_mov_b32_e32 v1, 0xd0
	v_lshl_add_u32 v1, v0, 3, v1
	v_cmp_eq_u32_e32 vcc, 24, v0
	s_and_saveexec_b64 s[4:5], vcc
	s_cbranch_execz .LBB24_111
; %bb.110:
	buffer_load_dword v52, off, s[0:3], 0 offset:184
	buffer_load_dword v53, off, s[0:3], 0 offset:188
	v_mov_b32_e32 v54, 0
	buffer_store_dword v54, off, s[0:3], 0 offset:184
	buffer_store_dword v54, off, s[0:3], 0 offset:188
	s_waitcnt vmcnt(2)
	ds_write_b64 v1, v[52:53]
.LBB24_111:
	s_or_b64 exec, exec, s[4:5]
	s_waitcnt lgkmcnt(0)
	; wave barrier
	s_waitcnt lgkmcnt(0)
	buffer_load_dword v54, off, s[0:3], 0 offset:192
	buffer_load_dword v55, off, s[0:3], 0 offset:196
	buffer_load_dword v56, off, s[0:3], 0 offset:184
	buffer_load_dword v57, off, s[0:3], 0 offset:188
	v_mov_b32_e32 v52, 0
	ds_read_b64 v[58:59], v52 offset:400
	v_cmp_lt_u32_e32 vcc, 22, v0
	s_waitcnt vmcnt(2) lgkmcnt(0)
	v_fma_f64 v[54:55], v[54:55], v[58:59], 0
	s_waitcnt vmcnt(0)
	v_add_f64 v[54:55], v[56:57], -v[54:55]
	buffer_store_dword v54, off, s[0:3], 0 offset:184
	buffer_store_dword v55, off, s[0:3], 0 offset:188
	s_and_saveexec_b64 s[4:5], vcc
	s_cbranch_execz .LBB24_113
; %bb.112:
	buffer_load_dword v54, off, s[0:3], 0 offset:176
	buffer_load_dword v55, off, s[0:3], 0 offset:180
	s_waitcnt vmcnt(0)
	ds_write_b64 v1, v[54:55]
	buffer_store_dword v52, off, s[0:3], 0 offset:176
	buffer_store_dword v52, off, s[0:3], 0 offset:180
.LBB24_113:
	s_or_b64 exec, exec, s[4:5]
	s_waitcnt lgkmcnt(0)
	; wave barrier
	s_waitcnt lgkmcnt(0)
	buffer_load_dword v56, off, s[0:3], 0 offset:184
	buffer_load_dword v57, off, s[0:3], 0 offset:188
	;; [unrolled: 1-line block ×6, first 2 shown]
	ds_read2_b64 v[52:55], v52 offset0:49 offset1:50
	v_cmp_lt_u32_e32 vcc, 21, v0
	s_waitcnt vmcnt(4) lgkmcnt(0)
	v_fma_f64 v[52:53], v[56:57], v[52:53], 0
	s_waitcnt vmcnt(2)
	v_fmac_f64_e32 v[52:53], v[58:59], v[54:55]
	s_waitcnt vmcnt(0)
	v_add_f64 v[52:53], v[60:61], -v[52:53]
	buffer_store_dword v52, off, s[0:3], 0 offset:176
	buffer_store_dword v53, off, s[0:3], 0 offset:180
	s_and_saveexec_b64 s[4:5], vcc
	s_cbranch_execz .LBB24_115
; %bb.114:
	buffer_load_dword v52, off, s[0:3], 0 offset:168
	buffer_load_dword v53, off, s[0:3], 0 offset:172
	v_mov_b32_e32 v54, 0
	buffer_store_dword v54, off, s[0:3], 0 offset:168
	buffer_store_dword v54, off, s[0:3], 0 offset:172
	s_waitcnt vmcnt(2)
	ds_write_b64 v1, v[52:53]
.LBB24_115:
	s_or_b64 exec, exec, s[4:5]
	s_waitcnt lgkmcnt(0)
	; wave barrier
	s_waitcnt lgkmcnt(0)
	buffer_load_dword v58, off, s[0:3], 0 offset:176
	buffer_load_dword v59, off, s[0:3], 0 offset:180
	buffer_load_dword v60, off, s[0:3], 0 offset:184
	buffer_load_dword v61, off, s[0:3], 0 offset:188
	buffer_load_dword v62, off, s[0:3], 0 offset:192
	buffer_load_dword v63, off, s[0:3], 0 offset:196
	buffer_load_dword v64, off, s[0:3], 0 offset:168
	buffer_load_dword v65, off, s[0:3], 0 offset:172
	v_mov_b32_e32 v52, 0
	ds_read_b128 v[54:57], v52 offset:384
	ds_read_b64 v[66:67], v52 offset:400
	v_cmp_lt_u32_e32 vcc, 20, v0
	s_waitcnt vmcnt(6) lgkmcnt(1)
	v_fma_f64 v[54:55], v[58:59], v[54:55], 0
	s_waitcnt vmcnt(4)
	v_fmac_f64_e32 v[54:55], v[60:61], v[56:57]
	s_waitcnt vmcnt(2) lgkmcnt(0)
	v_fmac_f64_e32 v[54:55], v[62:63], v[66:67]
	s_waitcnt vmcnt(0)
	v_add_f64 v[54:55], v[64:65], -v[54:55]
	buffer_store_dword v54, off, s[0:3], 0 offset:168
	buffer_store_dword v55, off, s[0:3], 0 offset:172
	s_and_saveexec_b64 s[4:5], vcc
	s_cbranch_execz .LBB24_117
; %bb.116:
	buffer_load_dword v54, off, s[0:3], 0 offset:160
	buffer_load_dword v55, off, s[0:3], 0 offset:164
	s_waitcnt vmcnt(0)
	ds_write_b64 v1, v[54:55]
	buffer_store_dword v52, off, s[0:3], 0 offset:160
	buffer_store_dword v52, off, s[0:3], 0 offset:164
.LBB24_117:
	s_or_b64 exec, exec, s[4:5]
	s_waitcnt lgkmcnt(0)
	; wave barrier
	s_waitcnt lgkmcnt(0)
	buffer_load_dword v62, off, s[0:3], 0 offset:168
	buffer_load_dword v63, off, s[0:3], 0 offset:172
	buffer_load_dword v64, off, s[0:3], 0 offset:176
	buffer_load_dword v65, off, s[0:3], 0 offset:180
	buffer_load_dword v66, off, s[0:3], 0 offset:184
	buffer_load_dword v67, off, s[0:3], 0 offset:188
	buffer_load_dword v68, off, s[0:3], 0 offset:192
	buffer_load_dword v69, off, s[0:3], 0 offset:196
	buffer_load_dword v70, off, s[0:3], 0 offset:160
	buffer_load_dword v71, off, s[0:3], 0 offset:164
	ds_read2_b64 v[54:57], v52 offset0:47 offset1:48
	ds_read2_b64 v[58:61], v52 offset0:49 offset1:50
	v_cmp_lt_u32_e32 vcc, 19, v0
	s_waitcnt vmcnt(8) lgkmcnt(1)
	v_fma_f64 v[52:53], v[62:63], v[54:55], 0
	s_waitcnt vmcnt(6)
	v_fmac_f64_e32 v[52:53], v[64:65], v[56:57]
	s_waitcnt vmcnt(4) lgkmcnt(0)
	v_fmac_f64_e32 v[52:53], v[66:67], v[58:59]
	s_waitcnt vmcnt(2)
	v_fmac_f64_e32 v[52:53], v[68:69], v[60:61]
	s_waitcnt vmcnt(0)
	v_add_f64 v[52:53], v[70:71], -v[52:53]
	buffer_store_dword v52, off, s[0:3], 0 offset:160
	buffer_store_dword v53, off, s[0:3], 0 offset:164
	s_and_saveexec_b64 s[4:5], vcc
	s_cbranch_execz .LBB24_119
; %bb.118:
	buffer_load_dword v52, off, s[0:3], 0 offset:152
	buffer_load_dword v53, off, s[0:3], 0 offset:156
	v_mov_b32_e32 v54, 0
	buffer_store_dword v54, off, s[0:3], 0 offset:152
	buffer_store_dword v54, off, s[0:3], 0 offset:156
	s_waitcnt vmcnt(2)
	ds_write_b64 v1, v[52:53]
.LBB24_119:
	s_or_b64 exec, exec, s[4:5]
	s_waitcnt lgkmcnt(0)
	; wave barrier
	s_waitcnt lgkmcnt(0)
	buffer_load_dword v62, off, s[0:3], 0 offset:160
	buffer_load_dword v63, off, s[0:3], 0 offset:164
	;; [unrolled: 1-line block ×12, first 2 shown]
	v_mov_b32_e32 v52, 0
	ds_read_b128 v[54:57], v52 offset:368
	ds_read_b128 v[58:61], v52 offset:384
	ds_read_b64 v[74:75], v52 offset:400
	v_cmp_lt_u32_e32 vcc, 18, v0
	s_waitcnt vmcnt(10) lgkmcnt(2)
	v_fma_f64 v[54:55], v[62:63], v[54:55], 0
	s_waitcnt vmcnt(8)
	v_fmac_f64_e32 v[54:55], v[64:65], v[56:57]
	s_waitcnt vmcnt(6) lgkmcnt(1)
	v_fmac_f64_e32 v[54:55], v[66:67], v[58:59]
	s_waitcnt vmcnt(4)
	v_fmac_f64_e32 v[54:55], v[68:69], v[60:61]
	s_waitcnt vmcnt(2) lgkmcnt(0)
	v_fmac_f64_e32 v[54:55], v[70:71], v[74:75]
	s_waitcnt vmcnt(0)
	v_add_f64 v[54:55], v[72:73], -v[54:55]
	buffer_store_dword v54, off, s[0:3], 0 offset:152
	buffer_store_dword v55, off, s[0:3], 0 offset:156
	s_and_saveexec_b64 s[4:5], vcc
	s_cbranch_execz .LBB24_121
; %bb.120:
	buffer_load_dword v54, off, s[0:3], 0 offset:144
	buffer_load_dword v55, off, s[0:3], 0 offset:148
	s_waitcnt vmcnt(0)
	ds_write_b64 v1, v[54:55]
	buffer_store_dword v52, off, s[0:3], 0 offset:144
	buffer_store_dword v52, off, s[0:3], 0 offset:148
.LBB24_121:
	s_or_b64 exec, exec, s[4:5]
	s_waitcnt lgkmcnt(0)
	; wave barrier
	s_waitcnt lgkmcnt(0)
	buffer_load_dword v66, off, s[0:3], 0 offset:152
	buffer_load_dword v67, off, s[0:3], 0 offset:156
	;; [unrolled: 1-line block ×14, first 2 shown]
	ds_read2_b64 v[54:57], v52 offset0:45 offset1:46
	ds_read2_b64 v[58:61], v52 offset0:47 offset1:48
	;; [unrolled: 1-line block ×3, first 2 shown]
	v_cmp_lt_u32_e32 vcc, 17, v0
	s_waitcnt vmcnt(12) lgkmcnt(2)
	v_fma_f64 v[52:53], v[66:67], v[54:55], 0
	s_waitcnt vmcnt(10)
	v_fmac_f64_e32 v[52:53], v[68:69], v[56:57]
	s_waitcnt vmcnt(8) lgkmcnt(1)
	v_fmac_f64_e32 v[52:53], v[70:71], v[58:59]
	s_waitcnt vmcnt(6)
	v_fmac_f64_e32 v[52:53], v[72:73], v[60:61]
	s_waitcnt vmcnt(4) lgkmcnt(0)
	v_fmac_f64_e32 v[52:53], v[74:75], v[62:63]
	s_waitcnt vmcnt(2)
	v_fmac_f64_e32 v[52:53], v[76:77], v[64:65]
	s_waitcnt vmcnt(0)
	v_add_f64 v[52:53], v[78:79], -v[52:53]
	buffer_store_dword v52, off, s[0:3], 0 offset:144
	buffer_store_dword v53, off, s[0:3], 0 offset:148
	s_and_saveexec_b64 s[4:5], vcc
	s_cbranch_execz .LBB24_123
; %bb.122:
	buffer_load_dword v52, off, s[0:3], 0 offset:136
	buffer_load_dword v53, off, s[0:3], 0 offset:140
	v_mov_b32_e32 v54, 0
	buffer_store_dword v54, off, s[0:3], 0 offset:136
	buffer_store_dword v54, off, s[0:3], 0 offset:140
	s_waitcnt vmcnt(2)
	ds_write_b64 v1, v[52:53]
.LBB24_123:
	s_or_b64 exec, exec, s[4:5]
	s_waitcnt lgkmcnt(0)
	; wave barrier
	s_waitcnt lgkmcnt(0)
	buffer_load_dword v66, off, s[0:3], 0 offset:144
	buffer_load_dword v67, off, s[0:3], 0 offset:148
	;; [unrolled: 1-line block ×16, first 2 shown]
	v_mov_b32_e32 v52, 0
	ds_read_b128 v[54:57], v52 offset:352
	ds_read_b128 v[58:61], v52 offset:368
	;; [unrolled: 1-line block ×3, first 2 shown]
	ds_read_b64 v[82:83], v52 offset:400
	v_cmp_lt_u32_e32 vcc, 16, v0
	s_waitcnt vmcnt(14) lgkmcnt(3)
	v_fma_f64 v[54:55], v[66:67], v[54:55], 0
	s_waitcnt vmcnt(12)
	v_fmac_f64_e32 v[54:55], v[68:69], v[56:57]
	s_waitcnt vmcnt(10) lgkmcnt(2)
	v_fmac_f64_e32 v[54:55], v[70:71], v[58:59]
	s_waitcnt vmcnt(8)
	v_fmac_f64_e32 v[54:55], v[72:73], v[60:61]
	s_waitcnt vmcnt(6) lgkmcnt(1)
	v_fmac_f64_e32 v[54:55], v[74:75], v[62:63]
	;; [unrolled: 4-line block ×3, first 2 shown]
	s_waitcnt vmcnt(0)
	v_add_f64 v[54:55], v[80:81], -v[54:55]
	buffer_store_dword v54, off, s[0:3], 0 offset:136
	buffer_store_dword v55, off, s[0:3], 0 offset:140
	s_and_saveexec_b64 s[4:5], vcc
	s_cbranch_execz .LBB24_125
; %bb.124:
	buffer_load_dword v54, off, s[0:3], 0 offset:128
	buffer_load_dword v55, off, s[0:3], 0 offset:132
	s_waitcnt vmcnt(0)
	ds_write_b64 v1, v[54:55]
	buffer_store_dword v52, off, s[0:3], 0 offset:128
	buffer_store_dword v52, off, s[0:3], 0 offset:132
.LBB24_125:
	s_or_b64 exec, exec, s[4:5]
	s_waitcnt lgkmcnt(0)
	; wave barrier
	s_waitcnt lgkmcnt(0)
	buffer_load_dword v70, off, s[0:3], 0 offset:136
	buffer_load_dword v71, off, s[0:3], 0 offset:140
	;; [unrolled: 1-line block ×18, first 2 shown]
	ds_read2_b64 v[54:57], v52 offset0:43 offset1:44
	ds_read2_b64 v[58:61], v52 offset0:45 offset1:46
	;; [unrolled: 1-line block ×4, first 2 shown]
	v_cmp_lt_u32_e32 vcc, 15, v0
	s_waitcnt vmcnt(16) lgkmcnt(3)
	v_fma_f64 v[52:53], v[70:71], v[54:55], 0
	s_waitcnt vmcnt(14)
	v_fmac_f64_e32 v[52:53], v[72:73], v[56:57]
	s_waitcnt vmcnt(12) lgkmcnt(2)
	v_fmac_f64_e32 v[52:53], v[74:75], v[58:59]
	s_waitcnt vmcnt(10)
	v_fmac_f64_e32 v[52:53], v[76:77], v[60:61]
	s_waitcnt vmcnt(8) lgkmcnt(1)
	v_fmac_f64_e32 v[52:53], v[78:79], v[62:63]
	s_waitcnt vmcnt(6)
	v_fmac_f64_e32 v[52:53], v[80:81], v[64:65]
	s_waitcnt vmcnt(4) lgkmcnt(0)
	v_fmac_f64_e32 v[52:53], v[82:83], v[66:67]
	s_waitcnt vmcnt(2)
	v_fmac_f64_e32 v[52:53], v[84:85], v[68:69]
	s_waitcnt vmcnt(0)
	v_add_f64 v[52:53], v[86:87], -v[52:53]
	buffer_store_dword v52, off, s[0:3], 0 offset:128
	buffer_store_dword v53, off, s[0:3], 0 offset:132
	s_and_saveexec_b64 s[4:5], vcc
	s_cbranch_execz .LBB24_127
; %bb.126:
	buffer_load_dword v52, off, s[0:3], 0 offset:120
	buffer_load_dword v53, off, s[0:3], 0 offset:124
	v_mov_b32_e32 v54, 0
	buffer_store_dword v54, off, s[0:3], 0 offset:120
	buffer_store_dword v54, off, s[0:3], 0 offset:124
	s_waitcnt vmcnt(2)
	ds_write_b64 v1, v[52:53]
.LBB24_127:
	s_or_b64 exec, exec, s[4:5]
	s_waitcnt lgkmcnt(0)
	; wave barrier
	s_waitcnt lgkmcnt(0)
	buffer_load_dword v70, off, s[0:3], 0 offset:128
	buffer_load_dword v71, off, s[0:3], 0 offset:132
	;; [unrolled: 1-line block ×20, first 2 shown]
	v_mov_b32_e32 v52, 0
	ds_read_b128 v[54:57], v52 offset:336
	ds_read_b128 v[58:61], v52 offset:352
	;; [unrolled: 1-line block ×4, first 2 shown]
	ds_read_b64 v[90:91], v52 offset:400
	v_cmp_lt_u32_e32 vcc, 14, v0
	s_waitcnt vmcnt(18) lgkmcnt(4)
	v_fma_f64 v[54:55], v[70:71], v[54:55], 0
	s_waitcnt vmcnt(16)
	v_fmac_f64_e32 v[54:55], v[72:73], v[56:57]
	s_waitcnt vmcnt(14) lgkmcnt(3)
	v_fmac_f64_e32 v[54:55], v[74:75], v[58:59]
	s_waitcnt vmcnt(12)
	v_fmac_f64_e32 v[54:55], v[76:77], v[60:61]
	s_waitcnt vmcnt(10) lgkmcnt(2)
	v_fmac_f64_e32 v[54:55], v[78:79], v[62:63]
	s_waitcnt vmcnt(8)
	v_fmac_f64_e32 v[54:55], v[80:81], v[64:65]
	s_waitcnt vmcnt(6) lgkmcnt(1)
	v_fmac_f64_e32 v[54:55], v[82:83], v[66:67]
	s_waitcnt vmcnt(2)
	v_fmac_f64_e32 v[54:55], v[86:87], v[68:69]
	s_waitcnt lgkmcnt(0)
	v_fmac_f64_e32 v[54:55], v[84:85], v[90:91]
	s_waitcnt vmcnt(0)
	v_add_f64 v[54:55], v[88:89], -v[54:55]
	buffer_store_dword v54, off, s[0:3], 0 offset:120
	buffer_store_dword v55, off, s[0:3], 0 offset:124
	s_and_saveexec_b64 s[4:5], vcc
	s_cbranch_execz .LBB24_129
; %bb.128:
	buffer_load_dword v54, off, s[0:3], 0 offset:112
	buffer_load_dword v55, off, s[0:3], 0 offset:116
	s_waitcnt vmcnt(0)
	ds_write_b64 v1, v[54:55]
	buffer_store_dword v52, off, s[0:3], 0 offset:112
	buffer_store_dword v52, off, s[0:3], 0 offset:116
.LBB24_129:
	s_or_b64 exec, exec, s[4:5]
	s_waitcnt lgkmcnt(0)
	; wave barrier
	s_waitcnt lgkmcnt(0)
	buffer_load_dword v74, off, s[0:3], 0 offset:120
	buffer_load_dword v75, off, s[0:3], 0 offset:124
	buffer_load_dword v76, off, s[0:3], 0 offset:128
	buffer_load_dword v77, off, s[0:3], 0 offset:132
	buffer_load_dword v78, off, s[0:3], 0 offset:136
	buffer_load_dword v79, off, s[0:3], 0 offset:140
	buffer_load_dword v80, off, s[0:3], 0 offset:144
	buffer_load_dword v81, off, s[0:3], 0 offset:148
	buffer_load_dword v82, off, s[0:3], 0 offset:152
	buffer_load_dword v83, off, s[0:3], 0 offset:156
	buffer_load_dword v84, off, s[0:3], 0 offset:160
	buffer_load_dword v85, off, s[0:3], 0 offset:164
	buffer_load_dword v86, off, s[0:3], 0 offset:168
	buffer_load_dword v87, off, s[0:3], 0 offset:172
	buffer_load_dword v88, off, s[0:3], 0 offset:192
	buffer_load_dword v91, off, s[0:3], 0 offset:188
	buffer_load_dword v90, off, s[0:3], 0 offset:184
	buffer_load_dword v93, off, s[0:3], 0 offset:180
	buffer_load_dword v92, off, s[0:3], 0 offset:176
	buffer_load_dword v89, off, s[0:3], 0 offset:196
	buffer_load_dword v94, off, s[0:3], 0 offset:112
	buffer_load_dword v95, off, s[0:3], 0 offset:116
	ds_read2_b64 v[54:57], v52 offset0:41 offset1:42
	ds_read2_b64 v[58:61], v52 offset0:43 offset1:44
	;; [unrolled: 1-line block ×5, first 2 shown]
	v_cmp_lt_u32_e32 vcc, 13, v0
	s_waitcnt vmcnt(20) lgkmcnt(4)
	v_fma_f64 v[52:53], v[74:75], v[54:55], 0
	s_waitcnt vmcnt(18)
	v_fmac_f64_e32 v[52:53], v[76:77], v[56:57]
	s_waitcnt vmcnt(16) lgkmcnt(3)
	v_fmac_f64_e32 v[52:53], v[78:79], v[58:59]
	s_waitcnt vmcnt(14)
	v_fmac_f64_e32 v[52:53], v[80:81], v[60:61]
	s_waitcnt vmcnt(12) lgkmcnt(2)
	v_fmac_f64_e32 v[52:53], v[82:83], v[62:63]
	;; [unrolled: 4-line block ×3, first 2 shown]
	s_waitcnt vmcnt(3)
	v_fmac_f64_e32 v[52:53], v[92:93], v[68:69]
	s_waitcnt lgkmcnt(0)
	v_fmac_f64_e32 v[52:53], v[90:91], v[70:71]
	s_waitcnt vmcnt(2)
	v_fmac_f64_e32 v[52:53], v[88:89], v[72:73]
	s_waitcnt vmcnt(0)
	v_add_f64 v[52:53], v[94:95], -v[52:53]
	buffer_store_dword v52, off, s[0:3], 0 offset:112
	buffer_store_dword v53, off, s[0:3], 0 offset:116
	s_and_saveexec_b64 s[4:5], vcc
	s_cbranch_execz .LBB24_131
; %bb.130:
	buffer_load_dword v52, off, s[0:3], 0 offset:104
	buffer_load_dword v53, off, s[0:3], 0 offset:108
	v_mov_b32_e32 v54, 0
	buffer_store_dword v54, off, s[0:3], 0 offset:104
	buffer_store_dword v54, off, s[0:3], 0 offset:108
	s_waitcnt vmcnt(2)
	ds_write_b64 v1, v[52:53]
.LBB24_131:
	s_or_b64 exec, exec, s[4:5]
	s_waitcnt lgkmcnt(0)
	; wave barrier
	s_waitcnt lgkmcnt(0)
	buffer_load_dword v74, off, s[0:3], 0 offset:112
	buffer_load_dword v75, off, s[0:3], 0 offset:116
	;; [unrolled: 1-line block ×24, first 2 shown]
	v_mov_b32_e32 v52, 0
	ds_read_b128 v[54:57], v52 offset:320
	ds_read_b128 v[58:61], v52 offset:336
	;; [unrolled: 1-line block ×5, first 2 shown]
	ds_read_b64 v[98:99], v52 offset:400
	v_cmp_lt_u32_e32 vcc, 12, v0
	s_waitcnt vmcnt(22) lgkmcnt(5)
	v_fma_f64 v[54:55], v[74:75], v[54:55], 0
	s_waitcnt vmcnt(20)
	v_fmac_f64_e32 v[54:55], v[76:77], v[56:57]
	s_waitcnt vmcnt(18) lgkmcnt(4)
	v_fmac_f64_e32 v[54:55], v[78:79], v[58:59]
	s_waitcnt vmcnt(16)
	v_fmac_f64_e32 v[54:55], v[80:81], v[60:61]
	s_waitcnt vmcnt(14) lgkmcnt(3)
	v_fmac_f64_e32 v[54:55], v[82:83], v[62:63]
	;; [unrolled: 4-line block ×3, first 2 shown]
	s_waitcnt vmcnt(4)
	v_fmac_f64_e32 v[54:55], v[94:95], v[68:69]
	s_waitcnt lgkmcnt(1)
	v_fmac_f64_e32 v[54:55], v[92:93], v[70:71]
	s_waitcnt vmcnt(3)
	v_fmac_f64_e32 v[54:55], v[90:91], v[72:73]
	s_waitcnt vmcnt(2) lgkmcnt(0)
	v_fmac_f64_e32 v[54:55], v[88:89], v[98:99]
	s_waitcnt vmcnt(0)
	v_add_f64 v[54:55], v[96:97], -v[54:55]
	buffer_store_dword v55, off, s[0:3], 0 offset:108
	buffer_store_dword v54, off, s[0:3], 0 offset:104
	s_and_saveexec_b64 s[4:5], vcc
	s_cbranch_execz .LBB24_133
; %bb.132:
	buffer_load_dword v54, off, s[0:3], 0 offset:96
	buffer_load_dword v55, off, s[0:3], 0 offset:100
	s_waitcnt vmcnt(0)
	ds_write_b64 v1, v[54:55]
	buffer_store_dword v52, off, s[0:3], 0 offset:96
	buffer_store_dword v52, off, s[0:3], 0 offset:100
.LBB24_133:
	s_or_b64 exec, exec, s[4:5]
	s_waitcnt lgkmcnt(0)
	; wave barrier
	s_waitcnt lgkmcnt(0)
	buffer_load_dword v78, off, s[0:3], 0 offset:104
	buffer_load_dword v79, off, s[0:3], 0 offset:108
	;; [unrolled: 1-line block ×26, first 2 shown]
	ds_read2_b64 v[54:57], v52 offset0:39 offset1:40
	ds_read2_b64 v[58:61], v52 offset0:41 offset1:42
	;; [unrolled: 1-line block ×6, first 2 shown]
	v_cmp_lt_u32_e32 vcc, 11, v0
	s_waitcnt vmcnt(24) lgkmcnt(5)
	v_fma_f64 v[52:53], v[78:79], v[54:55], 0
	s_waitcnt vmcnt(22)
	v_fmac_f64_e32 v[52:53], v[80:81], v[56:57]
	s_waitcnt vmcnt(20) lgkmcnt(4)
	v_fmac_f64_e32 v[52:53], v[82:83], v[58:59]
	s_waitcnt vmcnt(18)
	v_fmac_f64_e32 v[52:53], v[84:85], v[60:61]
	s_waitcnt vmcnt(16) lgkmcnt(3)
	v_fmac_f64_e32 v[52:53], v[86:87], v[62:63]
	;; [unrolled: 4-line block ×3, first 2 shown]
	s_waitcnt vmcnt(5)
	v_fmac_f64_e32 v[52:53], v[98:99], v[68:69]
	s_waitcnt lgkmcnt(1)
	v_fmac_f64_e32 v[52:53], v[96:97], v[70:71]
	v_fmac_f64_e32 v[52:53], v[94:95], v[72:73]
	s_waitcnt vmcnt(4) lgkmcnt(0)
	v_fmac_f64_e32 v[52:53], v[92:93], v[74:75]
	s_waitcnt vmcnt(2)
	v_fmac_f64_e32 v[52:53], v[100:101], v[76:77]
	s_waitcnt vmcnt(0)
	v_add_f64 v[52:53], v[102:103], -v[52:53]
	buffer_store_dword v53, off, s[0:3], 0 offset:100
	buffer_store_dword v52, off, s[0:3], 0 offset:96
	s_and_saveexec_b64 s[4:5], vcc
	s_cbranch_execz .LBB24_135
; %bb.134:
	buffer_load_dword v52, off, s[0:3], 0 offset:88
	buffer_load_dword v53, off, s[0:3], 0 offset:92
	v_mov_b32_e32 v54, 0
	buffer_store_dword v54, off, s[0:3], 0 offset:88
	buffer_store_dword v54, off, s[0:3], 0 offset:92
	s_waitcnt vmcnt(2)
	ds_write_b64 v1, v[52:53]
.LBB24_135:
	s_or_b64 exec, exec, s[4:5]
	s_waitcnt lgkmcnt(0)
	; wave barrier
	s_waitcnt lgkmcnt(0)
	buffer_load_dword v78, off, s[0:3], 0 offset:96
	buffer_load_dword v79, off, s[0:3], 0 offset:100
	;; [unrolled: 1-line block ×28, first 2 shown]
	v_mov_b32_e32 v52, 0
	ds_read_b128 v[54:57], v52 offset:304
	ds_read_b128 v[58:61], v52 offset:320
	;; [unrolled: 1-line block ×6, first 2 shown]
	ds_read_b64 v[106:107], v52 offset:400
	v_cmp_lt_u32_e32 vcc, 10, v0
	s_waitcnt vmcnt(26) lgkmcnt(6)
	v_fma_f64 v[54:55], v[78:79], v[54:55], 0
	s_waitcnt vmcnt(24)
	v_fmac_f64_e32 v[54:55], v[80:81], v[56:57]
	s_waitcnt vmcnt(22) lgkmcnt(5)
	v_fmac_f64_e32 v[54:55], v[82:83], v[58:59]
	s_waitcnt vmcnt(20)
	v_fmac_f64_e32 v[54:55], v[84:85], v[60:61]
	s_waitcnt vmcnt(18) lgkmcnt(4)
	v_fmac_f64_e32 v[54:55], v[86:87], v[62:63]
	;; [unrolled: 4-line block ×3, first 2 shown]
	s_waitcnt vmcnt(6)
	v_fmac_f64_e32 v[54:55], v[98:99], v[68:69]
	s_waitcnt lgkmcnt(2)
	v_fmac_f64_e32 v[54:55], v[96:97], v[70:71]
	v_fmac_f64_e32 v[54:55], v[94:95], v[72:73]
	s_waitcnt lgkmcnt(1)
	v_fmac_f64_e32 v[54:55], v[92:93], v[74:75]
	s_waitcnt vmcnt(2)
	v_fmac_f64_e32 v[54:55], v[102:103], v[76:77]
	s_waitcnt lgkmcnt(0)
	v_fmac_f64_e32 v[54:55], v[100:101], v[106:107]
	s_waitcnt vmcnt(0)
	v_add_f64 v[54:55], v[104:105], -v[54:55]
	buffer_store_dword v55, off, s[0:3], 0 offset:92
	buffer_store_dword v54, off, s[0:3], 0 offset:88
	s_and_saveexec_b64 s[4:5], vcc
	s_cbranch_execz .LBB24_137
; %bb.136:
	buffer_load_dword v54, off, s[0:3], 0 offset:80
	buffer_load_dword v55, off, s[0:3], 0 offset:84
	s_waitcnt vmcnt(0)
	ds_write_b64 v1, v[54:55]
	buffer_store_dword v52, off, s[0:3], 0 offset:80
	buffer_store_dword v52, off, s[0:3], 0 offset:84
.LBB24_137:
	s_or_b64 exec, exec, s[4:5]
	s_waitcnt lgkmcnt(0)
	; wave barrier
	s_waitcnt lgkmcnt(0)
	buffer_load_dword v82, off, s[0:3], 0 offset:88
	buffer_load_dword v83, off, s[0:3], 0 offset:92
	;; [unrolled: 1-line block ×30, first 2 shown]
	ds_read2_b64 v[54:57], v52 offset0:37 offset1:38
	ds_read2_b64 v[58:61], v52 offset0:39 offset1:40
	;; [unrolled: 1-line block ×7, first 2 shown]
	v_cmp_lt_u32_e32 vcc, 9, v0
	s_waitcnt vmcnt(28) lgkmcnt(6)
	v_fma_f64 v[52:53], v[82:83], v[54:55], 0
	s_waitcnt vmcnt(26)
	v_fmac_f64_e32 v[52:53], v[84:85], v[56:57]
	s_waitcnt vmcnt(24) lgkmcnt(5)
	v_fmac_f64_e32 v[52:53], v[86:87], v[58:59]
	s_waitcnt vmcnt(22)
	v_fmac_f64_e32 v[52:53], v[88:89], v[60:61]
	s_waitcnt vmcnt(20) lgkmcnt(4)
	v_fmac_f64_e32 v[52:53], v[90:91], v[62:63]
	s_waitcnt vmcnt(18)
	v_fmac_f64_e32 v[52:53], v[92:93], v[64:65]
	s_waitcnt vmcnt(16) lgkmcnt(3)
	v_fmac_f64_e32 v[52:53], v[94:95], v[66:67]
	s_waitcnt vmcnt(8)
	v_fmac_f64_e32 v[52:53], v[102:103], v[68:69]
	s_waitcnt lgkmcnt(2)
	v_fmac_f64_e32 v[52:53], v[100:101], v[70:71]
	v_fmac_f64_e32 v[52:53], v[98:99], v[72:73]
	s_waitcnt lgkmcnt(1)
	v_fmac_f64_e32 v[52:53], v[96:97], v[74:75]
	s_waitcnt vmcnt(3)
	v_fmac_f64_e32 v[52:53], v[108:109], v[76:77]
	s_waitcnt lgkmcnt(0)
	v_fmac_f64_e32 v[52:53], v[106:107], v[78:79]
	s_waitcnt vmcnt(2)
	v_fmac_f64_e32 v[52:53], v[104:105], v[80:81]
	s_waitcnt vmcnt(0)
	v_add_f64 v[52:53], v[110:111], -v[52:53]
	buffer_store_dword v53, off, s[0:3], 0 offset:84
	buffer_store_dword v52, off, s[0:3], 0 offset:80
	s_and_saveexec_b64 s[4:5], vcc
	s_cbranch_execz .LBB24_139
; %bb.138:
	buffer_load_dword v52, off, s[0:3], 0 offset:72
	buffer_load_dword v53, off, s[0:3], 0 offset:76
	v_mov_b32_e32 v54, 0
	buffer_store_dword v54, off, s[0:3], 0 offset:72
	buffer_store_dword v54, off, s[0:3], 0 offset:76
	s_waitcnt vmcnt(2)
	ds_write_b64 v1, v[52:53]
.LBB24_139:
	s_or_b64 exec, exec, s[4:5]
	s_waitcnt lgkmcnt(0)
	; wave barrier
	s_waitcnt lgkmcnt(0)
	buffer_load_dword v82, off, s[0:3], 0 offset:80
	buffer_load_dword v83, off, s[0:3], 0 offset:84
	;; [unrolled: 1-line block ×32, first 2 shown]
	v_mov_b32_e32 v52, 0
	ds_read_b128 v[54:57], v52 offset:288
	ds_read_b128 v[58:61], v52 offset:304
	;; [unrolled: 1-line block ×7, first 2 shown]
	ds_read_b64 v[114:115], v52 offset:400
	v_cmp_lt_u32_e32 vcc, 8, v0
	s_waitcnt vmcnt(30) lgkmcnt(7)
	v_fma_f64 v[54:55], v[82:83], v[54:55], 0
	s_waitcnt vmcnt(28)
	v_fmac_f64_e32 v[54:55], v[84:85], v[56:57]
	s_waitcnt vmcnt(26) lgkmcnt(6)
	v_fmac_f64_e32 v[54:55], v[86:87], v[58:59]
	s_waitcnt vmcnt(24)
	v_fmac_f64_e32 v[54:55], v[88:89], v[60:61]
	s_waitcnt vmcnt(22) lgkmcnt(5)
	v_fmac_f64_e32 v[54:55], v[90:91], v[62:63]
	;; [unrolled: 4-line block ×3, first 2 shown]
	s_waitcnt vmcnt(10)
	v_fmac_f64_e32 v[54:55], v[102:103], v[68:69]
	s_waitcnt lgkmcnt(3)
	v_fmac_f64_e32 v[54:55], v[100:101], v[70:71]
	v_fmac_f64_e32 v[54:55], v[98:99], v[72:73]
	s_waitcnt lgkmcnt(2)
	v_fmac_f64_e32 v[54:55], v[96:97], v[74:75]
	s_waitcnt vmcnt(4)
	v_fmac_f64_e32 v[54:55], v[110:111], v[76:77]
	s_waitcnt lgkmcnt(1)
	v_fmac_f64_e32 v[54:55], v[108:109], v[78:79]
	s_waitcnt vmcnt(3)
	v_fmac_f64_e32 v[54:55], v[106:107], v[80:81]
	s_waitcnt vmcnt(2) lgkmcnt(0)
	v_fmac_f64_e32 v[54:55], v[104:105], v[114:115]
	s_waitcnt vmcnt(0)
	v_add_f64 v[54:55], v[112:113], -v[54:55]
	buffer_store_dword v55, off, s[0:3], 0 offset:76
	buffer_store_dword v54, off, s[0:3], 0 offset:72
	s_and_saveexec_b64 s[4:5], vcc
	s_cbranch_execz .LBB24_141
; %bb.140:
	buffer_load_dword v54, off, s[0:3], 0 offset:64
	buffer_load_dword v55, off, s[0:3], 0 offset:68
	s_waitcnt vmcnt(0)
	ds_write_b64 v1, v[54:55]
	buffer_store_dword v52, off, s[0:3], 0 offset:64
	buffer_store_dword v52, off, s[0:3], 0 offset:68
.LBB24_141:
	s_or_b64 exec, exec, s[4:5]
	s_waitcnt lgkmcnt(0)
	; wave barrier
	s_waitcnt lgkmcnt(0)
	buffer_load_dword v86, off, s[0:3], 0 offset:72
	buffer_load_dword v87, off, s[0:3], 0 offset:76
	;; [unrolled: 1-line block ×34, first 2 shown]
	ds_read2_b64 v[54:57], v52 offset0:35 offset1:36
	ds_read2_b64 v[58:61], v52 offset0:37 offset1:38
	;; [unrolled: 1-line block ×8, first 2 shown]
	v_cmp_lt_u32_e32 vcc, 7, v0
	s_waitcnt vmcnt(32) lgkmcnt(7)
	v_fma_f64 v[52:53], v[86:87], v[54:55], 0
	s_waitcnt vmcnt(30)
	v_fmac_f64_e32 v[52:53], v[88:89], v[56:57]
	s_waitcnt vmcnt(28) lgkmcnt(6)
	v_fmac_f64_e32 v[52:53], v[90:91], v[58:59]
	s_waitcnt vmcnt(26)
	v_fmac_f64_e32 v[52:53], v[92:93], v[60:61]
	s_waitcnt vmcnt(24) lgkmcnt(5)
	v_fmac_f64_e32 v[52:53], v[94:95], v[62:63]
	;; [unrolled: 4-line block ×3, first 2 shown]
	s_waitcnt vmcnt(12)
	v_fmac_f64_e32 v[52:53], v[106:107], v[68:69]
	s_waitcnt lgkmcnt(3)
	v_fmac_f64_e32 v[52:53], v[104:105], v[70:71]
	v_fmac_f64_e32 v[52:53], v[102:103], v[72:73]
	s_waitcnt lgkmcnt(2)
	v_fmac_f64_e32 v[52:53], v[100:101], v[74:75]
	s_waitcnt vmcnt(5)
	v_fmac_f64_e32 v[52:53], v[114:115], v[76:77]
	s_waitcnt lgkmcnt(1)
	v_fmac_f64_e32 v[52:53], v[112:113], v[78:79]
	v_fmac_f64_e32 v[52:53], v[110:111], v[80:81]
	s_waitcnt vmcnt(4) lgkmcnt(0)
	v_fmac_f64_e32 v[52:53], v[108:109], v[82:83]
	s_waitcnt vmcnt(2)
	v_fmac_f64_e32 v[52:53], v[116:117], v[84:85]
	s_waitcnt vmcnt(0)
	v_add_f64 v[52:53], v[118:119], -v[52:53]
	buffer_store_dword v53, off, s[0:3], 0 offset:68
	buffer_store_dword v52, off, s[0:3], 0 offset:64
	s_and_saveexec_b64 s[4:5], vcc
	s_cbranch_execz .LBB24_143
; %bb.142:
	buffer_load_dword v52, off, s[0:3], 0 offset:56
	buffer_load_dword v53, off, s[0:3], 0 offset:60
	v_mov_b32_e32 v54, 0
	buffer_store_dword v54, off, s[0:3], 0 offset:56
	buffer_store_dword v54, off, s[0:3], 0 offset:60
	s_waitcnt vmcnt(2)
	ds_write_b64 v1, v[52:53]
.LBB24_143:
	s_or_b64 exec, exec, s[4:5]
	s_waitcnt lgkmcnt(0)
	; wave barrier
	s_waitcnt lgkmcnt(0)
	buffer_load_dword v86, off, s[0:3], 0 offset:64
	buffer_load_dword v87, off, s[0:3], 0 offset:68
	;; [unrolled: 1-line block ×36, first 2 shown]
	v_mov_b32_e32 v52, 0
	ds_read_b128 v[54:57], v52 offset:272
	ds_read_b128 v[58:61], v52 offset:288
	;; [unrolled: 1-line block ×8, first 2 shown]
	ds_read_b64 v[122:123], v52 offset:400
	v_cmp_lt_u32_e32 vcc, 6, v0
	s_waitcnt vmcnt(34) lgkmcnt(8)
	v_fma_f64 v[54:55], v[86:87], v[54:55], 0
	s_waitcnt vmcnt(32)
	v_fmac_f64_e32 v[54:55], v[88:89], v[56:57]
	s_waitcnt vmcnt(30) lgkmcnt(7)
	v_fmac_f64_e32 v[54:55], v[90:91], v[58:59]
	s_waitcnt vmcnt(28)
	v_fmac_f64_e32 v[54:55], v[92:93], v[60:61]
	s_waitcnt vmcnt(26) lgkmcnt(6)
	v_fmac_f64_e32 v[54:55], v[94:95], v[62:63]
	;; [unrolled: 4-line block ×3, first 2 shown]
	s_waitcnt vmcnt(14)
	v_fmac_f64_e32 v[54:55], v[106:107], v[68:69]
	s_waitcnt lgkmcnt(4)
	v_fmac_f64_e32 v[54:55], v[104:105], v[70:71]
	v_fmac_f64_e32 v[54:55], v[102:103], v[72:73]
	s_waitcnt lgkmcnt(3)
	v_fmac_f64_e32 v[54:55], v[100:101], v[74:75]
	s_waitcnt vmcnt(6)
	v_fmac_f64_e32 v[54:55], v[114:115], v[76:77]
	s_waitcnt lgkmcnt(2)
	v_fmac_f64_e32 v[54:55], v[112:113], v[78:79]
	v_fmac_f64_e32 v[54:55], v[110:111], v[80:81]
	s_waitcnt lgkmcnt(1)
	v_fmac_f64_e32 v[54:55], v[108:109], v[82:83]
	s_waitcnt vmcnt(2)
	v_fmac_f64_e32 v[54:55], v[118:119], v[84:85]
	s_waitcnt lgkmcnt(0)
	v_fmac_f64_e32 v[54:55], v[116:117], v[122:123]
	s_waitcnt vmcnt(0)
	v_add_f64 v[54:55], v[120:121], -v[54:55]
	buffer_store_dword v55, off, s[0:3], 0 offset:60
	buffer_store_dword v54, off, s[0:3], 0 offset:56
	s_and_saveexec_b64 s[4:5], vcc
	s_cbranch_execz .LBB24_145
; %bb.144:
	buffer_load_dword v54, off, s[0:3], 0 offset:48
	buffer_load_dword v55, off, s[0:3], 0 offset:52
	s_waitcnt vmcnt(0)
	ds_write_b64 v1, v[54:55]
	buffer_store_dword v52, off, s[0:3], 0 offset:48
	buffer_store_dword v52, off, s[0:3], 0 offset:52
.LBB24_145:
	s_or_b64 exec, exec, s[4:5]
	s_waitcnt lgkmcnt(0)
	; wave barrier
	s_waitcnt lgkmcnt(0)
	buffer_load_dword v90, off, s[0:3], 0 offset:56
	buffer_load_dword v91, off, s[0:3], 0 offset:60
	;; [unrolled: 1-line block ×38, first 2 shown]
	ds_read2_b64 v[54:57], v52 offset0:33 offset1:34
	ds_read2_b64 v[58:61], v52 offset0:35 offset1:36
	;; [unrolled: 1-line block ×9, first 2 shown]
	v_cmp_lt_u32_e32 vcc, 5, v0
	s_waitcnt vmcnt(36) lgkmcnt(8)
	v_fma_f64 v[52:53], v[90:91], v[54:55], 0
	s_waitcnt vmcnt(34)
	v_fmac_f64_e32 v[52:53], v[92:93], v[56:57]
	s_waitcnt vmcnt(32) lgkmcnt(7)
	v_fmac_f64_e32 v[52:53], v[94:95], v[58:59]
	s_waitcnt vmcnt(30)
	v_fmac_f64_e32 v[52:53], v[96:97], v[60:61]
	s_waitcnt vmcnt(28) lgkmcnt(6)
	v_fmac_f64_e32 v[52:53], v[98:99], v[62:63]
	;; [unrolled: 4-line block ×3, first 2 shown]
	s_waitcnt vmcnt(16)
	v_fmac_f64_e32 v[52:53], v[110:111], v[68:69]
	s_waitcnt lgkmcnt(4)
	v_fmac_f64_e32 v[52:53], v[108:109], v[70:71]
	v_fmac_f64_e32 v[52:53], v[106:107], v[72:73]
	s_waitcnt lgkmcnt(3)
	v_fmac_f64_e32 v[52:53], v[104:105], v[74:75]
	s_waitcnt vmcnt(8)
	v_fmac_f64_e32 v[52:53], v[118:119], v[76:77]
	s_waitcnt lgkmcnt(2)
	v_fmac_f64_e32 v[52:53], v[116:117], v[78:79]
	v_fmac_f64_e32 v[52:53], v[114:115], v[80:81]
	s_waitcnt lgkmcnt(1)
	v_fmac_f64_e32 v[52:53], v[112:113], v[82:83]
	s_waitcnt vmcnt(3)
	v_fmac_f64_e32 v[52:53], v[124:125], v[84:85]
	s_waitcnt lgkmcnt(0)
	v_fmac_f64_e32 v[52:53], v[122:123], v[86:87]
	s_waitcnt vmcnt(2)
	v_fmac_f64_e32 v[52:53], v[120:121], v[88:89]
	s_waitcnt vmcnt(0)
	v_add_f64 v[52:53], v[126:127], -v[52:53]
	buffer_store_dword v53, off, s[0:3], 0 offset:52
	buffer_store_dword v52, off, s[0:3], 0 offset:48
	s_and_saveexec_b64 s[4:5], vcc
	s_cbranch_execz .LBB24_147
; %bb.146:
	buffer_load_dword v52, off, s[0:3], 0 offset:40
	buffer_load_dword v53, off, s[0:3], 0 offset:44
	v_mov_b32_e32 v54, 0
	buffer_store_dword v54, off, s[0:3], 0 offset:40
	buffer_store_dword v54, off, s[0:3], 0 offset:44
	s_waitcnt vmcnt(2)
	ds_write_b64 v1, v[52:53]
.LBB24_147:
	s_or_b64 exec, exec, s[4:5]
	s_waitcnt lgkmcnt(0)
	; wave barrier
	s_waitcnt lgkmcnt(0)
	buffer_load_dword v52, off, s[0:3], 0 offset:40
	buffer_load_dword v53, off, s[0:3], 0 offset:44
	;; [unrolled: 1-line block ×16, first 2 shown]
	v_mov_b32_e32 v56, 0
	ds_read_b128 v[58:61], v56 offset:256
	ds_read_b128 v[62:65], v56 offset:272
	;; [unrolled: 1-line block ×4, first 2 shown]
	v_cmp_lt_u32_e32 vcc, 4, v0
	s_waitcnt vmcnt(12) lgkmcnt(3)
	v_fma_f64 v[54:55], v[54:55], v[58:59], 0
	buffer_load_dword v59, off, s[0:3], 0 offset:108
	buffer_load_dword v58, off, s[0:3], 0 offset:104
	s_waitcnt vmcnt(12)
	v_fmac_f64_e32 v[54:55], v[74:75], v[60:61]
	s_waitcnt vmcnt(10) lgkmcnt(2)
	v_fmac_f64_e32 v[54:55], v[76:77], v[62:63]
	buffer_load_dword v63, off, s[0:3], 0 offset:116
	buffer_load_dword v62, off, s[0:3], 0 offset:112
	s_waitcnt vmcnt(10)
	v_fmac_f64_e32 v[54:55], v[78:79], v[64:65]
	s_waitcnt vmcnt(8) lgkmcnt(1)
	v_fmac_f64_e32 v[54:55], v[80:81], v[66:67]
	s_waitcnt vmcnt(6)
	v_fmac_f64_e32 v[54:55], v[82:83], v[68:69]
	s_waitcnt vmcnt(4) lgkmcnt(0)
	v_fmac_f64_e32 v[54:55], v[84:85], v[70:71]
	s_waitcnt vmcnt(2)
	v_fmac_f64_e32 v[54:55], v[58:59], v[72:73]
	ds_read_b128 v[58:61], v56 offset:320
	s_waitcnt vmcnt(0) lgkmcnt(0)
	v_fmac_f64_e32 v[54:55], v[62:63], v[58:59]
	buffer_load_dword v59, off, s[0:3], 0 offset:124
	buffer_load_dword v58, off, s[0:3], 0 offset:120
	buffer_load_dword v63, off, s[0:3], 0 offset:132
	buffer_load_dword v62, off, s[0:3], 0 offset:128
	s_waitcnt vmcnt(2)
	v_fmac_f64_e32 v[54:55], v[58:59], v[60:61]
	ds_read_b128 v[58:61], v56 offset:336
	s_waitcnt vmcnt(0) lgkmcnt(0)
	v_fmac_f64_e32 v[54:55], v[62:63], v[58:59]
	buffer_load_dword v59, off, s[0:3], 0 offset:140
	buffer_load_dword v58, off, s[0:3], 0 offset:136
	buffer_load_dword v63, off, s[0:3], 0 offset:148
	buffer_load_dword v62, off, s[0:3], 0 offset:144
	;; [unrolled: 9-line block ×4, first 2 shown]
	s_waitcnt vmcnt(2)
	v_fmac_f64_e32 v[54:55], v[58:59], v[60:61]
	ds_read_b128 v[58:61], v56 offset:384
	s_waitcnt vmcnt(0) lgkmcnt(0)
	v_fmac_f64_e32 v[54:55], v[62:63], v[58:59]
	buffer_load_dword v59, off, s[0:3], 0 offset:188
	buffer_load_dword v58, off, s[0:3], 0 offset:184
	s_waitcnt vmcnt(0)
	v_fmac_f64_e32 v[54:55], v[58:59], v[60:61]
	buffer_load_dword v59, off, s[0:3], 0 offset:196
	buffer_load_dword v58, off, s[0:3], 0 offset:192
	ds_read_b64 v[60:61], v56 offset:400
	s_waitcnt vmcnt(0) lgkmcnt(0)
	v_fmac_f64_e32 v[54:55], v[58:59], v[60:61]
	v_add_f64 v[52:53], v[52:53], -v[54:55]
	buffer_store_dword v53, off, s[0:3], 0 offset:44
	buffer_store_dword v52, off, s[0:3], 0 offset:40
	s_and_saveexec_b64 s[4:5], vcc
	s_cbranch_execz .LBB24_149
; %bb.148:
	buffer_load_dword v52, off, s[0:3], 0 offset:32
	buffer_load_dword v53, off, s[0:3], 0 offset:36
	s_waitcnt vmcnt(0)
	ds_write_b64 v1, v[52:53]
	buffer_store_dword v56, off, s[0:3], 0 offset:32
	buffer_store_dword v56, off, s[0:3], 0 offset:36
.LBB24_149:
	s_or_b64 exec, exec, s[4:5]
	s_waitcnt lgkmcnt(0)
	; wave barrier
	s_waitcnt lgkmcnt(0)
	buffer_load_dword v52, off, s[0:3], 0 offset:32
	buffer_load_dword v53, off, s[0:3], 0 offset:36
	;; [unrolled: 1-line block ×16, first 2 shown]
	ds_read2_b64 v[58:61], v56 offset0:31 offset1:32
	v_cmp_lt_u32_e32 vcc, 3, v0
	s_waitcnt vmcnt(12) lgkmcnt(0)
	v_fma_f64 v[54:55], v[54:55], v[58:59], 0
	s_waitcnt vmcnt(10)
	v_fmac_f64_e32 v[54:55], v[62:63], v[60:61]
	ds_read2_b64 v[58:61], v56 offset0:33 offset1:34
	s_waitcnt vmcnt(8) lgkmcnt(0)
	v_fmac_f64_e32 v[54:55], v[64:65], v[58:59]
	s_waitcnt vmcnt(6)
	v_fmac_f64_e32 v[54:55], v[66:67], v[60:61]
	ds_read2_b64 v[58:61], v56 offset0:35 offset1:36
	s_waitcnt vmcnt(4) lgkmcnt(0)
	v_fmac_f64_e32 v[54:55], v[68:69], v[58:59]
	;; [unrolled: 5-line block ×3, first 2 shown]
	buffer_load_dword v59, off, s[0:3], 0 offset:100
	buffer_load_dword v58, off, s[0:3], 0 offset:96
	buffer_load_dword v63, off, s[0:3], 0 offset:108
	buffer_load_dword v62, off, s[0:3], 0 offset:104
	s_waitcnt vmcnt(2)
	v_fmac_f64_e32 v[54:55], v[58:59], v[60:61]
	ds_read2_b64 v[58:61], v56 offset0:39 offset1:40
	s_waitcnt vmcnt(0) lgkmcnt(0)
	v_fmac_f64_e32 v[54:55], v[62:63], v[58:59]
	buffer_load_dword v59, off, s[0:3], 0 offset:116
	buffer_load_dword v58, off, s[0:3], 0 offset:112
	buffer_load_dword v63, off, s[0:3], 0 offset:124
	buffer_load_dword v62, off, s[0:3], 0 offset:120
	s_waitcnt vmcnt(2)
	v_fmac_f64_e32 v[54:55], v[58:59], v[60:61]
	ds_read2_b64 v[58:61], v56 offset0:41 offset1:42
	s_waitcnt vmcnt(0) lgkmcnt(0)
	v_fmac_f64_e32 v[54:55], v[62:63], v[58:59]
	;; [unrolled: 9-line block ×5, first 2 shown]
	buffer_load_dword v59, off, s[0:3], 0 offset:180
	buffer_load_dword v58, off, s[0:3], 0 offset:176
	s_waitcnt vmcnt(0)
	v_fmac_f64_e32 v[54:55], v[58:59], v[60:61]
	buffer_load_dword v61, off, s[0:3], 0 offset:188
	buffer_load_dword v60, off, s[0:3], 0 offset:184
	ds_read2_b64 v[56:59], v56 offset0:49 offset1:50
	s_waitcnt vmcnt(0) lgkmcnt(0)
	v_fmac_f64_e32 v[54:55], v[60:61], v[56:57]
	buffer_load_dword v57, off, s[0:3], 0 offset:196
	buffer_load_dword v56, off, s[0:3], 0 offset:192
	s_waitcnt vmcnt(0)
	v_fmac_f64_e32 v[54:55], v[56:57], v[58:59]
	v_add_f64 v[52:53], v[52:53], -v[54:55]
	buffer_store_dword v53, off, s[0:3], 0 offset:36
	buffer_store_dword v52, off, s[0:3], 0 offset:32
	s_and_saveexec_b64 s[4:5], vcc
	s_cbranch_execz .LBB24_151
; %bb.150:
	buffer_load_dword v52, off, s[0:3], 0 offset:24
	buffer_load_dword v53, off, s[0:3], 0 offset:28
	v_mov_b32_e32 v54, 0
	buffer_store_dword v54, off, s[0:3], 0 offset:24
	buffer_store_dword v54, off, s[0:3], 0 offset:28
	s_waitcnt vmcnt(2)
	ds_write_b64 v1, v[52:53]
.LBB24_151:
	s_or_b64 exec, exec, s[4:5]
	s_waitcnt lgkmcnt(0)
	; wave barrier
	s_waitcnt lgkmcnt(0)
	buffer_load_dword v52, off, s[0:3], 0 offset:24
	buffer_load_dword v53, off, s[0:3], 0 offset:28
	;; [unrolled: 1-line block ×16, first 2 shown]
	v_mov_b32_e32 v56, 0
	ds_read_b128 v[58:61], v56 offset:240
	ds_read_b128 v[62:65], v56 offset:256
	;; [unrolled: 1-line block ×4, first 2 shown]
	v_cmp_lt_u32_e32 vcc, 2, v0
	s_waitcnt vmcnt(12) lgkmcnt(3)
	v_fma_f64 v[54:55], v[54:55], v[58:59], 0
	buffer_load_dword v59, off, s[0:3], 0 offset:92
	buffer_load_dword v58, off, s[0:3], 0 offset:88
	s_waitcnt vmcnt(12)
	v_fmac_f64_e32 v[54:55], v[74:75], v[60:61]
	s_waitcnt vmcnt(10) lgkmcnt(2)
	v_fmac_f64_e32 v[54:55], v[76:77], v[62:63]
	buffer_load_dword v63, off, s[0:3], 0 offset:100
	buffer_load_dword v62, off, s[0:3], 0 offset:96
	s_waitcnt vmcnt(10)
	v_fmac_f64_e32 v[54:55], v[78:79], v[64:65]
	s_waitcnt vmcnt(8) lgkmcnt(1)
	v_fmac_f64_e32 v[54:55], v[80:81], v[66:67]
	s_waitcnt vmcnt(6)
	v_fmac_f64_e32 v[54:55], v[82:83], v[68:69]
	s_waitcnt vmcnt(4) lgkmcnt(0)
	v_fmac_f64_e32 v[54:55], v[84:85], v[70:71]
	s_waitcnt vmcnt(2)
	v_fmac_f64_e32 v[54:55], v[58:59], v[72:73]
	ds_read_b128 v[58:61], v56 offset:304
	s_waitcnt vmcnt(0) lgkmcnt(0)
	v_fmac_f64_e32 v[54:55], v[62:63], v[58:59]
	buffer_load_dword v59, off, s[0:3], 0 offset:108
	buffer_load_dword v58, off, s[0:3], 0 offset:104
	buffer_load_dword v63, off, s[0:3], 0 offset:116
	buffer_load_dword v62, off, s[0:3], 0 offset:112
	s_waitcnt vmcnt(2)
	v_fmac_f64_e32 v[54:55], v[58:59], v[60:61]
	ds_read_b128 v[58:61], v56 offset:320
	s_waitcnt vmcnt(0) lgkmcnt(0)
	v_fmac_f64_e32 v[54:55], v[62:63], v[58:59]
	buffer_load_dword v59, off, s[0:3], 0 offset:124
	buffer_load_dword v58, off, s[0:3], 0 offset:120
	buffer_load_dword v63, off, s[0:3], 0 offset:132
	buffer_load_dword v62, off, s[0:3], 0 offset:128
	;; [unrolled: 9-line block ×5, first 2 shown]
	s_waitcnt vmcnt(2)
	v_fmac_f64_e32 v[54:55], v[58:59], v[60:61]
	ds_read_b128 v[58:61], v56 offset:384
	s_waitcnt vmcnt(0) lgkmcnt(0)
	v_fmac_f64_e32 v[54:55], v[62:63], v[58:59]
	buffer_load_dword v59, off, s[0:3], 0 offset:188
	buffer_load_dword v58, off, s[0:3], 0 offset:184
	s_waitcnt vmcnt(0)
	v_fmac_f64_e32 v[54:55], v[58:59], v[60:61]
	buffer_load_dword v59, off, s[0:3], 0 offset:196
	buffer_load_dword v58, off, s[0:3], 0 offset:192
	ds_read_b64 v[60:61], v56 offset:400
	s_waitcnt vmcnt(0) lgkmcnt(0)
	v_fmac_f64_e32 v[54:55], v[58:59], v[60:61]
	v_add_f64 v[52:53], v[52:53], -v[54:55]
	buffer_store_dword v53, off, s[0:3], 0 offset:28
	buffer_store_dword v52, off, s[0:3], 0 offset:24
	s_and_saveexec_b64 s[4:5], vcc
	s_cbranch_execz .LBB24_153
; %bb.152:
	buffer_load_dword v52, off, s[0:3], 0 offset:16
	buffer_load_dword v53, off, s[0:3], 0 offset:20
	s_waitcnt vmcnt(0)
	ds_write_b64 v1, v[52:53]
	buffer_store_dword v56, off, s[0:3], 0 offset:16
	buffer_store_dword v56, off, s[0:3], 0 offset:20
.LBB24_153:
	s_or_b64 exec, exec, s[4:5]
	s_waitcnt lgkmcnt(0)
	; wave barrier
	s_waitcnt lgkmcnt(0)
	buffer_load_dword v52, off, s[0:3], 0 offset:16
	buffer_load_dword v53, off, s[0:3], 0 offset:20
	;; [unrolled: 1-line block ×16, first 2 shown]
	ds_read2_b64 v[58:61], v56 offset0:29 offset1:30
	v_cmp_lt_u32_e32 vcc, 1, v0
	s_waitcnt vmcnt(12) lgkmcnt(0)
	v_fma_f64 v[54:55], v[54:55], v[58:59], 0
	s_waitcnt vmcnt(10)
	v_fmac_f64_e32 v[54:55], v[62:63], v[60:61]
	ds_read2_b64 v[58:61], v56 offset0:31 offset1:32
	s_waitcnt vmcnt(8) lgkmcnt(0)
	v_fmac_f64_e32 v[54:55], v[64:65], v[58:59]
	s_waitcnt vmcnt(6)
	v_fmac_f64_e32 v[54:55], v[66:67], v[60:61]
	ds_read2_b64 v[58:61], v56 offset0:33 offset1:34
	s_waitcnt vmcnt(4) lgkmcnt(0)
	v_fmac_f64_e32 v[54:55], v[68:69], v[58:59]
	;; [unrolled: 5-line block ×3, first 2 shown]
	buffer_load_dword v59, off, s[0:3], 0 offset:84
	buffer_load_dword v58, off, s[0:3], 0 offset:80
	buffer_load_dword v63, off, s[0:3], 0 offset:92
	buffer_load_dword v62, off, s[0:3], 0 offset:88
	s_waitcnt vmcnt(2)
	v_fmac_f64_e32 v[54:55], v[58:59], v[60:61]
	ds_read2_b64 v[58:61], v56 offset0:37 offset1:38
	s_waitcnt vmcnt(0) lgkmcnt(0)
	v_fmac_f64_e32 v[54:55], v[62:63], v[58:59]
	buffer_load_dword v59, off, s[0:3], 0 offset:100
	buffer_load_dword v58, off, s[0:3], 0 offset:96
	buffer_load_dword v63, off, s[0:3], 0 offset:108
	buffer_load_dword v62, off, s[0:3], 0 offset:104
	s_waitcnt vmcnt(2)
	v_fmac_f64_e32 v[54:55], v[58:59], v[60:61]
	ds_read2_b64 v[58:61], v56 offset0:39 offset1:40
	s_waitcnt vmcnt(0) lgkmcnt(0)
	v_fmac_f64_e32 v[54:55], v[62:63], v[58:59]
	buffer_load_dword v59, off, s[0:3], 0 offset:116
	buffer_load_dword v58, off, s[0:3], 0 offset:112
	buffer_load_dword v63, off, s[0:3], 0 offset:124
	buffer_load_dword v62, off, s[0:3], 0 offset:120
	s_waitcnt vmcnt(2)
	v_fmac_f64_e32 v[54:55], v[58:59], v[60:61]
	ds_read2_b64 v[58:61], v56 offset0:41 offset1:42
	s_waitcnt vmcnt(0) lgkmcnt(0)
	v_fmac_f64_e32 v[54:55], v[62:63], v[58:59]
	buffer_load_dword v59, off, s[0:3], 0 offset:132
	buffer_load_dword v58, off, s[0:3], 0 offset:128
	buffer_load_dword v63, off, s[0:3], 0 offset:140
	buffer_load_dword v62, off, s[0:3], 0 offset:136
	s_waitcnt vmcnt(2)
	v_fmac_f64_e32 v[54:55], v[58:59], v[60:61]
	ds_read2_b64 v[58:61], v56 offset0:43 offset1:44
	s_waitcnt vmcnt(0) lgkmcnt(0)
	v_fmac_f64_e32 v[54:55], v[62:63], v[58:59]
	buffer_load_dword v59, off, s[0:3], 0 offset:148
	buffer_load_dword v58, off, s[0:3], 0 offset:144
	buffer_load_dword v63, off, s[0:3], 0 offset:156
	buffer_load_dword v62, off, s[0:3], 0 offset:152
	s_waitcnt vmcnt(2)
	v_fmac_f64_e32 v[54:55], v[58:59], v[60:61]
	ds_read2_b64 v[58:61], v56 offset0:45 offset1:46
	s_waitcnt vmcnt(0) lgkmcnt(0)
	v_fmac_f64_e32 v[54:55], v[62:63], v[58:59]
	buffer_load_dword v59, off, s[0:3], 0 offset:164
	buffer_load_dword v58, off, s[0:3], 0 offset:160
	buffer_load_dword v63, off, s[0:3], 0 offset:172
	buffer_load_dword v62, off, s[0:3], 0 offset:168
	s_waitcnt vmcnt(2)
	v_fmac_f64_e32 v[54:55], v[58:59], v[60:61]
	ds_read2_b64 v[58:61], v56 offset0:47 offset1:48
	s_waitcnt vmcnt(0) lgkmcnt(0)
	v_fmac_f64_e32 v[54:55], v[62:63], v[58:59]
	buffer_load_dword v59, off, s[0:3], 0 offset:180
	buffer_load_dword v58, off, s[0:3], 0 offset:176
	s_waitcnt vmcnt(0)
	v_fmac_f64_e32 v[54:55], v[58:59], v[60:61]
	buffer_load_dword v61, off, s[0:3], 0 offset:188
	buffer_load_dword v60, off, s[0:3], 0 offset:184
	ds_read2_b64 v[56:59], v56 offset0:49 offset1:50
	s_waitcnt vmcnt(0) lgkmcnt(0)
	v_fmac_f64_e32 v[54:55], v[60:61], v[56:57]
	buffer_load_dword v57, off, s[0:3], 0 offset:196
	buffer_load_dword v56, off, s[0:3], 0 offset:192
	s_waitcnt vmcnt(0)
	v_fmac_f64_e32 v[54:55], v[56:57], v[58:59]
	v_add_f64 v[52:53], v[52:53], -v[54:55]
	buffer_store_dword v53, off, s[0:3], 0 offset:20
	buffer_store_dword v52, off, s[0:3], 0 offset:16
	s_and_saveexec_b64 s[4:5], vcc
	s_cbranch_execz .LBB24_155
; %bb.154:
	buffer_load_dword v52, off, s[0:3], 0 offset:8
	buffer_load_dword v53, off, s[0:3], 0 offset:12
	v_mov_b32_e32 v54, 0
	buffer_store_dword v54, off, s[0:3], 0 offset:8
	buffer_store_dword v54, off, s[0:3], 0 offset:12
	s_waitcnt vmcnt(2)
	ds_write_b64 v1, v[52:53]
.LBB24_155:
	s_or_b64 exec, exec, s[4:5]
	s_waitcnt lgkmcnt(0)
	; wave barrier
	s_waitcnt lgkmcnt(0)
	buffer_load_dword v52, off, s[0:3], 0 offset:8
	buffer_load_dword v53, off, s[0:3], 0 offset:12
	;; [unrolled: 1-line block ×16, first 2 shown]
	v_mov_b32_e32 v56, 0
	ds_read_b128 v[58:61], v56 offset:224
	ds_read_b128 v[62:65], v56 offset:240
	;; [unrolled: 1-line block ×4, first 2 shown]
	v_cmp_ne_u32_e32 vcc, 0, v0
	s_waitcnt vmcnt(12) lgkmcnt(3)
	v_fma_f64 v[54:55], v[54:55], v[58:59], 0
	buffer_load_dword v59, off, s[0:3], 0 offset:76
	buffer_load_dword v58, off, s[0:3], 0 offset:72
	s_waitcnt vmcnt(12)
	v_fmac_f64_e32 v[54:55], v[74:75], v[60:61]
	s_waitcnt vmcnt(10) lgkmcnt(2)
	v_fmac_f64_e32 v[54:55], v[76:77], v[62:63]
	buffer_load_dword v63, off, s[0:3], 0 offset:84
	buffer_load_dword v62, off, s[0:3], 0 offset:80
	s_waitcnt vmcnt(10)
	v_fmac_f64_e32 v[54:55], v[78:79], v[64:65]
	s_waitcnt vmcnt(8) lgkmcnt(1)
	v_fmac_f64_e32 v[54:55], v[80:81], v[66:67]
	s_waitcnt vmcnt(6)
	v_fmac_f64_e32 v[54:55], v[82:83], v[68:69]
	s_waitcnt vmcnt(4) lgkmcnt(0)
	v_fmac_f64_e32 v[54:55], v[84:85], v[70:71]
	s_waitcnt vmcnt(2)
	v_fmac_f64_e32 v[54:55], v[58:59], v[72:73]
	ds_read_b128 v[58:61], v56 offset:288
	s_waitcnt vmcnt(0) lgkmcnt(0)
	v_fmac_f64_e32 v[54:55], v[62:63], v[58:59]
	buffer_load_dword v59, off, s[0:3], 0 offset:92
	buffer_load_dword v58, off, s[0:3], 0 offset:88
	buffer_load_dword v63, off, s[0:3], 0 offset:100
	buffer_load_dword v62, off, s[0:3], 0 offset:96
	s_waitcnt vmcnt(2)
	v_fmac_f64_e32 v[54:55], v[58:59], v[60:61]
	ds_read_b128 v[58:61], v56 offset:304
	s_waitcnt vmcnt(0) lgkmcnt(0)
	v_fmac_f64_e32 v[54:55], v[62:63], v[58:59]
	buffer_load_dword v59, off, s[0:3], 0 offset:108
	buffer_load_dword v58, off, s[0:3], 0 offset:104
	buffer_load_dword v63, off, s[0:3], 0 offset:116
	buffer_load_dword v62, off, s[0:3], 0 offset:112
	;; [unrolled: 9-line block ×6, first 2 shown]
	s_waitcnt vmcnt(2)
	v_fmac_f64_e32 v[54:55], v[58:59], v[60:61]
	ds_read_b128 v[58:61], v56 offset:384
	s_waitcnt vmcnt(0) lgkmcnt(0)
	v_fmac_f64_e32 v[54:55], v[62:63], v[58:59]
	buffer_load_dword v59, off, s[0:3], 0 offset:188
	buffer_load_dword v58, off, s[0:3], 0 offset:184
	s_waitcnt vmcnt(0)
	v_fmac_f64_e32 v[54:55], v[58:59], v[60:61]
	buffer_load_dword v59, off, s[0:3], 0 offset:196
	buffer_load_dword v58, off, s[0:3], 0 offset:192
	ds_read_b64 v[60:61], v56 offset:400
	s_waitcnt vmcnt(0) lgkmcnt(0)
	v_fmac_f64_e32 v[54:55], v[58:59], v[60:61]
	v_add_f64 v[52:53], v[52:53], -v[54:55]
	buffer_store_dword v53, off, s[0:3], 0 offset:12
	buffer_store_dword v52, off, s[0:3], 0 offset:8
	s_and_saveexec_b64 s[4:5], vcc
	s_cbranch_execz .LBB24_157
; %bb.156:
	buffer_load_dword v52, off, s[0:3], 0
	buffer_load_dword v53, off, s[0:3], 0 offset:4
	s_waitcnt vmcnt(0)
	ds_write_b64 v1, v[52:53]
	buffer_store_dword v56, off, s[0:3], 0
	buffer_store_dword v56, off, s[0:3], 0 offset:4
.LBB24_157:
	s_or_b64 exec, exec, s[4:5]
	s_waitcnt lgkmcnt(0)
	; wave barrier
	s_waitcnt lgkmcnt(0)
	buffer_load_dword v0, off, s[0:3], 0
	buffer_load_dword v1, off, s[0:3], 0 offset:4
	buffer_load_dword v58, off, s[0:3], 0 offset:8
	;; [unrolled: 1-line block ×15, first 2 shown]
	ds_read2_b64 v[52:55], v56 offset0:27 offset1:28
	s_and_b64 vcc, exec, s[20:21]
	s_waitcnt vmcnt(12) lgkmcnt(0)
	v_fma_f64 v[52:53], v[58:59], v[52:53], 0
	s_waitcnt vmcnt(10)
	v_fmac_f64_e32 v[52:53], v[60:61], v[54:55]
	ds_read2_b64 v[58:61], v56 offset0:29 offset1:30
	s_waitcnt vmcnt(8) lgkmcnt(0)
	v_fmac_f64_e32 v[52:53], v[62:63], v[58:59]
	s_waitcnt vmcnt(6)
	v_fmac_f64_e32 v[52:53], v[64:65], v[60:61]
	ds_read2_b64 v[58:61], v56 offset0:31 offset1:32
	s_waitcnt vmcnt(4) lgkmcnt(0)
	v_fmac_f64_e32 v[52:53], v[66:67], v[58:59]
	s_waitcnt vmcnt(2)
	v_fmac_f64_e32 v[52:53], v[68:69], v[60:61]
	ds_read2_b64 v[58:61], v56 offset0:33 offset1:34
	buffer_load_dword v55, off, s[0:3], 0 offset:68
	buffer_load_dword v54, off, s[0:3], 0 offset:64
	s_waitcnt vmcnt(2) lgkmcnt(0)
	v_fmac_f64_e32 v[52:53], v[70:71], v[58:59]
	s_waitcnt vmcnt(0)
	v_fmac_f64_e32 v[52:53], v[54:55], v[60:61]
	buffer_load_dword v55, off, s[0:3], 0 offset:76
	buffer_load_dword v54, off, s[0:3], 0 offset:72
	ds_read2_b64 v[58:61], v56 offset0:35 offset1:36
	s_waitcnt vmcnt(0) lgkmcnt(0)
	v_fmac_f64_e32 v[52:53], v[54:55], v[58:59]
	buffer_load_dword v55, off, s[0:3], 0 offset:84
	buffer_load_dword v54, off, s[0:3], 0 offset:80
	s_waitcnt vmcnt(0)
	v_fmac_f64_e32 v[52:53], v[54:55], v[60:61]
	buffer_load_dword v55, off, s[0:3], 0 offset:92
	buffer_load_dword v54, off, s[0:3], 0 offset:88
	ds_read2_b64 v[58:61], v56 offset0:37 offset1:38
	s_waitcnt vmcnt(0) lgkmcnt(0)
	v_fmac_f64_e32 v[52:53], v[54:55], v[58:59]
	buffer_load_dword v55, off, s[0:3], 0 offset:100
	buffer_load_dword v54, off, s[0:3], 0 offset:96
	;; [unrolled: 9-line block ×8, first 2 shown]
	s_waitcnt vmcnt(0)
	v_fmac_f64_e32 v[52:53], v[56:57], v[58:59]
	v_add_f64 v[0:1], v[0:1], -v[52:53]
	buffer_store_dword v1, off, s[0:3], 0 offset:4
	buffer_store_dword v0, off, s[0:3], 0
	s_cbranch_vccz .LBB24_207
; %bb.158:
	v_pk_mov_b32 v[0:1], s[10:11], s[10:11] op_sel:[0,1]
	flat_load_dword v0, v[0:1] offset:92
	s_waitcnt vmcnt(0) lgkmcnt(0)
	v_add_u32_e32 v0, -1, v0
	v_cmp_ne_u32_e32 vcc, 23, v0
	s_and_saveexec_b64 s[4:5], vcc
	s_cbranch_execz .LBB24_160
; %bb.159:
	v_mov_b32_e32 v1, 0
	v_lshl_add_u32 v0, v0, 3, v1
	buffer_load_dword v1, v0, s[0:3], 0 offen
	buffer_load_dword v52, v0, s[0:3], 0 offen offset:4
	s_waitcnt vmcnt(1)
	buffer_store_dword v1, off, s[0:3], 0 offset:184
	s_waitcnt vmcnt(1)
	buffer_store_dword v52, off, s[0:3], 0 offset:188
	buffer_store_dword v54, v0, s[0:3], 0 offen
	buffer_store_dword v55, v0, s[0:3], 0 offen offset:4
.LBB24_160:
	s_or_b64 exec, exec, s[4:5]
	v_pk_mov_b32 v[0:1], s[10:11], s[10:11] op_sel:[0,1]
	flat_load_dword v0, v[0:1] offset:88
	s_waitcnt vmcnt(0) lgkmcnt(0)
	v_add_u32_e32 v0, -1, v0
	v_cmp_ne_u32_e32 vcc, 22, v0
	s_and_saveexec_b64 s[4:5], vcc
	s_cbranch_execz .LBB24_162
; %bb.161:
	v_mov_b32_e32 v1, 0
	v_lshl_add_u32 v0, v0, 3, v1
	buffer_load_dword v1, v0, s[0:3], 0 offen
	buffer_load_dword v52, v0, s[0:3], 0 offen offset:4
	buffer_load_dword v53, off, s[0:3], 0 offset:180
	buffer_load_dword v54, off, s[0:3], 0 offset:176
	s_waitcnt vmcnt(3)
	buffer_store_dword v1, off, s[0:3], 0 offset:176
	s_waitcnt vmcnt(3)
	buffer_store_dword v52, off, s[0:3], 0 offset:180
	s_waitcnt vmcnt(3)
	buffer_store_dword v53, v0, s[0:3], 0 offen offset:4
	s_waitcnt vmcnt(3)
	buffer_store_dword v54, v0, s[0:3], 0 offen
.LBB24_162:
	s_or_b64 exec, exec, s[4:5]
	v_pk_mov_b32 v[0:1], s[10:11], s[10:11] op_sel:[0,1]
	flat_load_dword v0, v[0:1] offset:84
	s_waitcnt vmcnt(0) lgkmcnt(0)
	v_add_u32_e32 v0, -1, v0
	v_cmp_ne_u32_e32 vcc, 21, v0
	s_and_saveexec_b64 s[4:5], vcc
	s_cbranch_execz .LBB24_164
; %bb.163:
	v_mov_b32_e32 v1, 0
	v_lshl_add_u32 v0, v0, 3, v1
	buffer_load_dword v1, v0, s[0:3], 0 offen
	buffer_load_dword v52, v0, s[0:3], 0 offen offset:4
	buffer_load_dword v53, off, s[0:3], 0 offset:168
	buffer_load_dword v54, off, s[0:3], 0 offset:172
	s_waitcnt vmcnt(3)
	buffer_store_dword v1, off, s[0:3], 0 offset:168
	s_waitcnt vmcnt(3)
	buffer_store_dword v52, off, s[0:3], 0 offset:172
	s_waitcnt vmcnt(3)
	buffer_store_dword v53, v0, s[0:3], 0 offen
	s_waitcnt vmcnt(3)
	buffer_store_dword v54, v0, s[0:3], 0 offen offset:4
.LBB24_164:
	s_or_b64 exec, exec, s[4:5]
	v_pk_mov_b32 v[0:1], s[10:11], s[10:11] op_sel:[0,1]
	flat_load_dword v0, v[0:1] offset:80
	s_waitcnt vmcnt(0) lgkmcnt(0)
	v_add_u32_e32 v0, -1, v0
	v_cmp_ne_u32_e32 vcc, 20, v0
	s_and_saveexec_b64 s[4:5], vcc
	s_cbranch_execz .LBB24_166
; %bb.165:
	v_mov_b32_e32 v1, 0
	v_lshl_add_u32 v0, v0, 3, v1
	buffer_load_dword v1, v0, s[0:3], 0 offen
	buffer_load_dword v52, v0, s[0:3], 0 offen offset:4
	buffer_load_dword v53, off, s[0:3], 0 offset:164
	buffer_load_dword v54, off, s[0:3], 0 offset:160
	s_waitcnt vmcnt(3)
	buffer_store_dword v1, off, s[0:3], 0 offset:160
	s_waitcnt vmcnt(3)
	buffer_store_dword v52, off, s[0:3], 0 offset:164
	s_waitcnt vmcnt(3)
	buffer_store_dword v53, v0, s[0:3], 0 offen offset:4
	s_waitcnt vmcnt(3)
	buffer_store_dword v54, v0, s[0:3], 0 offen
.LBB24_166:
	s_or_b64 exec, exec, s[4:5]
	v_pk_mov_b32 v[0:1], s[10:11], s[10:11] op_sel:[0,1]
	flat_load_dword v0, v[0:1] offset:76
	s_waitcnt vmcnt(0) lgkmcnt(0)
	v_add_u32_e32 v0, -1, v0
	v_cmp_ne_u32_e32 vcc, 19, v0
	s_and_saveexec_b64 s[4:5], vcc
	s_cbranch_execz .LBB24_168
; %bb.167:
	v_mov_b32_e32 v1, 0
	v_lshl_add_u32 v0, v0, 3, v1
	buffer_load_dword v1, v0, s[0:3], 0 offen
	buffer_load_dword v52, v0, s[0:3], 0 offen offset:4
	buffer_load_dword v53, off, s[0:3], 0 offset:152
	buffer_load_dword v54, off, s[0:3], 0 offset:156
	s_waitcnt vmcnt(3)
	buffer_store_dword v1, off, s[0:3], 0 offset:152
	s_waitcnt vmcnt(3)
	buffer_store_dword v52, off, s[0:3], 0 offset:156
	s_waitcnt vmcnt(3)
	buffer_store_dword v53, v0, s[0:3], 0 offen
	s_waitcnt vmcnt(3)
	buffer_store_dword v54, v0, s[0:3], 0 offen offset:4
.LBB24_168:
	;; [unrolled: 48-line block ×11, first 2 shown]
	s_or_b64 exec, exec, s[4:5]
	v_pk_mov_b32 v[0:1], s[10:11], s[10:11] op_sel:[0,1]
	flat_load_dword v52, v[0:1]
	s_nop 0
	buffer_load_dword v0, off, s[0:3], 0
	buffer_load_dword v1, off, s[0:3], 0 offset:4
	s_waitcnt vmcnt(0) lgkmcnt(0)
	v_add_u32_e32 v52, -1, v52
	v_cmp_ne_u32_e32 vcc, 0, v52
	s_and_saveexec_b64 s[4:5], vcc
	s_cbranch_execz .LBB24_206
; %bb.205:
	v_mov_b32_e32 v53, 0
	v_lshl_add_u32 v52, v52, 3, v53
	buffer_load_dword v53, v52, s[0:3], 0 offen offset:4
	buffer_load_dword v54, v52, s[0:3], 0 offen
	s_waitcnt vmcnt(1)
	buffer_store_dword v53, off, s[0:3], 0 offset:4
	s_waitcnt vmcnt(1)
	buffer_store_dword v54, off, s[0:3], 0
	buffer_store_dword v1, v52, s[0:3], 0 offen offset:4
	buffer_store_dword v0, v52, s[0:3], 0 offen
	buffer_load_dword v0, off, s[0:3], 0
	s_nop 0
	buffer_load_dword v1, off, s[0:3], 0 offset:4
.LBB24_206:
	s_or_b64 exec, exec, s[4:5]
.LBB24_207:
	buffer_load_dword v52, off, s[0:3], 0 offset:8
	buffer_load_dword v53, off, s[0:3], 0 offset:12
	;; [unrolled: 1-line block ×48, first 2 shown]
	s_waitcnt vmcnt(48)
	global_store_dwordx2 v[2:3], v[0:1], off
	s_waitcnt vmcnt(47)
	global_store_dwordx2 v[4:5], v[52:53], off
	;; [unrolled: 2-line block ×25, first 2 shown]
	s_endpgm
	.section	.rodata,"a",@progbits
	.p2align	6, 0x0
	.amdhsa_kernel _ZN9rocsolver6v33100L18getri_kernel_smallILi25EdPdEEvT1_iilPiilS4_bb
		.amdhsa_group_segment_fixed_size 408
		.amdhsa_private_segment_fixed_size 208
		.amdhsa_kernarg_size 60
		.amdhsa_user_sgpr_count 8
		.amdhsa_user_sgpr_private_segment_buffer 1
		.amdhsa_user_sgpr_dispatch_ptr 0
		.amdhsa_user_sgpr_queue_ptr 0
		.amdhsa_user_sgpr_kernarg_segment_ptr 1
		.amdhsa_user_sgpr_dispatch_id 0
		.amdhsa_user_sgpr_flat_scratch_init 1
		.amdhsa_user_sgpr_kernarg_preload_length 0
		.amdhsa_user_sgpr_kernarg_preload_offset 0
		.amdhsa_user_sgpr_private_segment_size 0
		.amdhsa_uses_dynamic_stack 0
		.amdhsa_system_sgpr_private_segment_wavefront_offset 1
		.amdhsa_system_sgpr_workgroup_id_x 1
		.amdhsa_system_sgpr_workgroup_id_y 0
		.amdhsa_system_sgpr_workgroup_id_z 0
		.amdhsa_system_sgpr_workgroup_info 0
		.amdhsa_system_vgpr_workitem_id 0
		.amdhsa_next_free_vgpr 128
		.amdhsa_next_free_sgpr 23
		.amdhsa_accum_offset 128
		.amdhsa_reserve_vcc 1
		.amdhsa_reserve_flat_scratch 1
		.amdhsa_float_round_mode_32 0
		.amdhsa_float_round_mode_16_64 0
		.amdhsa_float_denorm_mode_32 3
		.amdhsa_float_denorm_mode_16_64 3
		.amdhsa_dx10_clamp 1
		.amdhsa_ieee_mode 1
		.amdhsa_fp16_overflow 0
		.amdhsa_tg_split 0
		.amdhsa_exception_fp_ieee_invalid_op 0
		.amdhsa_exception_fp_denorm_src 0
		.amdhsa_exception_fp_ieee_div_zero 0
		.amdhsa_exception_fp_ieee_overflow 0
		.amdhsa_exception_fp_ieee_underflow 0
		.amdhsa_exception_fp_ieee_inexact 0
		.amdhsa_exception_int_div_zero 0
	.end_amdhsa_kernel
	.section	.text._ZN9rocsolver6v33100L18getri_kernel_smallILi25EdPdEEvT1_iilPiilS4_bb,"axG",@progbits,_ZN9rocsolver6v33100L18getri_kernel_smallILi25EdPdEEvT1_iilPiilS4_bb,comdat
.Lfunc_end24:
	.size	_ZN9rocsolver6v33100L18getri_kernel_smallILi25EdPdEEvT1_iilPiilS4_bb, .Lfunc_end24-_ZN9rocsolver6v33100L18getri_kernel_smallILi25EdPdEEvT1_iilPiilS4_bb
                                        ; -- End function
	.section	.AMDGPU.csdata,"",@progbits
; Kernel info:
; codeLenInByte = 21632
; NumSgprs: 29
; NumVgprs: 128
; NumAgprs: 0
; TotalNumVgprs: 128
; ScratchSize: 208
; MemoryBound: 0
; FloatMode: 240
; IeeeMode: 1
; LDSByteSize: 408 bytes/workgroup (compile time only)
; SGPRBlocks: 3
; VGPRBlocks: 15
; NumSGPRsForWavesPerEU: 29
; NumVGPRsForWavesPerEU: 128
; AccumOffset: 128
; Occupancy: 4
; WaveLimiterHint : 1
; COMPUTE_PGM_RSRC2:SCRATCH_EN: 1
; COMPUTE_PGM_RSRC2:USER_SGPR: 8
; COMPUTE_PGM_RSRC2:TRAP_HANDLER: 0
; COMPUTE_PGM_RSRC2:TGID_X_EN: 1
; COMPUTE_PGM_RSRC2:TGID_Y_EN: 0
; COMPUTE_PGM_RSRC2:TGID_Z_EN: 0
; COMPUTE_PGM_RSRC2:TIDIG_COMP_CNT: 0
; COMPUTE_PGM_RSRC3_GFX90A:ACCUM_OFFSET: 31
; COMPUTE_PGM_RSRC3_GFX90A:TG_SPLIT: 0
	.section	.text._ZN9rocsolver6v33100L18getri_kernel_smallILi26EdPdEEvT1_iilPiilS4_bb,"axG",@progbits,_ZN9rocsolver6v33100L18getri_kernel_smallILi26EdPdEEvT1_iilPiilS4_bb,comdat
	.globl	_ZN9rocsolver6v33100L18getri_kernel_smallILi26EdPdEEvT1_iilPiilS4_bb ; -- Begin function _ZN9rocsolver6v33100L18getri_kernel_smallILi26EdPdEEvT1_iilPiilS4_bb
	.p2align	8
	.type	_ZN9rocsolver6v33100L18getri_kernel_smallILi26EdPdEEvT1_iilPiilS4_bb,@function
_ZN9rocsolver6v33100L18getri_kernel_smallILi26EdPdEEvT1_iilPiilS4_bb: ; @_ZN9rocsolver6v33100L18getri_kernel_smallILi26EdPdEEvT1_iilPiilS4_bb
; %bb.0:
	s_add_u32 flat_scratch_lo, s6, s9
	s_addc_u32 flat_scratch_hi, s7, 0
	s_add_u32 s0, s0, s9
	s_addc_u32 s1, s1, 0
	v_cmp_gt_u32_e32 vcc, 26, v0
	s_and_saveexec_b64 s[6:7], vcc
	s_cbranch_execz .LBB25_112
; %bb.1:
	s_load_dword s22, s[4:5], 0x38
	s_load_dwordx4 s[16:19], s[4:5], 0x10
	s_load_dwordx4 s[12:15], s[4:5], 0x28
                                        ; implicit-def: $sgpr10_sgpr11
	s_waitcnt lgkmcnt(0)
	s_bitcmp1_b32 s22, 8
	s_cselect_b64 s[20:21], -1, 0
	s_ashr_i32 s9, s8, 31
	s_bfe_u32 s6, s22, 0x10008
	s_cmp_eq_u32 s6, 0
	s_cbranch_scc1 .LBB25_3
; %bb.2:
	s_load_dword s6, s[4:5], 0x20
	s_mul_i32 s7, s8, s13
	s_mul_hi_u32 s10, s8, s12
	s_mul_i32 s11, s9, s12
	s_add_i32 s10, s10, s7
	s_add_i32 s11, s10, s11
	s_mul_i32 s10, s8, s12
	s_waitcnt lgkmcnt(0)
	s_ashr_i32 s7, s6, 31
	s_lshl_b64 s[10:11], s[10:11], 2
	s_add_u32 s10, s18, s10
	s_addc_u32 s11, s19, s11
	s_lshl_b64 s[6:7], s[6:7], 2
	s_add_u32 s10, s10, s6
	s_addc_u32 s11, s11, s7
.LBB25_3:
	s_load_dwordx4 s[4:7], s[4:5], 0x0
	s_mul_i32 s12, s8, s17
	s_mul_hi_u32 s13, s8, s16
	s_add_i32 s17, s13, s12
	v_lshlrev_b32_e32 v1, 3, v0
	s_waitcnt lgkmcnt(0)
	s_ashr_i32 s13, s6, 31
	s_mov_b32 s12, s6
	s_mul_i32 s6, s9, s16
	s_add_i32 s17, s17, s6
	s_mul_i32 s16, s8, s16
	s_lshl_b64 s[16:17], s[16:17], 3
	s_add_u32 s6, s4, s16
	s_addc_u32 s16, s5, s17
	s_lshl_b64 s[4:5], s[12:13], 3
	s_add_u32 s4, s6, s4
	s_addc_u32 s5, s16, s5
	s_add_i32 s6, s7, s7
	v_add_u32_e32 v4, s6, v0
	v_mov_b32_e32 v3, s5
	v_add_co_u32_e32 v2, vcc, s4, v1
	v_ashrrev_i32_e32 v5, 31, v4
	v_addc_co_u32_e32 v3, vcc, 0, v3, vcc
	v_add_u32_e32 v6, s7, v4
	v_lshlrev_b64 v[4:5], 3, v[4:5]
	v_mov_b32_e32 v9, s5
	v_ashrrev_i32_e32 v7, 31, v6
	v_add_co_u32_e32 v4, vcc, s4, v4
	v_add_u32_e32 v8, s7, v6
	v_addc_co_u32_e32 v5, vcc, v9, v5, vcc
	v_lshlrev_b64 v[6:7], 3, v[6:7]
	v_mov_b32_e32 v11, s5
	v_ashrrev_i32_e32 v9, 31, v8
	v_add_co_u32_e32 v6, vcc, s4, v6
	v_add_u32_e32 v10, s7, v8
	v_addc_co_u32_e32 v7, vcc, v11, v7, vcc
	;; [unrolled: 6-line block ×4, first 2 shown]
	v_lshlrev_b64 v[12:13], 3, v[12:13]
	v_mov_b32_e32 v17, s5
	v_add_co_u32_e32 v12, vcc, s4, v12
	v_ashrrev_i32_e32 v15, 31, v14
	v_add_u32_e32 v16, s7, v14
	v_addc_co_u32_e32 v13, vcc, v17, v13, vcc
	v_lshlrev_b64 v[14:15], 3, v[14:15]
	v_add_co_u32_e32 v14, vcc, s4, v14
	v_addc_co_u32_e32 v15, vcc, v17, v15, vcc
	v_ashrrev_i32_e32 v17, 31, v16
	v_add_u32_e32 v18, s7, v16
	v_lshlrev_b64 v[16:17], 3, v[16:17]
	v_mov_b32_e32 v19, s5
	v_add_co_u32_e32 v16, vcc, s4, v16
	v_addc_co_u32_e32 v17, vcc, v19, v17, vcc
	v_ashrrev_i32_e32 v19, 31, v18
	v_add_u32_e32 v20, s7, v18
	v_lshlrev_b64 v[18:19], 3, v[18:19]
	v_mov_b32_e32 v21, s5
	;; [unrolled: 6-line block ×12, first 2 shown]
	v_add_co_u32_e32 v38, vcc, s4, v38
	v_addc_co_u32_e32 v39, vcc, v41, v39, vcc
	v_ashrrev_i32_e32 v41, 31, v40
	v_add_u32_e32 v42, s7, v40
	v_lshlrev_b64 v[40:41], 3, v[40:41]
	v_add_u32_e32 v44, s7, v42
	v_mov_b32_e32 v43, s5
	v_add_co_u32_e32 v40, vcc, s4, v40
	v_add_u32_e32 v48, s7, v44
	v_addc_co_u32_e32 v41, vcc, v43, v41, vcc
	v_ashrrev_i32_e32 v43, 31, v42
	v_add_u32_e32 v50, s7, v48
	v_lshlrev_b64 v[42:43], 3, v[42:43]
	s_mov_b32 s12, s7
	s_ashr_i32 s13, s7, 31
	v_add_u32_e32 v46, s7, v50
	v_mov_b32_e32 v45, s5
	v_add_co_u32_e32 v42, vcc, s4, v42
	s_lshl_b64 s[12:13], s[12:13], 3
	v_ashrrev_i32_e32 v47, 31, v46
	v_addc_co_u32_e32 v43, vcc, v45, v43, vcc
	v_mov_b32_e32 v49, s13
	v_lshlrev_b64 v[52:53], 3, v[46:47]
	v_ashrrev_i32_e32 v45, 31, v44
	v_add_co_u32_e32 v46, vcc, s12, v2
	v_addc_co_u32_e32 v47, vcc, v3, v49, vcc
	v_lshlrev_b64 v[44:45], 3, v[44:45]
	v_mov_b32_e32 v49, s5
	v_add_co_u32_e32 v44, vcc, s4, v44
	v_addc_co_u32_e32 v45, vcc, v49, v45, vcc
	v_ashrrev_i32_e32 v49, 31, v48
	v_lshlrev_b64 v[48:49], 3, v[48:49]
	v_mov_b32_e32 v51, s5
	v_add_co_u32_e32 v48, vcc, s4, v48
	v_addc_co_u32_e32 v49, vcc, v51, v49, vcc
	v_ashrrev_i32_e32 v51, 31, v50
	v_lshlrev_b64 v[50:51], 3, v[50:51]
	v_mov_b32_e32 v96, s5
	v_add_co_u32_e32 v50, vcc, s4, v50
	global_load_dwordx2 v[54:55], v1, s[4:5]
	global_load_dwordx2 v[58:59], v[4:5], off
	global_load_dwordx2 v[56:57], v[46:47], off
	;; [unrolled: 1-line block ×20, first 2 shown]
	v_addc_co_u32_e32 v51, vcc, v96, v51, vcc
	global_load_dwordx2 v[96:97], v[42:43], off
	global_load_dwordx2 v[98:99], v[44:45], off
	;; [unrolled: 1-line block ×4, first 2 shown]
	v_mov_b32_e32 v104, s5
	v_add_co_u32_e32 v52, vcc, s4, v52
	v_addc_co_u32_e32 v53, vcc, v104, v53, vcc
	global_load_dwordx2 v[104:105], v[52:53], off
	s_bitcmp0_b32 s22, 0
	s_mov_b64 s[6:7], -1
	s_waitcnt vmcnt(25)
	buffer_store_dword v55, off, s[0:3], 0 offset:4
	buffer_store_dword v54, off, s[0:3], 0
	s_waitcnt vmcnt(25)
	buffer_store_dword v57, off, s[0:3], 0 offset:12
	buffer_store_dword v56, off, s[0:3], 0 offset:8
	;; [unrolled: 1-line block ×4, first 2 shown]
	s_waitcnt vmcnt(28)
	buffer_store_dword v61, off, s[0:3], 0 offset:28
	buffer_store_dword v60, off, s[0:3], 0 offset:24
	s_waitcnt vmcnt(29)
	buffer_store_dword v63, off, s[0:3], 0 offset:36
	buffer_store_dword v62, off, s[0:3], 0 offset:32
	;; [unrolled: 3-line block ×23, first 2 shown]
	s_cbranch_scc1 .LBB25_110
; %bb.4:
	v_cmp_eq_u32_e64 s[4:5], 0, v0
	s_and_saveexec_b64 s[6:7], s[4:5]
	s_cbranch_execz .LBB25_6
; %bb.5:
	v_mov_b32_e32 v54, 0
	ds_write_b32 v54, v54 offset:416
.LBB25_6:
	s_or_b64 exec, exec, s[6:7]
	v_mov_b32_e32 v54, 0
	v_lshl_add_u32 v54, v0, 3, v54
	s_waitcnt lgkmcnt(0)
	; wave barrier
	s_waitcnt lgkmcnt(0)
	buffer_load_dword v56, v54, s[0:3], 0 offen
	buffer_load_dword v57, v54, s[0:3], 0 offen offset:4
	s_waitcnt vmcnt(0)
	v_cmp_eq_f64_e32 vcc, 0, v[56:57]
	s_and_saveexec_b64 s[12:13], vcc
	s_cbranch_execz .LBB25_10
; %bb.7:
	v_mov_b32_e32 v55, 0
	ds_read_b32 v57, v55 offset:416
	v_add_u32_e32 v56, 1, v0
	s_waitcnt lgkmcnt(0)
	v_readfirstlane_b32 s6, v57
	s_cmp_eq_u32 s6, 0
	s_cselect_b64 s[16:17], -1, 0
	v_cmp_gt_i32_e32 vcc, s6, v56
	s_or_b64 s[16:17], s[16:17], vcc
	s_and_b64 exec, exec, s[16:17]
	s_cbranch_execz .LBB25_10
; %bb.8:
	s_mov_b64 s[16:17], 0
	v_mov_b32_e32 v57, s6
.LBB25_9:                               ; =>This Inner Loop Header: Depth=1
	ds_cmpst_rtn_b32 v57, v55, v57, v56 offset:416
	s_waitcnt lgkmcnt(0)
	v_cmp_ne_u32_e32 vcc, 0, v57
	v_cmp_le_i32_e64 s[6:7], v57, v56
	s_and_b64 s[6:7], vcc, s[6:7]
	s_and_b64 s[6:7], exec, s[6:7]
	s_or_b64 s[16:17], s[6:7], s[16:17]
	s_andn2_b64 exec, exec, s[16:17]
	s_cbranch_execnz .LBB25_9
.LBB25_10:
	s_or_b64 exec, exec, s[12:13]
	v_mov_b32_e32 v56, 0
	s_waitcnt lgkmcnt(0)
	; wave barrier
	ds_read_b32 v55, v56 offset:416
	s_and_saveexec_b64 s[6:7], s[4:5]
	s_cbranch_execz .LBB25_12
; %bb.11:
	s_lshl_b64 s[12:13], s[8:9], 2
	s_add_u32 s12, s14, s12
	s_addc_u32 s13, s15, s13
	s_waitcnt lgkmcnt(0)
	global_store_dword v56, v55, s[12:13]
.LBB25_12:
	s_or_b64 exec, exec, s[6:7]
	s_waitcnt lgkmcnt(0)
	v_cmp_ne_u32_e32 vcc, 0, v55
	s_mov_b64 s[6:7], 0
	s_cbranch_vccnz .LBB25_110
; %bb.13:
	buffer_load_dword v56, v54, s[0:3], 0 offen
	buffer_load_dword v57, v54, s[0:3], 0 offen offset:4
	s_waitcnt vmcnt(0)
	v_div_scale_f64 v[58:59], s[6:7], v[56:57], v[56:57], 1.0
	v_rcp_f64_e32 v[60:61], v[58:59]
	v_div_scale_f64 v[62:63], vcc, 1.0, v[56:57], 1.0
	v_fma_f64 v[64:65], -v[58:59], v[60:61], 1.0
	v_fmac_f64_e32 v[60:61], v[60:61], v[64:65]
	v_fma_f64 v[64:65], -v[58:59], v[60:61], 1.0
	v_fmac_f64_e32 v[60:61], v[60:61], v[64:65]
	v_mul_f64 v[64:65], v[62:63], v[60:61]
	v_fma_f64 v[58:59], -v[58:59], v[64:65], v[62:63]
	v_div_fmas_f64 v[58:59], v[58:59], v[60:61], v[64:65]
	v_div_fixup_f64 v[58:59], v[58:59], v[56:57], 1.0
	buffer_store_dword v59, v54, s[0:3], 0 offen offset:4
	buffer_store_dword v58, v54, s[0:3], 0 offen
	buffer_load_dword v61, off, s[0:3], 0 offset:12
	buffer_load_dword v60, off, s[0:3], 0 offset:8
	v_add_u32_e32 v56, 0xd0, v1
	v_xor_b32_e32 v59, 0x80000000, v59
	s_waitcnt vmcnt(0)
	ds_write2_b64 v1, v[58:59], v[60:61] offset1:26
	s_waitcnt lgkmcnt(0)
	; wave barrier
	s_waitcnt lgkmcnt(0)
	s_and_saveexec_b64 s[6:7], s[4:5]
	s_cbranch_execz .LBB25_15
; %bb.14:
	buffer_load_dword v58, v54, s[0:3], 0 offen
	buffer_load_dword v59, v54, s[0:3], 0 offen offset:4
	v_mov_b32_e32 v55, 0
	ds_read_b64 v[60:61], v56
	ds_read_b64 v[62:63], v55 offset:8
	s_waitcnt vmcnt(0) lgkmcnt(1)
	v_fma_f64 v[58:59], v[58:59], v[60:61], 0
	s_waitcnt lgkmcnt(0)
	v_mul_f64 v[58:59], v[58:59], v[62:63]
	buffer_store_dword v58, off, s[0:3], 0 offset:8
	buffer_store_dword v59, off, s[0:3], 0 offset:12
.LBB25_15:
	s_or_b64 exec, exec, s[6:7]
	s_waitcnt lgkmcnt(0)
	; wave barrier
	buffer_load_dword v58, off, s[0:3], 0 offset:16
	buffer_load_dword v59, off, s[0:3], 0 offset:20
	v_cmp_gt_u32_e32 vcc, 2, v0
	s_waitcnt vmcnt(0)
	ds_write_b64 v56, v[58:59]
	s_waitcnt lgkmcnt(0)
	; wave barrier
	s_waitcnt lgkmcnt(0)
	s_and_saveexec_b64 s[6:7], vcc
	s_cbranch_execz .LBB25_17
; %bb.16:
	buffer_load_dword v55, v54, s[0:3], 0 offen offset:4
	buffer_load_dword v62, off, s[0:3], 0 offset:8
	s_nop 0
	buffer_load_dword v54, v54, s[0:3], 0 offen
	s_nop 0
	buffer_load_dword v63, off, s[0:3], 0 offset:12
	ds_read_b64 v[64:65], v56
	v_mov_b32_e32 v57, 0
	ds_read2_b64 v[58:61], v57 offset0:2 offset1:27
	s_waitcnt vmcnt(1) lgkmcnt(1)
	v_fma_f64 v[54:55], v[54:55], v[64:65], 0
	s_waitcnt vmcnt(0) lgkmcnt(0)
	v_fma_f64 v[60:61], v[62:63], v[60:61], v[54:55]
	v_cndmask_b32_e64 v55, v55, v61, s[4:5]
	v_cndmask_b32_e64 v54, v54, v60, s[4:5]
	v_mul_f64 v[54:55], v[54:55], v[58:59]
	buffer_store_dword v55, off, s[0:3], 0 offset:20
	buffer_store_dword v54, off, s[0:3], 0 offset:16
.LBB25_17:
	s_or_b64 exec, exec, s[6:7]
	s_waitcnt lgkmcnt(0)
	; wave barrier
	buffer_load_dword v54, off, s[0:3], 0 offset:24
	buffer_load_dword v55, off, s[0:3], 0 offset:28
	v_cmp_gt_u32_e32 vcc, 3, v0
	v_add_u32_e32 v57, -1, v0
	s_waitcnt vmcnt(0)
	ds_write_b64 v56, v[54:55]
	s_waitcnt lgkmcnt(0)
	; wave barrier
	s_waitcnt lgkmcnt(0)
	s_and_saveexec_b64 s[4:5], vcc
	s_cbranch_execz .LBB25_21
; %bb.18:
	v_add_u32_e32 v58, -1, v0
	v_add_u32_e32 v59, 0xd0, v1
	v_add_u32_e32 v60, 0, v1
	s_mov_b64 s[6:7], 0
	v_pk_mov_b32 v[54:55], 0, 0
.LBB25_19:                              ; =>This Inner Loop Header: Depth=1
	buffer_load_dword v62, v60, s[0:3], 0 offen
	buffer_load_dword v63, v60, s[0:3], 0 offen offset:4
	ds_read_b64 v[64:65], v59
	v_add_u32_e32 v58, 1, v58
	v_cmp_lt_u32_e32 vcc, 1, v58
	v_add_u32_e32 v59, 8, v59
	v_add_u32_e32 v60, 8, v60
	s_or_b64 s[6:7], vcc, s[6:7]
	s_waitcnt vmcnt(0) lgkmcnt(0)
	v_fmac_f64_e32 v[54:55], v[62:63], v[64:65]
	s_andn2_b64 exec, exec, s[6:7]
	s_cbranch_execnz .LBB25_19
; %bb.20:
	s_or_b64 exec, exec, s[6:7]
	v_mov_b32_e32 v58, 0
	ds_read_b64 v[58:59], v58 offset:24
	s_waitcnt lgkmcnt(0)
	v_mul_f64 v[54:55], v[54:55], v[58:59]
	buffer_store_dword v55, off, s[0:3], 0 offset:28
	buffer_store_dword v54, off, s[0:3], 0 offset:24
.LBB25_21:
	s_or_b64 exec, exec, s[4:5]
	s_waitcnt lgkmcnt(0)
	; wave barrier
	buffer_load_dword v54, off, s[0:3], 0 offset:32
	buffer_load_dword v55, off, s[0:3], 0 offset:36
	v_cmp_gt_u32_e32 vcc, 4, v0
	s_waitcnt vmcnt(0)
	ds_write_b64 v56, v[54:55]
	s_waitcnt lgkmcnt(0)
	; wave barrier
	s_waitcnt lgkmcnt(0)
	s_and_saveexec_b64 s[4:5], vcc
	s_cbranch_execz .LBB25_25
; %bb.22:
	v_add_u32_e32 v58, -1, v0
	v_add_u32_e32 v59, 0xd0, v1
	v_add_u32_e32 v60, 0, v1
	s_mov_b64 s[6:7], 0
	v_pk_mov_b32 v[54:55], 0, 0
.LBB25_23:                              ; =>This Inner Loop Header: Depth=1
	buffer_load_dword v62, v60, s[0:3], 0 offen
	buffer_load_dword v63, v60, s[0:3], 0 offen offset:4
	ds_read_b64 v[64:65], v59
	v_add_u32_e32 v58, 1, v58
	v_cmp_lt_u32_e32 vcc, 2, v58
	v_add_u32_e32 v59, 8, v59
	v_add_u32_e32 v60, 8, v60
	s_or_b64 s[6:7], vcc, s[6:7]
	s_waitcnt vmcnt(0) lgkmcnt(0)
	v_fmac_f64_e32 v[54:55], v[62:63], v[64:65]
	s_andn2_b64 exec, exec, s[6:7]
	s_cbranch_execnz .LBB25_23
; %bb.24:
	s_or_b64 exec, exec, s[6:7]
	v_mov_b32_e32 v58, 0
	ds_read_b64 v[58:59], v58 offset:32
	s_waitcnt lgkmcnt(0)
	v_mul_f64 v[54:55], v[54:55], v[58:59]
	buffer_store_dword v55, off, s[0:3], 0 offset:36
	buffer_store_dword v54, off, s[0:3], 0 offset:32
.LBB25_25:
	s_or_b64 exec, exec, s[4:5]
	s_waitcnt lgkmcnt(0)
	; wave barrier
	buffer_load_dword v54, off, s[0:3], 0 offset:40
	buffer_load_dword v55, off, s[0:3], 0 offset:44
	v_cmp_gt_u32_e32 vcc, 5, v0
	;; [unrolled: 41-line block ×21, first 2 shown]
	s_waitcnt vmcnt(0)
	ds_write_b64 v56, v[54:55]
	s_waitcnt lgkmcnt(0)
	; wave barrier
	s_waitcnt lgkmcnt(0)
	s_and_saveexec_b64 s[4:5], vcc
	s_cbranch_execz .LBB25_105
; %bb.102:
	v_add_u32_e32 v58, -1, v0
	v_add_u32_e32 v59, 0xd0, v1
	v_add_u32_e32 v60, 0, v1
	s_mov_b64 s[6:7], 0
	v_pk_mov_b32 v[54:55], 0, 0
.LBB25_103:                             ; =>This Inner Loop Header: Depth=1
	buffer_load_dword v62, v60, s[0:3], 0 offen
	buffer_load_dword v63, v60, s[0:3], 0 offen offset:4
	ds_read_b64 v[64:65], v59
	v_add_u32_e32 v58, 1, v58
	v_cmp_lt_u32_e32 vcc, 22, v58
	v_add_u32_e32 v59, 8, v59
	v_add_u32_e32 v60, 8, v60
	s_or_b64 s[6:7], vcc, s[6:7]
	s_waitcnt vmcnt(0) lgkmcnt(0)
	v_fmac_f64_e32 v[54:55], v[62:63], v[64:65]
	s_andn2_b64 exec, exec, s[6:7]
	s_cbranch_execnz .LBB25_103
; %bb.104:
	s_or_b64 exec, exec, s[6:7]
	v_mov_b32_e32 v58, 0
	ds_read_b64 v[58:59], v58 offset:192
	s_waitcnt lgkmcnt(0)
	v_mul_f64 v[54:55], v[54:55], v[58:59]
	buffer_store_dword v55, off, s[0:3], 0 offset:196
	buffer_store_dword v54, off, s[0:3], 0 offset:192
.LBB25_105:
	s_or_b64 exec, exec, s[4:5]
	s_waitcnt lgkmcnt(0)
	; wave barrier
	buffer_load_dword v54, off, s[0:3], 0 offset:200
	buffer_load_dword v55, off, s[0:3], 0 offset:204
	v_cmp_ne_u32_e32 vcc, 25, v0
	s_waitcnt vmcnt(0)
	ds_write_b64 v56, v[54:55]
	s_waitcnt lgkmcnt(0)
	; wave barrier
	s_waitcnt lgkmcnt(0)
	s_and_saveexec_b64 s[4:5], vcc
	s_cbranch_execz .LBB25_109
; %bb.106:
	v_add_u32_e32 v56, 0xd0, v1
	v_add_u32_e32 v1, 0, v1
	s_mov_b64 s[6:7], 0
	v_pk_mov_b32 v[54:55], 0, 0
.LBB25_107:                             ; =>This Inner Loop Header: Depth=1
	buffer_load_dword v58, v1, s[0:3], 0 offen
	buffer_load_dword v59, v1, s[0:3], 0 offen offset:4
	ds_read_b64 v[60:61], v56
	v_add_u32_e32 v57, 1, v57
	v_cmp_lt_u32_e32 vcc, 23, v57
	v_add_u32_e32 v56, 8, v56
	v_add_u32_e32 v1, 8, v1
	s_or_b64 s[6:7], vcc, s[6:7]
	s_waitcnt vmcnt(0) lgkmcnt(0)
	v_fmac_f64_e32 v[54:55], v[58:59], v[60:61]
	s_andn2_b64 exec, exec, s[6:7]
	s_cbranch_execnz .LBB25_107
; %bb.108:
	s_or_b64 exec, exec, s[6:7]
	v_mov_b32_e32 v1, 0
	ds_read_b64 v[56:57], v1 offset:200
	s_waitcnt lgkmcnt(0)
	v_mul_f64 v[54:55], v[54:55], v[56:57]
	buffer_store_dword v55, off, s[0:3], 0 offset:204
	buffer_store_dword v54, off, s[0:3], 0 offset:200
.LBB25_109:
	s_or_b64 exec, exec, s[4:5]
	s_mov_b64 s[6:7], -1
	s_waitcnt lgkmcnt(0)
	; wave barrier
.LBB25_110:
	s_and_b64 vcc, exec, s[6:7]
	s_cbranch_vccz .LBB25_112
; %bb.111:
	s_lshl_b64 s[4:5], s[8:9], 2
	s_add_u32 s4, s14, s4
	s_addc_u32 s5, s15, s5
	v_mov_b32_e32 v1, 0
	global_load_dword v1, v1, s[4:5]
	s_waitcnt vmcnt(0)
	v_cmp_ne_u32_e32 vcc, 0, v1
	s_cbranch_vccz .LBB25_113
.LBB25_112:
	s_endpgm
.LBB25_113:
	v_mov_b32_e32 v1, 0xd0
	v_lshl_add_u32 v1, v0, 3, v1
	v_cmp_eq_u32_e32 vcc, 25, v0
	s_and_saveexec_b64 s[4:5], vcc
	s_cbranch_execz .LBB25_115
; %bb.114:
	buffer_load_dword v54, off, s[0:3], 0 offset:192
	buffer_load_dword v55, off, s[0:3], 0 offset:196
	v_mov_b32_e32 v56, 0
	buffer_store_dword v56, off, s[0:3], 0 offset:192
	buffer_store_dword v56, off, s[0:3], 0 offset:196
	s_waitcnt vmcnt(2)
	ds_write_b64 v1, v[54:55]
.LBB25_115:
	s_or_b64 exec, exec, s[4:5]
	s_waitcnt lgkmcnt(0)
	; wave barrier
	s_waitcnt lgkmcnt(0)
	buffer_load_dword v56, off, s[0:3], 0 offset:200
	buffer_load_dword v57, off, s[0:3], 0 offset:204
	buffer_load_dword v58, off, s[0:3], 0 offset:192
	buffer_load_dword v59, off, s[0:3], 0 offset:196
	v_mov_b32_e32 v54, 0
	ds_read_b64 v[60:61], v54 offset:408
	v_cmp_lt_u32_e32 vcc, 23, v0
	s_waitcnt vmcnt(2) lgkmcnt(0)
	v_fma_f64 v[56:57], v[56:57], v[60:61], 0
	s_waitcnt vmcnt(0)
	v_add_f64 v[56:57], v[58:59], -v[56:57]
	buffer_store_dword v56, off, s[0:3], 0 offset:192
	buffer_store_dword v57, off, s[0:3], 0 offset:196
	s_and_saveexec_b64 s[4:5], vcc
	s_cbranch_execz .LBB25_117
; %bb.116:
	buffer_load_dword v56, off, s[0:3], 0 offset:184
	buffer_load_dword v57, off, s[0:3], 0 offset:188
	s_waitcnt vmcnt(0)
	ds_write_b64 v1, v[56:57]
	buffer_store_dword v54, off, s[0:3], 0 offset:184
	buffer_store_dword v54, off, s[0:3], 0 offset:188
.LBB25_117:
	s_or_b64 exec, exec, s[4:5]
	s_waitcnt lgkmcnt(0)
	; wave barrier
	s_waitcnt lgkmcnt(0)
	buffer_load_dword v58, off, s[0:3], 0 offset:192
	buffer_load_dword v59, off, s[0:3], 0 offset:196
	;; [unrolled: 1-line block ×6, first 2 shown]
	ds_read_b128 v[54:57], v54 offset:400
	v_cmp_lt_u32_e32 vcc, 22, v0
	s_waitcnt vmcnt(4) lgkmcnt(0)
	v_fma_f64 v[54:55], v[58:59], v[54:55], 0
	s_waitcnt vmcnt(2)
	v_fmac_f64_e32 v[54:55], v[60:61], v[56:57]
	s_waitcnt vmcnt(0)
	v_add_f64 v[54:55], v[62:63], -v[54:55]
	buffer_store_dword v54, off, s[0:3], 0 offset:184
	buffer_store_dword v55, off, s[0:3], 0 offset:188
	s_and_saveexec_b64 s[4:5], vcc
	s_cbranch_execz .LBB25_119
; %bb.118:
	buffer_load_dword v54, off, s[0:3], 0 offset:176
	buffer_load_dword v55, off, s[0:3], 0 offset:180
	v_mov_b32_e32 v56, 0
	buffer_store_dword v56, off, s[0:3], 0 offset:176
	buffer_store_dword v56, off, s[0:3], 0 offset:180
	s_waitcnt vmcnt(2)
	ds_write_b64 v1, v[54:55]
.LBB25_119:
	s_or_b64 exec, exec, s[4:5]
	s_waitcnt lgkmcnt(0)
	; wave barrier
	s_waitcnt lgkmcnt(0)
	buffer_load_dword v60, off, s[0:3], 0 offset:184
	buffer_load_dword v61, off, s[0:3], 0 offset:188
	;; [unrolled: 1-line block ×8, first 2 shown]
	v_mov_b32_e32 v54, 0
	ds_read2_b64 v[56:59], v54 offset0:49 offset1:50
	ds_read_b64 v[68:69], v54 offset:408
	v_cmp_lt_u32_e32 vcc, 21, v0
	s_waitcnt vmcnt(6) lgkmcnt(1)
	v_fma_f64 v[56:57], v[60:61], v[56:57], 0
	s_waitcnt vmcnt(4)
	v_fmac_f64_e32 v[56:57], v[62:63], v[58:59]
	s_waitcnt vmcnt(2) lgkmcnt(0)
	v_fmac_f64_e32 v[56:57], v[64:65], v[68:69]
	s_waitcnt vmcnt(0)
	v_add_f64 v[56:57], v[66:67], -v[56:57]
	buffer_store_dword v56, off, s[0:3], 0 offset:176
	buffer_store_dword v57, off, s[0:3], 0 offset:180
	s_and_saveexec_b64 s[4:5], vcc
	s_cbranch_execz .LBB25_121
; %bb.120:
	buffer_load_dword v56, off, s[0:3], 0 offset:168
	buffer_load_dword v57, off, s[0:3], 0 offset:172
	s_waitcnt vmcnt(0)
	ds_write_b64 v1, v[56:57]
	buffer_store_dword v54, off, s[0:3], 0 offset:168
	buffer_store_dword v54, off, s[0:3], 0 offset:172
.LBB25_121:
	s_or_b64 exec, exec, s[4:5]
	s_waitcnt lgkmcnt(0)
	; wave barrier
	s_waitcnt lgkmcnt(0)
	buffer_load_dword v64, off, s[0:3], 0 offset:176
	buffer_load_dword v65, off, s[0:3], 0 offset:180
	;; [unrolled: 1-line block ×10, first 2 shown]
	ds_read_b128 v[56:59], v54 offset:384
	ds_read_b128 v[60:63], v54 offset:400
	v_cmp_lt_u32_e32 vcc, 20, v0
	s_waitcnt vmcnt(8) lgkmcnt(1)
	v_fma_f64 v[54:55], v[64:65], v[56:57], 0
	s_waitcnt vmcnt(6)
	v_fmac_f64_e32 v[54:55], v[66:67], v[58:59]
	s_waitcnt vmcnt(4) lgkmcnt(0)
	v_fmac_f64_e32 v[54:55], v[68:69], v[60:61]
	s_waitcnt vmcnt(2)
	v_fmac_f64_e32 v[54:55], v[70:71], v[62:63]
	s_waitcnt vmcnt(0)
	v_add_f64 v[54:55], v[72:73], -v[54:55]
	buffer_store_dword v54, off, s[0:3], 0 offset:168
	buffer_store_dword v55, off, s[0:3], 0 offset:172
	s_and_saveexec_b64 s[4:5], vcc
	s_cbranch_execz .LBB25_123
; %bb.122:
	buffer_load_dword v54, off, s[0:3], 0 offset:160
	buffer_load_dword v55, off, s[0:3], 0 offset:164
	v_mov_b32_e32 v56, 0
	buffer_store_dword v56, off, s[0:3], 0 offset:160
	buffer_store_dword v56, off, s[0:3], 0 offset:164
	s_waitcnt vmcnt(2)
	ds_write_b64 v1, v[54:55]
.LBB25_123:
	s_or_b64 exec, exec, s[4:5]
	s_waitcnt lgkmcnt(0)
	; wave barrier
	s_waitcnt lgkmcnt(0)
	buffer_load_dword v64, off, s[0:3], 0 offset:168
	buffer_load_dword v65, off, s[0:3], 0 offset:172
	;; [unrolled: 1-line block ×12, first 2 shown]
	v_mov_b32_e32 v54, 0
	ds_read2_b64 v[56:59], v54 offset0:47 offset1:48
	ds_read2_b64 v[60:63], v54 offset0:49 offset1:50
	ds_read_b64 v[76:77], v54 offset:408
	v_cmp_lt_u32_e32 vcc, 19, v0
	s_waitcnt vmcnt(10) lgkmcnt(2)
	v_fma_f64 v[56:57], v[64:65], v[56:57], 0
	s_waitcnt vmcnt(8)
	v_fmac_f64_e32 v[56:57], v[66:67], v[58:59]
	s_waitcnt vmcnt(6) lgkmcnt(1)
	v_fmac_f64_e32 v[56:57], v[68:69], v[60:61]
	s_waitcnt vmcnt(4)
	v_fmac_f64_e32 v[56:57], v[70:71], v[62:63]
	s_waitcnt vmcnt(2) lgkmcnt(0)
	v_fmac_f64_e32 v[56:57], v[72:73], v[76:77]
	s_waitcnt vmcnt(0)
	v_add_f64 v[56:57], v[74:75], -v[56:57]
	buffer_store_dword v56, off, s[0:3], 0 offset:160
	buffer_store_dword v57, off, s[0:3], 0 offset:164
	s_and_saveexec_b64 s[4:5], vcc
	s_cbranch_execz .LBB25_125
; %bb.124:
	buffer_load_dword v56, off, s[0:3], 0 offset:152
	buffer_load_dword v57, off, s[0:3], 0 offset:156
	s_waitcnt vmcnt(0)
	ds_write_b64 v1, v[56:57]
	buffer_store_dword v54, off, s[0:3], 0 offset:152
	buffer_store_dword v54, off, s[0:3], 0 offset:156
.LBB25_125:
	s_or_b64 exec, exec, s[4:5]
	s_waitcnt lgkmcnt(0)
	; wave barrier
	s_waitcnt lgkmcnt(0)
	buffer_load_dword v68, off, s[0:3], 0 offset:160
	buffer_load_dword v69, off, s[0:3], 0 offset:164
	;; [unrolled: 1-line block ×14, first 2 shown]
	ds_read_b128 v[56:59], v54 offset:368
	ds_read_b128 v[60:63], v54 offset:384
	ds_read_b128 v[64:67], v54 offset:400
	v_cmp_lt_u32_e32 vcc, 18, v0
	s_waitcnt vmcnt(12) lgkmcnt(2)
	v_fma_f64 v[54:55], v[68:69], v[56:57], 0
	s_waitcnt vmcnt(10)
	v_fmac_f64_e32 v[54:55], v[70:71], v[58:59]
	s_waitcnt vmcnt(8) lgkmcnt(1)
	v_fmac_f64_e32 v[54:55], v[72:73], v[60:61]
	s_waitcnt vmcnt(6)
	v_fmac_f64_e32 v[54:55], v[74:75], v[62:63]
	s_waitcnt vmcnt(4) lgkmcnt(0)
	v_fmac_f64_e32 v[54:55], v[76:77], v[64:65]
	s_waitcnt vmcnt(2)
	v_fmac_f64_e32 v[54:55], v[78:79], v[66:67]
	s_waitcnt vmcnt(0)
	v_add_f64 v[54:55], v[80:81], -v[54:55]
	buffer_store_dword v54, off, s[0:3], 0 offset:152
	buffer_store_dword v55, off, s[0:3], 0 offset:156
	s_and_saveexec_b64 s[4:5], vcc
	s_cbranch_execz .LBB25_127
; %bb.126:
	buffer_load_dword v54, off, s[0:3], 0 offset:144
	buffer_load_dword v55, off, s[0:3], 0 offset:148
	v_mov_b32_e32 v56, 0
	buffer_store_dword v56, off, s[0:3], 0 offset:144
	buffer_store_dword v56, off, s[0:3], 0 offset:148
	s_waitcnt vmcnt(2)
	ds_write_b64 v1, v[54:55]
.LBB25_127:
	s_or_b64 exec, exec, s[4:5]
	s_waitcnt lgkmcnt(0)
	; wave barrier
	s_waitcnt lgkmcnt(0)
	buffer_load_dword v68, off, s[0:3], 0 offset:152
	buffer_load_dword v69, off, s[0:3], 0 offset:156
	;; [unrolled: 1-line block ×16, first 2 shown]
	v_mov_b32_e32 v54, 0
	ds_read2_b64 v[56:59], v54 offset0:45 offset1:46
	ds_read2_b64 v[60:63], v54 offset0:47 offset1:48
	;; [unrolled: 1-line block ×3, first 2 shown]
	ds_read_b64 v[84:85], v54 offset:408
	v_cmp_lt_u32_e32 vcc, 17, v0
	s_waitcnt vmcnt(14) lgkmcnt(3)
	v_fma_f64 v[56:57], v[68:69], v[56:57], 0
	s_waitcnt vmcnt(12)
	v_fmac_f64_e32 v[56:57], v[70:71], v[58:59]
	s_waitcnt vmcnt(10) lgkmcnt(2)
	v_fmac_f64_e32 v[56:57], v[72:73], v[60:61]
	s_waitcnt vmcnt(8)
	v_fmac_f64_e32 v[56:57], v[74:75], v[62:63]
	s_waitcnt vmcnt(6) lgkmcnt(1)
	v_fmac_f64_e32 v[56:57], v[76:77], v[64:65]
	;; [unrolled: 4-line block ×3, first 2 shown]
	s_waitcnt vmcnt(0)
	v_add_f64 v[56:57], v[82:83], -v[56:57]
	buffer_store_dword v56, off, s[0:3], 0 offset:144
	buffer_store_dword v57, off, s[0:3], 0 offset:148
	s_and_saveexec_b64 s[4:5], vcc
	s_cbranch_execz .LBB25_129
; %bb.128:
	buffer_load_dword v56, off, s[0:3], 0 offset:136
	buffer_load_dword v57, off, s[0:3], 0 offset:140
	s_waitcnt vmcnt(0)
	ds_write_b64 v1, v[56:57]
	buffer_store_dword v54, off, s[0:3], 0 offset:136
	buffer_store_dword v54, off, s[0:3], 0 offset:140
.LBB25_129:
	s_or_b64 exec, exec, s[4:5]
	s_waitcnt lgkmcnt(0)
	; wave barrier
	s_waitcnt lgkmcnt(0)
	buffer_load_dword v72, off, s[0:3], 0 offset:144
	buffer_load_dword v73, off, s[0:3], 0 offset:148
	;; [unrolled: 1-line block ×18, first 2 shown]
	ds_read_b128 v[56:59], v54 offset:352
	ds_read_b128 v[60:63], v54 offset:368
	;; [unrolled: 1-line block ×4, first 2 shown]
	v_cmp_lt_u32_e32 vcc, 16, v0
	s_waitcnt vmcnt(16) lgkmcnt(3)
	v_fma_f64 v[54:55], v[72:73], v[56:57], 0
	s_waitcnt vmcnt(14)
	v_fmac_f64_e32 v[54:55], v[74:75], v[58:59]
	s_waitcnt vmcnt(12) lgkmcnt(2)
	v_fmac_f64_e32 v[54:55], v[76:77], v[60:61]
	s_waitcnt vmcnt(10)
	v_fmac_f64_e32 v[54:55], v[78:79], v[62:63]
	s_waitcnt vmcnt(8) lgkmcnt(1)
	v_fmac_f64_e32 v[54:55], v[80:81], v[64:65]
	;; [unrolled: 4-line block ×3, first 2 shown]
	s_waitcnt vmcnt(2)
	v_fmac_f64_e32 v[54:55], v[86:87], v[70:71]
	s_waitcnt vmcnt(0)
	v_add_f64 v[54:55], v[88:89], -v[54:55]
	buffer_store_dword v54, off, s[0:3], 0 offset:136
	buffer_store_dword v55, off, s[0:3], 0 offset:140
	s_and_saveexec_b64 s[4:5], vcc
	s_cbranch_execz .LBB25_131
; %bb.130:
	buffer_load_dword v54, off, s[0:3], 0 offset:128
	buffer_load_dword v55, off, s[0:3], 0 offset:132
	v_mov_b32_e32 v56, 0
	buffer_store_dword v56, off, s[0:3], 0 offset:128
	buffer_store_dword v56, off, s[0:3], 0 offset:132
	s_waitcnt vmcnt(2)
	ds_write_b64 v1, v[54:55]
.LBB25_131:
	s_or_b64 exec, exec, s[4:5]
	s_waitcnt lgkmcnt(0)
	; wave barrier
	s_waitcnt lgkmcnt(0)
	buffer_load_dword v72, off, s[0:3], 0 offset:136
	buffer_load_dword v73, off, s[0:3], 0 offset:140
	;; [unrolled: 1-line block ×20, first 2 shown]
	v_mov_b32_e32 v54, 0
	ds_read2_b64 v[56:59], v54 offset0:43 offset1:44
	ds_read2_b64 v[60:63], v54 offset0:45 offset1:46
	;; [unrolled: 1-line block ×4, first 2 shown]
	ds_read_b64 v[92:93], v54 offset:408
	v_cmp_lt_u32_e32 vcc, 15, v0
	s_waitcnt vmcnt(18) lgkmcnt(4)
	v_fma_f64 v[56:57], v[72:73], v[56:57], 0
	s_waitcnt vmcnt(16)
	v_fmac_f64_e32 v[56:57], v[74:75], v[58:59]
	s_waitcnt vmcnt(14) lgkmcnt(3)
	v_fmac_f64_e32 v[56:57], v[76:77], v[60:61]
	s_waitcnt vmcnt(12)
	v_fmac_f64_e32 v[56:57], v[78:79], v[62:63]
	s_waitcnt vmcnt(10) lgkmcnt(2)
	v_fmac_f64_e32 v[56:57], v[80:81], v[64:65]
	;; [unrolled: 4-line block ×3, first 2 shown]
	s_waitcnt vmcnt(2)
	v_fmac_f64_e32 v[56:57], v[88:89], v[70:71]
	s_waitcnt lgkmcnt(0)
	v_fmac_f64_e32 v[56:57], v[86:87], v[92:93]
	s_waitcnt vmcnt(0)
	v_add_f64 v[56:57], v[90:91], -v[56:57]
	buffer_store_dword v56, off, s[0:3], 0 offset:128
	buffer_store_dword v57, off, s[0:3], 0 offset:132
	s_and_saveexec_b64 s[4:5], vcc
	s_cbranch_execz .LBB25_133
; %bb.132:
	buffer_load_dword v56, off, s[0:3], 0 offset:120
	buffer_load_dword v57, off, s[0:3], 0 offset:124
	s_waitcnt vmcnt(0)
	ds_write_b64 v1, v[56:57]
	buffer_store_dword v54, off, s[0:3], 0 offset:120
	buffer_store_dword v54, off, s[0:3], 0 offset:124
.LBB25_133:
	s_or_b64 exec, exec, s[4:5]
	s_waitcnt lgkmcnt(0)
	; wave barrier
	s_waitcnt lgkmcnt(0)
	buffer_load_dword v76, off, s[0:3], 0 offset:128
	buffer_load_dword v77, off, s[0:3], 0 offset:132
	;; [unrolled: 1-line block ×22, first 2 shown]
	ds_read_b128 v[56:59], v54 offset:336
	ds_read_b128 v[60:63], v54 offset:352
	;; [unrolled: 1-line block ×5, first 2 shown]
	v_cmp_lt_u32_e32 vcc, 14, v0
	s_waitcnt vmcnt(20) lgkmcnt(4)
	v_fma_f64 v[54:55], v[76:77], v[56:57], 0
	s_waitcnt vmcnt(18)
	v_fmac_f64_e32 v[54:55], v[78:79], v[58:59]
	s_waitcnt vmcnt(16) lgkmcnt(3)
	v_fmac_f64_e32 v[54:55], v[80:81], v[60:61]
	s_waitcnt vmcnt(14)
	v_fmac_f64_e32 v[54:55], v[82:83], v[62:63]
	s_waitcnt vmcnt(12) lgkmcnt(2)
	v_fmac_f64_e32 v[54:55], v[84:85], v[64:65]
	;; [unrolled: 4-line block ×3, first 2 shown]
	s_waitcnt vmcnt(3)
	v_fmac_f64_e32 v[54:55], v[94:95], v[70:71]
	s_waitcnt lgkmcnt(0)
	v_fmac_f64_e32 v[54:55], v[92:93], v[72:73]
	s_waitcnt vmcnt(2)
	v_fmac_f64_e32 v[54:55], v[90:91], v[74:75]
	s_waitcnt vmcnt(0)
	v_add_f64 v[54:55], v[96:97], -v[54:55]
	buffer_store_dword v54, off, s[0:3], 0 offset:120
	buffer_store_dword v55, off, s[0:3], 0 offset:124
	s_and_saveexec_b64 s[4:5], vcc
	s_cbranch_execz .LBB25_135
; %bb.134:
	buffer_load_dword v54, off, s[0:3], 0 offset:112
	buffer_load_dword v55, off, s[0:3], 0 offset:116
	v_mov_b32_e32 v56, 0
	buffer_store_dword v56, off, s[0:3], 0 offset:112
	buffer_store_dword v56, off, s[0:3], 0 offset:116
	s_waitcnt vmcnt(2)
	ds_write_b64 v1, v[54:55]
.LBB25_135:
	s_or_b64 exec, exec, s[4:5]
	s_waitcnt lgkmcnt(0)
	; wave barrier
	s_waitcnt lgkmcnt(0)
	buffer_load_dword v76, off, s[0:3], 0 offset:120
	buffer_load_dword v77, off, s[0:3], 0 offset:124
	;; [unrolled: 1-line block ×24, first 2 shown]
	v_mov_b32_e32 v54, 0
	ds_read2_b64 v[56:59], v54 offset0:41 offset1:42
	ds_read2_b64 v[60:63], v54 offset0:43 offset1:44
	;; [unrolled: 1-line block ×5, first 2 shown]
	ds_read_b64 v[100:101], v54 offset:408
	v_cmp_lt_u32_e32 vcc, 13, v0
	s_waitcnt vmcnt(22) lgkmcnt(5)
	v_fma_f64 v[56:57], v[76:77], v[56:57], 0
	s_waitcnt vmcnt(20)
	v_fmac_f64_e32 v[56:57], v[78:79], v[58:59]
	s_waitcnt vmcnt(18) lgkmcnt(4)
	v_fmac_f64_e32 v[56:57], v[80:81], v[60:61]
	s_waitcnt vmcnt(16)
	v_fmac_f64_e32 v[56:57], v[82:83], v[62:63]
	s_waitcnt vmcnt(14) lgkmcnt(3)
	v_fmac_f64_e32 v[56:57], v[84:85], v[64:65]
	;; [unrolled: 4-line block ×3, first 2 shown]
	s_waitcnt vmcnt(4)
	v_fmac_f64_e32 v[56:57], v[96:97], v[70:71]
	s_waitcnt lgkmcnt(1)
	v_fmac_f64_e32 v[56:57], v[94:95], v[72:73]
	s_waitcnt vmcnt(3)
	v_fmac_f64_e32 v[56:57], v[92:93], v[74:75]
	s_waitcnt vmcnt(2) lgkmcnt(0)
	v_fmac_f64_e32 v[56:57], v[90:91], v[100:101]
	s_waitcnt vmcnt(0)
	v_add_f64 v[56:57], v[98:99], -v[56:57]
	buffer_store_dword v57, off, s[0:3], 0 offset:116
	buffer_store_dword v56, off, s[0:3], 0 offset:112
	s_and_saveexec_b64 s[4:5], vcc
	s_cbranch_execz .LBB25_137
; %bb.136:
	buffer_load_dword v56, off, s[0:3], 0 offset:104
	buffer_load_dword v57, off, s[0:3], 0 offset:108
	s_waitcnt vmcnt(0)
	ds_write_b64 v1, v[56:57]
	buffer_store_dword v54, off, s[0:3], 0 offset:104
	buffer_store_dword v54, off, s[0:3], 0 offset:108
.LBB25_137:
	s_or_b64 exec, exec, s[4:5]
	s_waitcnt lgkmcnt(0)
	; wave barrier
	s_waitcnt lgkmcnt(0)
	buffer_load_dword v80, off, s[0:3], 0 offset:112
	buffer_load_dword v81, off, s[0:3], 0 offset:116
	;; [unrolled: 1-line block ×26, first 2 shown]
	ds_read_b128 v[56:59], v54 offset:320
	ds_read_b128 v[60:63], v54 offset:336
	;; [unrolled: 1-line block ×6, first 2 shown]
	v_cmp_lt_u32_e32 vcc, 12, v0
	s_waitcnt vmcnt(24) lgkmcnt(5)
	v_fma_f64 v[54:55], v[80:81], v[56:57], 0
	s_waitcnt vmcnt(22)
	v_fmac_f64_e32 v[54:55], v[82:83], v[58:59]
	s_waitcnt vmcnt(20) lgkmcnt(4)
	v_fmac_f64_e32 v[54:55], v[84:85], v[60:61]
	s_waitcnt vmcnt(18)
	v_fmac_f64_e32 v[54:55], v[86:87], v[62:63]
	s_waitcnt vmcnt(16) lgkmcnt(3)
	v_fmac_f64_e32 v[54:55], v[88:89], v[64:65]
	;; [unrolled: 4-line block ×3, first 2 shown]
	s_waitcnt vmcnt(5)
	v_fmac_f64_e32 v[54:55], v[100:101], v[70:71]
	s_waitcnt lgkmcnt(1)
	v_fmac_f64_e32 v[54:55], v[98:99], v[72:73]
	v_fmac_f64_e32 v[54:55], v[96:97], v[74:75]
	s_waitcnt vmcnt(4) lgkmcnt(0)
	v_fmac_f64_e32 v[54:55], v[94:95], v[76:77]
	s_waitcnt vmcnt(2)
	v_fmac_f64_e32 v[54:55], v[102:103], v[78:79]
	s_waitcnt vmcnt(0)
	v_add_f64 v[54:55], v[104:105], -v[54:55]
	buffer_store_dword v55, off, s[0:3], 0 offset:108
	buffer_store_dword v54, off, s[0:3], 0 offset:104
	s_and_saveexec_b64 s[4:5], vcc
	s_cbranch_execz .LBB25_139
; %bb.138:
	buffer_load_dword v54, off, s[0:3], 0 offset:96
	buffer_load_dword v55, off, s[0:3], 0 offset:100
	v_mov_b32_e32 v56, 0
	buffer_store_dword v56, off, s[0:3], 0 offset:96
	buffer_store_dword v56, off, s[0:3], 0 offset:100
	s_waitcnt vmcnt(2)
	ds_write_b64 v1, v[54:55]
.LBB25_139:
	s_or_b64 exec, exec, s[4:5]
	s_waitcnt lgkmcnt(0)
	; wave barrier
	s_waitcnt lgkmcnt(0)
	buffer_load_dword v80, off, s[0:3], 0 offset:104
	buffer_load_dword v81, off, s[0:3], 0 offset:108
	;; [unrolled: 1-line block ×28, first 2 shown]
	v_mov_b32_e32 v54, 0
	ds_read2_b64 v[56:59], v54 offset0:39 offset1:40
	ds_read2_b64 v[60:63], v54 offset0:41 offset1:42
	;; [unrolled: 1-line block ×6, first 2 shown]
	ds_read_b64 v[108:109], v54 offset:408
	v_cmp_lt_u32_e32 vcc, 11, v0
	s_waitcnt vmcnt(26) lgkmcnt(6)
	v_fma_f64 v[56:57], v[80:81], v[56:57], 0
	s_waitcnt vmcnt(24)
	v_fmac_f64_e32 v[56:57], v[82:83], v[58:59]
	s_waitcnt vmcnt(22) lgkmcnt(5)
	v_fmac_f64_e32 v[56:57], v[84:85], v[60:61]
	s_waitcnt vmcnt(20)
	v_fmac_f64_e32 v[56:57], v[86:87], v[62:63]
	s_waitcnt vmcnt(18) lgkmcnt(4)
	v_fmac_f64_e32 v[56:57], v[88:89], v[64:65]
	;; [unrolled: 4-line block ×3, first 2 shown]
	s_waitcnt vmcnt(6)
	v_fmac_f64_e32 v[56:57], v[100:101], v[70:71]
	s_waitcnt lgkmcnt(2)
	v_fmac_f64_e32 v[56:57], v[98:99], v[72:73]
	v_fmac_f64_e32 v[56:57], v[96:97], v[74:75]
	s_waitcnt lgkmcnt(1)
	v_fmac_f64_e32 v[56:57], v[94:95], v[76:77]
	s_waitcnt vmcnt(2)
	v_fmac_f64_e32 v[56:57], v[104:105], v[78:79]
	s_waitcnt lgkmcnt(0)
	v_fmac_f64_e32 v[56:57], v[102:103], v[108:109]
	s_waitcnt vmcnt(0)
	v_add_f64 v[56:57], v[106:107], -v[56:57]
	buffer_store_dword v57, off, s[0:3], 0 offset:100
	buffer_store_dword v56, off, s[0:3], 0 offset:96
	s_and_saveexec_b64 s[4:5], vcc
	s_cbranch_execz .LBB25_141
; %bb.140:
	buffer_load_dword v56, off, s[0:3], 0 offset:88
	buffer_load_dword v57, off, s[0:3], 0 offset:92
	s_waitcnt vmcnt(0)
	ds_write_b64 v1, v[56:57]
	buffer_store_dword v54, off, s[0:3], 0 offset:88
	buffer_store_dword v54, off, s[0:3], 0 offset:92
.LBB25_141:
	s_or_b64 exec, exec, s[4:5]
	s_waitcnt lgkmcnt(0)
	; wave barrier
	s_waitcnt lgkmcnt(0)
	buffer_load_dword v84, off, s[0:3], 0 offset:96
	buffer_load_dword v85, off, s[0:3], 0 offset:100
	;; [unrolled: 1-line block ×30, first 2 shown]
	ds_read_b128 v[56:59], v54 offset:304
	ds_read_b128 v[60:63], v54 offset:320
	;; [unrolled: 1-line block ×7, first 2 shown]
	v_cmp_lt_u32_e32 vcc, 10, v0
	s_waitcnt vmcnt(28) lgkmcnt(6)
	v_fma_f64 v[54:55], v[84:85], v[56:57], 0
	s_waitcnt vmcnt(26)
	v_fmac_f64_e32 v[54:55], v[86:87], v[58:59]
	s_waitcnt vmcnt(24) lgkmcnt(5)
	v_fmac_f64_e32 v[54:55], v[88:89], v[60:61]
	s_waitcnt vmcnt(22)
	v_fmac_f64_e32 v[54:55], v[90:91], v[62:63]
	s_waitcnt vmcnt(20) lgkmcnt(4)
	v_fmac_f64_e32 v[54:55], v[92:93], v[64:65]
	;; [unrolled: 4-line block ×3, first 2 shown]
	s_waitcnt vmcnt(8)
	v_fmac_f64_e32 v[54:55], v[104:105], v[70:71]
	s_waitcnt lgkmcnt(2)
	v_fmac_f64_e32 v[54:55], v[102:103], v[72:73]
	v_fmac_f64_e32 v[54:55], v[100:101], v[74:75]
	s_waitcnt lgkmcnt(1)
	v_fmac_f64_e32 v[54:55], v[98:99], v[76:77]
	s_waitcnt vmcnt(3)
	v_fmac_f64_e32 v[54:55], v[110:111], v[78:79]
	s_waitcnt lgkmcnt(0)
	v_fmac_f64_e32 v[54:55], v[108:109], v[80:81]
	s_waitcnt vmcnt(2)
	v_fmac_f64_e32 v[54:55], v[106:107], v[82:83]
	s_waitcnt vmcnt(0)
	v_add_f64 v[54:55], v[112:113], -v[54:55]
	buffer_store_dword v55, off, s[0:3], 0 offset:92
	buffer_store_dword v54, off, s[0:3], 0 offset:88
	s_and_saveexec_b64 s[4:5], vcc
	s_cbranch_execz .LBB25_143
; %bb.142:
	buffer_load_dword v54, off, s[0:3], 0 offset:80
	buffer_load_dword v55, off, s[0:3], 0 offset:84
	v_mov_b32_e32 v56, 0
	buffer_store_dword v56, off, s[0:3], 0 offset:80
	buffer_store_dword v56, off, s[0:3], 0 offset:84
	s_waitcnt vmcnt(2)
	ds_write_b64 v1, v[54:55]
.LBB25_143:
	s_or_b64 exec, exec, s[4:5]
	s_waitcnt lgkmcnt(0)
	; wave barrier
	s_waitcnt lgkmcnt(0)
	buffer_load_dword v84, off, s[0:3], 0 offset:88
	buffer_load_dword v85, off, s[0:3], 0 offset:92
	;; [unrolled: 1-line block ×32, first 2 shown]
	v_mov_b32_e32 v54, 0
	ds_read2_b64 v[56:59], v54 offset0:37 offset1:38
	ds_read2_b64 v[60:63], v54 offset0:39 offset1:40
	;; [unrolled: 1-line block ×7, first 2 shown]
	ds_read_b64 v[116:117], v54 offset:408
	v_cmp_lt_u32_e32 vcc, 9, v0
	s_waitcnt vmcnt(30) lgkmcnt(7)
	v_fma_f64 v[56:57], v[84:85], v[56:57], 0
	s_waitcnt vmcnt(28)
	v_fmac_f64_e32 v[56:57], v[86:87], v[58:59]
	s_waitcnt vmcnt(26) lgkmcnt(6)
	v_fmac_f64_e32 v[56:57], v[88:89], v[60:61]
	s_waitcnt vmcnt(24)
	v_fmac_f64_e32 v[56:57], v[90:91], v[62:63]
	s_waitcnt vmcnt(22) lgkmcnt(5)
	v_fmac_f64_e32 v[56:57], v[92:93], v[64:65]
	s_waitcnt vmcnt(20)
	v_fmac_f64_e32 v[56:57], v[94:95], v[66:67]
	s_waitcnt vmcnt(18) lgkmcnt(4)
	v_fmac_f64_e32 v[56:57], v[96:97], v[68:69]
	s_waitcnt vmcnt(10)
	v_fmac_f64_e32 v[56:57], v[104:105], v[70:71]
	s_waitcnt lgkmcnt(3)
	v_fmac_f64_e32 v[56:57], v[102:103], v[72:73]
	v_fmac_f64_e32 v[56:57], v[100:101], v[74:75]
	s_waitcnt lgkmcnt(2)
	v_fmac_f64_e32 v[56:57], v[98:99], v[76:77]
	s_waitcnt vmcnt(4)
	v_fmac_f64_e32 v[56:57], v[112:113], v[78:79]
	s_waitcnt lgkmcnt(1)
	v_fmac_f64_e32 v[56:57], v[110:111], v[80:81]
	s_waitcnt vmcnt(3)
	v_fmac_f64_e32 v[56:57], v[108:109], v[82:83]
	s_waitcnt vmcnt(2) lgkmcnt(0)
	v_fmac_f64_e32 v[56:57], v[106:107], v[116:117]
	s_waitcnt vmcnt(0)
	v_add_f64 v[56:57], v[114:115], -v[56:57]
	buffer_store_dword v57, off, s[0:3], 0 offset:84
	buffer_store_dword v56, off, s[0:3], 0 offset:80
	s_and_saveexec_b64 s[4:5], vcc
	s_cbranch_execz .LBB25_145
; %bb.144:
	buffer_load_dword v56, off, s[0:3], 0 offset:72
	buffer_load_dword v57, off, s[0:3], 0 offset:76
	s_waitcnt vmcnt(0)
	ds_write_b64 v1, v[56:57]
	buffer_store_dword v54, off, s[0:3], 0 offset:72
	buffer_store_dword v54, off, s[0:3], 0 offset:76
.LBB25_145:
	s_or_b64 exec, exec, s[4:5]
	s_waitcnt lgkmcnt(0)
	; wave barrier
	s_waitcnt lgkmcnt(0)
	buffer_load_dword v88, off, s[0:3], 0 offset:80
	buffer_load_dword v89, off, s[0:3], 0 offset:84
	;; [unrolled: 1-line block ×34, first 2 shown]
	ds_read_b128 v[56:59], v54 offset:288
	ds_read_b128 v[60:63], v54 offset:304
	ds_read_b128 v[64:67], v54 offset:320
	ds_read_b128 v[68:71], v54 offset:336
	ds_read_b128 v[72:75], v54 offset:352
	ds_read_b128 v[76:79], v54 offset:368
	ds_read_b128 v[80:83], v54 offset:384
	ds_read_b128 v[84:87], v54 offset:400
	v_cmp_lt_u32_e32 vcc, 8, v0
	s_waitcnt vmcnt(32) lgkmcnt(7)
	v_fma_f64 v[54:55], v[88:89], v[56:57], 0
	s_waitcnt vmcnt(30)
	v_fmac_f64_e32 v[54:55], v[90:91], v[58:59]
	s_waitcnt vmcnt(28) lgkmcnt(6)
	v_fmac_f64_e32 v[54:55], v[92:93], v[60:61]
	s_waitcnt vmcnt(26)
	v_fmac_f64_e32 v[54:55], v[94:95], v[62:63]
	s_waitcnt vmcnt(24) lgkmcnt(5)
	v_fmac_f64_e32 v[54:55], v[96:97], v[64:65]
	;; [unrolled: 4-line block ×3, first 2 shown]
	s_waitcnt vmcnt(12)
	v_fmac_f64_e32 v[54:55], v[108:109], v[70:71]
	s_waitcnt lgkmcnt(3)
	v_fmac_f64_e32 v[54:55], v[106:107], v[72:73]
	v_fmac_f64_e32 v[54:55], v[104:105], v[74:75]
	s_waitcnt lgkmcnt(2)
	v_fmac_f64_e32 v[54:55], v[102:103], v[76:77]
	s_waitcnt vmcnt(5)
	v_fmac_f64_e32 v[54:55], v[116:117], v[78:79]
	s_waitcnt lgkmcnt(1)
	v_fmac_f64_e32 v[54:55], v[114:115], v[80:81]
	v_fmac_f64_e32 v[54:55], v[112:113], v[82:83]
	s_waitcnt vmcnt(4) lgkmcnt(0)
	v_fmac_f64_e32 v[54:55], v[110:111], v[84:85]
	s_waitcnt vmcnt(2)
	v_fmac_f64_e32 v[54:55], v[118:119], v[86:87]
	s_waitcnt vmcnt(0)
	v_add_f64 v[54:55], v[120:121], -v[54:55]
	buffer_store_dword v55, off, s[0:3], 0 offset:76
	buffer_store_dword v54, off, s[0:3], 0 offset:72
	s_and_saveexec_b64 s[4:5], vcc
	s_cbranch_execz .LBB25_147
; %bb.146:
	buffer_load_dword v54, off, s[0:3], 0 offset:64
	buffer_load_dword v55, off, s[0:3], 0 offset:68
	v_mov_b32_e32 v56, 0
	buffer_store_dword v56, off, s[0:3], 0 offset:64
	buffer_store_dword v56, off, s[0:3], 0 offset:68
	s_waitcnt vmcnt(2)
	ds_write_b64 v1, v[54:55]
.LBB25_147:
	s_or_b64 exec, exec, s[4:5]
	s_waitcnt lgkmcnt(0)
	; wave barrier
	s_waitcnt lgkmcnt(0)
	buffer_load_dword v88, off, s[0:3], 0 offset:72
	buffer_load_dword v89, off, s[0:3], 0 offset:76
	;; [unrolled: 1-line block ×36, first 2 shown]
	v_mov_b32_e32 v58, 0
	ds_read2_b64 v[54:57], v58 offset0:35 offset1:36
	ds_read2_b64 v[60:63], v58 offset0:37 offset1:38
	;; [unrolled: 1-line block ×8, first 2 shown]
	ds_read_b64 v[124:125], v58 offset:408
	v_cmp_lt_u32_e32 vcc, 7, v0
	s_waitcnt vmcnt(34) lgkmcnt(8)
	v_fma_f64 v[54:55], v[88:89], v[54:55], 0
	s_waitcnt vmcnt(32)
	v_fmac_f64_e32 v[54:55], v[90:91], v[56:57]
	s_waitcnt vmcnt(30) lgkmcnt(7)
	v_fmac_f64_e32 v[54:55], v[92:93], v[60:61]
	s_waitcnt vmcnt(28)
	v_fmac_f64_e32 v[54:55], v[94:95], v[62:63]
	s_waitcnt vmcnt(26) lgkmcnt(6)
	v_fmac_f64_e32 v[54:55], v[96:97], v[64:65]
	;; [unrolled: 4-line block ×3, first 2 shown]
	s_waitcnt vmcnt(14)
	v_fmac_f64_e32 v[54:55], v[108:109], v[70:71]
	s_waitcnt lgkmcnt(4)
	v_fmac_f64_e32 v[54:55], v[106:107], v[72:73]
	v_fmac_f64_e32 v[54:55], v[104:105], v[74:75]
	s_waitcnt lgkmcnt(3)
	v_fmac_f64_e32 v[54:55], v[102:103], v[76:77]
	s_waitcnt vmcnt(6)
	v_fmac_f64_e32 v[54:55], v[116:117], v[78:79]
	s_waitcnt lgkmcnt(2)
	v_fmac_f64_e32 v[54:55], v[114:115], v[80:81]
	v_fmac_f64_e32 v[54:55], v[112:113], v[82:83]
	s_waitcnt lgkmcnt(1)
	v_fmac_f64_e32 v[54:55], v[110:111], v[84:85]
	s_waitcnt vmcnt(2)
	v_fmac_f64_e32 v[54:55], v[120:121], v[86:87]
	s_waitcnt lgkmcnt(0)
	v_fmac_f64_e32 v[54:55], v[118:119], v[124:125]
	s_waitcnt vmcnt(0)
	v_add_f64 v[54:55], v[122:123], -v[54:55]
	buffer_store_dword v55, off, s[0:3], 0 offset:68
	buffer_store_dword v54, off, s[0:3], 0 offset:64
	s_and_saveexec_b64 s[4:5], vcc
	s_cbranch_execz .LBB25_149
; %bb.148:
	buffer_load_dword v54, off, s[0:3], 0 offset:56
	buffer_load_dword v55, off, s[0:3], 0 offset:60
	s_waitcnt vmcnt(0)
	ds_write_b64 v1, v[54:55]
	buffer_store_dword v58, off, s[0:3], 0 offset:56
	buffer_store_dword v58, off, s[0:3], 0 offset:60
.LBB25_149:
	s_or_b64 exec, exec, s[4:5]
	s_waitcnt lgkmcnt(0)
	; wave barrier
	s_waitcnt lgkmcnt(0)
	buffer_load_dword v54, off, s[0:3], 0 offset:56
	buffer_load_dword v55, off, s[0:3], 0 offset:60
	buffer_load_dword v56, off, s[0:3], 0 offset:64
	buffer_load_dword v57, off, s[0:3], 0 offset:68
	buffer_load_dword v76, off, s[0:3], 0 offset:72
	buffer_load_dword v77, off, s[0:3], 0 offset:76
	buffer_load_dword v78, off, s[0:3], 0 offset:80
	buffer_load_dword v79, off, s[0:3], 0 offset:84
	buffer_load_dword v80, off, s[0:3], 0 offset:88
	buffer_load_dword v81, off, s[0:3], 0 offset:92
	buffer_load_dword v82, off, s[0:3], 0 offset:96
	buffer_load_dword v83, off, s[0:3], 0 offset:100
	buffer_load_dword v84, off, s[0:3], 0 offset:104
	buffer_load_dword v85, off, s[0:3], 0 offset:108
	buffer_load_dword v86, off, s[0:3], 0 offset:112
	buffer_load_dword v87, off, s[0:3], 0 offset:116
	ds_read_b128 v[60:63], v58 offset:272
	ds_read_b128 v[64:67], v58 offset:288
	;; [unrolled: 1-line block ×4, first 2 shown]
	v_cmp_lt_u32_e32 vcc, 6, v0
	s_waitcnt vmcnt(12) lgkmcnt(3)
	v_fma_f64 v[56:57], v[56:57], v[60:61], 0
	buffer_load_dword v61, off, s[0:3], 0 offset:124
	buffer_load_dword v60, off, s[0:3], 0 offset:120
	s_waitcnt vmcnt(12)
	v_fmac_f64_e32 v[56:57], v[76:77], v[62:63]
	s_waitcnt vmcnt(10) lgkmcnt(2)
	v_fmac_f64_e32 v[56:57], v[78:79], v[64:65]
	buffer_load_dword v65, off, s[0:3], 0 offset:132
	buffer_load_dword v64, off, s[0:3], 0 offset:128
	s_waitcnt vmcnt(10)
	v_fmac_f64_e32 v[56:57], v[80:81], v[66:67]
	s_waitcnt vmcnt(8) lgkmcnt(1)
	v_fmac_f64_e32 v[56:57], v[82:83], v[68:69]
	s_waitcnt vmcnt(6)
	v_fmac_f64_e32 v[56:57], v[84:85], v[70:71]
	s_waitcnt vmcnt(4) lgkmcnt(0)
	v_fmac_f64_e32 v[56:57], v[86:87], v[72:73]
	s_waitcnt vmcnt(2)
	v_fmac_f64_e32 v[56:57], v[60:61], v[74:75]
	ds_read_b128 v[60:63], v58 offset:336
	s_waitcnt vmcnt(0) lgkmcnt(0)
	v_fmac_f64_e32 v[56:57], v[64:65], v[60:61]
	buffer_load_dword v61, off, s[0:3], 0 offset:140
	buffer_load_dword v60, off, s[0:3], 0 offset:136
	buffer_load_dword v65, off, s[0:3], 0 offset:148
	buffer_load_dword v64, off, s[0:3], 0 offset:144
	s_waitcnt vmcnt(2)
	v_fmac_f64_e32 v[56:57], v[60:61], v[62:63]
	ds_read_b128 v[60:63], v58 offset:352
	s_waitcnt vmcnt(0) lgkmcnt(0)
	v_fmac_f64_e32 v[56:57], v[64:65], v[60:61]
	buffer_load_dword v61, off, s[0:3], 0 offset:156
	buffer_load_dword v60, off, s[0:3], 0 offset:152
	buffer_load_dword v65, off, s[0:3], 0 offset:164
	buffer_load_dword v64, off, s[0:3], 0 offset:160
	s_waitcnt vmcnt(2)
	v_fmac_f64_e32 v[56:57], v[60:61], v[62:63]
	ds_read_b128 v[60:63], v58 offset:368
	s_waitcnt vmcnt(0) lgkmcnt(0)
	v_fmac_f64_e32 v[56:57], v[64:65], v[60:61]
	buffer_load_dword v61, off, s[0:3], 0 offset:172
	buffer_load_dword v60, off, s[0:3], 0 offset:168
	buffer_load_dword v65, off, s[0:3], 0 offset:180
	buffer_load_dword v64, off, s[0:3], 0 offset:176
	s_waitcnt vmcnt(2)
	v_fmac_f64_e32 v[56:57], v[60:61], v[62:63]
	ds_read_b128 v[60:63], v58 offset:384
	s_waitcnt vmcnt(0) lgkmcnt(0)
	v_fmac_f64_e32 v[56:57], v[64:65], v[60:61]
	buffer_load_dword v61, off, s[0:3], 0 offset:188
	buffer_load_dword v60, off, s[0:3], 0 offset:184
	s_waitcnt vmcnt(0)
	v_fmac_f64_e32 v[56:57], v[60:61], v[62:63]
	buffer_load_dword v63, off, s[0:3], 0 offset:196
	buffer_load_dword v62, off, s[0:3], 0 offset:192
	ds_read_b128 v[58:61], v58 offset:400
	s_waitcnt vmcnt(0) lgkmcnt(0)
	v_fmac_f64_e32 v[56:57], v[62:63], v[58:59]
	buffer_load_dword v59, off, s[0:3], 0 offset:204
	buffer_load_dword v58, off, s[0:3], 0 offset:200
	s_waitcnt vmcnt(0)
	v_fmac_f64_e32 v[56:57], v[58:59], v[60:61]
	v_add_f64 v[54:55], v[54:55], -v[56:57]
	buffer_store_dword v55, off, s[0:3], 0 offset:60
	buffer_store_dword v54, off, s[0:3], 0 offset:56
	s_and_saveexec_b64 s[4:5], vcc
	s_cbranch_execz .LBB25_151
; %bb.150:
	buffer_load_dword v54, off, s[0:3], 0 offset:48
	buffer_load_dword v55, off, s[0:3], 0 offset:52
	v_mov_b32_e32 v56, 0
	buffer_store_dword v56, off, s[0:3], 0 offset:48
	buffer_store_dword v56, off, s[0:3], 0 offset:52
	s_waitcnt vmcnt(2)
	ds_write_b64 v1, v[54:55]
.LBB25_151:
	s_or_b64 exec, exec, s[4:5]
	s_waitcnt lgkmcnt(0)
	; wave barrier
	s_waitcnt lgkmcnt(0)
	buffer_load_dword v54, off, s[0:3], 0 offset:48
	buffer_load_dword v55, off, s[0:3], 0 offset:52
	;; [unrolled: 1-line block ×16, first 2 shown]
	v_mov_b32_e32 v58, 0
	ds_read2_b64 v[60:63], v58 offset0:33 offset1:34
	v_cmp_lt_u32_e32 vcc, 5, v0
	s_waitcnt vmcnt(12) lgkmcnt(0)
	v_fma_f64 v[56:57], v[56:57], v[60:61], 0
	s_waitcnt vmcnt(10)
	v_fmac_f64_e32 v[56:57], v[64:65], v[62:63]
	ds_read2_b64 v[60:63], v58 offset0:35 offset1:36
	s_waitcnt vmcnt(8) lgkmcnt(0)
	v_fmac_f64_e32 v[56:57], v[66:67], v[60:61]
	s_waitcnt vmcnt(6)
	v_fmac_f64_e32 v[56:57], v[68:69], v[62:63]
	ds_read2_b64 v[60:63], v58 offset0:37 offset1:38
	s_waitcnt vmcnt(4) lgkmcnt(0)
	v_fmac_f64_e32 v[56:57], v[70:71], v[60:61]
	;; [unrolled: 5-line block ×3, first 2 shown]
	buffer_load_dword v61, off, s[0:3], 0 offset:116
	buffer_load_dword v60, off, s[0:3], 0 offset:112
	buffer_load_dword v65, off, s[0:3], 0 offset:124
	buffer_load_dword v64, off, s[0:3], 0 offset:120
	s_waitcnt vmcnt(2)
	v_fmac_f64_e32 v[56:57], v[60:61], v[62:63]
	ds_read2_b64 v[60:63], v58 offset0:41 offset1:42
	s_waitcnt vmcnt(0) lgkmcnt(0)
	v_fmac_f64_e32 v[56:57], v[64:65], v[60:61]
	buffer_load_dword v61, off, s[0:3], 0 offset:132
	buffer_load_dword v60, off, s[0:3], 0 offset:128
	buffer_load_dword v65, off, s[0:3], 0 offset:140
	buffer_load_dword v64, off, s[0:3], 0 offset:136
	s_waitcnt vmcnt(2)
	v_fmac_f64_e32 v[56:57], v[60:61], v[62:63]
	ds_read2_b64 v[60:63], v58 offset0:43 offset1:44
	s_waitcnt vmcnt(0) lgkmcnt(0)
	v_fmac_f64_e32 v[56:57], v[64:65], v[60:61]
	;; [unrolled: 9-line block ×5, first 2 shown]
	buffer_load_dword v61, off, s[0:3], 0 offset:196
	buffer_load_dword v60, off, s[0:3], 0 offset:192
	s_waitcnt vmcnt(0)
	v_fmac_f64_e32 v[56:57], v[60:61], v[62:63]
	buffer_load_dword v61, off, s[0:3], 0 offset:204
	buffer_load_dword v60, off, s[0:3], 0 offset:200
	ds_read_b64 v[62:63], v58 offset:408
	s_waitcnt vmcnt(0) lgkmcnt(0)
	v_fmac_f64_e32 v[56:57], v[60:61], v[62:63]
	v_add_f64 v[54:55], v[54:55], -v[56:57]
	buffer_store_dword v55, off, s[0:3], 0 offset:52
	buffer_store_dword v54, off, s[0:3], 0 offset:48
	s_and_saveexec_b64 s[4:5], vcc
	s_cbranch_execz .LBB25_153
; %bb.152:
	buffer_load_dword v54, off, s[0:3], 0 offset:40
	buffer_load_dword v55, off, s[0:3], 0 offset:44
	s_waitcnt vmcnt(0)
	ds_write_b64 v1, v[54:55]
	buffer_store_dword v58, off, s[0:3], 0 offset:40
	buffer_store_dword v58, off, s[0:3], 0 offset:44
.LBB25_153:
	s_or_b64 exec, exec, s[4:5]
	s_waitcnt lgkmcnt(0)
	; wave barrier
	s_waitcnt lgkmcnt(0)
	buffer_load_dword v54, off, s[0:3], 0 offset:40
	buffer_load_dword v55, off, s[0:3], 0 offset:44
	;; [unrolled: 1-line block ×16, first 2 shown]
	ds_read_b128 v[60:63], v58 offset:256
	ds_read_b128 v[64:67], v58 offset:272
	;; [unrolled: 1-line block ×4, first 2 shown]
	v_cmp_lt_u32_e32 vcc, 4, v0
	s_waitcnt vmcnt(12) lgkmcnt(3)
	v_fma_f64 v[56:57], v[56:57], v[60:61], 0
	buffer_load_dword v61, off, s[0:3], 0 offset:108
	buffer_load_dword v60, off, s[0:3], 0 offset:104
	s_waitcnt vmcnt(12)
	v_fmac_f64_e32 v[56:57], v[76:77], v[62:63]
	s_waitcnt vmcnt(10) lgkmcnt(2)
	v_fmac_f64_e32 v[56:57], v[78:79], v[64:65]
	buffer_load_dword v65, off, s[0:3], 0 offset:116
	buffer_load_dword v64, off, s[0:3], 0 offset:112
	s_waitcnt vmcnt(10)
	v_fmac_f64_e32 v[56:57], v[80:81], v[66:67]
	s_waitcnt vmcnt(8) lgkmcnt(1)
	v_fmac_f64_e32 v[56:57], v[82:83], v[68:69]
	s_waitcnt vmcnt(6)
	v_fmac_f64_e32 v[56:57], v[84:85], v[70:71]
	s_waitcnt vmcnt(4) lgkmcnt(0)
	v_fmac_f64_e32 v[56:57], v[86:87], v[72:73]
	s_waitcnt vmcnt(2)
	v_fmac_f64_e32 v[56:57], v[60:61], v[74:75]
	ds_read_b128 v[60:63], v58 offset:320
	s_waitcnt vmcnt(0) lgkmcnt(0)
	v_fmac_f64_e32 v[56:57], v[64:65], v[60:61]
	buffer_load_dword v61, off, s[0:3], 0 offset:124
	buffer_load_dword v60, off, s[0:3], 0 offset:120
	buffer_load_dword v65, off, s[0:3], 0 offset:132
	buffer_load_dword v64, off, s[0:3], 0 offset:128
	s_waitcnt vmcnt(2)
	v_fmac_f64_e32 v[56:57], v[60:61], v[62:63]
	ds_read_b128 v[60:63], v58 offset:336
	s_waitcnt vmcnt(0) lgkmcnt(0)
	v_fmac_f64_e32 v[56:57], v[64:65], v[60:61]
	buffer_load_dword v61, off, s[0:3], 0 offset:140
	buffer_load_dword v60, off, s[0:3], 0 offset:136
	buffer_load_dword v65, off, s[0:3], 0 offset:148
	buffer_load_dword v64, off, s[0:3], 0 offset:144
	;; [unrolled: 9-line block ×4, first 2 shown]
	s_waitcnt vmcnt(2)
	v_fmac_f64_e32 v[56:57], v[60:61], v[62:63]
	ds_read_b128 v[60:63], v58 offset:384
	s_waitcnt vmcnt(0) lgkmcnt(0)
	v_fmac_f64_e32 v[56:57], v[64:65], v[60:61]
	buffer_load_dword v61, off, s[0:3], 0 offset:188
	buffer_load_dword v60, off, s[0:3], 0 offset:184
	s_waitcnt vmcnt(0)
	v_fmac_f64_e32 v[56:57], v[60:61], v[62:63]
	buffer_load_dword v63, off, s[0:3], 0 offset:196
	buffer_load_dword v62, off, s[0:3], 0 offset:192
	ds_read_b128 v[58:61], v58 offset:400
	s_waitcnt vmcnt(0) lgkmcnt(0)
	v_fmac_f64_e32 v[56:57], v[62:63], v[58:59]
	buffer_load_dword v59, off, s[0:3], 0 offset:204
	buffer_load_dword v58, off, s[0:3], 0 offset:200
	s_waitcnt vmcnt(0)
	v_fmac_f64_e32 v[56:57], v[58:59], v[60:61]
	v_add_f64 v[54:55], v[54:55], -v[56:57]
	buffer_store_dword v55, off, s[0:3], 0 offset:44
	buffer_store_dword v54, off, s[0:3], 0 offset:40
	s_and_saveexec_b64 s[4:5], vcc
	s_cbranch_execz .LBB25_155
; %bb.154:
	buffer_load_dword v54, off, s[0:3], 0 offset:32
	buffer_load_dword v55, off, s[0:3], 0 offset:36
	v_mov_b32_e32 v56, 0
	buffer_store_dword v56, off, s[0:3], 0 offset:32
	buffer_store_dword v56, off, s[0:3], 0 offset:36
	s_waitcnt vmcnt(2)
	ds_write_b64 v1, v[54:55]
.LBB25_155:
	s_or_b64 exec, exec, s[4:5]
	s_waitcnt lgkmcnt(0)
	; wave barrier
	s_waitcnt lgkmcnt(0)
	buffer_load_dword v54, off, s[0:3], 0 offset:32
	buffer_load_dword v55, off, s[0:3], 0 offset:36
	;; [unrolled: 1-line block ×16, first 2 shown]
	v_mov_b32_e32 v58, 0
	ds_read2_b64 v[60:63], v58 offset0:31 offset1:32
	v_cmp_lt_u32_e32 vcc, 3, v0
	s_waitcnt vmcnt(12) lgkmcnt(0)
	v_fma_f64 v[56:57], v[56:57], v[60:61], 0
	s_waitcnt vmcnt(10)
	v_fmac_f64_e32 v[56:57], v[64:65], v[62:63]
	ds_read2_b64 v[60:63], v58 offset0:33 offset1:34
	s_waitcnt vmcnt(8) lgkmcnt(0)
	v_fmac_f64_e32 v[56:57], v[66:67], v[60:61]
	s_waitcnt vmcnt(6)
	v_fmac_f64_e32 v[56:57], v[68:69], v[62:63]
	ds_read2_b64 v[60:63], v58 offset0:35 offset1:36
	s_waitcnt vmcnt(4) lgkmcnt(0)
	v_fmac_f64_e32 v[56:57], v[70:71], v[60:61]
	;; [unrolled: 5-line block ×3, first 2 shown]
	buffer_load_dword v61, off, s[0:3], 0 offset:100
	buffer_load_dword v60, off, s[0:3], 0 offset:96
	buffer_load_dword v65, off, s[0:3], 0 offset:108
	buffer_load_dword v64, off, s[0:3], 0 offset:104
	s_waitcnt vmcnt(2)
	v_fmac_f64_e32 v[56:57], v[60:61], v[62:63]
	ds_read2_b64 v[60:63], v58 offset0:39 offset1:40
	s_waitcnt vmcnt(0) lgkmcnt(0)
	v_fmac_f64_e32 v[56:57], v[64:65], v[60:61]
	buffer_load_dword v61, off, s[0:3], 0 offset:116
	buffer_load_dword v60, off, s[0:3], 0 offset:112
	buffer_load_dword v65, off, s[0:3], 0 offset:124
	buffer_load_dword v64, off, s[0:3], 0 offset:120
	s_waitcnt vmcnt(2)
	v_fmac_f64_e32 v[56:57], v[60:61], v[62:63]
	ds_read2_b64 v[60:63], v58 offset0:41 offset1:42
	s_waitcnt vmcnt(0) lgkmcnt(0)
	v_fmac_f64_e32 v[56:57], v[64:65], v[60:61]
	;; [unrolled: 9-line block ×6, first 2 shown]
	buffer_load_dword v61, off, s[0:3], 0 offset:196
	buffer_load_dword v60, off, s[0:3], 0 offset:192
	s_waitcnt vmcnt(0)
	v_fmac_f64_e32 v[56:57], v[60:61], v[62:63]
	buffer_load_dword v61, off, s[0:3], 0 offset:204
	buffer_load_dword v60, off, s[0:3], 0 offset:200
	ds_read_b64 v[62:63], v58 offset:408
	s_waitcnt vmcnt(0) lgkmcnt(0)
	v_fmac_f64_e32 v[56:57], v[60:61], v[62:63]
	v_add_f64 v[54:55], v[54:55], -v[56:57]
	buffer_store_dword v55, off, s[0:3], 0 offset:36
	buffer_store_dword v54, off, s[0:3], 0 offset:32
	s_and_saveexec_b64 s[4:5], vcc
	s_cbranch_execz .LBB25_157
; %bb.156:
	buffer_load_dword v54, off, s[0:3], 0 offset:24
	buffer_load_dword v55, off, s[0:3], 0 offset:28
	s_waitcnt vmcnt(0)
	ds_write_b64 v1, v[54:55]
	buffer_store_dword v58, off, s[0:3], 0 offset:24
	buffer_store_dword v58, off, s[0:3], 0 offset:28
.LBB25_157:
	s_or_b64 exec, exec, s[4:5]
	s_waitcnt lgkmcnt(0)
	; wave barrier
	s_waitcnt lgkmcnt(0)
	buffer_load_dword v54, off, s[0:3], 0 offset:24
	buffer_load_dword v55, off, s[0:3], 0 offset:28
	;; [unrolled: 1-line block ×16, first 2 shown]
	ds_read_b128 v[60:63], v58 offset:240
	ds_read_b128 v[64:67], v58 offset:256
	;; [unrolled: 1-line block ×4, first 2 shown]
	v_cmp_lt_u32_e32 vcc, 2, v0
	s_waitcnt vmcnt(12) lgkmcnt(3)
	v_fma_f64 v[56:57], v[56:57], v[60:61], 0
	buffer_load_dword v61, off, s[0:3], 0 offset:92
	buffer_load_dword v60, off, s[0:3], 0 offset:88
	s_waitcnt vmcnt(12)
	v_fmac_f64_e32 v[56:57], v[76:77], v[62:63]
	s_waitcnt vmcnt(10) lgkmcnt(2)
	v_fmac_f64_e32 v[56:57], v[78:79], v[64:65]
	buffer_load_dword v65, off, s[0:3], 0 offset:100
	buffer_load_dword v64, off, s[0:3], 0 offset:96
	s_waitcnt vmcnt(10)
	v_fmac_f64_e32 v[56:57], v[80:81], v[66:67]
	s_waitcnt vmcnt(8) lgkmcnt(1)
	v_fmac_f64_e32 v[56:57], v[82:83], v[68:69]
	s_waitcnt vmcnt(6)
	v_fmac_f64_e32 v[56:57], v[84:85], v[70:71]
	s_waitcnt vmcnt(4) lgkmcnt(0)
	v_fmac_f64_e32 v[56:57], v[86:87], v[72:73]
	s_waitcnt vmcnt(2)
	v_fmac_f64_e32 v[56:57], v[60:61], v[74:75]
	ds_read_b128 v[60:63], v58 offset:304
	s_waitcnt vmcnt(0) lgkmcnt(0)
	v_fmac_f64_e32 v[56:57], v[64:65], v[60:61]
	buffer_load_dword v61, off, s[0:3], 0 offset:108
	buffer_load_dword v60, off, s[0:3], 0 offset:104
	buffer_load_dword v65, off, s[0:3], 0 offset:116
	buffer_load_dword v64, off, s[0:3], 0 offset:112
	s_waitcnt vmcnt(2)
	v_fmac_f64_e32 v[56:57], v[60:61], v[62:63]
	ds_read_b128 v[60:63], v58 offset:320
	s_waitcnt vmcnt(0) lgkmcnt(0)
	v_fmac_f64_e32 v[56:57], v[64:65], v[60:61]
	buffer_load_dword v61, off, s[0:3], 0 offset:124
	buffer_load_dword v60, off, s[0:3], 0 offset:120
	buffer_load_dword v65, off, s[0:3], 0 offset:132
	buffer_load_dword v64, off, s[0:3], 0 offset:128
	;; [unrolled: 9-line block ×5, first 2 shown]
	s_waitcnt vmcnt(2)
	v_fmac_f64_e32 v[56:57], v[60:61], v[62:63]
	ds_read_b128 v[60:63], v58 offset:384
	s_waitcnt vmcnt(0) lgkmcnt(0)
	v_fmac_f64_e32 v[56:57], v[64:65], v[60:61]
	buffer_load_dword v61, off, s[0:3], 0 offset:188
	buffer_load_dword v60, off, s[0:3], 0 offset:184
	s_waitcnt vmcnt(0)
	v_fmac_f64_e32 v[56:57], v[60:61], v[62:63]
	buffer_load_dword v63, off, s[0:3], 0 offset:196
	buffer_load_dword v62, off, s[0:3], 0 offset:192
	ds_read_b128 v[58:61], v58 offset:400
	s_waitcnt vmcnt(0) lgkmcnt(0)
	v_fmac_f64_e32 v[56:57], v[62:63], v[58:59]
	buffer_load_dword v59, off, s[0:3], 0 offset:204
	buffer_load_dword v58, off, s[0:3], 0 offset:200
	s_waitcnt vmcnt(0)
	v_fmac_f64_e32 v[56:57], v[58:59], v[60:61]
	v_add_f64 v[54:55], v[54:55], -v[56:57]
	buffer_store_dword v55, off, s[0:3], 0 offset:28
	buffer_store_dword v54, off, s[0:3], 0 offset:24
	s_and_saveexec_b64 s[4:5], vcc
	s_cbranch_execz .LBB25_159
; %bb.158:
	buffer_load_dword v54, off, s[0:3], 0 offset:16
	buffer_load_dword v55, off, s[0:3], 0 offset:20
	v_mov_b32_e32 v56, 0
	buffer_store_dword v56, off, s[0:3], 0 offset:16
	buffer_store_dword v56, off, s[0:3], 0 offset:20
	s_waitcnt vmcnt(2)
	ds_write_b64 v1, v[54:55]
.LBB25_159:
	s_or_b64 exec, exec, s[4:5]
	s_waitcnt lgkmcnt(0)
	; wave barrier
	s_waitcnt lgkmcnt(0)
	buffer_load_dword v54, off, s[0:3], 0 offset:16
	buffer_load_dword v55, off, s[0:3], 0 offset:20
	;; [unrolled: 1-line block ×16, first 2 shown]
	v_mov_b32_e32 v58, 0
	ds_read2_b64 v[60:63], v58 offset0:29 offset1:30
	v_cmp_lt_u32_e32 vcc, 1, v0
	s_waitcnt vmcnt(12) lgkmcnt(0)
	v_fma_f64 v[56:57], v[56:57], v[60:61], 0
	s_waitcnt vmcnt(10)
	v_fmac_f64_e32 v[56:57], v[64:65], v[62:63]
	ds_read2_b64 v[60:63], v58 offset0:31 offset1:32
	s_waitcnt vmcnt(8) lgkmcnt(0)
	v_fmac_f64_e32 v[56:57], v[66:67], v[60:61]
	s_waitcnt vmcnt(6)
	v_fmac_f64_e32 v[56:57], v[68:69], v[62:63]
	ds_read2_b64 v[60:63], v58 offset0:33 offset1:34
	s_waitcnt vmcnt(4) lgkmcnt(0)
	v_fmac_f64_e32 v[56:57], v[70:71], v[60:61]
	;; [unrolled: 5-line block ×3, first 2 shown]
	buffer_load_dword v61, off, s[0:3], 0 offset:84
	buffer_load_dword v60, off, s[0:3], 0 offset:80
	buffer_load_dword v65, off, s[0:3], 0 offset:92
	buffer_load_dword v64, off, s[0:3], 0 offset:88
	s_waitcnt vmcnt(2)
	v_fmac_f64_e32 v[56:57], v[60:61], v[62:63]
	ds_read2_b64 v[60:63], v58 offset0:37 offset1:38
	s_waitcnt vmcnt(0) lgkmcnt(0)
	v_fmac_f64_e32 v[56:57], v[64:65], v[60:61]
	buffer_load_dword v61, off, s[0:3], 0 offset:100
	buffer_load_dword v60, off, s[0:3], 0 offset:96
	buffer_load_dword v65, off, s[0:3], 0 offset:108
	buffer_load_dword v64, off, s[0:3], 0 offset:104
	s_waitcnt vmcnt(2)
	v_fmac_f64_e32 v[56:57], v[60:61], v[62:63]
	ds_read2_b64 v[60:63], v58 offset0:39 offset1:40
	s_waitcnt vmcnt(0) lgkmcnt(0)
	v_fmac_f64_e32 v[56:57], v[64:65], v[60:61]
	;; [unrolled: 9-line block ×7, first 2 shown]
	buffer_load_dword v61, off, s[0:3], 0 offset:196
	buffer_load_dword v60, off, s[0:3], 0 offset:192
	s_waitcnt vmcnt(0)
	v_fmac_f64_e32 v[56:57], v[60:61], v[62:63]
	buffer_load_dword v61, off, s[0:3], 0 offset:204
	buffer_load_dword v60, off, s[0:3], 0 offset:200
	ds_read_b64 v[62:63], v58 offset:408
	s_waitcnt vmcnt(0) lgkmcnt(0)
	v_fmac_f64_e32 v[56:57], v[60:61], v[62:63]
	v_add_f64 v[54:55], v[54:55], -v[56:57]
	buffer_store_dword v55, off, s[0:3], 0 offset:20
	buffer_store_dword v54, off, s[0:3], 0 offset:16
	s_and_saveexec_b64 s[4:5], vcc
	s_cbranch_execz .LBB25_161
; %bb.160:
	buffer_load_dword v54, off, s[0:3], 0 offset:8
	buffer_load_dword v55, off, s[0:3], 0 offset:12
	s_waitcnt vmcnt(0)
	ds_write_b64 v1, v[54:55]
	buffer_store_dword v58, off, s[0:3], 0 offset:8
	buffer_store_dword v58, off, s[0:3], 0 offset:12
.LBB25_161:
	s_or_b64 exec, exec, s[4:5]
	s_waitcnt lgkmcnt(0)
	; wave barrier
	s_waitcnt lgkmcnt(0)
	buffer_load_dword v54, off, s[0:3], 0 offset:8
	buffer_load_dword v55, off, s[0:3], 0 offset:12
	;; [unrolled: 1-line block ×16, first 2 shown]
	ds_read_b128 v[60:63], v58 offset:224
	ds_read_b128 v[64:67], v58 offset:240
	;; [unrolled: 1-line block ×4, first 2 shown]
	v_cmp_ne_u32_e32 vcc, 0, v0
	s_waitcnt vmcnt(12) lgkmcnt(3)
	v_fma_f64 v[56:57], v[56:57], v[60:61], 0
	buffer_load_dword v61, off, s[0:3], 0 offset:76
	buffer_load_dword v60, off, s[0:3], 0 offset:72
	s_waitcnt vmcnt(12)
	v_fmac_f64_e32 v[56:57], v[76:77], v[62:63]
	s_waitcnt vmcnt(10) lgkmcnt(2)
	v_fmac_f64_e32 v[56:57], v[78:79], v[64:65]
	buffer_load_dword v65, off, s[0:3], 0 offset:84
	buffer_load_dword v64, off, s[0:3], 0 offset:80
	s_waitcnt vmcnt(10)
	v_fmac_f64_e32 v[56:57], v[80:81], v[66:67]
	s_waitcnt vmcnt(8) lgkmcnt(1)
	v_fmac_f64_e32 v[56:57], v[82:83], v[68:69]
	s_waitcnt vmcnt(6)
	v_fmac_f64_e32 v[56:57], v[84:85], v[70:71]
	s_waitcnt vmcnt(4) lgkmcnt(0)
	v_fmac_f64_e32 v[56:57], v[86:87], v[72:73]
	s_waitcnt vmcnt(2)
	v_fmac_f64_e32 v[56:57], v[60:61], v[74:75]
	ds_read_b128 v[60:63], v58 offset:288
	s_waitcnt vmcnt(0) lgkmcnt(0)
	v_fmac_f64_e32 v[56:57], v[64:65], v[60:61]
	buffer_load_dword v61, off, s[0:3], 0 offset:92
	buffer_load_dword v60, off, s[0:3], 0 offset:88
	buffer_load_dword v65, off, s[0:3], 0 offset:100
	buffer_load_dword v64, off, s[0:3], 0 offset:96
	s_waitcnt vmcnt(2)
	v_fmac_f64_e32 v[56:57], v[60:61], v[62:63]
	ds_read_b128 v[60:63], v58 offset:304
	s_waitcnt vmcnt(0) lgkmcnt(0)
	v_fmac_f64_e32 v[56:57], v[64:65], v[60:61]
	buffer_load_dword v61, off, s[0:3], 0 offset:108
	buffer_load_dword v60, off, s[0:3], 0 offset:104
	buffer_load_dword v65, off, s[0:3], 0 offset:116
	buffer_load_dword v64, off, s[0:3], 0 offset:112
	;; [unrolled: 9-line block ×6, first 2 shown]
	s_waitcnt vmcnt(2)
	v_fmac_f64_e32 v[56:57], v[60:61], v[62:63]
	ds_read_b128 v[60:63], v58 offset:384
	s_waitcnt vmcnt(0) lgkmcnt(0)
	v_fmac_f64_e32 v[56:57], v[64:65], v[60:61]
	buffer_load_dword v61, off, s[0:3], 0 offset:188
	buffer_load_dword v60, off, s[0:3], 0 offset:184
	s_waitcnt vmcnt(0)
	v_fmac_f64_e32 v[56:57], v[60:61], v[62:63]
	buffer_load_dword v63, off, s[0:3], 0 offset:196
	buffer_load_dword v62, off, s[0:3], 0 offset:192
	ds_read_b128 v[58:61], v58 offset:400
	s_waitcnt vmcnt(0) lgkmcnt(0)
	v_fmac_f64_e32 v[56:57], v[62:63], v[58:59]
	buffer_load_dword v59, off, s[0:3], 0 offset:204
	buffer_load_dword v58, off, s[0:3], 0 offset:200
	s_waitcnt vmcnt(0)
	v_fmac_f64_e32 v[56:57], v[58:59], v[60:61]
	v_add_f64 v[54:55], v[54:55], -v[56:57]
	buffer_store_dword v55, off, s[0:3], 0 offset:12
	buffer_store_dword v54, off, s[0:3], 0 offset:8
	s_and_saveexec_b64 s[4:5], vcc
	s_cbranch_execz .LBB25_163
; %bb.162:
	buffer_load_dword v54, off, s[0:3], 0
	buffer_load_dword v55, off, s[0:3], 0 offset:4
	v_mov_b32_e32 v0, 0
	buffer_store_dword v0, off, s[0:3], 0
	buffer_store_dword v0, off, s[0:3], 0 offset:4
	s_waitcnt vmcnt(2)
	ds_write_b64 v1, v[54:55]
.LBB25_163:
	s_or_b64 exec, exec, s[4:5]
	s_waitcnt lgkmcnt(0)
	; wave barrier
	s_waitcnt lgkmcnt(0)
	buffer_load_dword v0, off, s[0:3], 0
	buffer_load_dword v1, off, s[0:3], 0 offset:4
	buffer_load_dword v58, off, s[0:3], 0 offset:8
	;; [unrolled: 1-line block ×15, first 2 shown]
	v_mov_b32_e32 v72, 0
	ds_read2_b64 v[54:57], v72 offset0:27 offset1:28
	s_and_b64 vcc, exec, s[20:21]
	s_waitcnt vmcnt(12) lgkmcnt(0)
	v_fma_f64 v[54:55], v[58:59], v[54:55], 0
	s_waitcnt vmcnt(10)
	v_fmac_f64_e32 v[54:55], v[60:61], v[56:57]
	ds_read2_b64 v[56:59], v72 offset0:29 offset1:30
	s_waitcnt vmcnt(8) lgkmcnt(0)
	v_fmac_f64_e32 v[54:55], v[62:63], v[56:57]
	s_waitcnt vmcnt(6)
	v_fmac_f64_e32 v[54:55], v[64:65], v[58:59]
	ds_read2_b64 v[56:59], v72 offset0:31 offset1:32
	s_waitcnt vmcnt(4) lgkmcnt(0)
	v_fmac_f64_e32 v[54:55], v[66:67], v[56:57]
	;; [unrolled: 5-line block ×3, first 2 shown]
	buffer_load_dword v57, off, s[0:3], 0 offset:68
	buffer_load_dword v56, off, s[0:3], 0 offset:64
	buffer_load_dword v61, off, s[0:3], 0 offset:76
	buffer_load_dword v60, off, s[0:3], 0 offset:72
	s_waitcnt vmcnt(2)
	v_fmac_f64_e32 v[54:55], v[56:57], v[58:59]
	ds_read2_b64 v[56:59], v72 offset0:35 offset1:36
	s_waitcnt vmcnt(0) lgkmcnt(0)
	v_fmac_f64_e32 v[54:55], v[60:61], v[56:57]
	buffer_load_dword v57, off, s[0:3], 0 offset:84
	buffer_load_dword v56, off, s[0:3], 0 offset:80
	buffer_load_dword v61, off, s[0:3], 0 offset:92
	buffer_load_dword v60, off, s[0:3], 0 offset:88
	s_waitcnt vmcnt(2)
	v_fmac_f64_e32 v[54:55], v[56:57], v[58:59]
	ds_read2_b64 v[56:59], v72 offset0:37 offset1:38
	s_waitcnt vmcnt(0) lgkmcnt(0)
	v_fmac_f64_e32 v[54:55], v[60:61], v[56:57]
	;; [unrolled: 9-line block ×8, first 2 shown]
	buffer_load_dword v57, off, s[0:3], 0 offset:196
	buffer_load_dword v56, off, s[0:3], 0 offset:192
	s_waitcnt vmcnt(0)
	v_fmac_f64_e32 v[54:55], v[56:57], v[58:59]
	buffer_load_dword v59, off, s[0:3], 0 offset:204
	buffer_load_dword v58, off, s[0:3], 0 offset:200
	ds_read_b64 v[60:61], v72 offset:408
	s_waitcnt vmcnt(0) lgkmcnt(0)
	v_fmac_f64_e32 v[54:55], v[58:59], v[60:61]
	v_add_f64 v[0:1], v[0:1], -v[54:55]
	buffer_store_dword v1, off, s[0:3], 0 offset:4
	buffer_store_dword v0, off, s[0:3], 0
	s_cbranch_vccz .LBB25_215
; %bb.164:
	v_pk_mov_b32 v[0:1], s[10:11], s[10:11] op_sel:[0,1]
	flat_load_dword v0, v[0:1] offset:96
	s_waitcnt vmcnt(0) lgkmcnt(0)
	v_add_u32_e32 v0, -1, v0
	v_cmp_ne_u32_e32 vcc, 24, v0
	s_and_saveexec_b64 s[4:5], vcc
	s_cbranch_execz .LBB25_166
; %bb.165:
	v_mov_b32_e32 v1, 0
	v_lshl_add_u32 v0, v0, 3, v1
	buffer_load_dword v1, v0, s[0:3], 0 offen offset:4
	buffer_load_dword v54, v0, s[0:3], 0 offen
	s_waitcnt vmcnt(1)
	buffer_store_dword v1, off, s[0:3], 0 offset:196
	s_waitcnt vmcnt(1)
	buffer_store_dword v54, off, s[0:3], 0 offset:192
	buffer_store_dword v57, v0, s[0:3], 0 offen offset:4
	buffer_store_dword v56, v0, s[0:3], 0 offen
.LBB25_166:
	s_or_b64 exec, exec, s[4:5]
	v_pk_mov_b32 v[0:1], s[10:11], s[10:11] op_sel:[0,1]
	flat_load_dword v0, v[0:1] offset:92
	s_waitcnt vmcnt(0) lgkmcnt(0)
	v_add_u32_e32 v0, -1, v0
	v_cmp_ne_u32_e32 vcc, 23, v0
	s_and_saveexec_b64 s[4:5], vcc
	s_cbranch_execz .LBB25_168
; %bb.167:
	v_mov_b32_e32 v1, 0
	v_lshl_add_u32 v0, v0, 3, v1
	buffer_load_dword v1, v0, s[0:3], 0 offen
	buffer_load_dword v54, v0, s[0:3], 0 offen offset:4
	buffer_load_dword v55, off, s[0:3], 0 offset:184
	buffer_load_dword v56, off, s[0:3], 0 offset:188
	s_waitcnt vmcnt(3)
	buffer_store_dword v1, off, s[0:3], 0 offset:184
	s_waitcnt vmcnt(3)
	buffer_store_dword v54, off, s[0:3], 0 offset:188
	s_waitcnt vmcnt(3)
	buffer_store_dword v55, v0, s[0:3], 0 offen
	s_waitcnt vmcnt(3)
	buffer_store_dword v56, v0, s[0:3], 0 offen offset:4
.LBB25_168:
	s_or_b64 exec, exec, s[4:5]
	v_pk_mov_b32 v[0:1], s[10:11], s[10:11] op_sel:[0,1]
	flat_load_dword v0, v[0:1] offset:88
	s_waitcnt vmcnt(0) lgkmcnt(0)
	v_add_u32_e32 v0, -1, v0
	v_cmp_ne_u32_e32 vcc, 22, v0
	s_and_saveexec_b64 s[4:5], vcc
	s_cbranch_execz .LBB25_170
; %bb.169:
	v_mov_b32_e32 v1, 0
	v_lshl_add_u32 v0, v0, 3, v1
	buffer_load_dword v1, v0, s[0:3], 0 offen
	buffer_load_dword v54, v0, s[0:3], 0 offen offset:4
	buffer_load_dword v55, off, s[0:3], 0 offset:180
	buffer_load_dword v56, off, s[0:3], 0 offset:176
	s_waitcnt vmcnt(3)
	buffer_store_dword v1, off, s[0:3], 0 offset:176
	s_waitcnt vmcnt(3)
	buffer_store_dword v54, off, s[0:3], 0 offset:180
	s_waitcnt vmcnt(3)
	buffer_store_dword v55, v0, s[0:3], 0 offen offset:4
	s_waitcnt vmcnt(3)
	buffer_store_dword v56, v0, s[0:3], 0 offen
.LBB25_170:
	s_or_b64 exec, exec, s[4:5]
	v_pk_mov_b32 v[0:1], s[10:11], s[10:11] op_sel:[0,1]
	flat_load_dword v0, v[0:1] offset:84
	s_waitcnt vmcnt(0) lgkmcnt(0)
	v_add_u32_e32 v0, -1, v0
	v_cmp_ne_u32_e32 vcc, 21, v0
	s_and_saveexec_b64 s[4:5], vcc
	s_cbranch_execz .LBB25_172
; %bb.171:
	v_mov_b32_e32 v1, 0
	v_lshl_add_u32 v0, v0, 3, v1
	buffer_load_dword v1, v0, s[0:3], 0 offen
	buffer_load_dword v54, v0, s[0:3], 0 offen offset:4
	buffer_load_dword v55, off, s[0:3], 0 offset:168
	buffer_load_dword v56, off, s[0:3], 0 offset:172
	s_waitcnt vmcnt(3)
	buffer_store_dword v1, off, s[0:3], 0 offset:168
	s_waitcnt vmcnt(3)
	buffer_store_dword v54, off, s[0:3], 0 offset:172
	s_waitcnt vmcnt(3)
	buffer_store_dword v55, v0, s[0:3], 0 offen
	s_waitcnt vmcnt(3)
	buffer_store_dword v56, v0, s[0:3], 0 offen offset:4
.LBB25_172:
	s_or_b64 exec, exec, s[4:5]
	v_pk_mov_b32 v[0:1], s[10:11], s[10:11] op_sel:[0,1]
	flat_load_dword v0, v[0:1] offset:80
	s_waitcnt vmcnt(0) lgkmcnt(0)
	v_add_u32_e32 v0, -1, v0
	v_cmp_ne_u32_e32 vcc, 20, v0
	s_and_saveexec_b64 s[4:5], vcc
	s_cbranch_execz .LBB25_174
; %bb.173:
	v_mov_b32_e32 v1, 0
	v_lshl_add_u32 v0, v0, 3, v1
	buffer_load_dword v1, v0, s[0:3], 0 offen
	buffer_load_dword v54, v0, s[0:3], 0 offen offset:4
	buffer_load_dword v55, off, s[0:3], 0 offset:164
	buffer_load_dword v56, off, s[0:3], 0 offset:160
	s_waitcnt vmcnt(3)
	buffer_store_dword v1, off, s[0:3], 0 offset:160
	s_waitcnt vmcnt(3)
	buffer_store_dword v54, off, s[0:3], 0 offset:164
	s_waitcnt vmcnt(3)
	buffer_store_dword v55, v0, s[0:3], 0 offen offset:4
	s_waitcnt vmcnt(3)
	buffer_store_dword v56, v0, s[0:3], 0 offen
.LBB25_174:
	;; [unrolled: 48-line block ×11, first 2 shown]
	s_or_b64 exec, exec, s[4:5]
	v_pk_mov_b32 v[0:1], s[10:11], s[10:11] op_sel:[0,1]
	flat_load_dword v0, v[0:1] offset:4
	s_waitcnt vmcnt(0) lgkmcnt(0)
	v_add_u32_e32 v0, -1, v0
	v_cmp_ne_u32_e32 vcc, 1, v0
	s_and_saveexec_b64 s[4:5], vcc
	s_cbranch_execz .LBB25_212
; %bb.211:
	v_mov_b32_e32 v1, 0
	v_lshl_add_u32 v0, v0, 3, v1
	buffer_load_dword v1, v0, s[0:3], 0 offen
	buffer_load_dword v54, v0, s[0:3], 0 offen offset:4
	buffer_load_dword v55, off, s[0:3], 0 offset:8
	buffer_load_dword v56, off, s[0:3], 0 offset:12
	s_waitcnt vmcnt(3)
	buffer_store_dword v1, off, s[0:3], 0 offset:8
	s_waitcnt vmcnt(3)
	buffer_store_dword v54, off, s[0:3], 0 offset:12
	s_waitcnt vmcnt(3)
	buffer_store_dword v55, v0, s[0:3], 0 offen
	s_waitcnt vmcnt(3)
	buffer_store_dword v56, v0, s[0:3], 0 offen offset:4
.LBB25_212:
	s_or_b64 exec, exec, s[4:5]
	v_pk_mov_b32 v[0:1], s[10:11], s[10:11] op_sel:[0,1]
	flat_load_dword v54, v[0:1]
	s_nop 0
	buffer_load_dword v0, off, s[0:3], 0
	buffer_load_dword v1, off, s[0:3], 0 offset:4
	s_waitcnt vmcnt(0) lgkmcnt(0)
	v_add_u32_e32 v54, -1, v54
	v_cmp_ne_u32_e32 vcc, 0, v54
	s_and_saveexec_b64 s[4:5], vcc
	s_cbranch_execz .LBB25_214
; %bb.213:
	v_mov_b32_e32 v55, 0
	v_lshl_add_u32 v54, v54, 3, v55
	buffer_load_dword v55, v54, s[0:3], 0 offen offset:4
	buffer_load_dword v56, v54, s[0:3], 0 offen
	s_waitcnt vmcnt(1)
	buffer_store_dword v55, off, s[0:3], 0 offset:4
	s_waitcnt vmcnt(1)
	buffer_store_dword v56, off, s[0:3], 0
	buffer_store_dword v1, v54, s[0:3], 0 offen offset:4
	buffer_store_dword v0, v54, s[0:3], 0 offen
	buffer_load_dword v0, off, s[0:3], 0
	s_nop 0
	buffer_load_dword v1, off, s[0:3], 0 offset:4
.LBB25_214:
	s_or_b64 exec, exec, s[4:5]
.LBB25_215:
	buffer_load_dword v54, off, s[0:3], 0 offset:8
	buffer_load_dword v55, off, s[0:3], 0 offset:12
	;; [unrolled: 1-line block ×50, first 2 shown]
	s_waitcnt vmcnt(50)
	global_store_dwordx2 v[2:3], v[0:1], off
	s_waitcnt vmcnt(49)
	global_store_dwordx2 v[46:47], v[54:55], off
	s_waitcnt vmcnt(48)
	global_store_dwordx2 v[4:5], v[56:57], off
	s_waitcnt vmcnt(47)
	global_store_dwordx2 v[6:7], v[58:59], off
	s_waitcnt vmcnt(46)
	global_store_dwordx2 v[8:9], v[60:61], off
	s_waitcnt vmcnt(45)
	global_store_dwordx2 v[10:11], v[62:63], off
	s_waitcnt vmcnt(44)
	global_store_dwordx2 v[12:13], v[64:65], off
	s_waitcnt vmcnt(43)
	global_store_dwordx2 v[14:15], v[66:67], off
	s_waitcnt vmcnt(42)
	global_store_dwordx2 v[16:17], v[68:69], off
	s_waitcnt vmcnt(41)
	global_store_dwordx2 v[18:19], v[70:71], off
	s_waitcnt vmcnt(40)
	global_store_dwordx2 v[20:21], v[72:73], off
	s_waitcnt vmcnt(39)
	global_store_dwordx2 v[22:23], v[74:75], off
	s_waitcnt vmcnt(38)
	global_store_dwordx2 v[24:25], v[76:77], off
	s_waitcnt vmcnt(37)
	global_store_dwordx2 v[26:27], v[78:79], off
	s_waitcnt vmcnt(36)
	global_store_dwordx2 v[28:29], v[80:81], off
	s_waitcnt vmcnt(35)
	global_store_dwordx2 v[30:31], v[82:83], off
	s_waitcnt vmcnt(34)
	global_store_dwordx2 v[32:33], v[84:85], off
	s_waitcnt vmcnt(33)
	global_store_dwordx2 v[34:35], v[86:87], off
	s_waitcnt vmcnt(32)
	global_store_dwordx2 v[36:37], v[88:89], off
	s_waitcnt vmcnt(31)
	global_store_dwordx2 v[38:39], v[90:91], off
	s_waitcnt vmcnt(30)
	global_store_dwordx2 v[40:41], v[92:93], off
	s_waitcnt vmcnt(29)
	global_store_dwordx2 v[42:43], v[94:95], off
	s_waitcnt vmcnt(28)
	global_store_dwordx2 v[44:45], v[96:97], off
	s_waitcnt vmcnt(27)
	global_store_dwordx2 v[48:49], v[98:99], off
	s_waitcnt vmcnt(26)
	global_store_dwordx2 v[50:51], v[100:101], off
	s_waitcnt vmcnt(25)
	global_store_dwordx2 v[52:53], v[102:103], off
	s_endpgm
	.section	.rodata,"a",@progbits
	.p2align	6, 0x0
	.amdhsa_kernel _ZN9rocsolver6v33100L18getri_kernel_smallILi26EdPdEEvT1_iilPiilS4_bb
		.amdhsa_group_segment_fixed_size 424
		.amdhsa_private_segment_fixed_size 224
		.amdhsa_kernarg_size 60
		.amdhsa_user_sgpr_count 8
		.amdhsa_user_sgpr_private_segment_buffer 1
		.amdhsa_user_sgpr_dispatch_ptr 0
		.amdhsa_user_sgpr_queue_ptr 0
		.amdhsa_user_sgpr_kernarg_segment_ptr 1
		.amdhsa_user_sgpr_dispatch_id 0
		.amdhsa_user_sgpr_flat_scratch_init 1
		.amdhsa_user_sgpr_kernarg_preload_length 0
		.amdhsa_user_sgpr_kernarg_preload_offset 0
		.amdhsa_user_sgpr_private_segment_size 0
		.amdhsa_uses_dynamic_stack 0
		.amdhsa_system_sgpr_private_segment_wavefront_offset 1
		.amdhsa_system_sgpr_workgroup_id_x 1
		.amdhsa_system_sgpr_workgroup_id_y 0
		.amdhsa_system_sgpr_workgroup_id_z 0
		.amdhsa_system_sgpr_workgroup_info 0
		.amdhsa_system_vgpr_workitem_id 0
		.amdhsa_next_free_vgpr 126
		.amdhsa_next_free_sgpr 23
		.amdhsa_accum_offset 128
		.amdhsa_reserve_vcc 1
		.amdhsa_reserve_flat_scratch 1
		.amdhsa_float_round_mode_32 0
		.amdhsa_float_round_mode_16_64 0
		.amdhsa_float_denorm_mode_32 3
		.amdhsa_float_denorm_mode_16_64 3
		.amdhsa_dx10_clamp 1
		.amdhsa_ieee_mode 1
		.amdhsa_fp16_overflow 0
		.amdhsa_tg_split 0
		.amdhsa_exception_fp_ieee_invalid_op 0
		.amdhsa_exception_fp_denorm_src 0
		.amdhsa_exception_fp_ieee_div_zero 0
		.amdhsa_exception_fp_ieee_overflow 0
		.amdhsa_exception_fp_ieee_underflow 0
		.amdhsa_exception_fp_ieee_inexact 0
		.amdhsa_exception_int_div_zero 0
	.end_amdhsa_kernel
	.section	.text._ZN9rocsolver6v33100L18getri_kernel_smallILi26EdPdEEvT1_iilPiilS4_bb,"axG",@progbits,_ZN9rocsolver6v33100L18getri_kernel_smallILi26EdPdEEvT1_iilPiilS4_bb,comdat
.Lfunc_end25:
	.size	_ZN9rocsolver6v33100L18getri_kernel_smallILi26EdPdEEvT1_iilPiilS4_bb, .Lfunc_end25-_ZN9rocsolver6v33100L18getri_kernel_smallILi26EdPdEEvT1_iilPiilS4_bb
                                        ; -- End function
	.section	.AMDGPU.csdata,"",@progbits
; Kernel info:
; codeLenInByte = 22856
; NumSgprs: 29
; NumVgprs: 126
; NumAgprs: 0
; TotalNumVgprs: 126
; ScratchSize: 224
; MemoryBound: 0
; FloatMode: 240
; IeeeMode: 1
; LDSByteSize: 424 bytes/workgroup (compile time only)
; SGPRBlocks: 3
; VGPRBlocks: 15
; NumSGPRsForWavesPerEU: 29
; NumVGPRsForWavesPerEU: 126
; AccumOffset: 128
; Occupancy: 4
; WaveLimiterHint : 1
; COMPUTE_PGM_RSRC2:SCRATCH_EN: 1
; COMPUTE_PGM_RSRC2:USER_SGPR: 8
; COMPUTE_PGM_RSRC2:TRAP_HANDLER: 0
; COMPUTE_PGM_RSRC2:TGID_X_EN: 1
; COMPUTE_PGM_RSRC2:TGID_Y_EN: 0
; COMPUTE_PGM_RSRC2:TGID_Z_EN: 0
; COMPUTE_PGM_RSRC2:TIDIG_COMP_CNT: 0
; COMPUTE_PGM_RSRC3_GFX90A:ACCUM_OFFSET: 31
; COMPUTE_PGM_RSRC3_GFX90A:TG_SPLIT: 0
	.section	.text._ZN9rocsolver6v33100L18getri_kernel_smallILi27EdPdEEvT1_iilPiilS4_bb,"axG",@progbits,_ZN9rocsolver6v33100L18getri_kernel_smallILi27EdPdEEvT1_iilPiilS4_bb,comdat
	.globl	_ZN9rocsolver6v33100L18getri_kernel_smallILi27EdPdEEvT1_iilPiilS4_bb ; -- Begin function _ZN9rocsolver6v33100L18getri_kernel_smallILi27EdPdEEvT1_iilPiilS4_bb
	.p2align	8
	.type	_ZN9rocsolver6v33100L18getri_kernel_smallILi27EdPdEEvT1_iilPiilS4_bb,@function
_ZN9rocsolver6v33100L18getri_kernel_smallILi27EdPdEEvT1_iilPiilS4_bb: ; @_ZN9rocsolver6v33100L18getri_kernel_smallILi27EdPdEEvT1_iilPiilS4_bb
; %bb.0:
	s_add_u32 flat_scratch_lo, s6, s9
	s_addc_u32 flat_scratch_hi, s7, 0
	s_add_u32 s0, s0, s9
	s_addc_u32 s1, s1, 0
	v_cmp_gt_u32_e32 vcc, 27, v0
	s_and_saveexec_b64 s[6:7], vcc
	s_cbranch_execz .LBB26_116
; %bb.1:
	s_load_dword s22, s[4:5], 0x38
	s_load_dwordx4 s[16:19], s[4:5], 0x10
	s_load_dwordx4 s[12:15], s[4:5], 0x28
                                        ; implicit-def: $sgpr10_sgpr11
	s_waitcnt lgkmcnt(0)
	s_bitcmp1_b32 s22, 8
	s_cselect_b64 s[20:21], -1, 0
	s_ashr_i32 s9, s8, 31
	s_bfe_u32 s6, s22, 0x10008
	s_cmp_eq_u32 s6, 0
	s_cbranch_scc1 .LBB26_3
; %bb.2:
	s_load_dword s6, s[4:5], 0x20
	s_mul_i32 s7, s8, s13
	s_mul_hi_u32 s10, s8, s12
	s_mul_i32 s11, s9, s12
	s_add_i32 s10, s10, s7
	s_add_i32 s11, s10, s11
	s_mul_i32 s10, s8, s12
	s_waitcnt lgkmcnt(0)
	s_ashr_i32 s7, s6, 31
	s_lshl_b64 s[10:11], s[10:11], 2
	s_add_u32 s10, s18, s10
	s_addc_u32 s11, s19, s11
	s_lshl_b64 s[6:7], s[6:7], 2
	s_add_u32 s10, s10, s6
	s_addc_u32 s11, s11, s7
.LBB26_3:
	s_load_dwordx4 s[4:7], s[4:5], 0x0
	s_mul_i32 s12, s8, s17
	s_mul_hi_u32 s13, s8, s16
	s_add_i32 s17, s13, s12
	v_lshlrev_b32_e32 v1, 3, v0
	s_waitcnt lgkmcnt(0)
	s_ashr_i32 s13, s6, 31
	s_mov_b32 s12, s6
	s_mul_i32 s6, s9, s16
	s_add_i32 s17, s17, s6
	s_mul_i32 s16, s8, s16
	s_lshl_b64 s[16:17], s[16:17], 3
	s_add_u32 s6, s4, s16
	s_addc_u32 s16, s5, s17
	s_lshl_b64 s[4:5], s[12:13], 3
	s_add_u32 s4, s6, s4
	s_addc_u32 s5, s16, s5
	s_add_i32 s6, s7, s7
	v_add_u32_e32 v4, s6, v0
	v_mov_b32_e32 v3, s5
	v_add_co_u32_e32 v2, vcc, s4, v1
	v_ashrrev_i32_e32 v5, 31, v4
	v_addc_co_u32_e32 v3, vcc, 0, v3, vcc
	v_add_u32_e32 v6, s7, v4
	v_lshlrev_b64 v[4:5], 3, v[4:5]
	v_mov_b32_e32 v9, s5
	v_ashrrev_i32_e32 v7, 31, v6
	v_add_co_u32_e32 v4, vcc, s4, v4
	v_add_u32_e32 v8, s7, v6
	v_addc_co_u32_e32 v5, vcc, v9, v5, vcc
	v_lshlrev_b64 v[6:7], 3, v[6:7]
	v_mov_b32_e32 v11, s5
	v_ashrrev_i32_e32 v9, 31, v8
	v_add_co_u32_e32 v6, vcc, s4, v6
	v_add_u32_e32 v10, s7, v8
	v_addc_co_u32_e32 v7, vcc, v11, v7, vcc
	;; [unrolled: 6-line block ×4, first 2 shown]
	v_lshlrev_b64 v[12:13], 3, v[12:13]
	v_add_co_u32_e32 v12, vcc, s4, v12
	v_addc_co_u32_e32 v13, vcc, v15, v13, vcc
	v_ashrrev_i32_e32 v15, 31, v14
	v_add_u32_e32 v16, s7, v14
	v_lshlrev_b64 v[14:15], 3, v[14:15]
	v_mov_b32_e32 v17, s5
	v_add_co_u32_e32 v14, vcc, s4, v14
	v_addc_co_u32_e32 v15, vcc, v17, v15, vcc
	v_ashrrev_i32_e32 v17, 31, v16
	v_add_u32_e32 v18, s7, v16
	v_lshlrev_b64 v[16:17], 3, v[16:17]
	v_mov_b32_e32 v19, s5
	;; [unrolled: 6-line block ×13, first 2 shown]
	v_add_co_u32_e32 v38, vcc, s4, v38
	v_addc_co_u32_e32 v39, vcc, v41, v39, vcc
	v_ashrrev_i32_e32 v41, 31, v40
	v_add_u32_e32 v42, s7, v40
	v_lshlrev_b64 v[40:41], 3, v[40:41]
	v_add_u32_e32 v44, s7, v42
	v_mov_b32_e32 v43, s5
	v_add_co_u32_e32 v40, vcc, s4, v40
	v_add_u32_e32 v46, s7, v44
	v_addc_co_u32_e32 v41, vcc, v43, v41, vcc
	v_ashrrev_i32_e32 v43, 31, v42
	v_add_u32_e32 v50, s7, v46
	v_lshlrev_b64 v[42:43], 3, v[42:43]
	v_add_u32_e32 v52, s7, v50
	v_mov_b32_e32 v45, s5
	v_add_co_u32_e32 v42, vcc, s4, v42
	v_add_u32_e32 v48, s7, v52
	v_addc_co_u32_e32 v43, vcc, v45, v43, vcc
	v_ashrrev_i32_e32 v45, 31, v44
	v_ashrrev_i32_e32 v49, 31, v48
	v_lshlrev_b64 v[44:45], 3, v[44:45]
	s_mov_b32 s12, s7
	s_ashr_i32 s13, s7, 31
	v_lshlrev_b64 v[54:55], 3, v[48:49]
	v_mov_b32_e32 v48, s5
	v_add_co_u32_e32 v44, vcc, s4, v44
	s_lshl_b64 s[12:13], s[12:13], 3
	v_addc_co_u32_e32 v45, vcc, v48, v45, vcc
	v_mov_b32_e32 v47, s13
	v_add_co_u32_e32 v48, vcc, s12, v2
	v_addc_co_u32_e32 v49, vcc, v3, v47, vcc
	v_ashrrev_i32_e32 v47, 31, v46
	v_lshlrev_b64 v[46:47], 3, v[46:47]
	v_mov_b32_e32 v51, s5
	v_add_co_u32_e32 v46, vcc, s4, v46
	v_addc_co_u32_e32 v47, vcc, v51, v47, vcc
	v_ashrrev_i32_e32 v51, 31, v50
	v_lshlrev_b64 v[50:51], 3, v[50:51]
	;; [unrolled: 5-line block ×3, first 2 shown]
	v_mov_b32_e32 v100, s5
	v_add_co_u32_e32 v52, vcc, s4, v52
	global_load_dwordx2 v[56:57], v1, s[4:5]
	global_load_dwordx2 v[60:61], v[4:5], off
	global_load_dwordx2 v[62:63], v[6:7], off
	;; [unrolled: 1-line block ×21, first 2 shown]
	v_addc_co_u32_e32 v53, vcc, v100, v53, vcc
	global_load_dwordx2 v[100:101], v[44:45], off
	global_load_dwordx2 v[102:103], v[46:47], off
	global_load_dwordx2 v[104:105], v[50:51], off
	global_load_dwordx2 v[106:107], v[52:53], off
	v_mov_b32_e32 v108, s5
	v_add_co_u32_e32 v54, vcc, s4, v54
	v_addc_co_u32_e32 v55, vcc, v108, v55, vcc
	global_load_dwordx2 v[108:109], v[54:55], off
	s_bitcmp0_b32 s22, 0
	s_mov_b64 s[6:7], -1
	s_waitcnt vmcnt(26)
	buffer_store_dword v57, off, s[0:3], 0 offset:4
	buffer_store_dword v56, off, s[0:3], 0
	s_waitcnt vmcnt(25)
	buffer_store_dword v59, off, s[0:3], 0 offset:12
	buffer_store_dword v58, off, s[0:3], 0 offset:8
	;; [unrolled: 1-line block ×6, first 2 shown]
	s_waitcnt vmcnt(30)
	buffer_store_dword v65, off, s[0:3], 0 offset:36
	buffer_store_dword v64, off, s[0:3], 0 offset:32
	s_waitcnt vmcnt(31)
	buffer_store_dword v67, off, s[0:3], 0 offset:44
	buffer_store_dword v66, off, s[0:3], 0 offset:40
	;; [unrolled: 3-line block ×23, first 2 shown]
	s_cbranch_scc1 .LBB26_114
; %bb.4:
	v_cmp_eq_u32_e64 s[4:5], 0, v0
	s_and_saveexec_b64 s[6:7], s[4:5]
	s_cbranch_execz .LBB26_6
; %bb.5:
	v_mov_b32_e32 v56, 0
	ds_write_b32 v56, v56 offset:216
.LBB26_6:
	s_or_b64 exec, exec, s[6:7]
	v_mov_b32_e32 v56, 0
	v_lshl_add_u32 v56, v0, 3, v56
	s_waitcnt lgkmcnt(0)
	; wave barrier
	s_waitcnt lgkmcnt(0)
	buffer_load_dword v58, v56, s[0:3], 0 offen
	buffer_load_dword v59, v56, s[0:3], 0 offen offset:4
	s_waitcnt vmcnt(0)
	v_cmp_eq_f64_e32 vcc, 0, v[58:59]
	s_and_saveexec_b64 s[12:13], vcc
	s_cbranch_execz .LBB26_10
; %bb.7:
	v_mov_b32_e32 v57, 0
	ds_read_b32 v59, v57 offset:216
	v_add_u32_e32 v58, 1, v0
	s_waitcnt lgkmcnt(0)
	v_readfirstlane_b32 s6, v59
	s_cmp_eq_u32 s6, 0
	s_cselect_b64 s[16:17], -1, 0
	v_cmp_gt_i32_e32 vcc, s6, v58
	s_or_b64 s[16:17], s[16:17], vcc
	s_and_b64 exec, exec, s[16:17]
	s_cbranch_execz .LBB26_10
; %bb.8:
	s_mov_b64 s[16:17], 0
	v_mov_b32_e32 v59, s6
.LBB26_9:                               ; =>This Inner Loop Header: Depth=1
	ds_cmpst_rtn_b32 v59, v57, v59, v58 offset:216
	s_waitcnt lgkmcnt(0)
	v_cmp_ne_u32_e32 vcc, 0, v59
	v_cmp_le_i32_e64 s[6:7], v59, v58
	s_and_b64 s[6:7], vcc, s[6:7]
	s_and_b64 s[6:7], exec, s[6:7]
	s_or_b64 s[16:17], s[6:7], s[16:17]
	s_andn2_b64 exec, exec, s[16:17]
	s_cbranch_execnz .LBB26_9
.LBB26_10:
	s_or_b64 exec, exec, s[12:13]
	v_mov_b32_e32 v58, 0
	s_waitcnt lgkmcnt(0)
	; wave barrier
	ds_read_b32 v57, v58 offset:216
	s_and_saveexec_b64 s[6:7], s[4:5]
	s_cbranch_execz .LBB26_12
; %bb.11:
	s_lshl_b64 s[12:13], s[8:9], 2
	s_add_u32 s12, s14, s12
	s_addc_u32 s13, s15, s13
	s_waitcnt lgkmcnt(0)
	global_store_dword v58, v57, s[12:13]
.LBB26_12:
	s_or_b64 exec, exec, s[6:7]
	s_waitcnt lgkmcnt(0)
	v_cmp_ne_u32_e32 vcc, 0, v57
	s_mov_b64 s[6:7], 0
	s_cbranch_vccnz .LBB26_114
; %bb.13:
	buffer_load_dword v58, v56, s[0:3], 0 offen
	buffer_load_dword v59, v56, s[0:3], 0 offen offset:4
	s_waitcnt vmcnt(0)
	v_div_scale_f64 v[60:61], s[6:7], v[58:59], v[58:59], 1.0
	v_rcp_f64_e32 v[62:63], v[60:61]
	v_div_scale_f64 v[64:65], vcc, 1.0, v[58:59], 1.0
	v_fma_f64 v[66:67], -v[60:61], v[62:63], 1.0
	v_fmac_f64_e32 v[62:63], v[62:63], v[66:67]
	v_fma_f64 v[66:67], -v[60:61], v[62:63], 1.0
	v_fmac_f64_e32 v[62:63], v[62:63], v[66:67]
	v_mul_f64 v[66:67], v[64:65], v[62:63]
	v_fma_f64 v[60:61], -v[60:61], v[66:67], v[64:65]
	v_div_fmas_f64 v[60:61], v[60:61], v[62:63], v[66:67]
	v_div_fixup_f64 v[60:61], v[60:61], v[58:59], 1.0
	buffer_store_dword v61, v56, s[0:3], 0 offen offset:4
	buffer_store_dword v60, v56, s[0:3], 0 offen
	buffer_load_dword v63, off, s[0:3], 0 offset:12
	buffer_load_dword v62, off, s[0:3], 0 offset:8
	v_add_u32_e32 v58, 0xe0, v1
	v_xor_b32_e32 v61, 0x80000000, v61
	s_waitcnt vmcnt(0)
	ds_write2_b64 v1, v[60:61], v[62:63] offset1:28
	s_waitcnt lgkmcnt(0)
	; wave barrier
	s_waitcnt lgkmcnt(0)
	s_and_saveexec_b64 s[6:7], s[4:5]
	s_cbranch_execz .LBB26_15
; %bb.14:
	buffer_load_dword v60, v56, s[0:3], 0 offen
	buffer_load_dword v61, v56, s[0:3], 0 offen offset:4
	v_mov_b32_e32 v57, 0
	ds_read_b64 v[62:63], v58
	ds_read_b64 v[64:65], v57 offset:8
	s_waitcnt vmcnt(0) lgkmcnt(1)
	v_fma_f64 v[60:61], v[60:61], v[62:63], 0
	s_waitcnt lgkmcnt(0)
	v_mul_f64 v[60:61], v[60:61], v[64:65]
	buffer_store_dword v60, off, s[0:3], 0 offset:8
	buffer_store_dword v61, off, s[0:3], 0 offset:12
.LBB26_15:
	s_or_b64 exec, exec, s[6:7]
	s_waitcnt lgkmcnt(0)
	; wave barrier
	buffer_load_dword v60, off, s[0:3], 0 offset:16
	buffer_load_dword v61, off, s[0:3], 0 offset:20
	v_cmp_gt_u32_e32 vcc, 2, v0
	s_waitcnt vmcnt(0)
	ds_write_b64 v58, v[60:61]
	s_waitcnt lgkmcnt(0)
	; wave barrier
	s_waitcnt lgkmcnt(0)
	s_and_saveexec_b64 s[6:7], vcc
	s_cbranch_execz .LBB26_17
; %bb.16:
	buffer_load_dword v57, v56, s[0:3], 0 offen offset:4
	buffer_load_dword v64, off, s[0:3], 0 offset:8
	s_nop 0
	buffer_load_dword v56, v56, s[0:3], 0 offen
	s_nop 0
	buffer_load_dword v65, off, s[0:3], 0 offset:12
	ds_read_b64 v[66:67], v58
	v_mov_b32_e32 v59, 0
	ds_read2_b64 v[60:63], v59 offset0:2 offset1:29
	s_waitcnt vmcnt(1) lgkmcnt(1)
	v_fma_f64 v[56:57], v[56:57], v[66:67], 0
	s_waitcnt vmcnt(0) lgkmcnt(0)
	v_fma_f64 v[62:63], v[64:65], v[62:63], v[56:57]
	v_cndmask_b32_e64 v57, v57, v63, s[4:5]
	v_cndmask_b32_e64 v56, v56, v62, s[4:5]
	v_mul_f64 v[56:57], v[56:57], v[60:61]
	buffer_store_dword v57, off, s[0:3], 0 offset:20
	buffer_store_dword v56, off, s[0:3], 0 offset:16
.LBB26_17:
	s_or_b64 exec, exec, s[6:7]
	s_waitcnt lgkmcnt(0)
	; wave barrier
	buffer_load_dword v56, off, s[0:3], 0 offset:24
	buffer_load_dword v57, off, s[0:3], 0 offset:28
	v_cmp_gt_u32_e32 vcc, 3, v0
	v_add_u32_e32 v59, -1, v0
	s_waitcnt vmcnt(0)
	ds_write_b64 v58, v[56:57]
	s_waitcnt lgkmcnt(0)
	; wave barrier
	s_waitcnt lgkmcnt(0)
	s_and_saveexec_b64 s[4:5], vcc
	s_cbranch_execz .LBB26_21
; %bb.18:
	v_add_u32_e32 v60, -1, v0
	v_add_u32_e32 v61, 0xe0, v1
	v_add_u32_e32 v62, 0, v1
	s_mov_b64 s[6:7], 0
	v_pk_mov_b32 v[56:57], 0, 0
.LBB26_19:                              ; =>This Inner Loop Header: Depth=1
	buffer_load_dword v64, v62, s[0:3], 0 offen
	buffer_load_dword v65, v62, s[0:3], 0 offen offset:4
	ds_read_b64 v[66:67], v61
	v_add_u32_e32 v60, 1, v60
	v_cmp_lt_u32_e32 vcc, 1, v60
	v_add_u32_e32 v61, 8, v61
	v_add_u32_e32 v62, 8, v62
	s_or_b64 s[6:7], vcc, s[6:7]
	s_waitcnt vmcnt(0) lgkmcnt(0)
	v_fmac_f64_e32 v[56:57], v[64:65], v[66:67]
	s_andn2_b64 exec, exec, s[6:7]
	s_cbranch_execnz .LBB26_19
; %bb.20:
	s_or_b64 exec, exec, s[6:7]
	v_mov_b32_e32 v60, 0
	ds_read_b64 v[60:61], v60 offset:24
	s_waitcnt lgkmcnt(0)
	v_mul_f64 v[56:57], v[56:57], v[60:61]
	buffer_store_dword v57, off, s[0:3], 0 offset:28
	buffer_store_dword v56, off, s[0:3], 0 offset:24
.LBB26_21:
	s_or_b64 exec, exec, s[4:5]
	s_waitcnt lgkmcnt(0)
	; wave barrier
	buffer_load_dword v56, off, s[0:3], 0 offset:32
	buffer_load_dword v57, off, s[0:3], 0 offset:36
	v_cmp_gt_u32_e32 vcc, 4, v0
	s_waitcnt vmcnt(0)
	ds_write_b64 v58, v[56:57]
	s_waitcnt lgkmcnt(0)
	; wave barrier
	s_waitcnt lgkmcnt(0)
	s_and_saveexec_b64 s[4:5], vcc
	s_cbranch_execz .LBB26_25
; %bb.22:
	v_add_u32_e32 v60, -1, v0
	v_add_u32_e32 v61, 0xe0, v1
	v_add_u32_e32 v62, 0, v1
	s_mov_b64 s[6:7], 0
	v_pk_mov_b32 v[56:57], 0, 0
.LBB26_23:                              ; =>This Inner Loop Header: Depth=1
	buffer_load_dword v64, v62, s[0:3], 0 offen
	buffer_load_dword v65, v62, s[0:3], 0 offen offset:4
	ds_read_b64 v[66:67], v61
	v_add_u32_e32 v60, 1, v60
	v_cmp_lt_u32_e32 vcc, 2, v60
	v_add_u32_e32 v61, 8, v61
	v_add_u32_e32 v62, 8, v62
	s_or_b64 s[6:7], vcc, s[6:7]
	s_waitcnt vmcnt(0) lgkmcnt(0)
	v_fmac_f64_e32 v[56:57], v[64:65], v[66:67]
	s_andn2_b64 exec, exec, s[6:7]
	s_cbranch_execnz .LBB26_23
; %bb.24:
	s_or_b64 exec, exec, s[6:7]
	v_mov_b32_e32 v60, 0
	ds_read_b64 v[60:61], v60 offset:32
	s_waitcnt lgkmcnt(0)
	v_mul_f64 v[56:57], v[56:57], v[60:61]
	buffer_store_dword v57, off, s[0:3], 0 offset:36
	buffer_store_dword v56, off, s[0:3], 0 offset:32
.LBB26_25:
	s_or_b64 exec, exec, s[4:5]
	s_waitcnt lgkmcnt(0)
	; wave barrier
	buffer_load_dword v56, off, s[0:3], 0 offset:40
	buffer_load_dword v57, off, s[0:3], 0 offset:44
	v_cmp_gt_u32_e32 vcc, 5, v0
	;; [unrolled: 41-line block ×21, first 2 shown]
	s_waitcnt vmcnt(0)
	ds_write_b64 v58, v[56:57]
	s_waitcnt lgkmcnt(0)
	; wave barrier
	s_waitcnt lgkmcnt(0)
	s_and_saveexec_b64 s[4:5], vcc
	s_cbranch_execz .LBB26_105
; %bb.102:
	v_add_u32_e32 v60, -1, v0
	v_add_u32_e32 v61, 0xe0, v1
	v_add_u32_e32 v62, 0, v1
	s_mov_b64 s[6:7], 0
	v_pk_mov_b32 v[56:57], 0, 0
.LBB26_103:                             ; =>This Inner Loop Header: Depth=1
	buffer_load_dword v64, v62, s[0:3], 0 offen
	buffer_load_dword v65, v62, s[0:3], 0 offen offset:4
	ds_read_b64 v[66:67], v61
	v_add_u32_e32 v60, 1, v60
	v_cmp_lt_u32_e32 vcc, 22, v60
	v_add_u32_e32 v61, 8, v61
	v_add_u32_e32 v62, 8, v62
	s_or_b64 s[6:7], vcc, s[6:7]
	s_waitcnt vmcnt(0) lgkmcnt(0)
	v_fmac_f64_e32 v[56:57], v[64:65], v[66:67]
	s_andn2_b64 exec, exec, s[6:7]
	s_cbranch_execnz .LBB26_103
; %bb.104:
	s_or_b64 exec, exec, s[6:7]
	v_mov_b32_e32 v60, 0
	ds_read_b64 v[60:61], v60 offset:192
	s_waitcnt lgkmcnt(0)
	v_mul_f64 v[56:57], v[56:57], v[60:61]
	buffer_store_dword v57, off, s[0:3], 0 offset:196
	buffer_store_dword v56, off, s[0:3], 0 offset:192
.LBB26_105:
	s_or_b64 exec, exec, s[4:5]
	s_waitcnt lgkmcnt(0)
	; wave barrier
	buffer_load_dword v56, off, s[0:3], 0 offset:200
	buffer_load_dword v57, off, s[0:3], 0 offset:204
	v_cmp_gt_u32_e32 vcc, 25, v0
	s_waitcnt vmcnt(0)
	ds_write_b64 v58, v[56:57]
	s_waitcnt lgkmcnt(0)
	; wave barrier
	s_waitcnt lgkmcnt(0)
	s_and_saveexec_b64 s[4:5], vcc
	s_cbranch_execz .LBB26_109
; %bb.106:
	v_add_u32_e32 v60, -1, v0
	v_add_u32_e32 v61, 0xe0, v1
	v_add_u32_e32 v62, 0, v1
	s_mov_b64 s[6:7], 0
	v_pk_mov_b32 v[56:57], 0, 0
.LBB26_107:                             ; =>This Inner Loop Header: Depth=1
	buffer_load_dword v64, v62, s[0:3], 0 offen
	buffer_load_dword v65, v62, s[0:3], 0 offen offset:4
	ds_read_b64 v[66:67], v61
	v_add_u32_e32 v60, 1, v60
	v_cmp_lt_u32_e32 vcc, 23, v60
	v_add_u32_e32 v61, 8, v61
	v_add_u32_e32 v62, 8, v62
	s_or_b64 s[6:7], vcc, s[6:7]
	s_waitcnt vmcnt(0) lgkmcnt(0)
	v_fmac_f64_e32 v[56:57], v[64:65], v[66:67]
	s_andn2_b64 exec, exec, s[6:7]
	s_cbranch_execnz .LBB26_107
; %bb.108:
	s_or_b64 exec, exec, s[6:7]
	v_mov_b32_e32 v60, 0
	ds_read_b64 v[60:61], v60 offset:200
	s_waitcnt lgkmcnt(0)
	v_mul_f64 v[56:57], v[56:57], v[60:61]
	buffer_store_dword v57, off, s[0:3], 0 offset:204
	buffer_store_dword v56, off, s[0:3], 0 offset:200
.LBB26_109:
	s_or_b64 exec, exec, s[4:5]
	s_waitcnt lgkmcnt(0)
	; wave barrier
	buffer_load_dword v56, off, s[0:3], 0 offset:208
	buffer_load_dword v57, off, s[0:3], 0 offset:212
	v_cmp_ne_u32_e32 vcc, 26, v0
	s_waitcnt vmcnt(0)
	ds_write_b64 v58, v[56:57]
	s_waitcnt lgkmcnt(0)
	; wave barrier
	s_waitcnt lgkmcnt(0)
	s_and_saveexec_b64 s[4:5], vcc
	s_cbranch_execz .LBB26_113
; %bb.110:
	v_add_u32_e32 v58, 0xe0, v1
	v_add_u32_e32 v1, 0, v1
	s_mov_b64 s[6:7], 0
	v_pk_mov_b32 v[56:57], 0, 0
.LBB26_111:                             ; =>This Inner Loop Header: Depth=1
	buffer_load_dword v60, v1, s[0:3], 0 offen
	buffer_load_dword v61, v1, s[0:3], 0 offen offset:4
	ds_read_b64 v[62:63], v58
	v_add_u32_e32 v59, 1, v59
	v_cmp_lt_u32_e32 vcc, 24, v59
	v_add_u32_e32 v58, 8, v58
	v_add_u32_e32 v1, 8, v1
	s_or_b64 s[6:7], vcc, s[6:7]
	s_waitcnt vmcnt(0) lgkmcnt(0)
	v_fmac_f64_e32 v[56:57], v[60:61], v[62:63]
	s_andn2_b64 exec, exec, s[6:7]
	s_cbranch_execnz .LBB26_111
; %bb.112:
	s_or_b64 exec, exec, s[6:7]
	v_mov_b32_e32 v1, 0
	ds_read_b64 v[58:59], v1 offset:208
	s_waitcnt lgkmcnt(0)
	v_mul_f64 v[56:57], v[56:57], v[58:59]
	buffer_store_dword v57, off, s[0:3], 0 offset:212
	buffer_store_dword v56, off, s[0:3], 0 offset:208
.LBB26_113:
	s_or_b64 exec, exec, s[4:5]
	s_mov_b64 s[6:7], -1
	s_waitcnt lgkmcnt(0)
	; wave barrier
.LBB26_114:
	s_and_b64 vcc, exec, s[6:7]
	s_cbranch_vccz .LBB26_116
; %bb.115:
	s_lshl_b64 s[4:5], s[8:9], 2
	s_add_u32 s4, s14, s4
	s_addc_u32 s5, s15, s5
	v_mov_b32_e32 v1, 0
	global_load_dword v1, v1, s[4:5]
	s_waitcnt vmcnt(0)
	v_cmp_ne_u32_e32 vcc, 0, v1
	s_cbranch_vccz .LBB26_117
.LBB26_116:
	s_endpgm
.LBB26_117:
	v_mov_b32_e32 v1, 0xe0
	v_lshl_add_u32 v1, v0, 3, v1
	v_cmp_eq_u32_e32 vcc, 26, v0
	s_and_saveexec_b64 s[4:5], vcc
	s_cbranch_execz .LBB26_119
; %bb.118:
	buffer_load_dword v56, off, s[0:3], 0 offset:200
	buffer_load_dword v57, off, s[0:3], 0 offset:204
	v_mov_b32_e32 v58, 0
	buffer_store_dword v58, off, s[0:3], 0 offset:200
	buffer_store_dword v58, off, s[0:3], 0 offset:204
	s_waitcnt vmcnt(2)
	ds_write_b64 v1, v[56:57]
.LBB26_119:
	s_or_b64 exec, exec, s[4:5]
	s_waitcnt lgkmcnt(0)
	; wave barrier
	s_waitcnt lgkmcnt(0)
	buffer_load_dword v58, off, s[0:3], 0 offset:208
	buffer_load_dword v59, off, s[0:3], 0 offset:212
	;; [unrolled: 1-line block ×4, first 2 shown]
	v_mov_b32_e32 v56, 0
	ds_read_b64 v[62:63], v56 offset:432
	v_cmp_lt_u32_e32 vcc, 24, v0
	s_waitcnt vmcnt(2) lgkmcnt(0)
	v_fma_f64 v[58:59], v[58:59], v[62:63], 0
	s_waitcnt vmcnt(0)
	v_add_f64 v[58:59], v[60:61], -v[58:59]
	buffer_store_dword v58, off, s[0:3], 0 offset:200
	buffer_store_dword v59, off, s[0:3], 0 offset:204
	s_and_saveexec_b64 s[4:5], vcc
	s_cbranch_execz .LBB26_121
; %bb.120:
	buffer_load_dword v58, off, s[0:3], 0 offset:192
	buffer_load_dword v59, off, s[0:3], 0 offset:196
	s_waitcnt vmcnt(0)
	ds_write_b64 v1, v[58:59]
	buffer_store_dword v56, off, s[0:3], 0 offset:192
	buffer_store_dword v56, off, s[0:3], 0 offset:196
.LBB26_121:
	s_or_b64 exec, exec, s[4:5]
	s_waitcnt lgkmcnt(0)
	; wave barrier
	s_waitcnt lgkmcnt(0)
	buffer_load_dword v60, off, s[0:3], 0 offset:200
	buffer_load_dword v61, off, s[0:3], 0 offset:204
	;; [unrolled: 1-line block ×6, first 2 shown]
	ds_read2_b64 v[56:59], v56 offset0:53 offset1:54
	v_cmp_lt_u32_e32 vcc, 23, v0
	s_waitcnt vmcnt(4) lgkmcnt(0)
	v_fma_f64 v[56:57], v[60:61], v[56:57], 0
	s_waitcnt vmcnt(2)
	v_fmac_f64_e32 v[56:57], v[62:63], v[58:59]
	s_waitcnt vmcnt(0)
	v_add_f64 v[56:57], v[64:65], -v[56:57]
	buffer_store_dword v56, off, s[0:3], 0 offset:192
	buffer_store_dword v57, off, s[0:3], 0 offset:196
	s_and_saveexec_b64 s[4:5], vcc
	s_cbranch_execz .LBB26_123
; %bb.122:
	buffer_load_dword v56, off, s[0:3], 0 offset:184
	buffer_load_dword v57, off, s[0:3], 0 offset:188
	v_mov_b32_e32 v58, 0
	buffer_store_dword v58, off, s[0:3], 0 offset:184
	buffer_store_dword v58, off, s[0:3], 0 offset:188
	s_waitcnt vmcnt(2)
	ds_write_b64 v1, v[56:57]
.LBB26_123:
	s_or_b64 exec, exec, s[4:5]
	s_waitcnt lgkmcnt(0)
	; wave barrier
	s_waitcnt lgkmcnt(0)
	buffer_load_dword v62, off, s[0:3], 0 offset:192
	buffer_load_dword v63, off, s[0:3], 0 offset:196
	;; [unrolled: 1-line block ×8, first 2 shown]
	v_mov_b32_e32 v56, 0
	ds_read_b128 v[58:61], v56 offset:416
	ds_read_b64 v[70:71], v56 offset:432
	v_cmp_lt_u32_e32 vcc, 22, v0
	s_waitcnt vmcnt(6) lgkmcnt(1)
	v_fma_f64 v[58:59], v[62:63], v[58:59], 0
	s_waitcnt vmcnt(4)
	v_fmac_f64_e32 v[58:59], v[64:65], v[60:61]
	s_waitcnt vmcnt(2) lgkmcnt(0)
	v_fmac_f64_e32 v[58:59], v[66:67], v[70:71]
	s_waitcnt vmcnt(0)
	v_add_f64 v[58:59], v[68:69], -v[58:59]
	buffer_store_dword v58, off, s[0:3], 0 offset:184
	buffer_store_dword v59, off, s[0:3], 0 offset:188
	s_and_saveexec_b64 s[4:5], vcc
	s_cbranch_execz .LBB26_125
; %bb.124:
	buffer_load_dword v58, off, s[0:3], 0 offset:176
	buffer_load_dword v59, off, s[0:3], 0 offset:180
	s_waitcnt vmcnt(0)
	ds_write_b64 v1, v[58:59]
	buffer_store_dword v56, off, s[0:3], 0 offset:176
	buffer_store_dword v56, off, s[0:3], 0 offset:180
.LBB26_125:
	s_or_b64 exec, exec, s[4:5]
	s_waitcnt lgkmcnt(0)
	; wave barrier
	s_waitcnt lgkmcnt(0)
	buffer_load_dword v66, off, s[0:3], 0 offset:184
	buffer_load_dword v67, off, s[0:3], 0 offset:188
	;; [unrolled: 1-line block ×10, first 2 shown]
	ds_read2_b64 v[58:61], v56 offset0:51 offset1:52
	ds_read2_b64 v[62:65], v56 offset0:53 offset1:54
	v_cmp_lt_u32_e32 vcc, 21, v0
	s_waitcnt vmcnt(8) lgkmcnt(1)
	v_fma_f64 v[56:57], v[66:67], v[58:59], 0
	s_waitcnt vmcnt(6)
	v_fmac_f64_e32 v[56:57], v[68:69], v[60:61]
	s_waitcnt vmcnt(4) lgkmcnt(0)
	v_fmac_f64_e32 v[56:57], v[70:71], v[62:63]
	s_waitcnt vmcnt(2)
	v_fmac_f64_e32 v[56:57], v[72:73], v[64:65]
	s_waitcnt vmcnt(0)
	v_add_f64 v[56:57], v[74:75], -v[56:57]
	buffer_store_dword v56, off, s[0:3], 0 offset:176
	buffer_store_dword v57, off, s[0:3], 0 offset:180
	s_and_saveexec_b64 s[4:5], vcc
	s_cbranch_execz .LBB26_127
; %bb.126:
	buffer_load_dword v56, off, s[0:3], 0 offset:168
	buffer_load_dword v57, off, s[0:3], 0 offset:172
	v_mov_b32_e32 v58, 0
	buffer_store_dword v58, off, s[0:3], 0 offset:168
	buffer_store_dword v58, off, s[0:3], 0 offset:172
	s_waitcnt vmcnt(2)
	ds_write_b64 v1, v[56:57]
.LBB26_127:
	s_or_b64 exec, exec, s[4:5]
	s_waitcnt lgkmcnt(0)
	; wave barrier
	s_waitcnt lgkmcnt(0)
	buffer_load_dword v66, off, s[0:3], 0 offset:176
	buffer_load_dword v67, off, s[0:3], 0 offset:180
	buffer_load_dword v68, off, s[0:3], 0 offset:184
	buffer_load_dword v69, off, s[0:3], 0 offset:188
	buffer_load_dword v70, off, s[0:3], 0 offset:192
	buffer_load_dword v71, off, s[0:3], 0 offset:196
	buffer_load_dword v72, off, s[0:3], 0 offset:200
	buffer_load_dword v73, off, s[0:3], 0 offset:204
	buffer_load_dword v74, off, s[0:3], 0 offset:208
	buffer_load_dword v75, off, s[0:3], 0 offset:212
	buffer_load_dword v76, off, s[0:3], 0 offset:168
	buffer_load_dword v77, off, s[0:3], 0 offset:172
	v_mov_b32_e32 v56, 0
	ds_read_b128 v[58:61], v56 offset:400
	ds_read_b128 v[62:65], v56 offset:416
	ds_read_b64 v[78:79], v56 offset:432
	v_cmp_lt_u32_e32 vcc, 20, v0
	s_waitcnt vmcnt(10) lgkmcnt(2)
	v_fma_f64 v[58:59], v[66:67], v[58:59], 0
	s_waitcnt vmcnt(8)
	v_fmac_f64_e32 v[58:59], v[68:69], v[60:61]
	s_waitcnt vmcnt(6) lgkmcnt(1)
	v_fmac_f64_e32 v[58:59], v[70:71], v[62:63]
	s_waitcnt vmcnt(4)
	v_fmac_f64_e32 v[58:59], v[72:73], v[64:65]
	s_waitcnt vmcnt(2) lgkmcnt(0)
	v_fmac_f64_e32 v[58:59], v[74:75], v[78:79]
	s_waitcnt vmcnt(0)
	v_add_f64 v[58:59], v[76:77], -v[58:59]
	buffer_store_dword v58, off, s[0:3], 0 offset:168
	buffer_store_dword v59, off, s[0:3], 0 offset:172
	s_and_saveexec_b64 s[4:5], vcc
	s_cbranch_execz .LBB26_129
; %bb.128:
	buffer_load_dword v58, off, s[0:3], 0 offset:160
	buffer_load_dword v59, off, s[0:3], 0 offset:164
	s_waitcnt vmcnt(0)
	ds_write_b64 v1, v[58:59]
	buffer_store_dword v56, off, s[0:3], 0 offset:160
	buffer_store_dword v56, off, s[0:3], 0 offset:164
.LBB26_129:
	s_or_b64 exec, exec, s[4:5]
	s_waitcnt lgkmcnt(0)
	; wave barrier
	s_waitcnt lgkmcnt(0)
	buffer_load_dword v70, off, s[0:3], 0 offset:168
	buffer_load_dword v71, off, s[0:3], 0 offset:172
	buffer_load_dword v72, off, s[0:3], 0 offset:176
	buffer_load_dword v73, off, s[0:3], 0 offset:180
	buffer_load_dword v74, off, s[0:3], 0 offset:184
	buffer_load_dword v75, off, s[0:3], 0 offset:188
	buffer_load_dword v76, off, s[0:3], 0 offset:192
	buffer_load_dword v77, off, s[0:3], 0 offset:196
	buffer_load_dword v78, off, s[0:3], 0 offset:200
	buffer_load_dword v79, off, s[0:3], 0 offset:204
	buffer_load_dword v80, off, s[0:3], 0 offset:208
	buffer_load_dword v81, off, s[0:3], 0 offset:212
	buffer_load_dword v82, off, s[0:3], 0 offset:160
	buffer_load_dword v83, off, s[0:3], 0 offset:164
	ds_read2_b64 v[58:61], v56 offset0:49 offset1:50
	ds_read2_b64 v[62:65], v56 offset0:51 offset1:52
	;; [unrolled: 1-line block ×3, first 2 shown]
	v_cmp_lt_u32_e32 vcc, 19, v0
	s_waitcnt vmcnt(12) lgkmcnt(2)
	v_fma_f64 v[56:57], v[70:71], v[58:59], 0
	s_waitcnt vmcnt(10)
	v_fmac_f64_e32 v[56:57], v[72:73], v[60:61]
	s_waitcnt vmcnt(8) lgkmcnt(1)
	v_fmac_f64_e32 v[56:57], v[74:75], v[62:63]
	s_waitcnt vmcnt(6)
	v_fmac_f64_e32 v[56:57], v[76:77], v[64:65]
	s_waitcnt vmcnt(4) lgkmcnt(0)
	v_fmac_f64_e32 v[56:57], v[78:79], v[66:67]
	s_waitcnt vmcnt(2)
	v_fmac_f64_e32 v[56:57], v[80:81], v[68:69]
	s_waitcnt vmcnt(0)
	v_add_f64 v[56:57], v[82:83], -v[56:57]
	buffer_store_dword v56, off, s[0:3], 0 offset:160
	buffer_store_dword v57, off, s[0:3], 0 offset:164
	s_and_saveexec_b64 s[4:5], vcc
	s_cbranch_execz .LBB26_131
; %bb.130:
	buffer_load_dword v56, off, s[0:3], 0 offset:152
	buffer_load_dword v57, off, s[0:3], 0 offset:156
	v_mov_b32_e32 v58, 0
	buffer_store_dword v58, off, s[0:3], 0 offset:152
	buffer_store_dword v58, off, s[0:3], 0 offset:156
	s_waitcnt vmcnt(2)
	ds_write_b64 v1, v[56:57]
.LBB26_131:
	s_or_b64 exec, exec, s[4:5]
	s_waitcnt lgkmcnt(0)
	; wave barrier
	s_waitcnt lgkmcnt(0)
	buffer_load_dword v70, off, s[0:3], 0 offset:160
	buffer_load_dword v71, off, s[0:3], 0 offset:164
	;; [unrolled: 1-line block ×16, first 2 shown]
	v_mov_b32_e32 v56, 0
	ds_read_b128 v[58:61], v56 offset:384
	ds_read_b128 v[62:65], v56 offset:400
	;; [unrolled: 1-line block ×3, first 2 shown]
	ds_read_b64 v[86:87], v56 offset:432
	v_cmp_lt_u32_e32 vcc, 18, v0
	s_waitcnt vmcnt(14) lgkmcnt(3)
	v_fma_f64 v[58:59], v[70:71], v[58:59], 0
	s_waitcnt vmcnt(12)
	v_fmac_f64_e32 v[58:59], v[72:73], v[60:61]
	s_waitcnt vmcnt(10) lgkmcnt(2)
	v_fmac_f64_e32 v[58:59], v[74:75], v[62:63]
	s_waitcnt vmcnt(8)
	v_fmac_f64_e32 v[58:59], v[76:77], v[64:65]
	s_waitcnt vmcnt(6) lgkmcnt(1)
	v_fmac_f64_e32 v[58:59], v[78:79], v[66:67]
	s_waitcnt vmcnt(4)
	v_fmac_f64_e32 v[58:59], v[80:81], v[68:69]
	s_waitcnt vmcnt(2) lgkmcnt(0)
	v_fmac_f64_e32 v[58:59], v[82:83], v[86:87]
	s_waitcnt vmcnt(0)
	v_add_f64 v[58:59], v[84:85], -v[58:59]
	buffer_store_dword v58, off, s[0:3], 0 offset:152
	buffer_store_dword v59, off, s[0:3], 0 offset:156
	s_and_saveexec_b64 s[4:5], vcc
	s_cbranch_execz .LBB26_133
; %bb.132:
	buffer_load_dword v58, off, s[0:3], 0 offset:144
	buffer_load_dword v59, off, s[0:3], 0 offset:148
	s_waitcnt vmcnt(0)
	ds_write_b64 v1, v[58:59]
	buffer_store_dword v56, off, s[0:3], 0 offset:144
	buffer_store_dword v56, off, s[0:3], 0 offset:148
.LBB26_133:
	s_or_b64 exec, exec, s[4:5]
	s_waitcnt lgkmcnt(0)
	; wave barrier
	s_waitcnt lgkmcnt(0)
	buffer_load_dword v74, off, s[0:3], 0 offset:152
	buffer_load_dword v75, off, s[0:3], 0 offset:156
	;; [unrolled: 1-line block ×18, first 2 shown]
	ds_read2_b64 v[58:61], v56 offset0:47 offset1:48
	ds_read2_b64 v[62:65], v56 offset0:49 offset1:50
	;; [unrolled: 1-line block ×4, first 2 shown]
	v_cmp_lt_u32_e32 vcc, 17, v0
	s_waitcnt vmcnt(16) lgkmcnt(3)
	v_fma_f64 v[56:57], v[74:75], v[58:59], 0
	s_waitcnt vmcnt(14)
	v_fmac_f64_e32 v[56:57], v[76:77], v[60:61]
	s_waitcnt vmcnt(12) lgkmcnt(2)
	v_fmac_f64_e32 v[56:57], v[78:79], v[62:63]
	s_waitcnt vmcnt(10)
	v_fmac_f64_e32 v[56:57], v[80:81], v[64:65]
	s_waitcnt vmcnt(8) lgkmcnt(1)
	v_fmac_f64_e32 v[56:57], v[82:83], v[66:67]
	;; [unrolled: 4-line block ×3, first 2 shown]
	s_waitcnt vmcnt(2)
	v_fmac_f64_e32 v[56:57], v[88:89], v[72:73]
	s_waitcnt vmcnt(0)
	v_add_f64 v[56:57], v[90:91], -v[56:57]
	buffer_store_dword v56, off, s[0:3], 0 offset:144
	buffer_store_dword v57, off, s[0:3], 0 offset:148
	s_and_saveexec_b64 s[4:5], vcc
	s_cbranch_execz .LBB26_135
; %bb.134:
	buffer_load_dword v56, off, s[0:3], 0 offset:136
	buffer_load_dword v57, off, s[0:3], 0 offset:140
	v_mov_b32_e32 v58, 0
	buffer_store_dword v58, off, s[0:3], 0 offset:136
	buffer_store_dword v58, off, s[0:3], 0 offset:140
	s_waitcnt vmcnt(2)
	ds_write_b64 v1, v[56:57]
.LBB26_135:
	s_or_b64 exec, exec, s[4:5]
	s_waitcnt lgkmcnt(0)
	; wave barrier
	s_waitcnt lgkmcnt(0)
	buffer_load_dword v74, off, s[0:3], 0 offset:144
	buffer_load_dword v75, off, s[0:3], 0 offset:148
	;; [unrolled: 1-line block ×20, first 2 shown]
	v_mov_b32_e32 v56, 0
	ds_read_b128 v[58:61], v56 offset:368
	ds_read_b128 v[62:65], v56 offset:384
	;; [unrolled: 1-line block ×4, first 2 shown]
	ds_read_b64 v[94:95], v56 offset:432
	v_cmp_lt_u32_e32 vcc, 16, v0
	s_waitcnt vmcnt(18) lgkmcnt(4)
	v_fma_f64 v[58:59], v[74:75], v[58:59], 0
	s_waitcnt vmcnt(16)
	v_fmac_f64_e32 v[58:59], v[76:77], v[60:61]
	s_waitcnt vmcnt(14) lgkmcnt(3)
	v_fmac_f64_e32 v[58:59], v[78:79], v[62:63]
	s_waitcnt vmcnt(12)
	v_fmac_f64_e32 v[58:59], v[80:81], v[64:65]
	s_waitcnt vmcnt(10) lgkmcnt(2)
	v_fmac_f64_e32 v[58:59], v[82:83], v[66:67]
	s_waitcnt vmcnt(8)
	v_fmac_f64_e32 v[58:59], v[84:85], v[68:69]
	s_waitcnt vmcnt(6) lgkmcnt(1)
	v_fmac_f64_e32 v[58:59], v[86:87], v[70:71]
	s_waitcnt vmcnt(2)
	v_fmac_f64_e32 v[58:59], v[90:91], v[72:73]
	s_waitcnt lgkmcnt(0)
	v_fmac_f64_e32 v[58:59], v[88:89], v[94:95]
	s_waitcnt vmcnt(0)
	v_add_f64 v[58:59], v[92:93], -v[58:59]
	buffer_store_dword v58, off, s[0:3], 0 offset:136
	buffer_store_dword v59, off, s[0:3], 0 offset:140
	s_and_saveexec_b64 s[4:5], vcc
	s_cbranch_execz .LBB26_137
; %bb.136:
	buffer_load_dword v58, off, s[0:3], 0 offset:128
	buffer_load_dword v59, off, s[0:3], 0 offset:132
	s_waitcnt vmcnt(0)
	ds_write_b64 v1, v[58:59]
	buffer_store_dword v56, off, s[0:3], 0 offset:128
	buffer_store_dword v56, off, s[0:3], 0 offset:132
.LBB26_137:
	s_or_b64 exec, exec, s[4:5]
	s_waitcnt lgkmcnt(0)
	; wave barrier
	s_waitcnt lgkmcnt(0)
	buffer_load_dword v78, off, s[0:3], 0 offset:136
	buffer_load_dword v79, off, s[0:3], 0 offset:140
	;; [unrolled: 1-line block ×22, first 2 shown]
	ds_read2_b64 v[58:61], v56 offset0:45 offset1:46
	ds_read2_b64 v[62:65], v56 offset0:47 offset1:48
	;; [unrolled: 1-line block ×5, first 2 shown]
	v_cmp_lt_u32_e32 vcc, 15, v0
	s_waitcnt vmcnt(20) lgkmcnt(4)
	v_fma_f64 v[56:57], v[78:79], v[58:59], 0
	s_waitcnt vmcnt(18)
	v_fmac_f64_e32 v[56:57], v[80:81], v[60:61]
	s_waitcnt vmcnt(16) lgkmcnt(3)
	v_fmac_f64_e32 v[56:57], v[82:83], v[62:63]
	s_waitcnt vmcnt(14)
	v_fmac_f64_e32 v[56:57], v[84:85], v[64:65]
	s_waitcnt vmcnt(12) lgkmcnt(2)
	v_fmac_f64_e32 v[56:57], v[86:87], v[66:67]
	;; [unrolled: 4-line block ×3, first 2 shown]
	s_waitcnt vmcnt(3)
	v_fmac_f64_e32 v[56:57], v[96:97], v[72:73]
	s_waitcnt lgkmcnt(0)
	v_fmac_f64_e32 v[56:57], v[94:95], v[74:75]
	s_waitcnt vmcnt(2)
	v_fmac_f64_e32 v[56:57], v[92:93], v[76:77]
	s_waitcnt vmcnt(0)
	v_add_f64 v[56:57], v[98:99], -v[56:57]
	buffer_store_dword v56, off, s[0:3], 0 offset:128
	buffer_store_dword v57, off, s[0:3], 0 offset:132
	s_and_saveexec_b64 s[4:5], vcc
	s_cbranch_execz .LBB26_139
; %bb.138:
	buffer_load_dword v56, off, s[0:3], 0 offset:120
	buffer_load_dword v57, off, s[0:3], 0 offset:124
	v_mov_b32_e32 v58, 0
	buffer_store_dword v58, off, s[0:3], 0 offset:120
	buffer_store_dword v58, off, s[0:3], 0 offset:124
	s_waitcnt vmcnt(2)
	ds_write_b64 v1, v[56:57]
.LBB26_139:
	s_or_b64 exec, exec, s[4:5]
	s_waitcnt lgkmcnt(0)
	; wave barrier
	s_waitcnt lgkmcnt(0)
	buffer_load_dword v78, off, s[0:3], 0 offset:128
	buffer_load_dword v79, off, s[0:3], 0 offset:132
	;; [unrolled: 1-line block ×24, first 2 shown]
	v_mov_b32_e32 v56, 0
	ds_read_b128 v[58:61], v56 offset:352
	ds_read_b128 v[62:65], v56 offset:368
	ds_read_b128 v[66:69], v56 offset:384
	ds_read_b128 v[70:73], v56 offset:400
	ds_read_b128 v[74:77], v56 offset:416
	ds_read_b64 v[102:103], v56 offset:432
	v_cmp_lt_u32_e32 vcc, 14, v0
	s_waitcnt vmcnt(22) lgkmcnt(5)
	v_fma_f64 v[58:59], v[78:79], v[58:59], 0
	s_waitcnt vmcnt(20)
	v_fmac_f64_e32 v[58:59], v[80:81], v[60:61]
	s_waitcnt vmcnt(18) lgkmcnt(4)
	v_fmac_f64_e32 v[58:59], v[82:83], v[62:63]
	s_waitcnt vmcnt(16)
	v_fmac_f64_e32 v[58:59], v[84:85], v[64:65]
	s_waitcnt vmcnt(14) lgkmcnt(3)
	v_fmac_f64_e32 v[58:59], v[86:87], v[66:67]
	;; [unrolled: 4-line block ×3, first 2 shown]
	s_waitcnt vmcnt(4)
	v_fmac_f64_e32 v[58:59], v[98:99], v[72:73]
	s_waitcnt lgkmcnt(1)
	v_fmac_f64_e32 v[58:59], v[96:97], v[74:75]
	s_waitcnt vmcnt(3)
	v_fmac_f64_e32 v[58:59], v[94:95], v[76:77]
	s_waitcnt vmcnt(2) lgkmcnt(0)
	v_fmac_f64_e32 v[58:59], v[92:93], v[102:103]
	s_waitcnt vmcnt(0)
	v_add_f64 v[58:59], v[100:101], -v[58:59]
	buffer_store_dword v59, off, s[0:3], 0 offset:124
	buffer_store_dword v58, off, s[0:3], 0 offset:120
	s_and_saveexec_b64 s[4:5], vcc
	s_cbranch_execz .LBB26_141
; %bb.140:
	buffer_load_dword v58, off, s[0:3], 0 offset:112
	buffer_load_dword v59, off, s[0:3], 0 offset:116
	s_waitcnt vmcnt(0)
	ds_write_b64 v1, v[58:59]
	buffer_store_dword v56, off, s[0:3], 0 offset:112
	buffer_store_dword v56, off, s[0:3], 0 offset:116
.LBB26_141:
	s_or_b64 exec, exec, s[4:5]
	s_waitcnt lgkmcnt(0)
	; wave barrier
	s_waitcnt lgkmcnt(0)
	buffer_load_dword v82, off, s[0:3], 0 offset:120
	buffer_load_dword v83, off, s[0:3], 0 offset:124
	;; [unrolled: 1-line block ×26, first 2 shown]
	ds_read2_b64 v[58:61], v56 offset0:43 offset1:44
	ds_read2_b64 v[62:65], v56 offset0:45 offset1:46
	;; [unrolled: 1-line block ×6, first 2 shown]
	v_cmp_lt_u32_e32 vcc, 13, v0
	s_waitcnt vmcnt(24) lgkmcnt(5)
	v_fma_f64 v[56:57], v[82:83], v[58:59], 0
	s_waitcnt vmcnt(22)
	v_fmac_f64_e32 v[56:57], v[84:85], v[60:61]
	s_waitcnt vmcnt(20) lgkmcnt(4)
	v_fmac_f64_e32 v[56:57], v[86:87], v[62:63]
	s_waitcnt vmcnt(18)
	v_fmac_f64_e32 v[56:57], v[88:89], v[64:65]
	s_waitcnt vmcnt(16) lgkmcnt(3)
	v_fmac_f64_e32 v[56:57], v[90:91], v[66:67]
	;; [unrolled: 4-line block ×3, first 2 shown]
	s_waitcnt vmcnt(5)
	v_fmac_f64_e32 v[56:57], v[102:103], v[72:73]
	s_waitcnt lgkmcnt(1)
	v_fmac_f64_e32 v[56:57], v[100:101], v[74:75]
	v_fmac_f64_e32 v[56:57], v[98:99], v[76:77]
	s_waitcnt vmcnt(4) lgkmcnt(0)
	v_fmac_f64_e32 v[56:57], v[96:97], v[78:79]
	s_waitcnt vmcnt(2)
	v_fmac_f64_e32 v[56:57], v[104:105], v[80:81]
	s_waitcnt vmcnt(0)
	v_add_f64 v[56:57], v[106:107], -v[56:57]
	buffer_store_dword v57, off, s[0:3], 0 offset:116
	buffer_store_dword v56, off, s[0:3], 0 offset:112
	s_and_saveexec_b64 s[4:5], vcc
	s_cbranch_execz .LBB26_143
; %bb.142:
	buffer_load_dword v56, off, s[0:3], 0 offset:104
	buffer_load_dword v57, off, s[0:3], 0 offset:108
	v_mov_b32_e32 v58, 0
	buffer_store_dword v58, off, s[0:3], 0 offset:104
	buffer_store_dword v58, off, s[0:3], 0 offset:108
	s_waitcnt vmcnt(2)
	ds_write_b64 v1, v[56:57]
.LBB26_143:
	s_or_b64 exec, exec, s[4:5]
	s_waitcnt lgkmcnt(0)
	; wave barrier
	s_waitcnt lgkmcnt(0)
	buffer_load_dword v82, off, s[0:3], 0 offset:112
	buffer_load_dword v83, off, s[0:3], 0 offset:116
	;; [unrolled: 1-line block ×28, first 2 shown]
	v_mov_b32_e32 v56, 0
	ds_read_b128 v[58:61], v56 offset:336
	ds_read_b128 v[62:65], v56 offset:352
	;; [unrolled: 1-line block ×6, first 2 shown]
	ds_read_b64 v[110:111], v56 offset:432
	v_cmp_lt_u32_e32 vcc, 12, v0
	s_waitcnt vmcnt(26) lgkmcnt(6)
	v_fma_f64 v[58:59], v[82:83], v[58:59], 0
	s_waitcnt vmcnt(24)
	v_fmac_f64_e32 v[58:59], v[84:85], v[60:61]
	s_waitcnt vmcnt(22) lgkmcnt(5)
	v_fmac_f64_e32 v[58:59], v[86:87], v[62:63]
	s_waitcnt vmcnt(20)
	v_fmac_f64_e32 v[58:59], v[88:89], v[64:65]
	s_waitcnt vmcnt(18) lgkmcnt(4)
	v_fmac_f64_e32 v[58:59], v[90:91], v[66:67]
	;; [unrolled: 4-line block ×3, first 2 shown]
	s_waitcnt vmcnt(6)
	v_fmac_f64_e32 v[58:59], v[102:103], v[72:73]
	s_waitcnt lgkmcnt(2)
	v_fmac_f64_e32 v[58:59], v[100:101], v[74:75]
	v_fmac_f64_e32 v[58:59], v[98:99], v[76:77]
	s_waitcnt lgkmcnt(1)
	v_fmac_f64_e32 v[58:59], v[96:97], v[78:79]
	s_waitcnt vmcnt(2)
	v_fmac_f64_e32 v[58:59], v[106:107], v[80:81]
	s_waitcnt lgkmcnt(0)
	v_fmac_f64_e32 v[58:59], v[104:105], v[110:111]
	s_waitcnt vmcnt(0)
	v_add_f64 v[58:59], v[108:109], -v[58:59]
	buffer_store_dword v59, off, s[0:3], 0 offset:108
	buffer_store_dword v58, off, s[0:3], 0 offset:104
	s_and_saveexec_b64 s[4:5], vcc
	s_cbranch_execz .LBB26_145
; %bb.144:
	buffer_load_dword v58, off, s[0:3], 0 offset:96
	buffer_load_dword v59, off, s[0:3], 0 offset:100
	s_waitcnt vmcnt(0)
	ds_write_b64 v1, v[58:59]
	buffer_store_dword v56, off, s[0:3], 0 offset:96
	buffer_store_dword v56, off, s[0:3], 0 offset:100
.LBB26_145:
	s_or_b64 exec, exec, s[4:5]
	s_waitcnt lgkmcnt(0)
	; wave barrier
	s_waitcnt lgkmcnt(0)
	buffer_load_dword v86, off, s[0:3], 0 offset:104
	buffer_load_dword v87, off, s[0:3], 0 offset:108
	;; [unrolled: 1-line block ×30, first 2 shown]
	ds_read2_b64 v[58:61], v56 offset0:41 offset1:42
	ds_read2_b64 v[62:65], v56 offset0:43 offset1:44
	;; [unrolled: 1-line block ×7, first 2 shown]
	v_cmp_lt_u32_e32 vcc, 11, v0
	s_waitcnt vmcnt(28) lgkmcnt(6)
	v_fma_f64 v[56:57], v[86:87], v[58:59], 0
	s_waitcnt vmcnt(26)
	v_fmac_f64_e32 v[56:57], v[88:89], v[60:61]
	s_waitcnt vmcnt(24) lgkmcnt(5)
	v_fmac_f64_e32 v[56:57], v[90:91], v[62:63]
	s_waitcnt vmcnt(22)
	v_fmac_f64_e32 v[56:57], v[92:93], v[64:65]
	s_waitcnt vmcnt(20) lgkmcnt(4)
	v_fmac_f64_e32 v[56:57], v[94:95], v[66:67]
	;; [unrolled: 4-line block ×3, first 2 shown]
	s_waitcnt vmcnt(8)
	v_fmac_f64_e32 v[56:57], v[106:107], v[72:73]
	s_waitcnt lgkmcnt(2)
	v_fmac_f64_e32 v[56:57], v[104:105], v[74:75]
	v_fmac_f64_e32 v[56:57], v[102:103], v[76:77]
	s_waitcnt lgkmcnt(1)
	v_fmac_f64_e32 v[56:57], v[100:101], v[78:79]
	s_waitcnt vmcnt(3)
	v_fmac_f64_e32 v[56:57], v[112:113], v[80:81]
	s_waitcnt lgkmcnt(0)
	v_fmac_f64_e32 v[56:57], v[110:111], v[82:83]
	s_waitcnt vmcnt(2)
	v_fmac_f64_e32 v[56:57], v[108:109], v[84:85]
	s_waitcnt vmcnt(0)
	v_add_f64 v[56:57], v[114:115], -v[56:57]
	buffer_store_dword v57, off, s[0:3], 0 offset:100
	buffer_store_dword v56, off, s[0:3], 0 offset:96
	s_and_saveexec_b64 s[4:5], vcc
	s_cbranch_execz .LBB26_147
; %bb.146:
	buffer_load_dword v56, off, s[0:3], 0 offset:88
	buffer_load_dword v57, off, s[0:3], 0 offset:92
	v_mov_b32_e32 v58, 0
	buffer_store_dword v58, off, s[0:3], 0 offset:88
	buffer_store_dword v58, off, s[0:3], 0 offset:92
	s_waitcnt vmcnt(2)
	ds_write_b64 v1, v[56:57]
.LBB26_147:
	s_or_b64 exec, exec, s[4:5]
	s_waitcnt lgkmcnt(0)
	; wave barrier
	s_waitcnt lgkmcnt(0)
	buffer_load_dword v86, off, s[0:3], 0 offset:96
	buffer_load_dword v87, off, s[0:3], 0 offset:100
	;; [unrolled: 1-line block ×32, first 2 shown]
	v_mov_b32_e32 v56, 0
	ds_read_b128 v[58:61], v56 offset:320
	ds_read_b128 v[62:65], v56 offset:336
	;; [unrolled: 1-line block ×7, first 2 shown]
	ds_read_b64 v[118:119], v56 offset:432
	v_cmp_lt_u32_e32 vcc, 10, v0
	s_waitcnt vmcnt(30) lgkmcnt(7)
	v_fma_f64 v[58:59], v[86:87], v[58:59], 0
	s_waitcnt vmcnt(28)
	v_fmac_f64_e32 v[58:59], v[88:89], v[60:61]
	s_waitcnt vmcnt(26) lgkmcnt(6)
	v_fmac_f64_e32 v[58:59], v[90:91], v[62:63]
	s_waitcnt vmcnt(24)
	v_fmac_f64_e32 v[58:59], v[92:93], v[64:65]
	s_waitcnt vmcnt(22) lgkmcnt(5)
	v_fmac_f64_e32 v[58:59], v[94:95], v[66:67]
	;; [unrolled: 4-line block ×3, first 2 shown]
	s_waitcnt vmcnt(10)
	v_fmac_f64_e32 v[58:59], v[106:107], v[72:73]
	s_waitcnt lgkmcnt(3)
	v_fmac_f64_e32 v[58:59], v[104:105], v[74:75]
	v_fmac_f64_e32 v[58:59], v[102:103], v[76:77]
	s_waitcnt lgkmcnt(2)
	v_fmac_f64_e32 v[58:59], v[100:101], v[78:79]
	s_waitcnt vmcnt(4)
	v_fmac_f64_e32 v[58:59], v[114:115], v[80:81]
	s_waitcnt lgkmcnt(1)
	v_fmac_f64_e32 v[58:59], v[112:113], v[82:83]
	s_waitcnt vmcnt(3)
	v_fmac_f64_e32 v[58:59], v[110:111], v[84:85]
	s_waitcnt vmcnt(2) lgkmcnt(0)
	v_fmac_f64_e32 v[58:59], v[108:109], v[118:119]
	s_waitcnt vmcnt(0)
	v_add_f64 v[58:59], v[116:117], -v[58:59]
	buffer_store_dword v59, off, s[0:3], 0 offset:92
	buffer_store_dword v58, off, s[0:3], 0 offset:88
	s_and_saveexec_b64 s[4:5], vcc
	s_cbranch_execz .LBB26_149
; %bb.148:
	buffer_load_dword v58, off, s[0:3], 0 offset:80
	buffer_load_dword v59, off, s[0:3], 0 offset:84
	s_waitcnt vmcnt(0)
	ds_write_b64 v1, v[58:59]
	buffer_store_dword v56, off, s[0:3], 0 offset:80
	buffer_store_dword v56, off, s[0:3], 0 offset:84
.LBB26_149:
	s_or_b64 exec, exec, s[4:5]
	s_waitcnt lgkmcnt(0)
	; wave barrier
	s_waitcnt lgkmcnt(0)
	buffer_load_dword v90, off, s[0:3], 0 offset:88
	buffer_load_dword v91, off, s[0:3], 0 offset:92
	;; [unrolled: 1-line block ×34, first 2 shown]
	ds_read2_b64 v[58:61], v56 offset0:39 offset1:40
	ds_read2_b64 v[62:65], v56 offset0:41 offset1:42
	;; [unrolled: 1-line block ×8, first 2 shown]
	v_cmp_lt_u32_e32 vcc, 9, v0
	s_waitcnt vmcnt(32) lgkmcnt(7)
	v_fma_f64 v[56:57], v[90:91], v[58:59], 0
	s_waitcnt vmcnt(30)
	v_fmac_f64_e32 v[56:57], v[92:93], v[60:61]
	s_waitcnt vmcnt(28) lgkmcnt(6)
	v_fmac_f64_e32 v[56:57], v[94:95], v[62:63]
	s_waitcnt vmcnt(26)
	v_fmac_f64_e32 v[56:57], v[96:97], v[64:65]
	s_waitcnt vmcnt(24) lgkmcnt(5)
	v_fmac_f64_e32 v[56:57], v[98:99], v[66:67]
	;; [unrolled: 4-line block ×3, first 2 shown]
	s_waitcnt vmcnt(12)
	v_fmac_f64_e32 v[56:57], v[110:111], v[72:73]
	s_waitcnt lgkmcnt(3)
	v_fmac_f64_e32 v[56:57], v[108:109], v[74:75]
	v_fmac_f64_e32 v[56:57], v[106:107], v[76:77]
	s_waitcnt lgkmcnt(2)
	v_fmac_f64_e32 v[56:57], v[104:105], v[78:79]
	s_waitcnt vmcnt(5)
	v_fmac_f64_e32 v[56:57], v[118:119], v[80:81]
	s_waitcnt lgkmcnt(1)
	v_fmac_f64_e32 v[56:57], v[116:117], v[82:83]
	v_fmac_f64_e32 v[56:57], v[114:115], v[84:85]
	s_waitcnt vmcnt(4) lgkmcnt(0)
	v_fmac_f64_e32 v[56:57], v[112:113], v[86:87]
	s_waitcnt vmcnt(2)
	v_fmac_f64_e32 v[56:57], v[120:121], v[88:89]
	s_waitcnt vmcnt(0)
	v_add_f64 v[56:57], v[122:123], -v[56:57]
	buffer_store_dword v57, off, s[0:3], 0 offset:84
	buffer_store_dword v56, off, s[0:3], 0 offset:80
	s_and_saveexec_b64 s[4:5], vcc
	s_cbranch_execz .LBB26_151
; %bb.150:
	buffer_load_dword v56, off, s[0:3], 0 offset:72
	buffer_load_dword v57, off, s[0:3], 0 offset:76
	v_mov_b32_e32 v58, 0
	buffer_store_dword v58, off, s[0:3], 0 offset:72
	buffer_store_dword v58, off, s[0:3], 0 offset:76
	s_waitcnt vmcnt(2)
	ds_write_b64 v1, v[56:57]
.LBB26_151:
	s_or_b64 exec, exec, s[4:5]
	s_waitcnt lgkmcnt(0)
	; wave barrier
	s_waitcnt lgkmcnt(0)
	buffer_load_dword v56, off, s[0:3], 0 offset:72
	buffer_load_dword v57, off, s[0:3], 0 offset:76
	;; [unrolled: 1-line block ×16, first 2 shown]
	v_mov_b32_e32 v60, 0
	ds_read_b128 v[62:65], v60 offset:304
	ds_read_b128 v[66:69], v60 offset:320
	;; [unrolled: 1-line block ×4, first 2 shown]
	v_cmp_lt_u32_e32 vcc, 8, v0
	s_waitcnt vmcnt(12) lgkmcnt(3)
	v_fma_f64 v[58:59], v[58:59], v[62:63], 0
	buffer_load_dword v63, off, s[0:3], 0 offset:140
	buffer_load_dword v62, off, s[0:3], 0 offset:136
	s_waitcnt vmcnt(12)
	v_fmac_f64_e32 v[58:59], v[78:79], v[64:65]
	s_waitcnt vmcnt(10) lgkmcnt(2)
	v_fmac_f64_e32 v[58:59], v[80:81], v[66:67]
	buffer_load_dword v67, off, s[0:3], 0 offset:148
	buffer_load_dword v66, off, s[0:3], 0 offset:144
	s_waitcnt vmcnt(10)
	v_fmac_f64_e32 v[58:59], v[82:83], v[68:69]
	s_waitcnt vmcnt(8) lgkmcnt(1)
	v_fmac_f64_e32 v[58:59], v[84:85], v[70:71]
	s_waitcnt vmcnt(6)
	v_fmac_f64_e32 v[58:59], v[86:87], v[72:73]
	s_waitcnt vmcnt(4) lgkmcnt(0)
	v_fmac_f64_e32 v[58:59], v[88:89], v[74:75]
	s_waitcnt vmcnt(2)
	v_fmac_f64_e32 v[58:59], v[62:63], v[76:77]
	ds_read_b128 v[62:65], v60 offset:368
	s_waitcnt vmcnt(0) lgkmcnt(0)
	v_fmac_f64_e32 v[58:59], v[66:67], v[62:63]
	buffer_load_dword v63, off, s[0:3], 0 offset:156
	buffer_load_dword v62, off, s[0:3], 0 offset:152
	buffer_load_dword v67, off, s[0:3], 0 offset:164
	buffer_load_dword v66, off, s[0:3], 0 offset:160
	s_waitcnt vmcnt(2)
	v_fmac_f64_e32 v[58:59], v[62:63], v[64:65]
	ds_read_b128 v[62:65], v60 offset:384
	s_waitcnt vmcnt(0) lgkmcnt(0)
	v_fmac_f64_e32 v[58:59], v[66:67], v[62:63]
	buffer_load_dword v63, off, s[0:3], 0 offset:172
	buffer_load_dword v62, off, s[0:3], 0 offset:168
	buffer_load_dword v67, off, s[0:3], 0 offset:180
	buffer_load_dword v66, off, s[0:3], 0 offset:176
	;; [unrolled: 9-line block ×3, first 2 shown]
	s_waitcnt vmcnt(2)
	v_fmac_f64_e32 v[58:59], v[62:63], v[64:65]
	ds_read_b128 v[62:65], v60 offset:416
	s_waitcnt vmcnt(0) lgkmcnt(0)
	v_fmac_f64_e32 v[58:59], v[66:67], v[62:63]
	buffer_load_dword v63, off, s[0:3], 0 offset:204
	buffer_load_dword v62, off, s[0:3], 0 offset:200
	s_waitcnt vmcnt(0)
	v_fmac_f64_e32 v[58:59], v[62:63], v[64:65]
	buffer_load_dword v63, off, s[0:3], 0 offset:212
	buffer_load_dword v62, off, s[0:3], 0 offset:208
	ds_read_b64 v[64:65], v60 offset:432
	s_waitcnt vmcnt(0) lgkmcnt(0)
	v_fmac_f64_e32 v[58:59], v[62:63], v[64:65]
	v_add_f64 v[56:57], v[56:57], -v[58:59]
	buffer_store_dword v57, off, s[0:3], 0 offset:76
	buffer_store_dword v56, off, s[0:3], 0 offset:72
	s_and_saveexec_b64 s[4:5], vcc
	s_cbranch_execz .LBB26_153
; %bb.152:
	buffer_load_dword v56, off, s[0:3], 0 offset:64
	buffer_load_dword v57, off, s[0:3], 0 offset:68
	s_waitcnt vmcnt(0)
	ds_write_b64 v1, v[56:57]
	buffer_store_dword v60, off, s[0:3], 0 offset:64
	buffer_store_dword v60, off, s[0:3], 0 offset:68
.LBB26_153:
	s_or_b64 exec, exec, s[4:5]
	s_waitcnt lgkmcnt(0)
	; wave barrier
	s_waitcnt lgkmcnt(0)
	buffer_load_dword v56, off, s[0:3], 0 offset:64
	buffer_load_dword v57, off, s[0:3], 0 offset:68
	;; [unrolled: 1-line block ×16, first 2 shown]
	ds_read2_b64 v[62:65], v60 offset0:37 offset1:38
	v_cmp_lt_u32_e32 vcc, 7, v0
	s_waitcnt vmcnt(12) lgkmcnt(0)
	v_fma_f64 v[58:59], v[58:59], v[62:63], 0
	s_waitcnt vmcnt(10)
	v_fmac_f64_e32 v[58:59], v[66:67], v[64:65]
	ds_read2_b64 v[62:65], v60 offset0:39 offset1:40
	s_waitcnt vmcnt(8) lgkmcnt(0)
	v_fmac_f64_e32 v[58:59], v[68:69], v[62:63]
	s_waitcnt vmcnt(6)
	v_fmac_f64_e32 v[58:59], v[70:71], v[64:65]
	ds_read2_b64 v[62:65], v60 offset0:41 offset1:42
	s_waitcnt vmcnt(4) lgkmcnt(0)
	v_fmac_f64_e32 v[58:59], v[72:73], v[62:63]
	s_waitcnt vmcnt(2)
	v_fmac_f64_e32 v[58:59], v[74:75], v[64:65]
	ds_read2_b64 v[62:65], v60 offset0:43 offset1:44
	s_waitcnt vmcnt(0) lgkmcnt(0)
	v_fmac_f64_e32 v[58:59], v[76:77], v[62:63]
	buffer_load_dword v63, off, s[0:3], 0 offset:132
	buffer_load_dword v62, off, s[0:3], 0 offset:128
	buffer_load_dword v67, off, s[0:3], 0 offset:140
	buffer_load_dword v66, off, s[0:3], 0 offset:136
	s_waitcnt vmcnt(2)
	v_fmac_f64_e32 v[58:59], v[62:63], v[64:65]
	ds_read2_b64 v[62:65], v60 offset0:45 offset1:46
	s_waitcnt vmcnt(0) lgkmcnt(0)
	v_fmac_f64_e32 v[58:59], v[66:67], v[62:63]
	buffer_load_dword v63, off, s[0:3], 0 offset:148
	buffer_load_dword v62, off, s[0:3], 0 offset:144
	buffer_load_dword v67, off, s[0:3], 0 offset:156
	buffer_load_dword v66, off, s[0:3], 0 offset:152
	s_waitcnt vmcnt(2)
	v_fmac_f64_e32 v[58:59], v[62:63], v[64:65]
	ds_read2_b64 v[62:65], v60 offset0:47 offset1:48
	s_waitcnt vmcnt(0) lgkmcnt(0)
	v_fmac_f64_e32 v[58:59], v[66:67], v[62:63]
	;; [unrolled: 9-line block ×4, first 2 shown]
	buffer_load_dword v63, off, s[0:3], 0 offset:196
	buffer_load_dword v62, off, s[0:3], 0 offset:192
	s_waitcnt vmcnt(0)
	v_fmac_f64_e32 v[58:59], v[62:63], v[64:65]
	buffer_load_dword v65, off, s[0:3], 0 offset:204
	buffer_load_dword v64, off, s[0:3], 0 offset:200
	ds_read2_b64 v[60:63], v60 offset0:53 offset1:54
	s_waitcnt vmcnt(0) lgkmcnt(0)
	v_fmac_f64_e32 v[58:59], v[64:65], v[60:61]
	buffer_load_dword v61, off, s[0:3], 0 offset:212
	buffer_load_dword v60, off, s[0:3], 0 offset:208
	s_waitcnt vmcnt(0)
	v_fmac_f64_e32 v[58:59], v[60:61], v[62:63]
	v_add_f64 v[56:57], v[56:57], -v[58:59]
	buffer_store_dword v57, off, s[0:3], 0 offset:68
	buffer_store_dword v56, off, s[0:3], 0 offset:64
	s_and_saveexec_b64 s[4:5], vcc
	s_cbranch_execz .LBB26_155
; %bb.154:
	buffer_load_dword v56, off, s[0:3], 0 offset:56
	buffer_load_dword v57, off, s[0:3], 0 offset:60
	v_mov_b32_e32 v58, 0
	buffer_store_dword v58, off, s[0:3], 0 offset:56
	buffer_store_dword v58, off, s[0:3], 0 offset:60
	s_waitcnt vmcnt(2)
	ds_write_b64 v1, v[56:57]
.LBB26_155:
	s_or_b64 exec, exec, s[4:5]
	s_waitcnt lgkmcnt(0)
	; wave barrier
	s_waitcnt lgkmcnt(0)
	buffer_load_dword v56, off, s[0:3], 0 offset:56
	buffer_load_dword v57, off, s[0:3], 0 offset:60
	;; [unrolled: 1-line block ×16, first 2 shown]
	v_mov_b32_e32 v60, 0
	ds_read_b128 v[62:65], v60 offset:288
	ds_read_b128 v[66:69], v60 offset:304
	;; [unrolled: 1-line block ×4, first 2 shown]
	v_cmp_lt_u32_e32 vcc, 6, v0
	s_waitcnt vmcnt(12) lgkmcnt(3)
	v_fma_f64 v[58:59], v[58:59], v[62:63], 0
	buffer_load_dword v63, off, s[0:3], 0 offset:124
	buffer_load_dword v62, off, s[0:3], 0 offset:120
	s_waitcnt vmcnt(12)
	v_fmac_f64_e32 v[58:59], v[78:79], v[64:65]
	s_waitcnt vmcnt(10) lgkmcnt(2)
	v_fmac_f64_e32 v[58:59], v[80:81], v[66:67]
	buffer_load_dword v67, off, s[0:3], 0 offset:132
	buffer_load_dword v66, off, s[0:3], 0 offset:128
	s_waitcnt vmcnt(10)
	v_fmac_f64_e32 v[58:59], v[82:83], v[68:69]
	s_waitcnt vmcnt(8) lgkmcnt(1)
	v_fmac_f64_e32 v[58:59], v[84:85], v[70:71]
	s_waitcnt vmcnt(6)
	v_fmac_f64_e32 v[58:59], v[86:87], v[72:73]
	s_waitcnt vmcnt(4) lgkmcnt(0)
	v_fmac_f64_e32 v[58:59], v[88:89], v[74:75]
	s_waitcnt vmcnt(2)
	v_fmac_f64_e32 v[58:59], v[62:63], v[76:77]
	ds_read_b128 v[62:65], v60 offset:352
	s_waitcnt vmcnt(0) lgkmcnt(0)
	v_fmac_f64_e32 v[58:59], v[66:67], v[62:63]
	buffer_load_dword v63, off, s[0:3], 0 offset:140
	buffer_load_dword v62, off, s[0:3], 0 offset:136
	buffer_load_dword v67, off, s[0:3], 0 offset:148
	buffer_load_dword v66, off, s[0:3], 0 offset:144
	s_waitcnt vmcnt(2)
	v_fmac_f64_e32 v[58:59], v[62:63], v[64:65]
	ds_read_b128 v[62:65], v60 offset:368
	s_waitcnt vmcnt(0) lgkmcnt(0)
	v_fmac_f64_e32 v[58:59], v[66:67], v[62:63]
	buffer_load_dword v63, off, s[0:3], 0 offset:156
	buffer_load_dword v62, off, s[0:3], 0 offset:152
	buffer_load_dword v67, off, s[0:3], 0 offset:164
	buffer_load_dword v66, off, s[0:3], 0 offset:160
	;; [unrolled: 9-line block ×4, first 2 shown]
	s_waitcnt vmcnt(2)
	v_fmac_f64_e32 v[58:59], v[62:63], v[64:65]
	ds_read_b128 v[62:65], v60 offset:416
	s_waitcnt vmcnt(0) lgkmcnt(0)
	v_fmac_f64_e32 v[58:59], v[66:67], v[62:63]
	buffer_load_dword v63, off, s[0:3], 0 offset:204
	buffer_load_dword v62, off, s[0:3], 0 offset:200
	s_waitcnt vmcnt(0)
	v_fmac_f64_e32 v[58:59], v[62:63], v[64:65]
	buffer_load_dword v63, off, s[0:3], 0 offset:212
	buffer_load_dword v62, off, s[0:3], 0 offset:208
	ds_read_b64 v[64:65], v60 offset:432
	s_waitcnt vmcnt(0) lgkmcnt(0)
	v_fmac_f64_e32 v[58:59], v[62:63], v[64:65]
	v_add_f64 v[56:57], v[56:57], -v[58:59]
	buffer_store_dword v57, off, s[0:3], 0 offset:60
	buffer_store_dword v56, off, s[0:3], 0 offset:56
	s_and_saveexec_b64 s[4:5], vcc
	s_cbranch_execz .LBB26_157
; %bb.156:
	buffer_load_dword v56, off, s[0:3], 0 offset:48
	buffer_load_dword v57, off, s[0:3], 0 offset:52
	s_waitcnt vmcnt(0)
	ds_write_b64 v1, v[56:57]
	buffer_store_dword v60, off, s[0:3], 0 offset:48
	buffer_store_dword v60, off, s[0:3], 0 offset:52
.LBB26_157:
	s_or_b64 exec, exec, s[4:5]
	s_waitcnt lgkmcnt(0)
	; wave barrier
	s_waitcnt lgkmcnt(0)
	buffer_load_dword v56, off, s[0:3], 0 offset:48
	buffer_load_dword v57, off, s[0:3], 0 offset:52
	;; [unrolled: 1-line block ×16, first 2 shown]
	ds_read2_b64 v[62:65], v60 offset0:35 offset1:36
	v_cmp_lt_u32_e32 vcc, 5, v0
	s_waitcnt vmcnt(12) lgkmcnt(0)
	v_fma_f64 v[58:59], v[58:59], v[62:63], 0
	s_waitcnt vmcnt(10)
	v_fmac_f64_e32 v[58:59], v[66:67], v[64:65]
	ds_read2_b64 v[62:65], v60 offset0:37 offset1:38
	s_waitcnt vmcnt(8) lgkmcnt(0)
	v_fmac_f64_e32 v[58:59], v[68:69], v[62:63]
	s_waitcnt vmcnt(6)
	v_fmac_f64_e32 v[58:59], v[70:71], v[64:65]
	ds_read2_b64 v[62:65], v60 offset0:39 offset1:40
	s_waitcnt vmcnt(4) lgkmcnt(0)
	v_fmac_f64_e32 v[58:59], v[72:73], v[62:63]
	;; [unrolled: 5-line block ×3, first 2 shown]
	buffer_load_dword v63, off, s[0:3], 0 offset:116
	buffer_load_dword v62, off, s[0:3], 0 offset:112
	buffer_load_dword v67, off, s[0:3], 0 offset:124
	buffer_load_dword v66, off, s[0:3], 0 offset:120
	s_waitcnt vmcnt(2)
	v_fmac_f64_e32 v[58:59], v[62:63], v[64:65]
	ds_read2_b64 v[62:65], v60 offset0:43 offset1:44
	s_waitcnt vmcnt(0) lgkmcnt(0)
	v_fmac_f64_e32 v[58:59], v[66:67], v[62:63]
	buffer_load_dword v63, off, s[0:3], 0 offset:132
	buffer_load_dword v62, off, s[0:3], 0 offset:128
	buffer_load_dword v67, off, s[0:3], 0 offset:140
	buffer_load_dword v66, off, s[0:3], 0 offset:136
	s_waitcnt vmcnt(2)
	v_fmac_f64_e32 v[58:59], v[62:63], v[64:65]
	ds_read2_b64 v[62:65], v60 offset0:45 offset1:46
	s_waitcnt vmcnt(0) lgkmcnt(0)
	v_fmac_f64_e32 v[58:59], v[66:67], v[62:63]
	;; [unrolled: 9-line block ×5, first 2 shown]
	buffer_load_dword v63, off, s[0:3], 0 offset:196
	buffer_load_dword v62, off, s[0:3], 0 offset:192
	s_waitcnt vmcnt(0)
	v_fmac_f64_e32 v[58:59], v[62:63], v[64:65]
	buffer_load_dword v65, off, s[0:3], 0 offset:204
	buffer_load_dword v64, off, s[0:3], 0 offset:200
	ds_read2_b64 v[60:63], v60 offset0:53 offset1:54
	s_waitcnt vmcnt(0) lgkmcnt(0)
	v_fmac_f64_e32 v[58:59], v[64:65], v[60:61]
	buffer_load_dword v61, off, s[0:3], 0 offset:212
	buffer_load_dword v60, off, s[0:3], 0 offset:208
	s_waitcnt vmcnt(0)
	v_fmac_f64_e32 v[58:59], v[60:61], v[62:63]
	v_add_f64 v[56:57], v[56:57], -v[58:59]
	buffer_store_dword v57, off, s[0:3], 0 offset:52
	buffer_store_dword v56, off, s[0:3], 0 offset:48
	s_and_saveexec_b64 s[4:5], vcc
	s_cbranch_execz .LBB26_159
; %bb.158:
	buffer_load_dword v56, off, s[0:3], 0 offset:40
	buffer_load_dword v57, off, s[0:3], 0 offset:44
	v_mov_b32_e32 v58, 0
	buffer_store_dword v58, off, s[0:3], 0 offset:40
	buffer_store_dword v58, off, s[0:3], 0 offset:44
	s_waitcnt vmcnt(2)
	ds_write_b64 v1, v[56:57]
.LBB26_159:
	s_or_b64 exec, exec, s[4:5]
	s_waitcnt lgkmcnt(0)
	; wave barrier
	s_waitcnt lgkmcnt(0)
	buffer_load_dword v56, off, s[0:3], 0 offset:40
	buffer_load_dword v57, off, s[0:3], 0 offset:44
	;; [unrolled: 1-line block ×16, first 2 shown]
	v_mov_b32_e32 v60, 0
	ds_read_b128 v[62:65], v60 offset:272
	ds_read_b128 v[66:69], v60 offset:288
	;; [unrolled: 1-line block ×4, first 2 shown]
	v_cmp_lt_u32_e32 vcc, 4, v0
	s_waitcnt vmcnt(12) lgkmcnt(3)
	v_fma_f64 v[58:59], v[58:59], v[62:63], 0
	buffer_load_dword v63, off, s[0:3], 0 offset:108
	buffer_load_dword v62, off, s[0:3], 0 offset:104
	s_waitcnt vmcnt(12)
	v_fmac_f64_e32 v[58:59], v[78:79], v[64:65]
	s_waitcnt vmcnt(10) lgkmcnt(2)
	v_fmac_f64_e32 v[58:59], v[80:81], v[66:67]
	buffer_load_dword v67, off, s[0:3], 0 offset:116
	buffer_load_dword v66, off, s[0:3], 0 offset:112
	s_waitcnt vmcnt(10)
	v_fmac_f64_e32 v[58:59], v[82:83], v[68:69]
	s_waitcnt vmcnt(8) lgkmcnt(1)
	v_fmac_f64_e32 v[58:59], v[84:85], v[70:71]
	s_waitcnt vmcnt(6)
	v_fmac_f64_e32 v[58:59], v[86:87], v[72:73]
	s_waitcnt vmcnt(4) lgkmcnt(0)
	v_fmac_f64_e32 v[58:59], v[88:89], v[74:75]
	s_waitcnt vmcnt(2)
	v_fmac_f64_e32 v[58:59], v[62:63], v[76:77]
	ds_read_b128 v[62:65], v60 offset:336
	s_waitcnt vmcnt(0) lgkmcnt(0)
	v_fmac_f64_e32 v[58:59], v[66:67], v[62:63]
	buffer_load_dword v63, off, s[0:3], 0 offset:124
	buffer_load_dword v62, off, s[0:3], 0 offset:120
	buffer_load_dword v67, off, s[0:3], 0 offset:132
	buffer_load_dword v66, off, s[0:3], 0 offset:128
	s_waitcnt vmcnt(2)
	v_fmac_f64_e32 v[58:59], v[62:63], v[64:65]
	ds_read_b128 v[62:65], v60 offset:352
	s_waitcnt vmcnt(0) lgkmcnt(0)
	v_fmac_f64_e32 v[58:59], v[66:67], v[62:63]
	buffer_load_dword v63, off, s[0:3], 0 offset:140
	buffer_load_dword v62, off, s[0:3], 0 offset:136
	buffer_load_dword v67, off, s[0:3], 0 offset:148
	buffer_load_dword v66, off, s[0:3], 0 offset:144
	;; [unrolled: 9-line block ×5, first 2 shown]
	s_waitcnt vmcnt(2)
	v_fmac_f64_e32 v[58:59], v[62:63], v[64:65]
	ds_read_b128 v[62:65], v60 offset:416
	s_waitcnt vmcnt(0) lgkmcnt(0)
	v_fmac_f64_e32 v[58:59], v[66:67], v[62:63]
	buffer_load_dword v63, off, s[0:3], 0 offset:204
	buffer_load_dword v62, off, s[0:3], 0 offset:200
	s_waitcnt vmcnt(0)
	v_fmac_f64_e32 v[58:59], v[62:63], v[64:65]
	buffer_load_dword v63, off, s[0:3], 0 offset:212
	buffer_load_dword v62, off, s[0:3], 0 offset:208
	ds_read_b64 v[64:65], v60 offset:432
	s_waitcnt vmcnt(0) lgkmcnt(0)
	v_fmac_f64_e32 v[58:59], v[62:63], v[64:65]
	v_add_f64 v[56:57], v[56:57], -v[58:59]
	buffer_store_dword v57, off, s[0:3], 0 offset:44
	buffer_store_dword v56, off, s[0:3], 0 offset:40
	s_and_saveexec_b64 s[4:5], vcc
	s_cbranch_execz .LBB26_161
; %bb.160:
	buffer_load_dword v56, off, s[0:3], 0 offset:32
	buffer_load_dword v57, off, s[0:3], 0 offset:36
	s_waitcnt vmcnt(0)
	ds_write_b64 v1, v[56:57]
	buffer_store_dword v60, off, s[0:3], 0 offset:32
	buffer_store_dword v60, off, s[0:3], 0 offset:36
.LBB26_161:
	s_or_b64 exec, exec, s[4:5]
	s_waitcnt lgkmcnt(0)
	; wave barrier
	s_waitcnt lgkmcnt(0)
	buffer_load_dword v56, off, s[0:3], 0 offset:32
	buffer_load_dword v57, off, s[0:3], 0 offset:36
	;; [unrolled: 1-line block ×16, first 2 shown]
	ds_read2_b64 v[62:65], v60 offset0:33 offset1:34
	v_cmp_lt_u32_e32 vcc, 3, v0
	s_waitcnt vmcnt(12) lgkmcnt(0)
	v_fma_f64 v[58:59], v[58:59], v[62:63], 0
	s_waitcnt vmcnt(10)
	v_fmac_f64_e32 v[58:59], v[66:67], v[64:65]
	ds_read2_b64 v[62:65], v60 offset0:35 offset1:36
	s_waitcnt vmcnt(8) lgkmcnt(0)
	v_fmac_f64_e32 v[58:59], v[68:69], v[62:63]
	s_waitcnt vmcnt(6)
	v_fmac_f64_e32 v[58:59], v[70:71], v[64:65]
	ds_read2_b64 v[62:65], v60 offset0:37 offset1:38
	s_waitcnt vmcnt(4) lgkmcnt(0)
	v_fmac_f64_e32 v[58:59], v[72:73], v[62:63]
	;; [unrolled: 5-line block ×3, first 2 shown]
	buffer_load_dword v63, off, s[0:3], 0 offset:100
	buffer_load_dword v62, off, s[0:3], 0 offset:96
	buffer_load_dword v67, off, s[0:3], 0 offset:108
	buffer_load_dword v66, off, s[0:3], 0 offset:104
	s_waitcnt vmcnt(2)
	v_fmac_f64_e32 v[58:59], v[62:63], v[64:65]
	ds_read2_b64 v[62:65], v60 offset0:41 offset1:42
	s_waitcnt vmcnt(0) lgkmcnt(0)
	v_fmac_f64_e32 v[58:59], v[66:67], v[62:63]
	buffer_load_dword v63, off, s[0:3], 0 offset:116
	buffer_load_dword v62, off, s[0:3], 0 offset:112
	buffer_load_dword v67, off, s[0:3], 0 offset:124
	buffer_load_dword v66, off, s[0:3], 0 offset:120
	s_waitcnt vmcnt(2)
	v_fmac_f64_e32 v[58:59], v[62:63], v[64:65]
	ds_read2_b64 v[62:65], v60 offset0:43 offset1:44
	s_waitcnt vmcnt(0) lgkmcnt(0)
	v_fmac_f64_e32 v[58:59], v[66:67], v[62:63]
	;; [unrolled: 9-line block ×6, first 2 shown]
	buffer_load_dword v63, off, s[0:3], 0 offset:196
	buffer_load_dword v62, off, s[0:3], 0 offset:192
	s_waitcnt vmcnt(0)
	v_fmac_f64_e32 v[58:59], v[62:63], v[64:65]
	buffer_load_dword v65, off, s[0:3], 0 offset:204
	buffer_load_dword v64, off, s[0:3], 0 offset:200
	ds_read2_b64 v[60:63], v60 offset0:53 offset1:54
	s_waitcnt vmcnt(0) lgkmcnt(0)
	v_fmac_f64_e32 v[58:59], v[64:65], v[60:61]
	buffer_load_dword v61, off, s[0:3], 0 offset:212
	buffer_load_dword v60, off, s[0:3], 0 offset:208
	s_waitcnt vmcnt(0)
	v_fmac_f64_e32 v[58:59], v[60:61], v[62:63]
	v_add_f64 v[56:57], v[56:57], -v[58:59]
	buffer_store_dword v57, off, s[0:3], 0 offset:36
	buffer_store_dword v56, off, s[0:3], 0 offset:32
	s_and_saveexec_b64 s[4:5], vcc
	s_cbranch_execz .LBB26_163
; %bb.162:
	buffer_load_dword v56, off, s[0:3], 0 offset:24
	buffer_load_dword v57, off, s[0:3], 0 offset:28
	v_mov_b32_e32 v58, 0
	buffer_store_dword v58, off, s[0:3], 0 offset:24
	buffer_store_dword v58, off, s[0:3], 0 offset:28
	s_waitcnt vmcnt(2)
	ds_write_b64 v1, v[56:57]
.LBB26_163:
	s_or_b64 exec, exec, s[4:5]
	s_waitcnt lgkmcnt(0)
	; wave barrier
	s_waitcnt lgkmcnt(0)
	buffer_load_dword v56, off, s[0:3], 0 offset:24
	buffer_load_dword v57, off, s[0:3], 0 offset:28
	buffer_load_dword v58, off, s[0:3], 0 offset:32
	buffer_load_dword v59, off, s[0:3], 0 offset:36
	buffer_load_dword v78, off, s[0:3], 0 offset:40
	buffer_load_dword v79, off, s[0:3], 0 offset:44
	buffer_load_dword v80, off, s[0:3], 0 offset:48
	buffer_load_dword v81, off, s[0:3], 0 offset:52
	buffer_load_dword v82, off, s[0:3], 0 offset:56
	buffer_load_dword v83, off, s[0:3], 0 offset:60
	buffer_load_dword v84, off, s[0:3], 0 offset:64
	buffer_load_dword v85, off, s[0:3], 0 offset:68
	buffer_load_dword v86, off, s[0:3], 0 offset:72
	buffer_load_dword v87, off, s[0:3], 0 offset:76
	buffer_load_dword v88, off, s[0:3], 0 offset:80
	buffer_load_dword v89, off, s[0:3], 0 offset:84
	v_mov_b32_e32 v60, 0
	ds_read_b128 v[62:65], v60 offset:256
	ds_read_b128 v[66:69], v60 offset:272
	;; [unrolled: 1-line block ×4, first 2 shown]
	v_cmp_lt_u32_e32 vcc, 2, v0
	s_waitcnt vmcnt(12) lgkmcnt(3)
	v_fma_f64 v[58:59], v[58:59], v[62:63], 0
	buffer_load_dword v63, off, s[0:3], 0 offset:92
	buffer_load_dword v62, off, s[0:3], 0 offset:88
	s_waitcnt vmcnt(12)
	v_fmac_f64_e32 v[58:59], v[78:79], v[64:65]
	s_waitcnt vmcnt(10) lgkmcnt(2)
	v_fmac_f64_e32 v[58:59], v[80:81], v[66:67]
	buffer_load_dword v67, off, s[0:3], 0 offset:100
	buffer_load_dword v66, off, s[0:3], 0 offset:96
	s_waitcnt vmcnt(10)
	v_fmac_f64_e32 v[58:59], v[82:83], v[68:69]
	s_waitcnt vmcnt(8) lgkmcnt(1)
	v_fmac_f64_e32 v[58:59], v[84:85], v[70:71]
	s_waitcnt vmcnt(6)
	v_fmac_f64_e32 v[58:59], v[86:87], v[72:73]
	s_waitcnt vmcnt(4) lgkmcnt(0)
	v_fmac_f64_e32 v[58:59], v[88:89], v[74:75]
	s_waitcnt vmcnt(2)
	v_fmac_f64_e32 v[58:59], v[62:63], v[76:77]
	ds_read_b128 v[62:65], v60 offset:320
	s_waitcnt vmcnt(0) lgkmcnt(0)
	v_fmac_f64_e32 v[58:59], v[66:67], v[62:63]
	buffer_load_dword v63, off, s[0:3], 0 offset:108
	buffer_load_dword v62, off, s[0:3], 0 offset:104
	buffer_load_dword v67, off, s[0:3], 0 offset:116
	buffer_load_dword v66, off, s[0:3], 0 offset:112
	s_waitcnt vmcnt(2)
	v_fmac_f64_e32 v[58:59], v[62:63], v[64:65]
	ds_read_b128 v[62:65], v60 offset:336
	s_waitcnt vmcnt(0) lgkmcnt(0)
	v_fmac_f64_e32 v[58:59], v[66:67], v[62:63]
	buffer_load_dword v63, off, s[0:3], 0 offset:124
	buffer_load_dword v62, off, s[0:3], 0 offset:120
	buffer_load_dword v67, off, s[0:3], 0 offset:132
	buffer_load_dword v66, off, s[0:3], 0 offset:128
	;; [unrolled: 9-line block ×6, first 2 shown]
	s_waitcnt vmcnt(2)
	v_fmac_f64_e32 v[58:59], v[62:63], v[64:65]
	ds_read_b128 v[62:65], v60 offset:416
	s_waitcnt vmcnt(0) lgkmcnt(0)
	v_fmac_f64_e32 v[58:59], v[66:67], v[62:63]
	buffer_load_dword v63, off, s[0:3], 0 offset:204
	buffer_load_dword v62, off, s[0:3], 0 offset:200
	s_waitcnt vmcnt(0)
	v_fmac_f64_e32 v[58:59], v[62:63], v[64:65]
	buffer_load_dword v63, off, s[0:3], 0 offset:212
	buffer_load_dword v62, off, s[0:3], 0 offset:208
	ds_read_b64 v[64:65], v60 offset:432
	s_waitcnt vmcnt(0) lgkmcnt(0)
	v_fmac_f64_e32 v[58:59], v[62:63], v[64:65]
	v_add_f64 v[56:57], v[56:57], -v[58:59]
	buffer_store_dword v57, off, s[0:3], 0 offset:28
	buffer_store_dword v56, off, s[0:3], 0 offset:24
	s_and_saveexec_b64 s[4:5], vcc
	s_cbranch_execz .LBB26_165
; %bb.164:
	buffer_load_dword v56, off, s[0:3], 0 offset:16
	buffer_load_dword v57, off, s[0:3], 0 offset:20
	s_waitcnt vmcnt(0)
	ds_write_b64 v1, v[56:57]
	buffer_store_dword v60, off, s[0:3], 0 offset:16
	buffer_store_dword v60, off, s[0:3], 0 offset:20
.LBB26_165:
	s_or_b64 exec, exec, s[4:5]
	s_waitcnt lgkmcnt(0)
	; wave barrier
	s_waitcnt lgkmcnt(0)
	buffer_load_dword v56, off, s[0:3], 0 offset:16
	buffer_load_dword v57, off, s[0:3], 0 offset:20
	;; [unrolled: 1-line block ×16, first 2 shown]
	ds_read2_b64 v[62:65], v60 offset0:31 offset1:32
	v_cmp_lt_u32_e32 vcc, 1, v0
	s_waitcnt vmcnt(12) lgkmcnt(0)
	v_fma_f64 v[58:59], v[58:59], v[62:63], 0
	s_waitcnt vmcnt(10)
	v_fmac_f64_e32 v[58:59], v[66:67], v[64:65]
	ds_read2_b64 v[62:65], v60 offset0:33 offset1:34
	s_waitcnt vmcnt(8) lgkmcnt(0)
	v_fmac_f64_e32 v[58:59], v[68:69], v[62:63]
	s_waitcnt vmcnt(6)
	v_fmac_f64_e32 v[58:59], v[70:71], v[64:65]
	ds_read2_b64 v[62:65], v60 offset0:35 offset1:36
	s_waitcnt vmcnt(4) lgkmcnt(0)
	v_fmac_f64_e32 v[58:59], v[72:73], v[62:63]
	;; [unrolled: 5-line block ×3, first 2 shown]
	buffer_load_dword v63, off, s[0:3], 0 offset:84
	buffer_load_dword v62, off, s[0:3], 0 offset:80
	buffer_load_dword v67, off, s[0:3], 0 offset:92
	buffer_load_dword v66, off, s[0:3], 0 offset:88
	s_waitcnt vmcnt(2)
	v_fmac_f64_e32 v[58:59], v[62:63], v[64:65]
	ds_read2_b64 v[62:65], v60 offset0:39 offset1:40
	s_waitcnt vmcnt(0) lgkmcnt(0)
	v_fmac_f64_e32 v[58:59], v[66:67], v[62:63]
	buffer_load_dword v63, off, s[0:3], 0 offset:100
	buffer_load_dword v62, off, s[0:3], 0 offset:96
	buffer_load_dword v67, off, s[0:3], 0 offset:108
	buffer_load_dword v66, off, s[0:3], 0 offset:104
	s_waitcnt vmcnt(2)
	v_fmac_f64_e32 v[58:59], v[62:63], v[64:65]
	ds_read2_b64 v[62:65], v60 offset0:41 offset1:42
	s_waitcnt vmcnt(0) lgkmcnt(0)
	v_fmac_f64_e32 v[58:59], v[66:67], v[62:63]
	;; [unrolled: 9-line block ×7, first 2 shown]
	buffer_load_dword v63, off, s[0:3], 0 offset:196
	buffer_load_dword v62, off, s[0:3], 0 offset:192
	s_waitcnt vmcnt(0)
	v_fmac_f64_e32 v[58:59], v[62:63], v[64:65]
	buffer_load_dword v65, off, s[0:3], 0 offset:204
	buffer_load_dword v64, off, s[0:3], 0 offset:200
	ds_read2_b64 v[60:63], v60 offset0:53 offset1:54
	s_waitcnt vmcnt(0) lgkmcnt(0)
	v_fmac_f64_e32 v[58:59], v[64:65], v[60:61]
	buffer_load_dword v61, off, s[0:3], 0 offset:212
	buffer_load_dword v60, off, s[0:3], 0 offset:208
	s_waitcnt vmcnt(0)
	v_fmac_f64_e32 v[58:59], v[60:61], v[62:63]
	v_add_f64 v[56:57], v[56:57], -v[58:59]
	buffer_store_dword v57, off, s[0:3], 0 offset:20
	buffer_store_dword v56, off, s[0:3], 0 offset:16
	s_and_saveexec_b64 s[4:5], vcc
	s_cbranch_execz .LBB26_167
; %bb.166:
	buffer_load_dword v56, off, s[0:3], 0 offset:8
	buffer_load_dword v57, off, s[0:3], 0 offset:12
	v_mov_b32_e32 v58, 0
	buffer_store_dword v58, off, s[0:3], 0 offset:8
	buffer_store_dword v58, off, s[0:3], 0 offset:12
	s_waitcnt vmcnt(2)
	ds_write_b64 v1, v[56:57]
.LBB26_167:
	s_or_b64 exec, exec, s[4:5]
	s_waitcnt lgkmcnt(0)
	; wave barrier
	s_waitcnt lgkmcnt(0)
	buffer_load_dword v56, off, s[0:3], 0 offset:8
	buffer_load_dword v57, off, s[0:3], 0 offset:12
	;; [unrolled: 1-line block ×16, first 2 shown]
	v_mov_b32_e32 v60, 0
	ds_read_b128 v[62:65], v60 offset:240
	ds_read_b128 v[66:69], v60 offset:256
	;; [unrolled: 1-line block ×4, first 2 shown]
	v_cmp_ne_u32_e32 vcc, 0, v0
	s_waitcnt vmcnt(12) lgkmcnt(3)
	v_fma_f64 v[58:59], v[58:59], v[62:63], 0
	buffer_load_dword v63, off, s[0:3], 0 offset:76
	buffer_load_dword v62, off, s[0:3], 0 offset:72
	s_waitcnt vmcnt(12)
	v_fmac_f64_e32 v[58:59], v[78:79], v[64:65]
	s_waitcnt vmcnt(10) lgkmcnt(2)
	v_fmac_f64_e32 v[58:59], v[80:81], v[66:67]
	buffer_load_dword v67, off, s[0:3], 0 offset:84
	buffer_load_dword v66, off, s[0:3], 0 offset:80
	s_waitcnt vmcnt(10)
	v_fmac_f64_e32 v[58:59], v[82:83], v[68:69]
	s_waitcnt vmcnt(8) lgkmcnt(1)
	v_fmac_f64_e32 v[58:59], v[84:85], v[70:71]
	s_waitcnt vmcnt(6)
	v_fmac_f64_e32 v[58:59], v[86:87], v[72:73]
	s_waitcnt vmcnt(4) lgkmcnt(0)
	v_fmac_f64_e32 v[58:59], v[88:89], v[74:75]
	s_waitcnt vmcnt(2)
	v_fmac_f64_e32 v[58:59], v[62:63], v[76:77]
	ds_read_b128 v[62:65], v60 offset:304
	s_waitcnt vmcnt(0) lgkmcnt(0)
	v_fmac_f64_e32 v[58:59], v[66:67], v[62:63]
	buffer_load_dword v63, off, s[0:3], 0 offset:92
	buffer_load_dword v62, off, s[0:3], 0 offset:88
	buffer_load_dword v67, off, s[0:3], 0 offset:100
	buffer_load_dword v66, off, s[0:3], 0 offset:96
	s_waitcnt vmcnt(2)
	v_fmac_f64_e32 v[58:59], v[62:63], v[64:65]
	ds_read_b128 v[62:65], v60 offset:320
	s_waitcnt vmcnt(0) lgkmcnt(0)
	v_fmac_f64_e32 v[58:59], v[66:67], v[62:63]
	buffer_load_dword v63, off, s[0:3], 0 offset:108
	buffer_load_dword v62, off, s[0:3], 0 offset:104
	buffer_load_dword v67, off, s[0:3], 0 offset:116
	buffer_load_dword v66, off, s[0:3], 0 offset:112
	;; [unrolled: 9-line block ×7, first 2 shown]
	s_waitcnt vmcnt(2)
	v_fmac_f64_e32 v[58:59], v[62:63], v[64:65]
	ds_read_b128 v[62:65], v60 offset:416
	s_waitcnt vmcnt(0) lgkmcnt(0)
	v_fmac_f64_e32 v[58:59], v[66:67], v[62:63]
	buffer_load_dword v63, off, s[0:3], 0 offset:204
	buffer_load_dword v62, off, s[0:3], 0 offset:200
	s_waitcnt vmcnt(0)
	v_fmac_f64_e32 v[58:59], v[62:63], v[64:65]
	buffer_load_dword v63, off, s[0:3], 0 offset:212
	buffer_load_dword v62, off, s[0:3], 0 offset:208
	ds_read_b64 v[64:65], v60 offset:432
	s_waitcnt vmcnt(0) lgkmcnt(0)
	v_fmac_f64_e32 v[58:59], v[62:63], v[64:65]
	v_add_f64 v[56:57], v[56:57], -v[58:59]
	buffer_store_dword v57, off, s[0:3], 0 offset:12
	buffer_store_dword v56, off, s[0:3], 0 offset:8
	s_and_saveexec_b64 s[4:5], vcc
	s_cbranch_execz .LBB26_169
; %bb.168:
	buffer_load_dword v56, off, s[0:3], 0
	buffer_load_dword v57, off, s[0:3], 0 offset:4
	s_waitcnt vmcnt(0)
	ds_write_b64 v1, v[56:57]
	buffer_store_dword v60, off, s[0:3], 0
	buffer_store_dword v60, off, s[0:3], 0 offset:4
.LBB26_169:
	s_or_b64 exec, exec, s[4:5]
	s_waitcnt lgkmcnt(0)
	; wave barrier
	s_waitcnt lgkmcnt(0)
	buffer_load_dword v0, off, s[0:3], 0
	buffer_load_dword v1, off, s[0:3], 0 offset:4
	buffer_load_dword v62, off, s[0:3], 0 offset:8
	;; [unrolled: 1-line block ×15, first 2 shown]
	ds_read2_b64 v[56:59], v60 offset0:29 offset1:30
	s_and_b64 vcc, exec, s[20:21]
	s_waitcnt vmcnt(12) lgkmcnt(0)
	v_fma_f64 v[56:57], v[62:63], v[56:57], 0
	s_waitcnt vmcnt(10)
	v_fmac_f64_e32 v[56:57], v[64:65], v[58:59]
	ds_read2_b64 v[62:65], v60 offset0:31 offset1:32
	s_waitcnt vmcnt(8) lgkmcnt(0)
	v_fmac_f64_e32 v[56:57], v[66:67], v[62:63]
	s_waitcnt vmcnt(6)
	v_fmac_f64_e32 v[56:57], v[68:69], v[64:65]
	ds_read2_b64 v[62:65], v60 offset0:33 offset1:34
	s_waitcnt vmcnt(4) lgkmcnt(0)
	v_fmac_f64_e32 v[56:57], v[70:71], v[62:63]
	s_waitcnt vmcnt(2)
	v_fmac_f64_e32 v[56:57], v[72:73], v[64:65]
	ds_read2_b64 v[62:65], v60 offset0:35 offset1:36
	buffer_load_dword v59, off, s[0:3], 0 offset:68
	buffer_load_dword v58, off, s[0:3], 0 offset:64
	s_waitcnt vmcnt(2) lgkmcnt(0)
	v_fmac_f64_e32 v[56:57], v[74:75], v[62:63]
	s_waitcnt vmcnt(0)
	v_fmac_f64_e32 v[56:57], v[58:59], v[64:65]
	buffer_load_dword v59, off, s[0:3], 0 offset:76
	buffer_load_dword v58, off, s[0:3], 0 offset:72
	ds_read2_b64 v[62:65], v60 offset0:37 offset1:38
	s_waitcnt vmcnt(0) lgkmcnt(0)
	v_fmac_f64_e32 v[56:57], v[58:59], v[62:63]
	buffer_load_dword v59, off, s[0:3], 0 offset:84
	buffer_load_dword v58, off, s[0:3], 0 offset:80
	s_waitcnt vmcnt(0)
	v_fmac_f64_e32 v[56:57], v[58:59], v[64:65]
	buffer_load_dword v59, off, s[0:3], 0 offset:92
	buffer_load_dword v58, off, s[0:3], 0 offset:88
	ds_read2_b64 v[62:65], v60 offset0:39 offset1:40
	s_waitcnt vmcnt(0) lgkmcnt(0)
	v_fmac_f64_e32 v[56:57], v[58:59], v[62:63]
	buffer_load_dword v59, off, s[0:3], 0 offset:100
	buffer_load_dword v58, off, s[0:3], 0 offset:96
	;; [unrolled: 9-line block ×9, first 2 shown]
	s_waitcnt vmcnt(0)
	v_fmac_f64_e32 v[56:57], v[60:61], v[62:63]
	v_add_f64 v[0:1], v[0:1], -v[56:57]
	buffer_store_dword v1, off, s[0:3], 0 offset:4
	buffer_store_dword v0, off, s[0:3], 0
	s_cbranch_vccz .LBB26_223
; %bb.170:
	v_pk_mov_b32 v[0:1], s[10:11], s[10:11] op_sel:[0,1]
	flat_load_dword v0, v[0:1] offset:100
	s_waitcnt vmcnt(0) lgkmcnt(0)
	v_add_u32_e32 v0, -1, v0
	v_cmp_ne_u32_e32 vcc, 25, v0
	s_and_saveexec_b64 s[4:5], vcc
	s_cbranch_execz .LBB26_172
; %bb.171:
	v_mov_b32_e32 v1, 0
	v_lshl_add_u32 v0, v0, 3, v1
	buffer_load_dword v1, v0, s[0:3], 0 offen
	buffer_load_dword v56, v0, s[0:3], 0 offen offset:4
	s_waitcnt vmcnt(1)
	buffer_store_dword v1, off, s[0:3], 0 offset:200
	s_waitcnt vmcnt(1)
	buffer_store_dword v56, off, s[0:3], 0 offset:204
	buffer_store_dword v58, v0, s[0:3], 0 offen
	buffer_store_dword v59, v0, s[0:3], 0 offen offset:4
.LBB26_172:
	s_or_b64 exec, exec, s[4:5]
	v_pk_mov_b32 v[0:1], s[10:11], s[10:11] op_sel:[0,1]
	flat_load_dword v0, v[0:1] offset:96
	s_waitcnt vmcnt(0) lgkmcnt(0)
	v_add_u32_e32 v0, -1, v0
	v_cmp_ne_u32_e32 vcc, 24, v0
	s_and_saveexec_b64 s[4:5], vcc
	s_cbranch_execz .LBB26_174
; %bb.173:
	v_mov_b32_e32 v1, 0
	v_lshl_add_u32 v0, v0, 3, v1
	buffer_load_dword v1, v0, s[0:3], 0 offen
	buffer_load_dword v56, v0, s[0:3], 0 offen offset:4
	buffer_load_dword v57, off, s[0:3], 0 offset:196
	buffer_load_dword v58, off, s[0:3], 0 offset:192
	s_waitcnt vmcnt(3)
	buffer_store_dword v1, off, s[0:3], 0 offset:192
	s_waitcnt vmcnt(3)
	buffer_store_dword v56, off, s[0:3], 0 offset:196
	s_waitcnt vmcnt(3)
	buffer_store_dword v57, v0, s[0:3], 0 offen offset:4
	s_waitcnt vmcnt(3)
	buffer_store_dword v58, v0, s[0:3], 0 offen
.LBB26_174:
	s_or_b64 exec, exec, s[4:5]
	v_pk_mov_b32 v[0:1], s[10:11], s[10:11] op_sel:[0,1]
	flat_load_dword v0, v[0:1] offset:92
	s_waitcnt vmcnt(0) lgkmcnt(0)
	v_add_u32_e32 v0, -1, v0
	v_cmp_ne_u32_e32 vcc, 23, v0
	s_and_saveexec_b64 s[4:5], vcc
	s_cbranch_execz .LBB26_176
; %bb.175:
	v_mov_b32_e32 v1, 0
	v_lshl_add_u32 v0, v0, 3, v1
	buffer_load_dword v1, v0, s[0:3], 0 offen
	buffer_load_dword v56, v0, s[0:3], 0 offen offset:4
	buffer_load_dword v57, off, s[0:3], 0 offset:184
	buffer_load_dword v58, off, s[0:3], 0 offset:188
	s_waitcnt vmcnt(3)
	buffer_store_dword v1, off, s[0:3], 0 offset:184
	s_waitcnt vmcnt(3)
	buffer_store_dword v56, off, s[0:3], 0 offset:188
	s_waitcnt vmcnt(3)
	buffer_store_dword v57, v0, s[0:3], 0 offen
	s_waitcnt vmcnt(3)
	buffer_store_dword v58, v0, s[0:3], 0 offen offset:4
.LBB26_176:
	s_or_b64 exec, exec, s[4:5]
	v_pk_mov_b32 v[0:1], s[10:11], s[10:11] op_sel:[0,1]
	flat_load_dword v0, v[0:1] offset:88
	s_waitcnt vmcnt(0) lgkmcnt(0)
	v_add_u32_e32 v0, -1, v0
	v_cmp_ne_u32_e32 vcc, 22, v0
	s_and_saveexec_b64 s[4:5], vcc
	s_cbranch_execz .LBB26_178
; %bb.177:
	v_mov_b32_e32 v1, 0
	v_lshl_add_u32 v0, v0, 3, v1
	buffer_load_dword v1, v0, s[0:3], 0 offen
	buffer_load_dword v56, v0, s[0:3], 0 offen offset:4
	buffer_load_dword v57, off, s[0:3], 0 offset:180
	buffer_load_dword v58, off, s[0:3], 0 offset:176
	s_waitcnt vmcnt(3)
	buffer_store_dword v1, off, s[0:3], 0 offset:176
	s_waitcnt vmcnt(3)
	buffer_store_dword v56, off, s[0:3], 0 offset:180
	s_waitcnt vmcnt(3)
	buffer_store_dword v57, v0, s[0:3], 0 offen offset:4
	s_waitcnt vmcnt(3)
	buffer_store_dword v58, v0, s[0:3], 0 offen
.LBB26_178:
	s_or_b64 exec, exec, s[4:5]
	v_pk_mov_b32 v[0:1], s[10:11], s[10:11] op_sel:[0,1]
	flat_load_dword v0, v[0:1] offset:84
	s_waitcnt vmcnt(0) lgkmcnt(0)
	v_add_u32_e32 v0, -1, v0
	v_cmp_ne_u32_e32 vcc, 21, v0
	s_and_saveexec_b64 s[4:5], vcc
	s_cbranch_execz .LBB26_180
; %bb.179:
	v_mov_b32_e32 v1, 0
	v_lshl_add_u32 v0, v0, 3, v1
	buffer_load_dword v1, v0, s[0:3], 0 offen
	buffer_load_dword v56, v0, s[0:3], 0 offen offset:4
	buffer_load_dword v57, off, s[0:3], 0 offset:168
	buffer_load_dword v58, off, s[0:3], 0 offset:172
	s_waitcnt vmcnt(3)
	buffer_store_dword v1, off, s[0:3], 0 offset:168
	s_waitcnt vmcnt(3)
	buffer_store_dword v56, off, s[0:3], 0 offset:172
	s_waitcnt vmcnt(3)
	buffer_store_dword v57, v0, s[0:3], 0 offen
	s_waitcnt vmcnt(3)
	buffer_store_dword v58, v0, s[0:3], 0 offen offset:4
.LBB26_180:
	;; [unrolled: 48-line block ×12, first 2 shown]
	s_or_b64 exec, exec, s[4:5]
	v_pk_mov_b32 v[0:1], s[10:11], s[10:11] op_sel:[0,1]
	flat_load_dword v56, v[0:1]
	s_nop 0
	buffer_load_dword v0, off, s[0:3], 0
	buffer_load_dword v1, off, s[0:3], 0 offset:4
	s_waitcnt vmcnt(0) lgkmcnt(0)
	v_add_u32_e32 v56, -1, v56
	v_cmp_ne_u32_e32 vcc, 0, v56
	s_and_saveexec_b64 s[4:5], vcc
	s_cbranch_execz .LBB26_222
; %bb.221:
	v_mov_b32_e32 v57, 0
	v_lshl_add_u32 v56, v56, 3, v57
	buffer_load_dword v57, v56, s[0:3], 0 offen offset:4
	buffer_load_dword v58, v56, s[0:3], 0 offen
	s_waitcnt vmcnt(1)
	buffer_store_dword v57, off, s[0:3], 0 offset:4
	s_waitcnt vmcnt(1)
	buffer_store_dword v58, off, s[0:3], 0
	buffer_store_dword v1, v56, s[0:3], 0 offen offset:4
	buffer_store_dword v0, v56, s[0:3], 0 offen
	buffer_load_dword v0, off, s[0:3], 0
	s_nop 0
	buffer_load_dword v1, off, s[0:3], 0 offset:4
.LBB26_222:
	s_or_b64 exec, exec, s[4:5]
.LBB26_223:
	buffer_load_dword v56, off, s[0:3], 0 offset:8
	buffer_load_dword v57, off, s[0:3], 0 offset:12
	;; [unrolled: 1-line block ×52, first 2 shown]
	s_waitcnt vmcnt(52)
	global_store_dwordx2 v[2:3], v[0:1], off
	s_waitcnt vmcnt(51)
	global_store_dwordx2 v[48:49], v[56:57], off
	s_waitcnt vmcnt(50)
	global_store_dwordx2 v[4:5], v[58:59], off
	s_waitcnt vmcnt(49)
	global_store_dwordx2 v[6:7], v[60:61], off
	s_waitcnt vmcnt(48)
	global_store_dwordx2 v[8:9], v[62:63], off
	s_waitcnt vmcnt(47)
	global_store_dwordx2 v[10:11], v[64:65], off
	s_waitcnt vmcnt(46)
	global_store_dwordx2 v[12:13], v[66:67], off
	s_waitcnt vmcnt(45)
	global_store_dwordx2 v[14:15], v[68:69], off
	s_waitcnt vmcnt(44)
	global_store_dwordx2 v[16:17], v[70:71], off
	s_waitcnt vmcnt(43)
	global_store_dwordx2 v[18:19], v[72:73], off
	s_waitcnt vmcnt(42)
	global_store_dwordx2 v[20:21], v[74:75], off
	s_waitcnt vmcnt(41)
	global_store_dwordx2 v[22:23], v[76:77], off
	s_waitcnt vmcnt(40)
	global_store_dwordx2 v[24:25], v[78:79], off
	s_waitcnt vmcnt(39)
	global_store_dwordx2 v[26:27], v[80:81], off
	s_waitcnt vmcnt(38)
	global_store_dwordx2 v[28:29], v[82:83], off
	s_waitcnt vmcnt(37)
	global_store_dwordx2 v[30:31], v[84:85], off
	s_waitcnt vmcnt(36)
	global_store_dwordx2 v[32:33], v[86:87], off
	s_waitcnt vmcnt(35)
	global_store_dwordx2 v[34:35], v[88:89], off
	s_waitcnt vmcnt(34)
	global_store_dwordx2 v[36:37], v[90:91], off
	s_waitcnt vmcnt(33)
	global_store_dwordx2 v[38:39], v[92:93], off
	s_waitcnt vmcnt(32)
	global_store_dwordx2 v[40:41], v[94:95], off
	s_waitcnt vmcnt(31)
	global_store_dwordx2 v[42:43], v[96:97], off
	s_waitcnt vmcnt(30)
	global_store_dwordx2 v[44:45], v[98:99], off
	s_waitcnt vmcnt(29)
	global_store_dwordx2 v[46:47], v[100:101], off
	s_waitcnt vmcnt(28)
	global_store_dwordx2 v[50:51], v[102:103], off
	s_waitcnt vmcnt(27)
	global_store_dwordx2 v[52:53], v[104:105], off
	s_waitcnt vmcnt(26)
	global_store_dwordx2 v[54:55], v[106:107], off
	s_endpgm
	.section	.rodata,"a",@progbits
	.p2align	6, 0x0
	.amdhsa_kernel _ZN9rocsolver6v33100L18getri_kernel_smallILi27EdPdEEvT1_iilPiilS4_bb
		.amdhsa_group_segment_fixed_size 440
		.amdhsa_private_segment_fixed_size 224
		.amdhsa_kernarg_size 60
		.amdhsa_user_sgpr_count 8
		.amdhsa_user_sgpr_private_segment_buffer 1
		.amdhsa_user_sgpr_dispatch_ptr 0
		.amdhsa_user_sgpr_queue_ptr 0
		.amdhsa_user_sgpr_kernarg_segment_ptr 1
		.amdhsa_user_sgpr_dispatch_id 0
		.amdhsa_user_sgpr_flat_scratch_init 1
		.amdhsa_user_sgpr_kernarg_preload_length 0
		.amdhsa_user_sgpr_kernarg_preload_offset 0
		.amdhsa_user_sgpr_private_segment_size 0
		.amdhsa_uses_dynamic_stack 0
		.amdhsa_system_sgpr_private_segment_wavefront_offset 1
		.amdhsa_system_sgpr_workgroup_id_x 1
		.amdhsa_system_sgpr_workgroup_id_y 0
		.amdhsa_system_sgpr_workgroup_id_z 0
		.amdhsa_system_sgpr_workgroup_info 0
		.amdhsa_system_vgpr_workitem_id 0
		.amdhsa_next_free_vgpr 124
		.amdhsa_next_free_sgpr 23
		.amdhsa_accum_offset 124
		.amdhsa_reserve_vcc 1
		.amdhsa_reserve_flat_scratch 1
		.amdhsa_float_round_mode_32 0
		.amdhsa_float_round_mode_16_64 0
		.amdhsa_float_denorm_mode_32 3
		.amdhsa_float_denorm_mode_16_64 3
		.amdhsa_dx10_clamp 1
		.amdhsa_ieee_mode 1
		.amdhsa_fp16_overflow 0
		.amdhsa_tg_split 0
		.amdhsa_exception_fp_ieee_invalid_op 0
		.amdhsa_exception_fp_denorm_src 0
		.amdhsa_exception_fp_ieee_div_zero 0
		.amdhsa_exception_fp_ieee_overflow 0
		.amdhsa_exception_fp_ieee_underflow 0
		.amdhsa_exception_fp_ieee_inexact 0
		.amdhsa_exception_int_div_zero 0
	.end_amdhsa_kernel
	.section	.text._ZN9rocsolver6v33100L18getri_kernel_smallILi27EdPdEEvT1_iilPiilS4_bb,"axG",@progbits,_ZN9rocsolver6v33100L18getri_kernel_smallILi27EdPdEEvT1_iilPiilS4_bb,comdat
.Lfunc_end26:
	.size	_ZN9rocsolver6v33100L18getri_kernel_smallILi27EdPdEEvT1_iilPiilS4_bb, .Lfunc_end26-_ZN9rocsolver6v33100L18getri_kernel_smallILi27EdPdEEvT1_iilPiilS4_bb
                                        ; -- End function
	.section	.AMDGPU.csdata,"",@progbits
; Kernel info:
; codeLenInByte = 24100
; NumSgprs: 29
; NumVgprs: 124
; NumAgprs: 0
; TotalNumVgprs: 124
; ScratchSize: 224
; MemoryBound: 0
; FloatMode: 240
; IeeeMode: 1
; LDSByteSize: 440 bytes/workgroup (compile time only)
; SGPRBlocks: 3
; VGPRBlocks: 15
; NumSGPRsForWavesPerEU: 29
; NumVGPRsForWavesPerEU: 124
; AccumOffset: 124
; Occupancy: 4
; WaveLimiterHint : 1
; COMPUTE_PGM_RSRC2:SCRATCH_EN: 1
; COMPUTE_PGM_RSRC2:USER_SGPR: 8
; COMPUTE_PGM_RSRC2:TRAP_HANDLER: 0
; COMPUTE_PGM_RSRC2:TGID_X_EN: 1
; COMPUTE_PGM_RSRC2:TGID_Y_EN: 0
; COMPUTE_PGM_RSRC2:TGID_Z_EN: 0
; COMPUTE_PGM_RSRC2:TIDIG_COMP_CNT: 0
; COMPUTE_PGM_RSRC3_GFX90A:ACCUM_OFFSET: 30
; COMPUTE_PGM_RSRC3_GFX90A:TG_SPLIT: 0
	.section	.text._ZN9rocsolver6v33100L18getri_kernel_smallILi28EdPdEEvT1_iilPiilS4_bb,"axG",@progbits,_ZN9rocsolver6v33100L18getri_kernel_smallILi28EdPdEEvT1_iilPiilS4_bb,comdat
	.globl	_ZN9rocsolver6v33100L18getri_kernel_smallILi28EdPdEEvT1_iilPiilS4_bb ; -- Begin function _ZN9rocsolver6v33100L18getri_kernel_smallILi28EdPdEEvT1_iilPiilS4_bb
	.p2align	8
	.type	_ZN9rocsolver6v33100L18getri_kernel_smallILi28EdPdEEvT1_iilPiilS4_bb,@function
_ZN9rocsolver6v33100L18getri_kernel_smallILi28EdPdEEvT1_iilPiilS4_bb: ; @_ZN9rocsolver6v33100L18getri_kernel_smallILi28EdPdEEvT1_iilPiilS4_bb
; %bb.0:
	s_add_u32 flat_scratch_lo, s6, s9
	s_addc_u32 flat_scratch_hi, s7, 0
	s_add_u32 s0, s0, s9
	s_addc_u32 s1, s1, 0
	v_cmp_gt_u32_e32 vcc, 28, v0
	s_and_saveexec_b64 s[6:7], vcc
	s_cbranch_execz .LBB27_120
; %bb.1:
	s_load_dword s22, s[4:5], 0x38
	s_load_dwordx4 s[16:19], s[4:5], 0x10
	s_load_dwordx4 s[12:15], s[4:5], 0x28
                                        ; implicit-def: $sgpr10_sgpr11
	s_waitcnt lgkmcnt(0)
	s_bitcmp1_b32 s22, 8
	s_cselect_b64 s[20:21], -1, 0
	s_ashr_i32 s9, s8, 31
	s_bfe_u32 s6, s22, 0x10008
	s_cmp_eq_u32 s6, 0
	s_cbranch_scc1 .LBB27_3
; %bb.2:
	s_load_dword s6, s[4:5], 0x20
	s_mul_i32 s7, s8, s13
	s_mul_hi_u32 s10, s8, s12
	s_mul_i32 s11, s9, s12
	s_add_i32 s10, s10, s7
	s_add_i32 s11, s10, s11
	s_mul_i32 s10, s8, s12
	s_waitcnt lgkmcnt(0)
	s_ashr_i32 s7, s6, 31
	s_lshl_b64 s[10:11], s[10:11], 2
	s_add_u32 s10, s18, s10
	s_addc_u32 s11, s19, s11
	s_lshl_b64 s[6:7], s[6:7], 2
	s_add_u32 s10, s10, s6
	s_addc_u32 s11, s11, s7
.LBB27_3:
	s_load_dwordx4 s[4:7], s[4:5], 0x0
	s_mul_i32 s12, s8, s17
	s_mul_hi_u32 s13, s8, s16
	s_add_i32 s17, s13, s12
	v_lshlrev_b32_e32 v1, 3, v0
	s_waitcnt lgkmcnt(0)
	s_ashr_i32 s13, s6, 31
	s_mov_b32 s12, s6
	s_mul_i32 s6, s9, s16
	s_add_i32 s17, s17, s6
	s_mul_i32 s16, s8, s16
	s_lshl_b64 s[16:17], s[16:17], 3
	s_add_u32 s6, s4, s16
	s_addc_u32 s16, s5, s17
	s_lshl_b64 s[4:5], s[12:13], 3
	s_add_u32 s4, s6, s4
	s_addc_u32 s5, s16, s5
	s_add_i32 s6, s7, s7
	v_add_u32_e32 v4, s6, v0
	v_ashrrev_i32_e32 v5, 31, v4
	v_lshlrev_b64 v[2:3], 3, v[4:5]
	v_add_u32_e32 v6, s7, v4
	v_mov_b32_e32 v5, s5
	v_add_co_u32_e32 v2, vcc, s4, v2
	v_ashrrev_i32_e32 v7, 31, v6
	v_addc_co_u32_e32 v3, vcc, v5, v3, vcc
	v_lshlrev_b64 v[4:5], 3, v[6:7]
	v_add_u32_e32 v8, s7, v6
	v_mov_b32_e32 v7, s5
	v_add_co_u32_e32 v4, vcc, s4, v4
	v_ashrrev_i32_e32 v9, 31, v8
	v_addc_co_u32_e32 v5, vcc, v7, v5, vcc
	;; [unrolled: 6-line block ×21, first 2 shown]
	v_lshlrev_b64 v[44:45], 3, v[46:47]
	v_mov_b32_e32 v47, s5
	v_add_co_u32_e32 v44, vcc, s4, v44
	v_addc_co_u32_e32 v45, vcc, v47, v45, vcc
	v_mov_b32_e32 v49, s5
	v_add_co_u32_e32 v48, vcc, s4, v1
	s_ashr_i32 s13, s7, 31
	s_mov_b32 s12, s7
	v_add_u32_e32 v52, s7, v46
	v_addc_co_u32_e32 v49, vcc, 0, v49, vcc
	s_lshl_b64 s[12:13], s[12:13], 3
	v_ashrrev_i32_e32 v53, 31, v52
	v_mov_b32_e32 v51, s13
	v_add_co_u32_e32 v50, vcc, s12, v48
	v_lshlrev_b64 v[46:47], 3, v[52:53]
	v_addc_co_u32_e32 v51, vcc, v49, v51, vcc
	v_add_u32_e32 v54, s7, v52
	v_mov_b32_e32 v53, s5
	v_add_co_u32_e32 v46, vcc, s4, v46
	v_ashrrev_i32_e32 v55, 31, v54
	v_addc_co_u32_e32 v47, vcc, v53, v47, vcc
	v_lshlrev_b64 v[52:53], 3, v[54:55]
	v_add_u32_e32 v56, s7, v54
	v_mov_b32_e32 v55, s5
	v_add_co_u32_e32 v52, vcc, s4, v52
	v_ashrrev_i32_e32 v57, 31, v56
	v_addc_co_u32_e32 v53, vcc, v55, v53, vcc
	v_lshlrev_b64 v[54:55], 3, v[56:57]
	v_mov_b32_e32 v57, s5
	v_add_co_u32_e32 v54, vcc, s4, v54
	global_load_dwordx2 v[58:59], v1, s[4:5]
	global_load_dwordx2 v[60:61], v[50:51], off
	global_load_dwordx2 v[62:63], v[2:3], off
	;; [unrolled: 1-line block ×18, first 2 shown]
	v_addc_co_u32_e32 v55, vcc, v57, v55, vcc
	global_load_dwordx2 v[96:97], v[36:37], off
	global_load_dwordx2 v[98:99], v[38:39], off
	global_load_dwordx2 v[100:101], v[40:41], off
	global_load_dwordx2 v[102:103], v[42:43], off
	global_load_dwordx2 v[104:105], v[44:45], off
	global_load_dwordx2 v[106:107], v[46:47], off
	global_load_dwordx2 v[108:109], v[52:53], off
	global_load_dwordx2 v[110:111], v[54:55], off
	v_add_u32_e32 v56, s7, v56
	v_ashrrev_i32_e32 v57, 31, v56
	v_lshlrev_b64 v[56:57], 3, v[56:57]
	v_mov_b32_e32 v112, s5
	v_add_co_u32_e32 v56, vcc, s4, v56
	v_addc_co_u32_e32 v57, vcc, v112, v57, vcc
	global_load_dwordx2 v[112:113], v[56:57], off
	s_bitcmp0_b32 s22, 0
	s_mov_b64 s[6:7], -1
	s_waitcnt vmcnt(27)
	buffer_store_dword v59, off, s[0:3], 0 offset:4
	buffer_store_dword v58, off, s[0:3], 0
	s_waitcnt vmcnt(28)
	buffer_store_dword v61, off, s[0:3], 0 offset:12
	buffer_store_dword v60, off, s[0:3], 0 offset:8
	s_waitcnt vmcnt(29)
	buffer_store_dword v63, off, s[0:3], 0 offset:20
	buffer_store_dword v62, off, s[0:3], 0 offset:16
	;; [unrolled: 3-line block ×27, first 2 shown]
	s_cbranch_scc1 .LBB27_118
; %bb.4:
	v_cmp_eq_u32_e64 s[4:5], 0, v0
	s_and_saveexec_b64 s[6:7], s[4:5]
	s_cbranch_execz .LBB27_6
; %bb.5:
	v_mov_b32_e32 v58, 0
	ds_write_b32 v58, v58 offset:448
.LBB27_6:
	s_or_b64 exec, exec, s[6:7]
	v_mov_b32_e32 v58, 0
	v_lshl_add_u32 v58, v0, 3, v58
	s_waitcnt lgkmcnt(0)
	; wave barrier
	s_waitcnt lgkmcnt(0)
	buffer_load_dword v60, v58, s[0:3], 0 offen
	buffer_load_dword v61, v58, s[0:3], 0 offen offset:4
	s_waitcnt vmcnt(0)
	v_cmp_eq_f64_e32 vcc, 0, v[60:61]
	s_and_saveexec_b64 s[12:13], vcc
	s_cbranch_execz .LBB27_10
; %bb.7:
	v_mov_b32_e32 v59, 0
	ds_read_b32 v61, v59 offset:448
	v_add_u32_e32 v60, 1, v0
	s_waitcnt lgkmcnt(0)
	v_readfirstlane_b32 s6, v61
	s_cmp_eq_u32 s6, 0
	s_cselect_b64 s[16:17], -1, 0
	v_cmp_gt_i32_e32 vcc, s6, v60
	s_or_b64 s[16:17], s[16:17], vcc
	s_and_b64 exec, exec, s[16:17]
	s_cbranch_execz .LBB27_10
; %bb.8:
	s_mov_b64 s[16:17], 0
	v_mov_b32_e32 v61, s6
.LBB27_9:                               ; =>This Inner Loop Header: Depth=1
	ds_cmpst_rtn_b32 v61, v59, v61, v60 offset:448
	s_waitcnt lgkmcnt(0)
	v_cmp_ne_u32_e32 vcc, 0, v61
	v_cmp_le_i32_e64 s[6:7], v61, v60
	s_and_b64 s[6:7], vcc, s[6:7]
	s_and_b64 s[6:7], exec, s[6:7]
	s_or_b64 s[16:17], s[6:7], s[16:17]
	s_andn2_b64 exec, exec, s[16:17]
	s_cbranch_execnz .LBB27_9
.LBB27_10:
	s_or_b64 exec, exec, s[12:13]
	v_mov_b32_e32 v60, 0
	s_waitcnt lgkmcnt(0)
	; wave barrier
	ds_read_b32 v59, v60 offset:448
	s_and_saveexec_b64 s[6:7], s[4:5]
	s_cbranch_execz .LBB27_12
; %bb.11:
	s_lshl_b64 s[12:13], s[8:9], 2
	s_add_u32 s12, s14, s12
	s_addc_u32 s13, s15, s13
	s_waitcnt lgkmcnt(0)
	global_store_dword v60, v59, s[12:13]
.LBB27_12:
	s_or_b64 exec, exec, s[6:7]
	s_waitcnt lgkmcnt(0)
	v_cmp_ne_u32_e32 vcc, 0, v59
	s_mov_b64 s[6:7], 0
	s_cbranch_vccnz .LBB27_118
; %bb.13:
	buffer_load_dword v60, v58, s[0:3], 0 offen
	buffer_load_dword v61, v58, s[0:3], 0 offen offset:4
	s_waitcnt vmcnt(0)
	v_div_scale_f64 v[62:63], s[6:7], v[60:61], v[60:61], 1.0
	v_rcp_f64_e32 v[64:65], v[62:63]
	v_div_scale_f64 v[66:67], vcc, 1.0, v[60:61], 1.0
	v_fma_f64 v[68:69], -v[62:63], v[64:65], 1.0
	v_fmac_f64_e32 v[64:65], v[64:65], v[68:69]
	v_fma_f64 v[68:69], -v[62:63], v[64:65], 1.0
	v_fmac_f64_e32 v[64:65], v[64:65], v[68:69]
	v_mul_f64 v[68:69], v[66:67], v[64:65]
	v_fma_f64 v[62:63], -v[62:63], v[68:69], v[66:67]
	v_div_fmas_f64 v[62:63], v[62:63], v[64:65], v[68:69]
	v_div_fixup_f64 v[62:63], v[62:63], v[60:61], 1.0
	buffer_store_dword v63, v58, s[0:3], 0 offen offset:4
	buffer_store_dword v62, v58, s[0:3], 0 offen
	buffer_load_dword v65, off, s[0:3], 0 offset:12
	buffer_load_dword v64, off, s[0:3], 0 offset:8
	v_add_u32_e32 v60, 0xe0, v1
	v_xor_b32_e32 v63, 0x80000000, v63
	s_waitcnt vmcnt(0)
	ds_write2_b64 v1, v[62:63], v[64:65] offset1:28
	s_waitcnt lgkmcnt(0)
	; wave barrier
	s_waitcnt lgkmcnt(0)
	s_and_saveexec_b64 s[6:7], s[4:5]
	s_cbranch_execz .LBB27_15
; %bb.14:
	buffer_load_dword v62, v58, s[0:3], 0 offen
	buffer_load_dword v63, v58, s[0:3], 0 offen offset:4
	v_mov_b32_e32 v59, 0
	ds_read_b64 v[64:65], v60
	ds_read_b64 v[66:67], v59 offset:8
	s_waitcnt vmcnt(0) lgkmcnt(1)
	v_fma_f64 v[62:63], v[62:63], v[64:65], 0
	s_waitcnt lgkmcnt(0)
	v_mul_f64 v[62:63], v[62:63], v[66:67]
	buffer_store_dword v62, off, s[0:3], 0 offset:8
	buffer_store_dword v63, off, s[0:3], 0 offset:12
.LBB27_15:
	s_or_b64 exec, exec, s[6:7]
	s_waitcnt lgkmcnt(0)
	; wave barrier
	buffer_load_dword v62, off, s[0:3], 0 offset:16
	buffer_load_dword v63, off, s[0:3], 0 offset:20
	v_cmp_gt_u32_e32 vcc, 2, v0
	s_waitcnt vmcnt(0)
	ds_write_b64 v60, v[62:63]
	s_waitcnt lgkmcnt(0)
	; wave barrier
	s_waitcnt lgkmcnt(0)
	s_and_saveexec_b64 s[6:7], vcc
	s_cbranch_execz .LBB27_17
; %bb.16:
	buffer_load_dword v59, v58, s[0:3], 0 offen offset:4
	buffer_load_dword v66, off, s[0:3], 0 offset:8
	s_nop 0
	buffer_load_dword v58, v58, s[0:3], 0 offen
	s_nop 0
	buffer_load_dword v67, off, s[0:3], 0 offset:12
	ds_read_b64 v[68:69], v60
	v_mov_b32_e32 v61, 0
	ds_read2_b64 v[62:65], v61 offset0:2 offset1:29
	s_waitcnt vmcnt(1) lgkmcnt(1)
	v_fma_f64 v[58:59], v[58:59], v[68:69], 0
	s_waitcnt vmcnt(0) lgkmcnt(0)
	v_fma_f64 v[64:65], v[66:67], v[64:65], v[58:59]
	v_cndmask_b32_e64 v59, v59, v65, s[4:5]
	v_cndmask_b32_e64 v58, v58, v64, s[4:5]
	v_mul_f64 v[58:59], v[58:59], v[62:63]
	buffer_store_dword v59, off, s[0:3], 0 offset:20
	buffer_store_dword v58, off, s[0:3], 0 offset:16
.LBB27_17:
	s_or_b64 exec, exec, s[6:7]
	s_waitcnt lgkmcnt(0)
	; wave barrier
	buffer_load_dword v58, off, s[0:3], 0 offset:24
	buffer_load_dword v59, off, s[0:3], 0 offset:28
	v_cmp_gt_u32_e32 vcc, 3, v0
	v_add_u32_e32 v61, -1, v0
	s_waitcnt vmcnt(0)
	ds_write_b64 v60, v[58:59]
	s_waitcnt lgkmcnt(0)
	; wave barrier
	s_waitcnt lgkmcnt(0)
	s_and_saveexec_b64 s[4:5], vcc
	s_cbranch_execz .LBB27_21
; %bb.18:
	v_add_u32_e32 v62, -1, v0
	v_add_u32_e32 v63, 0xe0, v1
	v_add_u32_e32 v64, 0, v1
	s_mov_b64 s[6:7], 0
	v_pk_mov_b32 v[58:59], 0, 0
.LBB27_19:                              ; =>This Inner Loop Header: Depth=1
	buffer_load_dword v66, v64, s[0:3], 0 offen
	buffer_load_dword v67, v64, s[0:3], 0 offen offset:4
	ds_read_b64 v[68:69], v63
	v_add_u32_e32 v62, 1, v62
	v_cmp_lt_u32_e32 vcc, 1, v62
	v_add_u32_e32 v63, 8, v63
	v_add_u32_e32 v64, 8, v64
	s_or_b64 s[6:7], vcc, s[6:7]
	s_waitcnt vmcnt(0) lgkmcnt(0)
	v_fmac_f64_e32 v[58:59], v[66:67], v[68:69]
	s_andn2_b64 exec, exec, s[6:7]
	s_cbranch_execnz .LBB27_19
; %bb.20:
	s_or_b64 exec, exec, s[6:7]
	v_mov_b32_e32 v62, 0
	ds_read_b64 v[62:63], v62 offset:24
	s_waitcnt lgkmcnt(0)
	v_mul_f64 v[58:59], v[58:59], v[62:63]
	buffer_store_dword v59, off, s[0:3], 0 offset:28
	buffer_store_dword v58, off, s[0:3], 0 offset:24
.LBB27_21:
	s_or_b64 exec, exec, s[4:5]
	s_waitcnt lgkmcnt(0)
	; wave barrier
	buffer_load_dword v58, off, s[0:3], 0 offset:32
	buffer_load_dword v59, off, s[0:3], 0 offset:36
	v_cmp_gt_u32_e32 vcc, 4, v0
	s_waitcnt vmcnt(0)
	ds_write_b64 v60, v[58:59]
	s_waitcnt lgkmcnt(0)
	; wave barrier
	s_waitcnt lgkmcnt(0)
	s_and_saveexec_b64 s[4:5], vcc
	s_cbranch_execz .LBB27_25
; %bb.22:
	v_add_u32_e32 v62, -1, v0
	v_add_u32_e32 v63, 0xe0, v1
	v_add_u32_e32 v64, 0, v1
	s_mov_b64 s[6:7], 0
	v_pk_mov_b32 v[58:59], 0, 0
.LBB27_23:                              ; =>This Inner Loop Header: Depth=1
	buffer_load_dword v66, v64, s[0:3], 0 offen
	buffer_load_dword v67, v64, s[0:3], 0 offen offset:4
	ds_read_b64 v[68:69], v63
	v_add_u32_e32 v62, 1, v62
	v_cmp_lt_u32_e32 vcc, 2, v62
	v_add_u32_e32 v63, 8, v63
	v_add_u32_e32 v64, 8, v64
	s_or_b64 s[6:7], vcc, s[6:7]
	s_waitcnt vmcnt(0) lgkmcnt(0)
	v_fmac_f64_e32 v[58:59], v[66:67], v[68:69]
	s_andn2_b64 exec, exec, s[6:7]
	s_cbranch_execnz .LBB27_23
; %bb.24:
	s_or_b64 exec, exec, s[6:7]
	v_mov_b32_e32 v62, 0
	ds_read_b64 v[62:63], v62 offset:32
	s_waitcnt lgkmcnt(0)
	v_mul_f64 v[58:59], v[58:59], v[62:63]
	buffer_store_dword v59, off, s[0:3], 0 offset:36
	buffer_store_dword v58, off, s[0:3], 0 offset:32
.LBB27_25:
	s_or_b64 exec, exec, s[4:5]
	s_waitcnt lgkmcnt(0)
	; wave barrier
	buffer_load_dword v58, off, s[0:3], 0 offset:40
	buffer_load_dword v59, off, s[0:3], 0 offset:44
	v_cmp_gt_u32_e32 vcc, 5, v0
	;; [unrolled: 41-line block ×21, first 2 shown]
	s_waitcnt vmcnt(0)
	ds_write_b64 v60, v[58:59]
	s_waitcnt lgkmcnt(0)
	; wave barrier
	s_waitcnt lgkmcnt(0)
	s_and_saveexec_b64 s[4:5], vcc
	s_cbranch_execz .LBB27_105
; %bb.102:
	v_add_u32_e32 v62, -1, v0
	v_add_u32_e32 v63, 0xe0, v1
	v_add_u32_e32 v64, 0, v1
	s_mov_b64 s[6:7], 0
	v_pk_mov_b32 v[58:59], 0, 0
.LBB27_103:                             ; =>This Inner Loop Header: Depth=1
	buffer_load_dword v66, v64, s[0:3], 0 offen
	buffer_load_dword v67, v64, s[0:3], 0 offen offset:4
	ds_read_b64 v[68:69], v63
	v_add_u32_e32 v62, 1, v62
	v_cmp_lt_u32_e32 vcc, 22, v62
	v_add_u32_e32 v63, 8, v63
	v_add_u32_e32 v64, 8, v64
	s_or_b64 s[6:7], vcc, s[6:7]
	s_waitcnt vmcnt(0) lgkmcnt(0)
	v_fmac_f64_e32 v[58:59], v[66:67], v[68:69]
	s_andn2_b64 exec, exec, s[6:7]
	s_cbranch_execnz .LBB27_103
; %bb.104:
	s_or_b64 exec, exec, s[6:7]
	v_mov_b32_e32 v62, 0
	ds_read_b64 v[62:63], v62 offset:192
	s_waitcnt lgkmcnt(0)
	v_mul_f64 v[58:59], v[58:59], v[62:63]
	buffer_store_dword v59, off, s[0:3], 0 offset:196
	buffer_store_dword v58, off, s[0:3], 0 offset:192
.LBB27_105:
	s_or_b64 exec, exec, s[4:5]
	s_waitcnt lgkmcnt(0)
	; wave barrier
	buffer_load_dword v58, off, s[0:3], 0 offset:200
	buffer_load_dword v59, off, s[0:3], 0 offset:204
	v_cmp_gt_u32_e32 vcc, 25, v0
	s_waitcnt vmcnt(0)
	ds_write_b64 v60, v[58:59]
	s_waitcnt lgkmcnt(0)
	; wave barrier
	s_waitcnt lgkmcnt(0)
	s_and_saveexec_b64 s[4:5], vcc
	s_cbranch_execz .LBB27_109
; %bb.106:
	v_add_u32_e32 v62, -1, v0
	v_add_u32_e32 v63, 0xe0, v1
	v_add_u32_e32 v64, 0, v1
	s_mov_b64 s[6:7], 0
	v_pk_mov_b32 v[58:59], 0, 0
.LBB27_107:                             ; =>This Inner Loop Header: Depth=1
	buffer_load_dword v66, v64, s[0:3], 0 offen
	buffer_load_dword v67, v64, s[0:3], 0 offen offset:4
	ds_read_b64 v[68:69], v63
	v_add_u32_e32 v62, 1, v62
	v_cmp_lt_u32_e32 vcc, 23, v62
	v_add_u32_e32 v63, 8, v63
	v_add_u32_e32 v64, 8, v64
	s_or_b64 s[6:7], vcc, s[6:7]
	s_waitcnt vmcnt(0) lgkmcnt(0)
	v_fmac_f64_e32 v[58:59], v[66:67], v[68:69]
	s_andn2_b64 exec, exec, s[6:7]
	s_cbranch_execnz .LBB27_107
; %bb.108:
	s_or_b64 exec, exec, s[6:7]
	v_mov_b32_e32 v62, 0
	ds_read_b64 v[62:63], v62 offset:200
	s_waitcnt lgkmcnt(0)
	v_mul_f64 v[58:59], v[58:59], v[62:63]
	buffer_store_dword v59, off, s[0:3], 0 offset:204
	buffer_store_dword v58, off, s[0:3], 0 offset:200
.LBB27_109:
	s_or_b64 exec, exec, s[4:5]
	s_waitcnt lgkmcnt(0)
	; wave barrier
	buffer_load_dword v58, off, s[0:3], 0 offset:208
	buffer_load_dword v59, off, s[0:3], 0 offset:212
	v_cmp_gt_u32_e32 vcc, 26, v0
	s_waitcnt vmcnt(0)
	ds_write_b64 v60, v[58:59]
	s_waitcnt lgkmcnt(0)
	; wave barrier
	s_waitcnt lgkmcnt(0)
	s_and_saveexec_b64 s[4:5], vcc
	s_cbranch_execz .LBB27_113
; %bb.110:
	v_add_u32_e32 v62, -1, v0
	v_add_u32_e32 v63, 0xe0, v1
	v_add_u32_e32 v64, 0, v1
	s_mov_b64 s[6:7], 0
	v_pk_mov_b32 v[58:59], 0, 0
.LBB27_111:                             ; =>This Inner Loop Header: Depth=1
	buffer_load_dword v66, v64, s[0:3], 0 offen
	buffer_load_dword v67, v64, s[0:3], 0 offen offset:4
	ds_read_b64 v[68:69], v63
	v_add_u32_e32 v62, 1, v62
	v_cmp_lt_u32_e32 vcc, 24, v62
	v_add_u32_e32 v63, 8, v63
	v_add_u32_e32 v64, 8, v64
	s_or_b64 s[6:7], vcc, s[6:7]
	s_waitcnt vmcnt(0) lgkmcnt(0)
	v_fmac_f64_e32 v[58:59], v[66:67], v[68:69]
	s_andn2_b64 exec, exec, s[6:7]
	s_cbranch_execnz .LBB27_111
; %bb.112:
	s_or_b64 exec, exec, s[6:7]
	v_mov_b32_e32 v62, 0
	ds_read_b64 v[62:63], v62 offset:208
	s_waitcnt lgkmcnt(0)
	v_mul_f64 v[58:59], v[58:59], v[62:63]
	buffer_store_dword v59, off, s[0:3], 0 offset:212
	buffer_store_dword v58, off, s[0:3], 0 offset:208
.LBB27_113:
	s_or_b64 exec, exec, s[4:5]
	s_waitcnt lgkmcnt(0)
	; wave barrier
	buffer_load_dword v58, off, s[0:3], 0 offset:216
	buffer_load_dword v59, off, s[0:3], 0 offset:220
	v_cmp_ne_u32_e32 vcc, 27, v0
	s_waitcnt vmcnt(0)
	ds_write_b64 v60, v[58:59]
	s_waitcnt lgkmcnt(0)
	; wave barrier
	s_waitcnt lgkmcnt(0)
	s_and_saveexec_b64 s[4:5], vcc
	s_cbranch_execz .LBB27_117
; %bb.114:
	v_add_u32_e32 v60, 0xe0, v1
	v_add_u32_e32 v1, 0, v1
	s_mov_b64 s[6:7], 0
	v_pk_mov_b32 v[58:59], 0, 0
.LBB27_115:                             ; =>This Inner Loop Header: Depth=1
	buffer_load_dword v62, v1, s[0:3], 0 offen
	buffer_load_dword v63, v1, s[0:3], 0 offen offset:4
	ds_read_b64 v[64:65], v60
	v_add_u32_e32 v61, 1, v61
	v_cmp_lt_u32_e32 vcc, 25, v61
	v_add_u32_e32 v60, 8, v60
	v_add_u32_e32 v1, 8, v1
	s_or_b64 s[6:7], vcc, s[6:7]
	s_waitcnt vmcnt(0) lgkmcnt(0)
	v_fmac_f64_e32 v[58:59], v[62:63], v[64:65]
	s_andn2_b64 exec, exec, s[6:7]
	s_cbranch_execnz .LBB27_115
; %bb.116:
	s_or_b64 exec, exec, s[6:7]
	v_mov_b32_e32 v1, 0
	ds_read_b64 v[60:61], v1 offset:216
	s_waitcnt lgkmcnt(0)
	v_mul_f64 v[58:59], v[58:59], v[60:61]
	buffer_store_dword v59, off, s[0:3], 0 offset:220
	buffer_store_dword v58, off, s[0:3], 0 offset:216
.LBB27_117:
	s_or_b64 exec, exec, s[4:5]
	s_mov_b64 s[6:7], -1
	s_waitcnt lgkmcnt(0)
	; wave barrier
.LBB27_118:
	s_and_b64 vcc, exec, s[6:7]
	s_cbranch_vccz .LBB27_120
; %bb.119:
	s_lshl_b64 s[4:5], s[8:9], 2
	s_add_u32 s4, s14, s4
	s_addc_u32 s5, s15, s5
	v_mov_b32_e32 v1, 0
	global_load_dword v1, v1, s[4:5]
	s_waitcnt vmcnt(0)
	v_cmp_ne_u32_e32 vcc, 0, v1
	s_cbranch_vccz .LBB27_121
.LBB27_120:
	s_endpgm
.LBB27_121:
	v_mov_b32_e32 v1, 0xe0
	v_lshl_add_u32 v1, v0, 3, v1
	v_cmp_eq_u32_e32 vcc, 27, v0
	s_and_saveexec_b64 s[4:5], vcc
	s_cbranch_execz .LBB27_123
; %bb.122:
	buffer_load_dword v58, off, s[0:3], 0 offset:208
	buffer_load_dword v59, off, s[0:3], 0 offset:212
	v_mov_b32_e32 v60, 0
	buffer_store_dword v60, off, s[0:3], 0 offset:208
	buffer_store_dword v60, off, s[0:3], 0 offset:212
	s_waitcnt vmcnt(2)
	ds_write_b64 v1, v[58:59]
.LBB27_123:
	s_or_b64 exec, exec, s[4:5]
	s_waitcnt lgkmcnt(0)
	; wave barrier
	s_waitcnt lgkmcnt(0)
	buffer_load_dword v60, off, s[0:3], 0 offset:216
	buffer_load_dword v61, off, s[0:3], 0 offset:220
	;; [unrolled: 1-line block ×4, first 2 shown]
	v_mov_b32_e32 v58, 0
	ds_read_b64 v[64:65], v58 offset:440
	v_cmp_lt_u32_e32 vcc, 25, v0
	s_waitcnt vmcnt(2) lgkmcnt(0)
	v_fma_f64 v[60:61], v[60:61], v[64:65], 0
	s_waitcnt vmcnt(0)
	v_add_f64 v[60:61], v[62:63], -v[60:61]
	buffer_store_dword v60, off, s[0:3], 0 offset:208
	buffer_store_dword v61, off, s[0:3], 0 offset:212
	s_and_saveexec_b64 s[4:5], vcc
	s_cbranch_execz .LBB27_125
; %bb.124:
	buffer_load_dword v60, off, s[0:3], 0 offset:200
	buffer_load_dword v61, off, s[0:3], 0 offset:204
	s_waitcnt vmcnt(0)
	ds_write_b64 v1, v[60:61]
	buffer_store_dword v58, off, s[0:3], 0 offset:200
	buffer_store_dword v58, off, s[0:3], 0 offset:204
.LBB27_125:
	s_or_b64 exec, exec, s[4:5]
	s_waitcnt lgkmcnt(0)
	; wave barrier
	s_waitcnt lgkmcnt(0)
	buffer_load_dword v62, off, s[0:3], 0 offset:208
	buffer_load_dword v63, off, s[0:3], 0 offset:212
	;; [unrolled: 1-line block ×6, first 2 shown]
	ds_read_b128 v[58:61], v58 offset:432
	v_cmp_lt_u32_e32 vcc, 24, v0
	s_waitcnt vmcnt(4) lgkmcnt(0)
	v_fma_f64 v[58:59], v[62:63], v[58:59], 0
	s_waitcnt vmcnt(2)
	v_fmac_f64_e32 v[58:59], v[64:65], v[60:61]
	s_waitcnt vmcnt(0)
	v_add_f64 v[58:59], v[66:67], -v[58:59]
	buffer_store_dword v58, off, s[0:3], 0 offset:200
	buffer_store_dword v59, off, s[0:3], 0 offset:204
	s_and_saveexec_b64 s[4:5], vcc
	s_cbranch_execz .LBB27_127
; %bb.126:
	buffer_load_dword v58, off, s[0:3], 0 offset:192
	buffer_load_dword v59, off, s[0:3], 0 offset:196
	v_mov_b32_e32 v60, 0
	buffer_store_dword v60, off, s[0:3], 0 offset:192
	buffer_store_dword v60, off, s[0:3], 0 offset:196
	s_waitcnt vmcnt(2)
	ds_write_b64 v1, v[58:59]
.LBB27_127:
	s_or_b64 exec, exec, s[4:5]
	s_waitcnt lgkmcnt(0)
	; wave barrier
	s_waitcnt lgkmcnt(0)
	buffer_load_dword v64, off, s[0:3], 0 offset:200
	buffer_load_dword v65, off, s[0:3], 0 offset:204
	;; [unrolled: 1-line block ×8, first 2 shown]
	v_mov_b32_e32 v58, 0
	ds_read2_b64 v[60:63], v58 offset0:53 offset1:54
	ds_read_b64 v[72:73], v58 offset:440
	v_cmp_lt_u32_e32 vcc, 23, v0
	s_waitcnt vmcnt(6) lgkmcnt(1)
	v_fma_f64 v[60:61], v[64:65], v[60:61], 0
	s_waitcnt vmcnt(4)
	v_fmac_f64_e32 v[60:61], v[66:67], v[62:63]
	s_waitcnt vmcnt(2) lgkmcnt(0)
	v_fmac_f64_e32 v[60:61], v[68:69], v[72:73]
	s_waitcnt vmcnt(0)
	v_add_f64 v[60:61], v[70:71], -v[60:61]
	buffer_store_dword v60, off, s[0:3], 0 offset:192
	buffer_store_dword v61, off, s[0:3], 0 offset:196
	s_and_saveexec_b64 s[4:5], vcc
	s_cbranch_execz .LBB27_129
; %bb.128:
	buffer_load_dword v60, off, s[0:3], 0 offset:184
	buffer_load_dword v61, off, s[0:3], 0 offset:188
	s_waitcnt vmcnt(0)
	ds_write_b64 v1, v[60:61]
	buffer_store_dword v58, off, s[0:3], 0 offset:184
	buffer_store_dword v58, off, s[0:3], 0 offset:188
.LBB27_129:
	s_or_b64 exec, exec, s[4:5]
	s_waitcnt lgkmcnt(0)
	; wave barrier
	s_waitcnt lgkmcnt(0)
	buffer_load_dword v68, off, s[0:3], 0 offset:192
	buffer_load_dword v69, off, s[0:3], 0 offset:196
	;; [unrolled: 1-line block ×10, first 2 shown]
	ds_read_b128 v[60:63], v58 offset:416
	ds_read_b128 v[64:67], v58 offset:432
	v_cmp_lt_u32_e32 vcc, 22, v0
	s_waitcnt vmcnt(8) lgkmcnt(1)
	v_fma_f64 v[58:59], v[68:69], v[60:61], 0
	s_waitcnt vmcnt(6)
	v_fmac_f64_e32 v[58:59], v[70:71], v[62:63]
	s_waitcnt vmcnt(4) lgkmcnt(0)
	v_fmac_f64_e32 v[58:59], v[72:73], v[64:65]
	s_waitcnt vmcnt(2)
	v_fmac_f64_e32 v[58:59], v[74:75], v[66:67]
	s_waitcnt vmcnt(0)
	v_add_f64 v[58:59], v[76:77], -v[58:59]
	buffer_store_dword v58, off, s[0:3], 0 offset:184
	buffer_store_dword v59, off, s[0:3], 0 offset:188
	s_and_saveexec_b64 s[4:5], vcc
	s_cbranch_execz .LBB27_131
; %bb.130:
	buffer_load_dword v58, off, s[0:3], 0 offset:176
	buffer_load_dword v59, off, s[0:3], 0 offset:180
	v_mov_b32_e32 v60, 0
	buffer_store_dword v60, off, s[0:3], 0 offset:176
	buffer_store_dword v60, off, s[0:3], 0 offset:180
	s_waitcnt vmcnt(2)
	ds_write_b64 v1, v[58:59]
.LBB27_131:
	s_or_b64 exec, exec, s[4:5]
	s_waitcnt lgkmcnt(0)
	; wave barrier
	s_waitcnt lgkmcnt(0)
	buffer_load_dword v68, off, s[0:3], 0 offset:184
	buffer_load_dword v69, off, s[0:3], 0 offset:188
	;; [unrolled: 1-line block ×12, first 2 shown]
	v_mov_b32_e32 v58, 0
	ds_read2_b64 v[60:63], v58 offset0:51 offset1:52
	ds_read2_b64 v[64:67], v58 offset0:53 offset1:54
	ds_read_b64 v[80:81], v58 offset:440
	v_cmp_lt_u32_e32 vcc, 21, v0
	s_waitcnt vmcnt(10) lgkmcnt(2)
	v_fma_f64 v[60:61], v[68:69], v[60:61], 0
	s_waitcnt vmcnt(8)
	v_fmac_f64_e32 v[60:61], v[70:71], v[62:63]
	s_waitcnt vmcnt(6) lgkmcnt(1)
	v_fmac_f64_e32 v[60:61], v[72:73], v[64:65]
	s_waitcnt vmcnt(4)
	v_fmac_f64_e32 v[60:61], v[74:75], v[66:67]
	s_waitcnt vmcnt(2) lgkmcnt(0)
	v_fmac_f64_e32 v[60:61], v[76:77], v[80:81]
	s_waitcnt vmcnt(0)
	v_add_f64 v[60:61], v[78:79], -v[60:61]
	buffer_store_dword v60, off, s[0:3], 0 offset:176
	buffer_store_dword v61, off, s[0:3], 0 offset:180
	s_and_saveexec_b64 s[4:5], vcc
	s_cbranch_execz .LBB27_133
; %bb.132:
	buffer_load_dword v60, off, s[0:3], 0 offset:168
	buffer_load_dword v61, off, s[0:3], 0 offset:172
	s_waitcnt vmcnt(0)
	ds_write_b64 v1, v[60:61]
	buffer_store_dword v58, off, s[0:3], 0 offset:168
	buffer_store_dword v58, off, s[0:3], 0 offset:172
.LBB27_133:
	s_or_b64 exec, exec, s[4:5]
	s_waitcnt lgkmcnt(0)
	; wave barrier
	s_waitcnt lgkmcnt(0)
	buffer_load_dword v72, off, s[0:3], 0 offset:176
	buffer_load_dword v73, off, s[0:3], 0 offset:180
	;; [unrolled: 1-line block ×14, first 2 shown]
	ds_read_b128 v[60:63], v58 offset:400
	ds_read_b128 v[64:67], v58 offset:416
	;; [unrolled: 1-line block ×3, first 2 shown]
	v_cmp_lt_u32_e32 vcc, 20, v0
	s_waitcnt vmcnt(12) lgkmcnt(2)
	v_fma_f64 v[58:59], v[72:73], v[60:61], 0
	s_waitcnt vmcnt(10)
	v_fmac_f64_e32 v[58:59], v[74:75], v[62:63]
	s_waitcnt vmcnt(8) lgkmcnt(1)
	v_fmac_f64_e32 v[58:59], v[76:77], v[64:65]
	s_waitcnt vmcnt(6)
	v_fmac_f64_e32 v[58:59], v[78:79], v[66:67]
	s_waitcnt vmcnt(4) lgkmcnt(0)
	v_fmac_f64_e32 v[58:59], v[80:81], v[68:69]
	s_waitcnt vmcnt(2)
	v_fmac_f64_e32 v[58:59], v[82:83], v[70:71]
	s_waitcnt vmcnt(0)
	v_add_f64 v[58:59], v[84:85], -v[58:59]
	buffer_store_dword v58, off, s[0:3], 0 offset:168
	buffer_store_dword v59, off, s[0:3], 0 offset:172
	s_and_saveexec_b64 s[4:5], vcc
	s_cbranch_execz .LBB27_135
; %bb.134:
	buffer_load_dword v58, off, s[0:3], 0 offset:160
	buffer_load_dword v59, off, s[0:3], 0 offset:164
	v_mov_b32_e32 v60, 0
	buffer_store_dword v60, off, s[0:3], 0 offset:160
	buffer_store_dword v60, off, s[0:3], 0 offset:164
	s_waitcnt vmcnt(2)
	ds_write_b64 v1, v[58:59]
.LBB27_135:
	s_or_b64 exec, exec, s[4:5]
	s_waitcnt lgkmcnt(0)
	; wave barrier
	s_waitcnt lgkmcnt(0)
	buffer_load_dword v72, off, s[0:3], 0 offset:168
	buffer_load_dword v73, off, s[0:3], 0 offset:172
	;; [unrolled: 1-line block ×16, first 2 shown]
	v_mov_b32_e32 v58, 0
	ds_read2_b64 v[60:63], v58 offset0:49 offset1:50
	ds_read2_b64 v[64:67], v58 offset0:51 offset1:52
	ds_read2_b64 v[68:71], v58 offset0:53 offset1:54
	ds_read_b64 v[88:89], v58 offset:440
	v_cmp_lt_u32_e32 vcc, 19, v0
	s_waitcnt vmcnt(14) lgkmcnt(3)
	v_fma_f64 v[60:61], v[72:73], v[60:61], 0
	s_waitcnt vmcnt(12)
	v_fmac_f64_e32 v[60:61], v[74:75], v[62:63]
	s_waitcnt vmcnt(10) lgkmcnt(2)
	v_fmac_f64_e32 v[60:61], v[76:77], v[64:65]
	s_waitcnt vmcnt(8)
	v_fmac_f64_e32 v[60:61], v[78:79], v[66:67]
	s_waitcnt vmcnt(6) lgkmcnt(1)
	v_fmac_f64_e32 v[60:61], v[80:81], v[68:69]
	;; [unrolled: 4-line block ×3, first 2 shown]
	s_waitcnt vmcnt(0)
	v_add_f64 v[60:61], v[86:87], -v[60:61]
	buffer_store_dword v60, off, s[0:3], 0 offset:160
	buffer_store_dword v61, off, s[0:3], 0 offset:164
	s_and_saveexec_b64 s[4:5], vcc
	s_cbranch_execz .LBB27_137
; %bb.136:
	buffer_load_dword v60, off, s[0:3], 0 offset:152
	buffer_load_dword v61, off, s[0:3], 0 offset:156
	s_waitcnt vmcnt(0)
	ds_write_b64 v1, v[60:61]
	buffer_store_dword v58, off, s[0:3], 0 offset:152
	buffer_store_dword v58, off, s[0:3], 0 offset:156
.LBB27_137:
	s_or_b64 exec, exec, s[4:5]
	s_waitcnt lgkmcnt(0)
	; wave barrier
	s_waitcnt lgkmcnt(0)
	buffer_load_dword v76, off, s[0:3], 0 offset:160
	buffer_load_dword v77, off, s[0:3], 0 offset:164
	;; [unrolled: 1-line block ×18, first 2 shown]
	ds_read_b128 v[60:63], v58 offset:384
	ds_read_b128 v[64:67], v58 offset:400
	;; [unrolled: 1-line block ×4, first 2 shown]
	v_cmp_lt_u32_e32 vcc, 18, v0
	s_waitcnt vmcnt(16) lgkmcnt(3)
	v_fma_f64 v[58:59], v[76:77], v[60:61], 0
	s_waitcnt vmcnt(14)
	v_fmac_f64_e32 v[58:59], v[78:79], v[62:63]
	s_waitcnt vmcnt(12) lgkmcnt(2)
	v_fmac_f64_e32 v[58:59], v[80:81], v[64:65]
	s_waitcnt vmcnt(10)
	v_fmac_f64_e32 v[58:59], v[82:83], v[66:67]
	s_waitcnt vmcnt(8) lgkmcnt(1)
	v_fmac_f64_e32 v[58:59], v[84:85], v[68:69]
	s_waitcnt vmcnt(6)
	v_fmac_f64_e32 v[58:59], v[86:87], v[70:71]
	s_waitcnt vmcnt(4) lgkmcnt(0)
	v_fmac_f64_e32 v[58:59], v[88:89], v[72:73]
	s_waitcnt vmcnt(2)
	v_fmac_f64_e32 v[58:59], v[90:91], v[74:75]
	s_waitcnt vmcnt(0)
	v_add_f64 v[58:59], v[92:93], -v[58:59]
	buffer_store_dword v58, off, s[0:3], 0 offset:152
	buffer_store_dword v59, off, s[0:3], 0 offset:156
	s_and_saveexec_b64 s[4:5], vcc
	s_cbranch_execz .LBB27_139
; %bb.138:
	buffer_load_dword v58, off, s[0:3], 0 offset:144
	buffer_load_dword v59, off, s[0:3], 0 offset:148
	v_mov_b32_e32 v60, 0
	buffer_store_dword v60, off, s[0:3], 0 offset:144
	buffer_store_dword v60, off, s[0:3], 0 offset:148
	s_waitcnt vmcnt(2)
	ds_write_b64 v1, v[58:59]
.LBB27_139:
	s_or_b64 exec, exec, s[4:5]
	s_waitcnt lgkmcnt(0)
	; wave barrier
	s_waitcnt lgkmcnt(0)
	buffer_load_dword v76, off, s[0:3], 0 offset:152
	buffer_load_dword v77, off, s[0:3], 0 offset:156
	;; [unrolled: 1-line block ×20, first 2 shown]
	v_mov_b32_e32 v58, 0
	ds_read2_b64 v[60:63], v58 offset0:47 offset1:48
	ds_read2_b64 v[64:67], v58 offset0:49 offset1:50
	;; [unrolled: 1-line block ×4, first 2 shown]
	ds_read_b64 v[96:97], v58 offset:440
	v_cmp_lt_u32_e32 vcc, 17, v0
	s_waitcnt vmcnt(18) lgkmcnt(4)
	v_fma_f64 v[60:61], v[76:77], v[60:61], 0
	s_waitcnt vmcnt(16)
	v_fmac_f64_e32 v[60:61], v[78:79], v[62:63]
	s_waitcnt vmcnt(14) lgkmcnt(3)
	v_fmac_f64_e32 v[60:61], v[80:81], v[64:65]
	s_waitcnt vmcnt(12)
	v_fmac_f64_e32 v[60:61], v[82:83], v[66:67]
	s_waitcnt vmcnt(10) lgkmcnt(2)
	v_fmac_f64_e32 v[60:61], v[84:85], v[68:69]
	;; [unrolled: 4-line block ×3, first 2 shown]
	s_waitcnt vmcnt(2)
	v_fmac_f64_e32 v[60:61], v[92:93], v[74:75]
	s_waitcnt lgkmcnt(0)
	v_fmac_f64_e32 v[60:61], v[90:91], v[96:97]
	s_waitcnt vmcnt(0)
	v_add_f64 v[60:61], v[94:95], -v[60:61]
	buffer_store_dword v60, off, s[0:3], 0 offset:144
	buffer_store_dword v61, off, s[0:3], 0 offset:148
	s_and_saveexec_b64 s[4:5], vcc
	s_cbranch_execz .LBB27_141
; %bb.140:
	buffer_load_dword v60, off, s[0:3], 0 offset:136
	buffer_load_dword v61, off, s[0:3], 0 offset:140
	s_waitcnt vmcnt(0)
	ds_write_b64 v1, v[60:61]
	buffer_store_dword v58, off, s[0:3], 0 offset:136
	buffer_store_dword v58, off, s[0:3], 0 offset:140
.LBB27_141:
	s_or_b64 exec, exec, s[4:5]
	s_waitcnt lgkmcnt(0)
	; wave barrier
	s_waitcnt lgkmcnt(0)
	buffer_load_dword v80, off, s[0:3], 0 offset:144
	buffer_load_dword v81, off, s[0:3], 0 offset:148
	;; [unrolled: 1-line block ×22, first 2 shown]
	ds_read_b128 v[60:63], v58 offset:368
	ds_read_b128 v[64:67], v58 offset:384
	;; [unrolled: 1-line block ×5, first 2 shown]
	v_cmp_lt_u32_e32 vcc, 16, v0
	s_waitcnt vmcnt(20) lgkmcnt(4)
	v_fma_f64 v[58:59], v[80:81], v[60:61], 0
	s_waitcnt vmcnt(18)
	v_fmac_f64_e32 v[58:59], v[82:83], v[62:63]
	s_waitcnt vmcnt(16) lgkmcnt(3)
	v_fmac_f64_e32 v[58:59], v[84:85], v[64:65]
	s_waitcnt vmcnt(14)
	v_fmac_f64_e32 v[58:59], v[86:87], v[66:67]
	s_waitcnt vmcnt(12) lgkmcnt(2)
	v_fmac_f64_e32 v[58:59], v[88:89], v[68:69]
	;; [unrolled: 4-line block ×3, first 2 shown]
	s_waitcnt vmcnt(3)
	v_fmac_f64_e32 v[58:59], v[98:99], v[74:75]
	s_waitcnt lgkmcnt(0)
	v_fmac_f64_e32 v[58:59], v[96:97], v[76:77]
	s_waitcnt vmcnt(2)
	v_fmac_f64_e32 v[58:59], v[94:95], v[78:79]
	s_waitcnt vmcnt(0)
	v_add_f64 v[58:59], v[100:101], -v[58:59]
	buffer_store_dword v58, off, s[0:3], 0 offset:136
	buffer_store_dword v59, off, s[0:3], 0 offset:140
	s_and_saveexec_b64 s[4:5], vcc
	s_cbranch_execz .LBB27_143
; %bb.142:
	buffer_load_dword v58, off, s[0:3], 0 offset:128
	buffer_load_dword v59, off, s[0:3], 0 offset:132
	v_mov_b32_e32 v60, 0
	buffer_store_dword v60, off, s[0:3], 0 offset:128
	buffer_store_dword v60, off, s[0:3], 0 offset:132
	s_waitcnt vmcnt(2)
	ds_write_b64 v1, v[58:59]
.LBB27_143:
	s_or_b64 exec, exec, s[4:5]
	s_waitcnt lgkmcnt(0)
	; wave barrier
	s_waitcnt lgkmcnt(0)
	buffer_load_dword v80, off, s[0:3], 0 offset:136
	buffer_load_dword v81, off, s[0:3], 0 offset:140
	buffer_load_dword v82, off, s[0:3], 0 offset:144
	buffer_load_dword v83, off, s[0:3], 0 offset:148
	buffer_load_dword v84, off, s[0:3], 0 offset:152
	buffer_load_dword v85, off, s[0:3], 0 offset:156
	buffer_load_dword v86, off, s[0:3], 0 offset:160
	buffer_load_dword v87, off, s[0:3], 0 offset:164
	buffer_load_dword v88, off, s[0:3], 0 offset:168
	buffer_load_dword v89, off, s[0:3], 0 offset:172
	buffer_load_dword v90, off, s[0:3], 0 offset:176
	buffer_load_dword v91, off, s[0:3], 0 offset:180
	buffer_load_dword v92, off, s[0:3], 0 offset:184
	buffer_load_dword v93, off, s[0:3], 0 offset:188
	buffer_load_dword v94, off, s[0:3], 0 offset:216
	buffer_load_dword v96, off, s[0:3], 0 offset:208
	buffer_load_dword v99, off, s[0:3], 0 offset:204
	buffer_load_dword v98, off, s[0:3], 0 offset:200
	buffer_load_dword v101, off, s[0:3], 0 offset:196
	buffer_load_dword v100, off, s[0:3], 0 offset:192
	buffer_load_dword v97, off, s[0:3], 0 offset:212
	buffer_load_dword v95, off, s[0:3], 0 offset:220
	buffer_load_dword v102, off, s[0:3], 0 offset:128
	buffer_load_dword v103, off, s[0:3], 0 offset:132
	v_mov_b32_e32 v58, 0
	ds_read2_b64 v[60:63], v58 offset0:45 offset1:46
	ds_read2_b64 v[64:67], v58 offset0:47 offset1:48
	;; [unrolled: 1-line block ×5, first 2 shown]
	ds_read_b64 v[104:105], v58 offset:440
	v_cmp_lt_u32_e32 vcc, 15, v0
	s_waitcnt vmcnt(22) lgkmcnt(5)
	v_fma_f64 v[60:61], v[80:81], v[60:61], 0
	s_waitcnt vmcnt(20)
	v_fmac_f64_e32 v[60:61], v[82:83], v[62:63]
	s_waitcnt vmcnt(18) lgkmcnt(4)
	v_fmac_f64_e32 v[60:61], v[84:85], v[64:65]
	s_waitcnt vmcnt(16)
	v_fmac_f64_e32 v[60:61], v[86:87], v[66:67]
	s_waitcnt vmcnt(14) lgkmcnt(3)
	v_fmac_f64_e32 v[60:61], v[88:89], v[68:69]
	;; [unrolled: 4-line block ×3, first 2 shown]
	s_waitcnt vmcnt(4)
	v_fmac_f64_e32 v[60:61], v[100:101], v[74:75]
	s_waitcnt lgkmcnt(1)
	v_fmac_f64_e32 v[60:61], v[98:99], v[76:77]
	s_waitcnt vmcnt(3)
	v_fmac_f64_e32 v[60:61], v[96:97], v[78:79]
	s_waitcnt vmcnt(2) lgkmcnt(0)
	v_fmac_f64_e32 v[60:61], v[94:95], v[104:105]
	s_waitcnt vmcnt(0)
	v_add_f64 v[60:61], v[102:103], -v[60:61]
	buffer_store_dword v61, off, s[0:3], 0 offset:132
	buffer_store_dword v60, off, s[0:3], 0 offset:128
	s_and_saveexec_b64 s[4:5], vcc
	s_cbranch_execz .LBB27_145
; %bb.144:
	buffer_load_dword v60, off, s[0:3], 0 offset:120
	buffer_load_dword v61, off, s[0:3], 0 offset:124
	s_waitcnt vmcnt(0)
	ds_write_b64 v1, v[60:61]
	buffer_store_dword v58, off, s[0:3], 0 offset:120
	buffer_store_dword v58, off, s[0:3], 0 offset:124
.LBB27_145:
	s_or_b64 exec, exec, s[4:5]
	s_waitcnt lgkmcnt(0)
	; wave barrier
	s_waitcnt lgkmcnt(0)
	buffer_load_dword v84, off, s[0:3], 0 offset:128
	buffer_load_dword v85, off, s[0:3], 0 offset:132
	;; [unrolled: 1-line block ×26, first 2 shown]
	ds_read_b128 v[60:63], v58 offset:352
	ds_read_b128 v[64:67], v58 offset:368
	;; [unrolled: 1-line block ×6, first 2 shown]
	v_cmp_lt_u32_e32 vcc, 14, v0
	s_waitcnt vmcnt(24) lgkmcnt(5)
	v_fma_f64 v[58:59], v[84:85], v[60:61], 0
	s_waitcnt vmcnt(22)
	v_fmac_f64_e32 v[58:59], v[86:87], v[62:63]
	s_waitcnt vmcnt(20) lgkmcnt(4)
	v_fmac_f64_e32 v[58:59], v[88:89], v[64:65]
	s_waitcnt vmcnt(18)
	v_fmac_f64_e32 v[58:59], v[90:91], v[66:67]
	s_waitcnt vmcnt(16) lgkmcnt(3)
	v_fmac_f64_e32 v[58:59], v[92:93], v[68:69]
	;; [unrolled: 4-line block ×3, first 2 shown]
	s_waitcnt vmcnt(5)
	v_fmac_f64_e32 v[58:59], v[104:105], v[74:75]
	s_waitcnt lgkmcnt(1)
	v_fmac_f64_e32 v[58:59], v[102:103], v[76:77]
	v_fmac_f64_e32 v[58:59], v[100:101], v[78:79]
	s_waitcnt vmcnt(4) lgkmcnt(0)
	v_fmac_f64_e32 v[58:59], v[98:99], v[80:81]
	s_waitcnt vmcnt(2)
	v_fmac_f64_e32 v[58:59], v[106:107], v[82:83]
	s_waitcnt vmcnt(0)
	v_add_f64 v[58:59], v[108:109], -v[58:59]
	buffer_store_dword v59, off, s[0:3], 0 offset:124
	buffer_store_dword v58, off, s[0:3], 0 offset:120
	s_and_saveexec_b64 s[4:5], vcc
	s_cbranch_execz .LBB27_147
; %bb.146:
	buffer_load_dword v58, off, s[0:3], 0 offset:112
	buffer_load_dword v59, off, s[0:3], 0 offset:116
	v_mov_b32_e32 v60, 0
	buffer_store_dword v60, off, s[0:3], 0 offset:112
	buffer_store_dword v60, off, s[0:3], 0 offset:116
	s_waitcnt vmcnt(2)
	ds_write_b64 v1, v[58:59]
.LBB27_147:
	s_or_b64 exec, exec, s[4:5]
	s_waitcnt lgkmcnt(0)
	; wave barrier
	s_waitcnt lgkmcnt(0)
	buffer_load_dword v84, off, s[0:3], 0 offset:120
	buffer_load_dword v85, off, s[0:3], 0 offset:124
	;; [unrolled: 1-line block ×28, first 2 shown]
	v_mov_b32_e32 v58, 0
	ds_read2_b64 v[60:63], v58 offset0:43 offset1:44
	ds_read2_b64 v[64:67], v58 offset0:45 offset1:46
	;; [unrolled: 1-line block ×6, first 2 shown]
	ds_read_b64 v[112:113], v58 offset:440
	v_cmp_lt_u32_e32 vcc, 13, v0
	s_waitcnt vmcnt(26) lgkmcnt(6)
	v_fma_f64 v[60:61], v[84:85], v[60:61], 0
	s_waitcnt vmcnt(24)
	v_fmac_f64_e32 v[60:61], v[86:87], v[62:63]
	s_waitcnt vmcnt(22) lgkmcnt(5)
	v_fmac_f64_e32 v[60:61], v[88:89], v[64:65]
	s_waitcnt vmcnt(20)
	v_fmac_f64_e32 v[60:61], v[90:91], v[66:67]
	s_waitcnt vmcnt(18) lgkmcnt(4)
	v_fmac_f64_e32 v[60:61], v[92:93], v[68:69]
	;; [unrolled: 4-line block ×3, first 2 shown]
	s_waitcnt vmcnt(6)
	v_fmac_f64_e32 v[60:61], v[104:105], v[74:75]
	s_waitcnt lgkmcnt(2)
	v_fmac_f64_e32 v[60:61], v[102:103], v[76:77]
	v_fmac_f64_e32 v[60:61], v[100:101], v[78:79]
	s_waitcnt lgkmcnt(1)
	v_fmac_f64_e32 v[60:61], v[98:99], v[80:81]
	s_waitcnt vmcnt(2)
	v_fmac_f64_e32 v[60:61], v[108:109], v[82:83]
	s_waitcnt lgkmcnt(0)
	v_fmac_f64_e32 v[60:61], v[106:107], v[112:113]
	s_waitcnt vmcnt(0)
	v_add_f64 v[60:61], v[110:111], -v[60:61]
	buffer_store_dword v61, off, s[0:3], 0 offset:116
	buffer_store_dword v60, off, s[0:3], 0 offset:112
	s_and_saveexec_b64 s[4:5], vcc
	s_cbranch_execz .LBB27_149
; %bb.148:
	buffer_load_dword v60, off, s[0:3], 0 offset:104
	buffer_load_dword v61, off, s[0:3], 0 offset:108
	s_waitcnt vmcnt(0)
	ds_write_b64 v1, v[60:61]
	buffer_store_dword v58, off, s[0:3], 0 offset:104
	buffer_store_dword v58, off, s[0:3], 0 offset:108
.LBB27_149:
	s_or_b64 exec, exec, s[4:5]
	s_waitcnt lgkmcnt(0)
	; wave barrier
	s_waitcnt lgkmcnt(0)
	buffer_load_dword v88, off, s[0:3], 0 offset:112
	buffer_load_dword v89, off, s[0:3], 0 offset:116
	buffer_load_dword v90, off, s[0:3], 0 offset:120
	buffer_load_dword v91, off, s[0:3], 0 offset:124
	buffer_load_dword v92, off, s[0:3], 0 offset:128
	buffer_load_dword v93, off, s[0:3], 0 offset:132
	buffer_load_dword v94, off, s[0:3], 0 offset:136
	buffer_load_dword v95, off, s[0:3], 0 offset:140
	buffer_load_dword v96, off, s[0:3], 0 offset:144
	buffer_load_dword v97, off, s[0:3], 0 offset:148
	buffer_load_dword v98, off, s[0:3], 0 offset:152
	buffer_load_dword v99, off, s[0:3], 0 offset:156
	buffer_load_dword v100, off, s[0:3], 0 offset:160
	buffer_load_dword v101, off, s[0:3], 0 offset:164
	buffer_load_dword v103, off, s[0:3], 0 offset:196
	buffer_load_dword v102, off, s[0:3], 0 offset:192
	buffer_load_dword v105, off, s[0:3], 0 offset:188
	buffer_load_dword v104, off, s[0:3], 0 offset:184
	buffer_load_dword v107, off, s[0:3], 0 offset:180
	buffer_load_dword v106, off, s[0:3], 0 offset:176
	buffer_load_dword v109, off, s[0:3], 0 offset:172
	buffer_load_dword v108, off, s[0:3], 0 offset:168
	buffer_load_dword v110, off, s[0:3], 0 offset:216
	buffer_load_dword v113, off, s[0:3], 0 offset:212
	buffer_load_dword v112, off, s[0:3], 0 offset:208
	buffer_load_dword v115, off, s[0:3], 0 offset:204
	buffer_load_dword v114, off, s[0:3], 0 offset:200
	buffer_load_dword v111, off, s[0:3], 0 offset:220
	buffer_load_dword v116, off, s[0:3], 0 offset:104
	buffer_load_dword v117, off, s[0:3], 0 offset:108
	ds_read_b128 v[60:63], v58 offset:336
	ds_read_b128 v[64:67], v58 offset:352
	;; [unrolled: 1-line block ×7, first 2 shown]
	v_cmp_lt_u32_e32 vcc, 12, v0
	s_waitcnt vmcnt(28) lgkmcnt(6)
	v_fma_f64 v[58:59], v[88:89], v[60:61], 0
	s_waitcnt vmcnt(26)
	v_fmac_f64_e32 v[58:59], v[90:91], v[62:63]
	s_waitcnt vmcnt(24) lgkmcnt(5)
	v_fmac_f64_e32 v[58:59], v[92:93], v[64:65]
	s_waitcnt vmcnt(22)
	v_fmac_f64_e32 v[58:59], v[94:95], v[66:67]
	s_waitcnt vmcnt(20) lgkmcnt(4)
	v_fmac_f64_e32 v[58:59], v[96:97], v[68:69]
	;; [unrolled: 4-line block ×3, first 2 shown]
	s_waitcnt vmcnt(8)
	v_fmac_f64_e32 v[58:59], v[108:109], v[74:75]
	s_waitcnt lgkmcnt(2)
	v_fmac_f64_e32 v[58:59], v[106:107], v[76:77]
	v_fmac_f64_e32 v[58:59], v[104:105], v[78:79]
	s_waitcnt lgkmcnt(1)
	v_fmac_f64_e32 v[58:59], v[102:103], v[80:81]
	s_waitcnt vmcnt(3)
	v_fmac_f64_e32 v[58:59], v[114:115], v[82:83]
	s_waitcnt lgkmcnt(0)
	v_fmac_f64_e32 v[58:59], v[112:113], v[84:85]
	s_waitcnt vmcnt(2)
	v_fmac_f64_e32 v[58:59], v[110:111], v[86:87]
	s_waitcnt vmcnt(0)
	v_add_f64 v[58:59], v[116:117], -v[58:59]
	buffer_store_dword v59, off, s[0:3], 0 offset:108
	buffer_store_dword v58, off, s[0:3], 0 offset:104
	s_and_saveexec_b64 s[4:5], vcc
	s_cbranch_execz .LBB27_151
; %bb.150:
	buffer_load_dword v58, off, s[0:3], 0 offset:96
	buffer_load_dword v59, off, s[0:3], 0 offset:100
	v_mov_b32_e32 v60, 0
	buffer_store_dword v60, off, s[0:3], 0 offset:96
	buffer_store_dword v60, off, s[0:3], 0 offset:100
	s_waitcnt vmcnt(2)
	ds_write_b64 v1, v[58:59]
.LBB27_151:
	s_or_b64 exec, exec, s[4:5]
	s_waitcnt lgkmcnt(0)
	; wave barrier
	s_waitcnt lgkmcnt(0)
	buffer_load_dword v88, off, s[0:3], 0 offset:104
	buffer_load_dword v89, off, s[0:3], 0 offset:108
	buffer_load_dword v90, off, s[0:3], 0 offset:112
	buffer_load_dword v91, off, s[0:3], 0 offset:116
	buffer_load_dword v92, off, s[0:3], 0 offset:120
	buffer_load_dword v93, off, s[0:3], 0 offset:124
	buffer_load_dword v94, off, s[0:3], 0 offset:128
	buffer_load_dword v95, off, s[0:3], 0 offset:132
	buffer_load_dword v96, off, s[0:3], 0 offset:136
	buffer_load_dword v97, off, s[0:3], 0 offset:140
	buffer_load_dword v98, off, s[0:3], 0 offset:144
	buffer_load_dword v99, off, s[0:3], 0 offset:148
	buffer_load_dword v100, off, s[0:3], 0 offset:152
	buffer_load_dword v101, off, s[0:3], 0 offset:156
	buffer_load_dword v103, off, s[0:3], 0 offset:188
	buffer_load_dword v102, off, s[0:3], 0 offset:184
	buffer_load_dword v105, off, s[0:3], 0 offset:180
	buffer_load_dword v104, off, s[0:3], 0 offset:176
	buffer_load_dword v107, off, s[0:3], 0 offset:172
	buffer_load_dword v106, off, s[0:3], 0 offset:168
	buffer_load_dword v109, off, s[0:3], 0 offset:164
	buffer_load_dword v108, off, s[0:3], 0 offset:160
	buffer_load_dword v110, off, s[0:3], 0 offset:216
	buffer_load_dword v112, off, s[0:3], 0 offset:208
	buffer_load_dword v115, off, s[0:3], 0 offset:204
	buffer_load_dword v114, off, s[0:3], 0 offset:200
	buffer_load_dword v117, off, s[0:3], 0 offset:196
	buffer_load_dword v116, off, s[0:3], 0 offset:192
	buffer_load_dword v113, off, s[0:3], 0 offset:212
	buffer_load_dword v111, off, s[0:3], 0 offset:220
	buffer_load_dword v118, off, s[0:3], 0 offset:96
	buffer_load_dword v119, off, s[0:3], 0 offset:100
	v_mov_b32_e32 v58, 0
	ds_read2_b64 v[60:63], v58 offset0:41 offset1:42
	ds_read2_b64 v[64:67], v58 offset0:43 offset1:44
	;; [unrolled: 1-line block ×7, first 2 shown]
	ds_read_b64 v[120:121], v58 offset:440
	v_cmp_lt_u32_e32 vcc, 11, v0
	s_waitcnt vmcnt(30) lgkmcnt(7)
	v_fma_f64 v[60:61], v[88:89], v[60:61], 0
	s_waitcnt vmcnt(28)
	v_fmac_f64_e32 v[60:61], v[90:91], v[62:63]
	s_waitcnt vmcnt(26) lgkmcnt(6)
	v_fmac_f64_e32 v[60:61], v[92:93], v[64:65]
	s_waitcnt vmcnt(24)
	v_fmac_f64_e32 v[60:61], v[94:95], v[66:67]
	s_waitcnt vmcnt(22) lgkmcnt(5)
	v_fmac_f64_e32 v[60:61], v[96:97], v[68:69]
	;; [unrolled: 4-line block ×3, first 2 shown]
	s_waitcnt vmcnt(10)
	v_fmac_f64_e32 v[60:61], v[108:109], v[74:75]
	s_waitcnt lgkmcnt(3)
	v_fmac_f64_e32 v[60:61], v[106:107], v[76:77]
	v_fmac_f64_e32 v[60:61], v[104:105], v[78:79]
	s_waitcnt lgkmcnt(2)
	v_fmac_f64_e32 v[60:61], v[102:103], v[80:81]
	s_waitcnt vmcnt(4)
	v_fmac_f64_e32 v[60:61], v[116:117], v[82:83]
	s_waitcnt lgkmcnt(1)
	v_fmac_f64_e32 v[60:61], v[114:115], v[84:85]
	s_waitcnt vmcnt(3)
	v_fmac_f64_e32 v[60:61], v[112:113], v[86:87]
	s_waitcnt vmcnt(2) lgkmcnt(0)
	v_fmac_f64_e32 v[60:61], v[110:111], v[120:121]
	s_waitcnt vmcnt(0)
	v_add_f64 v[60:61], v[118:119], -v[60:61]
	buffer_store_dword v61, off, s[0:3], 0 offset:100
	buffer_store_dword v60, off, s[0:3], 0 offset:96
	s_and_saveexec_b64 s[4:5], vcc
	s_cbranch_execz .LBB27_153
; %bb.152:
	buffer_load_dword v60, off, s[0:3], 0 offset:88
	buffer_load_dword v61, off, s[0:3], 0 offset:92
	s_waitcnt vmcnt(0)
	ds_write_b64 v1, v[60:61]
	buffer_store_dword v58, off, s[0:3], 0 offset:88
	buffer_store_dword v58, off, s[0:3], 0 offset:92
.LBB27_153:
	s_or_b64 exec, exec, s[4:5]
	s_waitcnt lgkmcnt(0)
	; wave barrier
	s_waitcnt lgkmcnt(0)
	buffer_load_dword v92, off, s[0:3], 0 offset:96
	buffer_load_dword v93, off, s[0:3], 0 offset:100
	;; [unrolled: 1-line block ×34, first 2 shown]
	ds_read_b128 v[60:63], v58 offset:320
	ds_read_b128 v[64:67], v58 offset:336
	;; [unrolled: 1-line block ×8, first 2 shown]
	v_cmp_lt_u32_e32 vcc, 10, v0
	s_waitcnt vmcnt(32) lgkmcnt(7)
	v_fma_f64 v[58:59], v[92:93], v[60:61], 0
	s_waitcnt vmcnt(30)
	v_fmac_f64_e32 v[58:59], v[94:95], v[62:63]
	s_waitcnt vmcnt(28) lgkmcnt(6)
	v_fmac_f64_e32 v[58:59], v[96:97], v[64:65]
	s_waitcnt vmcnt(26)
	v_fmac_f64_e32 v[58:59], v[98:99], v[66:67]
	s_waitcnt vmcnt(24) lgkmcnt(5)
	v_fmac_f64_e32 v[58:59], v[100:101], v[68:69]
	;; [unrolled: 4-line block ×3, first 2 shown]
	s_waitcnt vmcnt(12)
	v_fmac_f64_e32 v[58:59], v[112:113], v[74:75]
	s_waitcnt lgkmcnt(3)
	v_fmac_f64_e32 v[58:59], v[110:111], v[76:77]
	v_fmac_f64_e32 v[58:59], v[108:109], v[78:79]
	s_waitcnt lgkmcnt(2)
	v_fmac_f64_e32 v[58:59], v[106:107], v[80:81]
	s_waitcnt vmcnt(5)
	v_fmac_f64_e32 v[58:59], v[120:121], v[82:83]
	s_waitcnt lgkmcnt(1)
	v_fmac_f64_e32 v[58:59], v[118:119], v[84:85]
	v_fmac_f64_e32 v[58:59], v[116:117], v[86:87]
	s_waitcnt vmcnt(4) lgkmcnt(0)
	v_fmac_f64_e32 v[58:59], v[114:115], v[88:89]
	s_waitcnt vmcnt(2)
	v_fmac_f64_e32 v[58:59], v[122:123], v[90:91]
	s_waitcnt vmcnt(0)
	v_add_f64 v[58:59], v[124:125], -v[58:59]
	buffer_store_dword v59, off, s[0:3], 0 offset:92
	buffer_store_dword v58, off, s[0:3], 0 offset:88
	s_and_saveexec_b64 s[4:5], vcc
	s_cbranch_execz .LBB27_155
; %bb.154:
	buffer_load_dword v58, off, s[0:3], 0 offset:80
	buffer_load_dword v59, off, s[0:3], 0 offset:84
	v_mov_b32_e32 v60, 0
	buffer_store_dword v60, off, s[0:3], 0 offset:80
	buffer_store_dword v60, off, s[0:3], 0 offset:84
	s_waitcnt vmcnt(2)
	ds_write_b64 v1, v[58:59]
.LBB27_155:
	s_or_b64 exec, exec, s[4:5]
	s_waitcnt lgkmcnt(0)
	; wave barrier
	s_waitcnt lgkmcnt(0)
	buffer_load_dword v58, off, s[0:3], 0 offset:80
	buffer_load_dword v59, off, s[0:3], 0 offset:84
	;; [unrolled: 1-line block ×16, first 2 shown]
	v_mov_b32_e32 v62, 0
	ds_read2_b64 v[64:67], v62 offset0:39 offset1:40
	v_cmp_lt_u32_e32 vcc, 9, v0
	s_waitcnt vmcnt(12) lgkmcnt(0)
	v_fma_f64 v[60:61], v[60:61], v[64:65], 0
	s_waitcnt vmcnt(10)
	v_fmac_f64_e32 v[60:61], v[68:69], v[66:67]
	ds_read2_b64 v[64:67], v62 offset0:41 offset1:42
	s_waitcnt vmcnt(8) lgkmcnt(0)
	v_fmac_f64_e32 v[60:61], v[70:71], v[64:65]
	s_waitcnt vmcnt(6)
	v_fmac_f64_e32 v[60:61], v[72:73], v[66:67]
	ds_read2_b64 v[64:67], v62 offset0:43 offset1:44
	s_waitcnt vmcnt(4) lgkmcnt(0)
	v_fmac_f64_e32 v[60:61], v[74:75], v[64:65]
	;; [unrolled: 5-line block ×3, first 2 shown]
	buffer_load_dword v65, off, s[0:3], 0 offset:148
	buffer_load_dword v64, off, s[0:3], 0 offset:144
	buffer_load_dword v69, off, s[0:3], 0 offset:156
	buffer_load_dword v68, off, s[0:3], 0 offset:152
	s_waitcnt vmcnt(2)
	v_fmac_f64_e32 v[60:61], v[64:65], v[66:67]
	ds_read2_b64 v[64:67], v62 offset0:47 offset1:48
	s_waitcnt vmcnt(0) lgkmcnt(0)
	v_fmac_f64_e32 v[60:61], v[68:69], v[64:65]
	buffer_load_dword v65, off, s[0:3], 0 offset:164
	buffer_load_dword v64, off, s[0:3], 0 offset:160
	buffer_load_dword v69, off, s[0:3], 0 offset:172
	buffer_load_dword v68, off, s[0:3], 0 offset:168
	s_waitcnt vmcnt(2)
	v_fmac_f64_e32 v[60:61], v[64:65], v[66:67]
	ds_read2_b64 v[64:67], v62 offset0:49 offset1:50
	s_waitcnt vmcnt(0) lgkmcnt(0)
	v_fmac_f64_e32 v[60:61], v[68:69], v[64:65]
	;; [unrolled: 9-line block ×4, first 2 shown]
	buffer_load_dword v65, off, s[0:3], 0 offset:212
	buffer_load_dword v64, off, s[0:3], 0 offset:208
	s_waitcnt vmcnt(0)
	v_fmac_f64_e32 v[60:61], v[64:65], v[66:67]
	buffer_load_dword v65, off, s[0:3], 0 offset:220
	buffer_load_dword v64, off, s[0:3], 0 offset:216
	ds_read_b64 v[66:67], v62 offset:440
	s_waitcnt vmcnt(0) lgkmcnt(0)
	v_fmac_f64_e32 v[60:61], v[64:65], v[66:67]
	v_add_f64 v[58:59], v[58:59], -v[60:61]
	buffer_store_dword v59, off, s[0:3], 0 offset:84
	buffer_store_dword v58, off, s[0:3], 0 offset:80
	s_and_saveexec_b64 s[4:5], vcc
	s_cbranch_execz .LBB27_157
; %bb.156:
	buffer_load_dword v58, off, s[0:3], 0 offset:72
	buffer_load_dword v59, off, s[0:3], 0 offset:76
	s_waitcnt vmcnt(0)
	ds_write_b64 v1, v[58:59]
	buffer_store_dword v62, off, s[0:3], 0 offset:72
	buffer_store_dword v62, off, s[0:3], 0 offset:76
.LBB27_157:
	s_or_b64 exec, exec, s[4:5]
	s_waitcnt lgkmcnt(0)
	; wave barrier
	s_waitcnt lgkmcnt(0)
	buffer_load_dword v58, off, s[0:3], 0 offset:72
	buffer_load_dword v59, off, s[0:3], 0 offset:76
	;; [unrolled: 1-line block ×16, first 2 shown]
	ds_read_b128 v[64:67], v62 offset:304
	ds_read_b128 v[68:71], v62 offset:320
	;; [unrolled: 1-line block ×4, first 2 shown]
	v_cmp_lt_u32_e32 vcc, 8, v0
	s_waitcnt vmcnt(12) lgkmcnt(3)
	v_fma_f64 v[60:61], v[60:61], v[64:65], 0
	buffer_load_dword v65, off, s[0:3], 0 offset:140
	buffer_load_dword v64, off, s[0:3], 0 offset:136
	s_waitcnt vmcnt(12)
	v_fmac_f64_e32 v[60:61], v[80:81], v[66:67]
	s_waitcnt vmcnt(10) lgkmcnt(2)
	v_fmac_f64_e32 v[60:61], v[82:83], v[68:69]
	buffer_load_dword v69, off, s[0:3], 0 offset:148
	buffer_load_dword v68, off, s[0:3], 0 offset:144
	s_waitcnt vmcnt(10)
	v_fmac_f64_e32 v[60:61], v[84:85], v[70:71]
	s_waitcnt vmcnt(8) lgkmcnt(1)
	v_fmac_f64_e32 v[60:61], v[86:87], v[72:73]
	s_waitcnt vmcnt(6)
	v_fmac_f64_e32 v[60:61], v[88:89], v[74:75]
	s_waitcnt vmcnt(4) lgkmcnt(0)
	v_fmac_f64_e32 v[60:61], v[90:91], v[76:77]
	s_waitcnt vmcnt(2)
	v_fmac_f64_e32 v[60:61], v[64:65], v[78:79]
	ds_read_b128 v[64:67], v62 offset:368
	s_waitcnt vmcnt(0) lgkmcnt(0)
	v_fmac_f64_e32 v[60:61], v[68:69], v[64:65]
	buffer_load_dword v65, off, s[0:3], 0 offset:156
	buffer_load_dword v64, off, s[0:3], 0 offset:152
	buffer_load_dword v69, off, s[0:3], 0 offset:164
	buffer_load_dword v68, off, s[0:3], 0 offset:160
	s_waitcnt vmcnt(2)
	v_fmac_f64_e32 v[60:61], v[64:65], v[66:67]
	ds_read_b128 v[64:67], v62 offset:384
	s_waitcnt vmcnt(0) lgkmcnt(0)
	v_fmac_f64_e32 v[60:61], v[68:69], v[64:65]
	buffer_load_dword v65, off, s[0:3], 0 offset:172
	buffer_load_dword v64, off, s[0:3], 0 offset:168
	buffer_load_dword v69, off, s[0:3], 0 offset:180
	buffer_load_dword v68, off, s[0:3], 0 offset:176
	;; [unrolled: 9-line block ×3, first 2 shown]
	s_waitcnt vmcnt(2)
	v_fmac_f64_e32 v[60:61], v[64:65], v[66:67]
	ds_read_b128 v[64:67], v62 offset:416
	s_waitcnt vmcnt(0) lgkmcnt(0)
	v_fmac_f64_e32 v[60:61], v[68:69], v[64:65]
	buffer_load_dword v65, off, s[0:3], 0 offset:204
	buffer_load_dword v64, off, s[0:3], 0 offset:200
	s_waitcnt vmcnt(0)
	v_fmac_f64_e32 v[60:61], v[64:65], v[66:67]
	buffer_load_dword v67, off, s[0:3], 0 offset:212
	buffer_load_dword v66, off, s[0:3], 0 offset:208
	ds_read_b128 v[62:65], v62 offset:432
	s_waitcnt vmcnt(0) lgkmcnt(0)
	v_fmac_f64_e32 v[60:61], v[66:67], v[62:63]
	buffer_load_dword v63, off, s[0:3], 0 offset:220
	buffer_load_dword v62, off, s[0:3], 0 offset:216
	s_waitcnt vmcnt(0)
	v_fmac_f64_e32 v[60:61], v[62:63], v[64:65]
	v_add_f64 v[58:59], v[58:59], -v[60:61]
	buffer_store_dword v59, off, s[0:3], 0 offset:76
	buffer_store_dword v58, off, s[0:3], 0 offset:72
	s_and_saveexec_b64 s[4:5], vcc
	s_cbranch_execz .LBB27_159
; %bb.158:
	buffer_load_dword v58, off, s[0:3], 0 offset:64
	buffer_load_dword v59, off, s[0:3], 0 offset:68
	v_mov_b32_e32 v60, 0
	buffer_store_dword v60, off, s[0:3], 0 offset:64
	buffer_store_dword v60, off, s[0:3], 0 offset:68
	s_waitcnt vmcnt(2)
	ds_write_b64 v1, v[58:59]
.LBB27_159:
	s_or_b64 exec, exec, s[4:5]
	s_waitcnt lgkmcnt(0)
	; wave barrier
	s_waitcnt lgkmcnt(0)
	buffer_load_dword v58, off, s[0:3], 0 offset:64
	buffer_load_dword v59, off, s[0:3], 0 offset:68
	;; [unrolled: 1-line block ×16, first 2 shown]
	v_mov_b32_e32 v62, 0
	ds_read2_b64 v[64:67], v62 offset0:37 offset1:38
	v_cmp_lt_u32_e32 vcc, 7, v0
	s_waitcnt vmcnt(12) lgkmcnt(0)
	v_fma_f64 v[60:61], v[60:61], v[64:65], 0
	s_waitcnt vmcnt(10)
	v_fmac_f64_e32 v[60:61], v[68:69], v[66:67]
	ds_read2_b64 v[64:67], v62 offset0:39 offset1:40
	s_waitcnt vmcnt(8) lgkmcnt(0)
	v_fmac_f64_e32 v[60:61], v[70:71], v[64:65]
	s_waitcnt vmcnt(6)
	v_fmac_f64_e32 v[60:61], v[72:73], v[66:67]
	ds_read2_b64 v[64:67], v62 offset0:41 offset1:42
	s_waitcnt vmcnt(4) lgkmcnt(0)
	v_fmac_f64_e32 v[60:61], v[74:75], v[64:65]
	;; [unrolled: 5-line block ×3, first 2 shown]
	buffer_load_dword v65, off, s[0:3], 0 offset:132
	buffer_load_dword v64, off, s[0:3], 0 offset:128
	buffer_load_dword v69, off, s[0:3], 0 offset:140
	buffer_load_dword v68, off, s[0:3], 0 offset:136
	s_waitcnt vmcnt(2)
	v_fmac_f64_e32 v[60:61], v[64:65], v[66:67]
	ds_read2_b64 v[64:67], v62 offset0:45 offset1:46
	s_waitcnt vmcnt(0) lgkmcnt(0)
	v_fmac_f64_e32 v[60:61], v[68:69], v[64:65]
	buffer_load_dword v65, off, s[0:3], 0 offset:148
	buffer_load_dword v64, off, s[0:3], 0 offset:144
	buffer_load_dword v69, off, s[0:3], 0 offset:156
	buffer_load_dword v68, off, s[0:3], 0 offset:152
	s_waitcnt vmcnt(2)
	v_fmac_f64_e32 v[60:61], v[64:65], v[66:67]
	ds_read2_b64 v[64:67], v62 offset0:47 offset1:48
	s_waitcnt vmcnt(0) lgkmcnt(0)
	v_fmac_f64_e32 v[60:61], v[68:69], v[64:65]
	;; [unrolled: 9-line block ×5, first 2 shown]
	buffer_load_dword v65, off, s[0:3], 0 offset:212
	buffer_load_dword v64, off, s[0:3], 0 offset:208
	s_waitcnt vmcnt(0)
	v_fmac_f64_e32 v[60:61], v[64:65], v[66:67]
	buffer_load_dword v65, off, s[0:3], 0 offset:220
	buffer_load_dword v64, off, s[0:3], 0 offset:216
	ds_read_b64 v[66:67], v62 offset:440
	s_waitcnt vmcnt(0) lgkmcnt(0)
	v_fmac_f64_e32 v[60:61], v[64:65], v[66:67]
	v_add_f64 v[58:59], v[58:59], -v[60:61]
	buffer_store_dword v59, off, s[0:3], 0 offset:68
	buffer_store_dword v58, off, s[0:3], 0 offset:64
	s_and_saveexec_b64 s[4:5], vcc
	s_cbranch_execz .LBB27_161
; %bb.160:
	buffer_load_dword v58, off, s[0:3], 0 offset:56
	buffer_load_dword v59, off, s[0:3], 0 offset:60
	s_waitcnt vmcnt(0)
	ds_write_b64 v1, v[58:59]
	buffer_store_dword v62, off, s[0:3], 0 offset:56
	buffer_store_dword v62, off, s[0:3], 0 offset:60
.LBB27_161:
	s_or_b64 exec, exec, s[4:5]
	s_waitcnt lgkmcnt(0)
	; wave barrier
	s_waitcnt lgkmcnt(0)
	buffer_load_dword v58, off, s[0:3], 0 offset:56
	buffer_load_dword v59, off, s[0:3], 0 offset:60
	buffer_load_dword v60, off, s[0:3], 0 offset:64
	buffer_load_dword v61, off, s[0:3], 0 offset:68
	buffer_load_dword v80, off, s[0:3], 0 offset:72
	buffer_load_dword v81, off, s[0:3], 0 offset:76
	buffer_load_dword v82, off, s[0:3], 0 offset:80
	buffer_load_dword v83, off, s[0:3], 0 offset:84
	buffer_load_dword v84, off, s[0:3], 0 offset:88
	buffer_load_dword v85, off, s[0:3], 0 offset:92
	buffer_load_dword v86, off, s[0:3], 0 offset:96
	buffer_load_dword v87, off, s[0:3], 0 offset:100
	buffer_load_dword v88, off, s[0:3], 0 offset:104
	buffer_load_dword v89, off, s[0:3], 0 offset:108
	buffer_load_dword v90, off, s[0:3], 0 offset:112
	buffer_load_dword v91, off, s[0:3], 0 offset:116
	ds_read_b128 v[64:67], v62 offset:288
	ds_read_b128 v[68:71], v62 offset:304
	;; [unrolled: 1-line block ×4, first 2 shown]
	v_cmp_lt_u32_e32 vcc, 6, v0
	s_waitcnt vmcnt(12) lgkmcnt(3)
	v_fma_f64 v[60:61], v[60:61], v[64:65], 0
	buffer_load_dword v65, off, s[0:3], 0 offset:124
	buffer_load_dword v64, off, s[0:3], 0 offset:120
	s_waitcnt vmcnt(12)
	v_fmac_f64_e32 v[60:61], v[80:81], v[66:67]
	s_waitcnt vmcnt(10) lgkmcnt(2)
	v_fmac_f64_e32 v[60:61], v[82:83], v[68:69]
	buffer_load_dword v69, off, s[0:3], 0 offset:132
	buffer_load_dword v68, off, s[0:3], 0 offset:128
	s_waitcnt vmcnt(10)
	v_fmac_f64_e32 v[60:61], v[84:85], v[70:71]
	s_waitcnt vmcnt(8) lgkmcnt(1)
	v_fmac_f64_e32 v[60:61], v[86:87], v[72:73]
	s_waitcnt vmcnt(6)
	v_fmac_f64_e32 v[60:61], v[88:89], v[74:75]
	s_waitcnt vmcnt(4) lgkmcnt(0)
	v_fmac_f64_e32 v[60:61], v[90:91], v[76:77]
	s_waitcnt vmcnt(2)
	v_fmac_f64_e32 v[60:61], v[64:65], v[78:79]
	ds_read_b128 v[64:67], v62 offset:352
	s_waitcnt vmcnt(0) lgkmcnt(0)
	v_fmac_f64_e32 v[60:61], v[68:69], v[64:65]
	buffer_load_dword v65, off, s[0:3], 0 offset:140
	buffer_load_dword v64, off, s[0:3], 0 offset:136
	buffer_load_dword v69, off, s[0:3], 0 offset:148
	buffer_load_dword v68, off, s[0:3], 0 offset:144
	s_waitcnt vmcnt(2)
	v_fmac_f64_e32 v[60:61], v[64:65], v[66:67]
	ds_read_b128 v[64:67], v62 offset:368
	s_waitcnt vmcnt(0) lgkmcnt(0)
	v_fmac_f64_e32 v[60:61], v[68:69], v[64:65]
	buffer_load_dword v65, off, s[0:3], 0 offset:156
	buffer_load_dword v64, off, s[0:3], 0 offset:152
	buffer_load_dword v69, off, s[0:3], 0 offset:164
	buffer_load_dword v68, off, s[0:3], 0 offset:160
	;; [unrolled: 9-line block ×4, first 2 shown]
	s_waitcnt vmcnt(2)
	v_fmac_f64_e32 v[60:61], v[64:65], v[66:67]
	ds_read_b128 v[64:67], v62 offset:416
	s_waitcnt vmcnt(0) lgkmcnt(0)
	v_fmac_f64_e32 v[60:61], v[68:69], v[64:65]
	buffer_load_dword v65, off, s[0:3], 0 offset:204
	buffer_load_dword v64, off, s[0:3], 0 offset:200
	s_waitcnt vmcnt(0)
	v_fmac_f64_e32 v[60:61], v[64:65], v[66:67]
	buffer_load_dword v67, off, s[0:3], 0 offset:212
	buffer_load_dword v66, off, s[0:3], 0 offset:208
	ds_read_b128 v[62:65], v62 offset:432
	s_waitcnt vmcnt(0) lgkmcnt(0)
	v_fmac_f64_e32 v[60:61], v[66:67], v[62:63]
	buffer_load_dword v63, off, s[0:3], 0 offset:220
	buffer_load_dword v62, off, s[0:3], 0 offset:216
	s_waitcnt vmcnt(0)
	v_fmac_f64_e32 v[60:61], v[62:63], v[64:65]
	v_add_f64 v[58:59], v[58:59], -v[60:61]
	buffer_store_dword v59, off, s[0:3], 0 offset:60
	buffer_store_dword v58, off, s[0:3], 0 offset:56
	s_and_saveexec_b64 s[4:5], vcc
	s_cbranch_execz .LBB27_163
; %bb.162:
	buffer_load_dword v58, off, s[0:3], 0 offset:48
	buffer_load_dword v59, off, s[0:3], 0 offset:52
	v_mov_b32_e32 v60, 0
	buffer_store_dword v60, off, s[0:3], 0 offset:48
	buffer_store_dword v60, off, s[0:3], 0 offset:52
	s_waitcnt vmcnt(2)
	ds_write_b64 v1, v[58:59]
.LBB27_163:
	s_or_b64 exec, exec, s[4:5]
	s_waitcnt lgkmcnt(0)
	; wave barrier
	s_waitcnt lgkmcnt(0)
	buffer_load_dword v58, off, s[0:3], 0 offset:48
	buffer_load_dword v59, off, s[0:3], 0 offset:52
	;; [unrolled: 1-line block ×16, first 2 shown]
	v_mov_b32_e32 v62, 0
	ds_read2_b64 v[64:67], v62 offset0:35 offset1:36
	v_cmp_lt_u32_e32 vcc, 5, v0
	s_waitcnt vmcnt(12) lgkmcnt(0)
	v_fma_f64 v[60:61], v[60:61], v[64:65], 0
	s_waitcnt vmcnt(10)
	v_fmac_f64_e32 v[60:61], v[68:69], v[66:67]
	ds_read2_b64 v[64:67], v62 offset0:37 offset1:38
	s_waitcnt vmcnt(8) lgkmcnt(0)
	v_fmac_f64_e32 v[60:61], v[70:71], v[64:65]
	s_waitcnt vmcnt(6)
	v_fmac_f64_e32 v[60:61], v[72:73], v[66:67]
	ds_read2_b64 v[64:67], v62 offset0:39 offset1:40
	s_waitcnt vmcnt(4) lgkmcnt(0)
	v_fmac_f64_e32 v[60:61], v[74:75], v[64:65]
	;; [unrolled: 5-line block ×3, first 2 shown]
	buffer_load_dword v65, off, s[0:3], 0 offset:116
	buffer_load_dword v64, off, s[0:3], 0 offset:112
	buffer_load_dword v69, off, s[0:3], 0 offset:124
	buffer_load_dword v68, off, s[0:3], 0 offset:120
	s_waitcnt vmcnt(2)
	v_fmac_f64_e32 v[60:61], v[64:65], v[66:67]
	ds_read2_b64 v[64:67], v62 offset0:43 offset1:44
	s_waitcnt vmcnt(0) lgkmcnt(0)
	v_fmac_f64_e32 v[60:61], v[68:69], v[64:65]
	buffer_load_dword v65, off, s[0:3], 0 offset:132
	buffer_load_dword v64, off, s[0:3], 0 offset:128
	buffer_load_dword v69, off, s[0:3], 0 offset:140
	buffer_load_dword v68, off, s[0:3], 0 offset:136
	s_waitcnt vmcnt(2)
	v_fmac_f64_e32 v[60:61], v[64:65], v[66:67]
	ds_read2_b64 v[64:67], v62 offset0:45 offset1:46
	s_waitcnt vmcnt(0) lgkmcnt(0)
	v_fmac_f64_e32 v[60:61], v[68:69], v[64:65]
	;; [unrolled: 9-line block ×6, first 2 shown]
	buffer_load_dword v65, off, s[0:3], 0 offset:212
	buffer_load_dword v64, off, s[0:3], 0 offset:208
	s_waitcnt vmcnt(0)
	v_fmac_f64_e32 v[60:61], v[64:65], v[66:67]
	buffer_load_dword v65, off, s[0:3], 0 offset:220
	buffer_load_dword v64, off, s[0:3], 0 offset:216
	ds_read_b64 v[66:67], v62 offset:440
	s_waitcnt vmcnt(0) lgkmcnt(0)
	v_fmac_f64_e32 v[60:61], v[64:65], v[66:67]
	v_add_f64 v[58:59], v[58:59], -v[60:61]
	buffer_store_dword v59, off, s[0:3], 0 offset:52
	buffer_store_dword v58, off, s[0:3], 0 offset:48
	s_and_saveexec_b64 s[4:5], vcc
	s_cbranch_execz .LBB27_165
; %bb.164:
	buffer_load_dword v58, off, s[0:3], 0 offset:40
	buffer_load_dword v59, off, s[0:3], 0 offset:44
	s_waitcnt vmcnt(0)
	ds_write_b64 v1, v[58:59]
	buffer_store_dword v62, off, s[0:3], 0 offset:40
	buffer_store_dword v62, off, s[0:3], 0 offset:44
.LBB27_165:
	s_or_b64 exec, exec, s[4:5]
	s_waitcnt lgkmcnt(0)
	; wave barrier
	s_waitcnt lgkmcnt(0)
	buffer_load_dword v58, off, s[0:3], 0 offset:40
	buffer_load_dword v59, off, s[0:3], 0 offset:44
	;; [unrolled: 1-line block ×16, first 2 shown]
	ds_read_b128 v[64:67], v62 offset:272
	ds_read_b128 v[68:71], v62 offset:288
	;; [unrolled: 1-line block ×4, first 2 shown]
	v_cmp_lt_u32_e32 vcc, 4, v0
	s_waitcnt vmcnt(12) lgkmcnt(3)
	v_fma_f64 v[60:61], v[60:61], v[64:65], 0
	buffer_load_dword v65, off, s[0:3], 0 offset:108
	buffer_load_dword v64, off, s[0:3], 0 offset:104
	s_waitcnt vmcnt(12)
	v_fmac_f64_e32 v[60:61], v[80:81], v[66:67]
	s_waitcnt vmcnt(10) lgkmcnt(2)
	v_fmac_f64_e32 v[60:61], v[82:83], v[68:69]
	buffer_load_dword v69, off, s[0:3], 0 offset:116
	buffer_load_dword v68, off, s[0:3], 0 offset:112
	s_waitcnt vmcnt(10)
	v_fmac_f64_e32 v[60:61], v[84:85], v[70:71]
	s_waitcnt vmcnt(8) lgkmcnt(1)
	v_fmac_f64_e32 v[60:61], v[86:87], v[72:73]
	s_waitcnt vmcnt(6)
	v_fmac_f64_e32 v[60:61], v[88:89], v[74:75]
	s_waitcnt vmcnt(4) lgkmcnt(0)
	v_fmac_f64_e32 v[60:61], v[90:91], v[76:77]
	s_waitcnt vmcnt(2)
	v_fmac_f64_e32 v[60:61], v[64:65], v[78:79]
	ds_read_b128 v[64:67], v62 offset:336
	s_waitcnt vmcnt(0) lgkmcnt(0)
	v_fmac_f64_e32 v[60:61], v[68:69], v[64:65]
	buffer_load_dword v65, off, s[0:3], 0 offset:124
	buffer_load_dword v64, off, s[0:3], 0 offset:120
	buffer_load_dword v69, off, s[0:3], 0 offset:132
	buffer_load_dword v68, off, s[0:3], 0 offset:128
	s_waitcnt vmcnt(2)
	v_fmac_f64_e32 v[60:61], v[64:65], v[66:67]
	ds_read_b128 v[64:67], v62 offset:352
	s_waitcnt vmcnt(0) lgkmcnt(0)
	v_fmac_f64_e32 v[60:61], v[68:69], v[64:65]
	buffer_load_dword v65, off, s[0:3], 0 offset:140
	buffer_load_dword v64, off, s[0:3], 0 offset:136
	buffer_load_dword v69, off, s[0:3], 0 offset:148
	buffer_load_dword v68, off, s[0:3], 0 offset:144
	s_waitcnt vmcnt(2)
	v_fmac_f64_e32 v[60:61], v[64:65], v[66:67]
	ds_read_b128 v[64:67], v62 offset:368
	s_waitcnt vmcnt(0) lgkmcnt(0)
	v_fmac_f64_e32 v[60:61], v[68:69], v[64:65]
	buffer_load_dword v65, off, s[0:3], 0 offset:156
	buffer_load_dword v64, off, s[0:3], 0 offset:152
	buffer_load_dword v69, off, s[0:3], 0 offset:164
	buffer_load_dword v68, off, s[0:3], 0 offset:160
	s_waitcnt vmcnt(2)
	v_fmac_f64_e32 v[60:61], v[64:65], v[66:67]
	ds_read_b128 v[64:67], v62 offset:384
	s_waitcnt vmcnt(0) lgkmcnt(0)
	v_fmac_f64_e32 v[60:61], v[68:69], v[64:65]
	buffer_load_dword v65, off, s[0:3], 0 offset:172
	buffer_load_dword v64, off, s[0:3], 0 offset:168
	buffer_load_dword v69, off, s[0:3], 0 offset:180
	buffer_load_dword v68, off, s[0:3], 0 offset:176
	s_waitcnt vmcnt(2)
	v_fmac_f64_e32 v[60:61], v[64:65], v[66:67]
	ds_read_b128 v[64:67], v62 offset:400
	s_waitcnt vmcnt(0) lgkmcnt(0)
	v_fmac_f64_e32 v[60:61], v[68:69], v[64:65]
	buffer_load_dword v65, off, s[0:3], 0 offset:188
	buffer_load_dword v64, off, s[0:3], 0 offset:184
	buffer_load_dword v69, off, s[0:3], 0 offset:196
	buffer_load_dword v68, off, s[0:3], 0 offset:192
	s_waitcnt vmcnt(2)
	v_fmac_f64_e32 v[60:61], v[64:65], v[66:67]
	ds_read_b128 v[64:67], v62 offset:416
	s_waitcnt vmcnt(0) lgkmcnt(0)
	v_fmac_f64_e32 v[60:61], v[68:69], v[64:65]
	buffer_load_dword v65, off, s[0:3], 0 offset:204
	buffer_load_dword v64, off, s[0:3], 0 offset:200
	s_waitcnt vmcnt(0)
	v_fmac_f64_e32 v[60:61], v[64:65], v[66:67]
	buffer_load_dword v67, off, s[0:3], 0 offset:212
	buffer_load_dword v66, off, s[0:3], 0 offset:208
	ds_read_b128 v[62:65], v62 offset:432
	s_waitcnt vmcnt(0) lgkmcnt(0)
	v_fmac_f64_e32 v[60:61], v[66:67], v[62:63]
	buffer_load_dword v63, off, s[0:3], 0 offset:220
	buffer_load_dword v62, off, s[0:3], 0 offset:216
	s_waitcnt vmcnt(0)
	v_fmac_f64_e32 v[60:61], v[62:63], v[64:65]
	v_add_f64 v[58:59], v[58:59], -v[60:61]
	buffer_store_dword v59, off, s[0:3], 0 offset:44
	buffer_store_dword v58, off, s[0:3], 0 offset:40
	s_and_saveexec_b64 s[4:5], vcc
	s_cbranch_execz .LBB27_167
; %bb.166:
	buffer_load_dword v58, off, s[0:3], 0 offset:32
	buffer_load_dword v59, off, s[0:3], 0 offset:36
	v_mov_b32_e32 v60, 0
	buffer_store_dword v60, off, s[0:3], 0 offset:32
	buffer_store_dword v60, off, s[0:3], 0 offset:36
	s_waitcnt vmcnt(2)
	ds_write_b64 v1, v[58:59]
.LBB27_167:
	s_or_b64 exec, exec, s[4:5]
	s_waitcnt lgkmcnt(0)
	; wave barrier
	s_waitcnt lgkmcnt(0)
	buffer_load_dword v58, off, s[0:3], 0 offset:32
	buffer_load_dword v59, off, s[0:3], 0 offset:36
	;; [unrolled: 1-line block ×16, first 2 shown]
	v_mov_b32_e32 v62, 0
	ds_read2_b64 v[64:67], v62 offset0:33 offset1:34
	v_cmp_lt_u32_e32 vcc, 3, v0
	s_waitcnt vmcnt(12) lgkmcnt(0)
	v_fma_f64 v[60:61], v[60:61], v[64:65], 0
	s_waitcnt vmcnt(10)
	v_fmac_f64_e32 v[60:61], v[68:69], v[66:67]
	ds_read2_b64 v[64:67], v62 offset0:35 offset1:36
	s_waitcnt vmcnt(8) lgkmcnt(0)
	v_fmac_f64_e32 v[60:61], v[70:71], v[64:65]
	s_waitcnt vmcnt(6)
	v_fmac_f64_e32 v[60:61], v[72:73], v[66:67]
	ds_read2_b64 v[64:67], v62 offset0:37 offset1:38
	s_waitcnt vmcnt(4) lgkmcnt(0)
	v_fmac_f64_e32 v[60:61], v[74:75], v[64:65]
	;; [unrolled: 5-line block ×3, first 2 shown]
	buffer_load_dword v65, off, s[0:3], 0 offset:100
	buffer_load_dword v64, off, s[0:3], 0 offset:96
	buffer_load_dword v69, off, s[0:3], 0 offset:108
	buffer_load_dword v68, off, s[0:3], 0 offset:104
	s_waitcnt vmcnt(2)
	v_fmac_f64_e32 v[60:61], v[64:65], v[66:67]
	ds_read2_b64 v[64:67], v62 offset0:41 offset1:42
	s_waitcnt vmcnt(0) lgkmcnt(0)
	v_fmac_f64_e32 v[60:61], v[68:69], v[64:65]
	buffer_load_dword v65, off, s[0:3], 0 offset:116
	buffer_load_dword v64, off, s[0:3], 0 offset:112
	buffer_load_dword v69, off, s[0:3], 0 offset:124
	buffer_load_dword v68, off, s[0:3], 0 offset:120
	s_waitcnt vmcnt(2)
	v_fmac_f64_e32 v[60:61], v[64:65], v[66:67]
	ds_read2_b64 v[64:67], v62 offset0:43 offset1:44
	s_waitcnt vmcnt(0) lgkmcnt(0)
	v_fmac_f64_e32 v[60:61], v[68:69], v[64:65]
	;; [unrolled: 9-line block ×7, first 2 shown]
	buffer_load_dword v65, off, s[0:3], 0 offset:212
	buffer_load_dword v64, off, s[0:3], 0 offset:208
	s_waitcnt vmcnt(0)
	v_fmac_f64_e32 v[60:61], v[64:65], v[66:67]
	buffer_load_dword v65, off, s[0:3], 0 offset:220
	buffer_load_dword v64, off, s[0:3], 0 offset:216
	ds_read_b64 v[66:67], v62 offset:440
	s_waitcnt vmcnt(0) lgkmcnt(0)
	v_fmac_f64_e32 v[60:61], v[64:65], v[66:67]
	v_add_f64 v[58:59], v[58:59], -v[60:61]
	buffer_store_dword v59, off, s[0:3], 0 offset:36
	buffer_store_dword v58, off, s[0:3], 0 offset:32
	s_and_saveexec_b64 s[4:5], vcc
	s_cbranch_execz .LBB27_169
; %bb.168:
	buffer_load_dword v58, off, s[0:3], 0 offset:24
	buffer_load_dword v59, off, s[0:3], 0 offset:28
	s_waitcnt vmcnt(0)
	ds_write_b64 v1, v[58:59]
	buffer_store_dword v62, off, s[0:3], 0 offset:24
	buffer_store_dword v62, off, s[0:3], 0 offset:28
.LBB27_169:
	s_or_b64 exec, exec, s[4:5]
	s_waitcnt lgkmcnt(0)
	; wave barrier
	s_waitcnt lgkmcnt(0)
	buffer_load_dword v58, off, s[0:3], 0 offset:24
	buffer_load_dword v59, off, s[0:3], 0 offset:28
	;; [unrolled: 1-line block ×16, first 2 shown]
	ds_read_b128 v[64:67], v62 offset:256
	ds_read_b128 v[68:71], v62 offset:272
	;; [unrolled: 1-line block ×4, first 2 shown]
	v_cmp_lt_u32_e32 vcc, 2, v0
	s_waitcnt vmcnt(12) lgkmcnt(3)
	v_fma_f64 v[60:61], v[60:61], v[64:65], 0
	buffer_load_dword v65, off, s[0:3], 0 offset:92
	buffer_load_dword v64, off, s[0:3], 0 offset:88
	s_waitcnt vmcnt(12)
	v_fmac_f64_e32 v[60:61], v[80:81], v[66:67]
	s_waitcnt vmcnt(10) lgkmcnt(2)
	v_fmac_f64_e32 v[60:61], v[82:83], v[68:69]
	buffer_load_dword v69, off, s[0:3], 0 offset:100
	buffer_load_dword v68, off, s[0:3], 0 offset:96
	s_waitcnt vmcnt(10)
	v_fmac_f64_e32 v[60:61], v[84:85], v[70:71]
	s_waitcnt vmcnt(8) lgkmcnt(1)
	v_fmac_f64_e32 v[60:61], v[86:87], v[72:73]
	s_waitcnt vmcnt(6)
	v_fmac_f64_e32 v[60:61], v[88:89], v[74:75]
	s_waitcnt vmcnt(4) lgkmcnt(0)
	v_fmac_f64_e32 v[60:61], v[90:91], v[76:77]
	s_waitcnt vmcnt(2)
	v_fmac_f64_e32 v[60:61], v[64:65], v[78:79]
	ds_read_b128 v[64:67], v62 offset:320
	s_waitcnt vmcnt(0) lgkmcnt(0)
	v_fmac_f64_e32 v[60:61], v[68:69], v[64:65]
	buffer_load_dword v65, off, s[0:3], 0 offset:108
	buffer_load_dword v64, off, s[0:3], 0 offset:104
	buffer_load_dword v69, off, s[0:3], 0 offset:116
	buffer_load_dword v68, off, s[0:3], 0 offset:112
	s_waitcnt vmcnt(2)
	v_fmac_f64_e32 v[60:61], v[64:65], v[66:67]
	ds_read_b128 v[64:67], v62 offset:336
	s_waitcnt vmcnt(0) lgkmcnt(0)
	v_fmac_f64_e32 v[60:61], v[68:69], v[64:65]
	buffer_load_dword v65, off, s[0:3], 0 offset:124
	buffer_load_dword v64, off, s[0:3], 0 offset:120
	buffer_load_dword v69, off, s[0:3], 0 offset:132
	buffer_load_dword v68, off, s[0:3], 0 offset:128
	;; [unrolled: 9-line block ×6, first 2 shown]
	s_waitcnt vmcnt(2)
	v_fmac_f64_e32 v[60:61], v[64:65], v[66:67]
	ds_read_b128 v[64:67], v62 offset:416
	s_waitcnt vmcnt(0) lgkmcnt(0)
	v_fmac_f64_e32 v[60:61], v[68:69], v[64:65]
	buffer_load_dword v65, off, s[0:3], 0 offset:204
	buffer_load_dword v64, off, s[0:3], 0 offset:200
	s_waitcnt vmcnt(0)
	v_fmac_f64_e32 v[60:61], v[64:65], v[66:67]
	buffer_load_dword v67, off, s[0:3], 0 offset:212
	buffer_load_dword v66, off, s[0:3], 0 offset:208
	ds_read_b128 v[62:65], v62 offset:432
	s_waitcnt vmcnt(0) lgkmcnt(0)
	v_fmac_f64_e32 v[60:61], v[66:67], v[62:63]
	buffer_load_dword v63, off, s[0:3], 0 offset:220
	buffer_load_dword v62, off, s[0:3], 0 offset:216
	s_waitcnt vmcnt(0)
	v_fmac_f64_e32 v[60:61], v[62:63], v[64:65]
	v_add_f64 v[58:59], v[58:59], -v[60:61]
	buffer_store_dword v59, off, s[0:3], 0 offset:28
	buffer_store_dword v58, off, s[0:3], 0 offset:24
	s_and_saveexec_b64 s[4:5], vcc
	s_cbranch_execz .LBB27_171
; %bb.170:
	buffer_load_dword v58, off, s[0:3], 0 offset:16
	buffer_load_dword v59, off, s[0:3], 0 offset:20
	v_mov_b32_e32 v60, 0
	buffer_store_dword v60, off, s[0:3], 0 offset:16
	buffer_store_dword v60, off, s[0:3], 0 offset:20
	s_waitcnt vmcnt(2)
	ds_write_b64 v1, v[58:59]
.LBB27_171:
	s_or_b64 exec, exec, s[4:5]
	s_waitcnt lgkmcnt(0)
	; wave barrier
	s_waitcnt lgkmcnt(0)
	buffer_load_dword v58, off, s[0:3], 0 offset:16
	buffer_load_dword v59, off, s[0:3], 0 offset:20
	;; [unrolled: 1-line block ×16, first 2 shown]
	v_mov_b32_e32 v62, 0
	ds_read2_b64 v[64:67], v62 offset0:31 offset1:32
	v_cmp_lt_u32_e32 vcc, 1, v0
	s_waitcnt vmcnt(12) lgkmcnt(0)
	v_fma_f64 v[60:61], v[60:61], v[64:65], 0
	s_waitcnt vmcnt(10)
	v_fmac_f64_e32 v[60:61], v[68:69], v[66:67]
	ds_read2_b64 v[64:67], v62 offset0:33 offset1:34
	s_waitcnt vmcnt(8) lgkmcnt(0)
	v_fmac_f64_e32 v[60:61], v[70:71], v[64:65]
	s_waitcnt vmcnt(6)
	v_fmac_f64_e32 v[60:61], v[72:73], v[66:67]
	ds_read2_b64 v[64:67], v62 offset0:35 offset1:36
	s_waitcnt vmcnt(4) lgkmcnt(0)
	v_fmac_f64_e32 v[60:61], v[74:75], v[64:65]
	;; [unrolled: 5-line block ×3, first 2 shown]
	buffer_load_dword v65, off, s[0:3], 0 offset:84
	buffer_load_dword v64, off, s[0:3], 0 offset:80
	buffer_load_dword v69, off, s[0:3], 0 offset:92
	buffer_load_dword v68, off, s[0:3], 0 offset:88
	s_waitcnt vmcnt(2)
	v_fmac_f64_e32 v[60:61], v[64:65], v[66:67]
	ds_read2_b64 v[64:67], v62 offset0:39 offset1:40
	s_waitcnt vmcnt(0) lgkmcnt(0)
	v_fmac_f64_e32 v[60:61], v[68:69], v[64:65]
	buffer_load_dword v65, off, s[0:3], 0 offset:100
	buffer_load_dword v64, off, s[0:3], 0 offset:96
	buffer_load_dword v69, off, s[0:3], 0 offset:108
	buffer_load_dword v68, off, s[0:3], 0 offset:104
	s_waitcnt vmcnt(2)
	v_fmac_f64_e32 v[60:61], v[64:65], v[66:67]
	ds_read2_b64 v[64:67], v62 offset0:41 offset1:42
	s_waitcnt vmcnt(0) lgkmcnt(0)
	v_fmac_f64_e32 v[60:61], v[68:69], v[64:65]
	;; [unrolled: 9-line block ×8, first 2 shown]
	buffer_load_dword v65, off, s[0:3], 0 offset:212
	buffer_load_dword v64, off, s[0:3], 0 offset:208
	s_waitcnt vmcnt(0)
	v_fmac_f64_e32 v[60:61], v[64:65], v[66:67]
	buffer_load_dword v65, off, s[0:3], 0 offset:220
	buffer_load_dword v64, off, s[0:3], 0 offset:216
	ds_read_b64 v[66:67], v62 offset:440
	s_waitcnt vmcnt(0) lgkmcnt(0)
	v_fmac_f64_e32 v[60:61], v[64:65], v[66:67]
	v_add_f64 v[58:59], v[58:59], -v[60:61]
	buffer_store_dword v59, off, s[0:3], 0 offset:20
	buffer_store_dword v58, off, s[0:3], 0 offset:16
	s_and_saveexec_b64 s[4:5], vcc
	s_cbranch_execz .LBB27_173
; %bb.172:
	buffer_load_dword v58, off, s[0:3], 0 offset:8
	buffer_load_dword v59, off, s[0:3], 0 offset:12
	s_waitcnt vmcnt(0)
	ds_write_b64 v1, v[58:59]
	buffer_store_dword v62, off, s[0:3], 0 offset:8
	buffer_store_dword v62, off, s[0:3], 0 offset:12
.LBB27_173:
	s_or_b64 exec, exec, s[4:5]
	s_waitcnt lgkmcnt(0)
	; wave barrier
	s_waitcnt lgkmcnt(0)
	buffer_load_dword v58, off, s[0:3], 0 offset:8
	buffer_load_dword v59, off, s[0:3], 0 offset:12
	;; [unrolled: 1-line block ×16, first 2 shown]
	ds_read_b128 v[64:67], v62 offset:240
	ds_read_b128 v[68:71], v62 offset:256
	;; [unrolled: 1-line block ×4, first 2 shown]
	v_cmp_ne_u32_e32 vcc, 0, v0
	s_waitcnt vmcnt(12) lgkmcnt(3)
	v_fma_f64 v[60:61], v[60:61], v[64:65], 0
	buffer_load_dword v65, off, s[0:3], 0 offset:76
	buffer_load_dword v64, off, s[0:3], 0 offset:72
	s_waitcnt vmcnt(12)
	v_fmac_f64_e32 v[60:61], v[80:81], v[66:67]
	s_waitcnt vmcnt(10) lgkmcnt(2)
	v_fmac_f64_e32 v[60:61], v[82:83], v[68:69]
	buffer_load_dword v69, off, s[0:3], 0 offset:84
	buffer_load_dword v68, off, s[0:3], 0 offset:80
	s_waitcnt vmcnt(10)
	v_fmac_f64_e32 v[60:61], v[84:85], v[70:71]
	s_waitcnt vmcnt(8) lgkmcnt(1)
	v_fmac_f64_e32 v[60:61], v[86:87], v[72:73]
	s_waitcnt vmcnt(6)
	v_fmac_f64_e32 v[60:61], v[88:89], v[74:75]
	s_waitcnt vmcnt(4) lgkmcnt(0)
	v_fmac_f64_e32 v[60:61], v[90:91], v[76:77]
	s_waitcnt vmcnt(2)
	v_fmac_f64_e32 v[60:61], v[64:65], v[78:79]
	ds_read_b128 v[64:67], v62 offset:304
	s_waitcnt vmcnt(0) lgkmcnt(0)
	v_fmac_f64_e32 v[60:61], v[68:69], v[64:65]
	buffer_load_dword v65, off, s[0:3], 0 offset:92
	buffer_load_dword v64, off, s[0:3], 0 offset:88
	buffer_load_dword v69, off, s[0:3], 0 offset:100
	buffer_load_dword v68, off, s[0:3], 0 offset:96
	s_waitcnt vmcnt(2)
	v_fmac_f64_e32 v[60:61], v[64:65], v[66:67]
	ds_read_b128 v[64:67], v62 offset:320
	s_waitcnt vmcnt(0) lgkmcnt(0)
	v_fmac_f64_e32 v[60:61], v[68:69], v[64:65]
	buffer_load_dword v65, off, s[0:3], 0 offset:108
	buffer_load_dword v64, off, s[0:3], 0 offset:104
	buffer_load_dword v69, off, s[0:3], 0 offset:116
	buffer_load_dword v68, off, s[0:3], 0 offset:112
	;; [unrolled: 9-line block ×7, first 2 shown]
	s_waitcnt vmcnt(2)
	v_fmac_f64_e32 v[60:61], v[64:65], v[66:67]
	ds_read_b128 v[64:67], v62 offset:416
	s_waitcnt vmcnt(0) lgkmcnt(0)
	v_fmac_f64_e32 v[60:61], v[68:69], v[64:65]
	buffer_load_dword v65, off, s[0:3], 0 offset:204
	buffer_load_dword v64, off, s[0:3], 0 offset:200
	s_waitcnt vmcnt(0)
	v_fmac_f64_e32 v[60:61], v[64:65], v[66:67]
	buffer_load_dword v67, off, s[0:3], 0 offset:212
	buffer_load_dword v66, off, s[0:3], 0 offset:208
	ds_read_b128 v[62:65], v62 offset:432
	s_waitcnt vmcnt(0) lgkmcnt(0)
	v_fmac_f64_e32 v[60:61], v[66:67], v[62:63]
	buffer_load_dword v63, off, s[0:3], 0 offset:220
	buffer_load_dword v62, off, s[0:3], 0 offset:216
	s_waitcnt vmcnt(0)
	v_fmac_f64_e32 v[60:61], v[62:63], v[64:65]
	v_add_f64 v[58:59], v[58:59], -v[60:61]
	buffer_store_dword v59, off, s[0:3], 0 offset:12
	buffer_store_dword v58, off, s[0:3], 0 offset:8
	s_and_saveexec_b64 s[4:5], vcc
	s_cbranch_execz .LBB27_175
; %bb.174:
	buffer_load_dword v58, off, s[0:3], 0
	buffer_load_dword v59, off, s[0:3], 0 offset:4
	v_mov_b32_e32 v0, 0
	buffer_store_dword v0, off, s[0:3], 0
	buffer_store_dword v0, off, s[0:3], 0 offset:4
	s_waitcnt vmcnt(2)
	ds_write_b64 v1, v[58:59]
.LBB27_175:
	s_or_b64 exec, exec, s[4:5]
	s_waitcnt lgkmcnt(0)
	; wave barrier
	s_waitcnt lgkmcnt(0)
	buffer_load_dword v0, off, s[0:3], 0
	buffer_load_dword v1, off, s[0:3], 0 offset:4
	buffer_load_dword v62, off, s[0:3], 0 offset:8
	;; [unrolled: 1-line block ×15, first 2 shown]
	v_mov_b32_e32 v76, 0
	ds_read2_b64 v[58:61], v76 offset0:29 offset1:30
	s_and_b64 vcc, exec, s[20:21]
	s_waitcnt vmcnt(12) lgkmcnt(0)
	v_fma_f64 v[58:59], v[62:63], v[58:59], 0
	s_waitcnt vmcnt(10)
	v_fmac_f64_e32 v[58:59], v[64:65], v[60:61]
	ds_read2_b64 v[60:63], v76 offset0:31 offset1:32
	s_waitcnt vmcnt(8) lgkmcnt(0)
	v_fmac_f64_e32 v[58:59], v[66:67], v[60:61]
	s_waitcnt vmcnt(6)
	v_fmac_f64_e32 v[58:59], v[68:69], v[62:63]
	ds_read2_b64 v[60:63], v76 offset0:33 offset1:34
	s_waitcnt vmcnt(4) lgkmcnt(0)
	v_fmac_f64_e32 v[58:59], v[70:71], v[60:61]
	;; [unrolled: 5-line block ×3, first 2 shown]
	buffer_load_dword v61, off, s[0:3], 0 offset:68
	buffer_load_dword v60, off, s[0:3], 0 offset:64
	buffer_load_dword v65, off, s[0:3], 0 offset:76
	buffer_load_dword v64, off, s[0:3], 0 offset:72
	s_waitcnt vmcnt(2)
	v_fmac_f64_e32 v[58:59], v[60:61], v[62:63]
	ds_read2_b64 v[60:63], v76 offset0:37 offset1:38
	s_waitcnt vmcnt(0) lgkmcnt(0)
	v_fmac_f64_e32 v[58:59], v[64:65], v[60:61]
	buffer_load_dword v61, off, s[0:3], 0 offset:84
	buffer_load_dword v60, off, s[0:3], 0 offset:80
	buffer_load_dword v65, off, s[0:3], 0 offset:92
	buffer_load_dword v64, off, s[0:3], 0 offset:88
	s_waitcnt vmcnt(2)
	v_fmac_f64_e32 v[58:59], v[60:61], v[62:63]
	ds_read2_b64 v[60:63], v76 offset0:39 offset1:40
	s_waitcnt vmcnt(0) lgkmcnt(0)
	v_fmac_f64_e32 v[58:59], v[64:65], v[60:61]
	buffer_load_dword v61, off, s[0:3], 0 offset:100
	buffer_load_dword v60, off, s[0:3], 0 offset:96
	buffer_load_dword v65, off, s[0:3], 0 offset:108
	buffer_load_dword v64, off, s[0:3], 0 offset:104
	s_waitcnt vmcnt(2)
	v_fmac_f64_e32 v[58:59], v[60:61], v[62:63]
	ds_read2_b64 v[60:63], v76 offset0:41 offset1:42
	s_waitcnt vmcnt(0) lgkmcnt(0)
	v_fmac_f64_e32 v[58:59], v[64:65], v[60:61]
	buffer_load_dword v61, off, s[0:3], 0 offset:116
	buffer_load_dword v60, off, s[0:3], 0 offset:112
	buffer_load_dword v65, off, s[0:3], 0 offset:124
	buffer_load_dword v64, off, s[0:3], 0 offset:120
	s_waitcnt vmcnt(2)
	v_fmac_f64_e32 v[58:59], v[60:61], v[62:63]
	ds_read2_b64 v[60:63], v76 offset0:43 offset1:44
	s_waitcnt vmcnt(0) lgkmcnt(0)
	v_fmac_f64_e32 v[58:59], v[64:65], v[60:61]
	buffer_load_dword v61, off, s[0:3], 0 offset:132
	buffer_load_dword v60, off, s[0:3], 0 offset:128
	buffer_load_dword v65, off, s[0:3], 0 offset:140
	buffer_load_dword v64, off, s[0:3], 0 offset:136
	s_waitcnt vmcnt(2)
	v_fmac_f64_e32 v[58:59], v[60:61], v[62:63]
	ds_read2_b64 v[60:63], v76 offset0:45 offset1:46
	s_waitcnt vmcnt(0) lgkmcnt(0)
	v_fmac_f64_e32 v[58:59], v[64:65], v[60:61]
	buffer_load_dword v61, off, s[0:3], 0 offset:148
	buffer_load_dword v60, off, s[0:3], 0 offset:144
	buffer_load_dword v65, off, s[0:3], 0 offset:156
	buffer_load_dword v64, off, s[0:3], 0 offset:152
	s_waitcnt vmcnt(2)
	v_fmac_f64_e32 v[58:59], v[60:61], v[62:63]
	ds_read2_b64 v[60:63], v76 offset0:47 offset1:48
	s_waitcnt vmcnt(0) lgkmcnt(0)
	v_fmac_f64_e32 v[58:59], v[64:65], v[60:61]
	buffer_load_dword v61, off, s[0:3], 0 offset:164
	buffer_load_dword v60, off, s[0:3], 0 offset:160
	buffer_load_dword v65, off, s[0:3], 0 offset:172
	buffer_load_dword v64, off, s[0:3], 0 offset:168
	s_waitcnt vmcnt(2)
	v_fmac_f64_e32 v[58:59], v[60:61], v[62:63]
	ds_read2_b64 v[60:63], v76 offset0:49 offset1:50
	s_waitcnt vmcnt(0) lgkmcnt(0)
	v_fmac_f64_e32 v[58:59], v[64:65], v[60:61]
	buffer_load_dword v61, off, s[0:3], 0 offset:180
	buffer_load_dword v60, off, s[0:3], 0 offset:176
	buffer_load_dword v65, off, s[0:3], 0 offset:188
	buffer_load_dword v64, off, s[0:3], 0 offset:184
	s_waitcnt vmcnt(2)
	v_fmac_f64_e32 v[58:59], v[60:61], v[62:63]
	ds_read2_b64 v[60:63], v76 offset0:51 offset1:52
	s_waitcnt vmcnt(0) lgkmcnt(0)
	v_fmac_f64_e32 v[58:59], v[64:65], v[60:61]
	buffer_load_dword v61, off, s[0:3], 0 offset:196
	buffer_load_dword v60, off, s[0:3], 0 offset:192
	buffer_load_dword v65, off, s[0:3], 0 offset:204
	buffer_load_dword v64, off, s[0:3], 0 offset:200
	s_waitcnt vmcnt(2)
	v_fmac_f64_e32 v[58:59], v[60:61], v[62:63]
	ds_read2_b64 v[60:63], v76 offset0:53 offset1:54
	s_waitcnt vmcnt(0) lgkmcnt(0)
	v_fmac_f64_e32 v[58:59], v[64:65], v[60:61]
	buffer_load_dword v61, off, s[0:3], 0 offset:212
	buffer_load_dword v60, off, s[0:3], 0 offset:208
	s_waitcnt vmcnt(0)
	v_fmac_f64_e32 v[58:59], v[60:61], v[62:63]
	buffer_load_dword v63, off, s[0:3], 0 offset:220
	buffer_load_dword v62, off, s[0:3], 0 offset:216
	ds_read_b64 v[64:65], v76 offset:440
	s_waitcnt vmcnt(0) lgkmcnt(0)
	v_fmac_f64_e32 v[58:59], v[62:63], v[64:65]
	v_add_f64 v[0:1], v[0:1], -v[58:59]
	buffer_store_dword v1, off, s[0:3], 0 offset:4
	buffer_store_dword v0, off, s[0:3], 0
	s_cbranch_vccz .LBB27_231
; %bb.176:
	v_pk_mov_b32 v[0:1], s[10:11], s[10:11] op_sel:[0,1]
	flat_load_dword v0, v[0:1] offset:104
	s_waitcnt vmcnt(0) lgkmcnt(0)
	v_add_u32_e32 v0, -1, v0
	v_cmp_ne_u32_e32 vcc, 26, v0
	s_and_saveexec_b64 s[4:5], vcc
	s_cbranch_execz .LBB27_178
; %bb.177:
	v_mov_b32_e32 v1, 0
	v_lshl_add_u32 v0, v0, 3, v1
	buffer_load_dword v1, v0, s[0:3], 0 offen offset:4
	buffer_load_dword v58, v0, s[0:3], 0 offen
	s_waitcnt vmcnt(1)
	buffer_store_dword v1, off, s[0:3], 0 offset:212
	s_waitcnt vmcnt(1)
	buffer_store_dword v58, off, s[0:3], 0 offset:208
	buffer_store_dword v61, v0, s[0:3], 0 offen offset:4
	buffer_store_dword v60, v0, s[0:3], 0 offen
.LBB27_178:
	s_or_b64 exec, exec, s[4:5]
	v_pk_mov_b32 v[0:1], s[10:11], s[10:11] op_sel:[0,1]
	flat_load_dword v0, v[0:1] offset:100
	s_waitcnt vmcnt(0) lgkmcnt(0)
	v_add_u32_e32 v0, -1, v0
	v_cmp_ne_u32_e32 vcc, 25, v0
	s_and_saveexec_b64 s[4:5], vcc
	s_cbranch_execz .LBB27_180
; %bb.179:
	v_mov_b32_e32 v1, 0
	v_lshl_add_u32 v0, v0, 3, v1
	buffer_load_dword v1, v0, s[0:3], 0 offen
	buffer_load_dword v58, v0, s[0:3], 0 offen offset:4
	buffer_load_dword v59, off, s[0:3], 0 offset:200
	buffer_load_dword v60, off, s[0:3], 0 offset:204
	s_waitcnt vmcnt(3)
	buffer_store_dword v1, off, s[0:3], 0 offset:200
	s_waitcnt vmcnt(3)
	buffer_store_dword v58, off, s[0:3], 0 offset:204
	s_waitcnt vmcnt(3)
	buffer_store_dword v59, v0, s[0:3], 0 offen
	s_waitcnt vmcnt(3)
	buffer_store_dword v60, v0, s[0:3], 0 offen offset:4
.LBB27_180:
	s_or_b64 exec, exec, s[4:5]
	v_pk_mov_b32 v[0:1], s[10:11], s[10:11] op_sel:[0,1]
	flat_load_dword v0, v[0:1] offset:96
	s_waitcnt vmcnt(0) lgkmcnt(0)
	v_add_u32_e32 v0, -1, v0
	v_cmp_ne_u32_e32 vcc, 24, v0
	s_and_saveexec_b64 s[4:5], vcc
	s_cbranch_execz .LBB27_182
; %bb.181:
	v_mov_b32_e32 v1, 0
	v_lshl_add_u32 v0, v0, 3, v1
	buffer_load_dword v1, v0, s[0:3], 0 offen
	buffer_load_dword v58, v0, s[0:3], 0 offen offset:4
	buffer_load_dword v59, off, s[0:3], 0 offset:196
	buffer_load_dword v60, off, s[0:3], 0 offset:192
	s_waitcnt vmcnt(3)
	buffer_store_dword v1, off, s[0:3], 0 offset:192
	s_waitcnt vmcnt(3)
	buffer_store_dword v58, off, s[0:3], 0 offset:196
	s_waitcnt vmcnt(3)
	buffer_store_dword v59, v0, s[0:3], 0 offen offset:4
	s_waitcnt vmcnt(3)
	buffer_store_dword v60, v0, s[0:3], 0 offen
.LBB27_182:
	s_or_b64 exec, exec, s[4:5]
	v_pk_mov_b32 v[0:1], s[10:11], s[10:11] op_sel:[0,1]
	flat_load_dword v0, v[0:1] offset:92
	s_waitcnt vmcnt(0) lgkmcnt(0)
	v_add_u32_e32 v0, -1, v0
	v_cmp_ne_u32_e32 vcc, 23, v0
	s_and_saveexec_b64 s[4:5], vcc
	s_cbranch_execz .LBB27_184
; %bb.183:
	v_mov_b32_e32 v1, 0
	v_lshl_add_u32 v0, v0, 3, v1
	buffer_load_dword v1, v0, s[0:3], 0 offen
	buffer_load_dword v58, v0, s[0:3], 0 offen offset:4
	buffer_load_dword v59, off, s[0:3], 0 offset:184
	buffer_load_dword v60, off, s[0:3], 0 offset:188
	s_waitcnt vmcnt(3)
	buffer_store_dword v1, off, s[0:3], 0 offset:184
	s_waitcnt vmcnt(3)
	buffer_store_dword v58, off, s[0:3], 0 offset:188
	s_waitcnt vmcnt(3)
	buffer_store_dword v59, v0, s[0:3], 0 offen
	s_waitcnt vmcnt(3)
	buffer_store_dword v60, v0, s[0:3], 0 offen offset:4
.LBB27_184:
	s_or_b64 exec, exec, s[4:5]
	v_pk_mov_b32 v[0:1], s[10:11], s[10:11] op_sel:[0,1]
	flat_load_dword v0, v[0:1] offset:88
	s_waitcnt vmcnt(0) lgkmcnt(0)
	v_add_u32_e32 v0, -1, v0
	v_cmp_ne_u32_e32 vcc, 22, v0
	s_and_saveexec_b64 s[4:5], vcc
	s_cbranch_execz .LBB27_186
; %bb.185:
	v_mov_b32_e32 v1, 0
	v_lshl_add_u32 v0, v0, 3, v1
	buffer_load_dword v1, v0, s[0:3], 0 offen
	buffer_load_dword v58, v0, s[0:3], 0 offen offset:4
	buffer_load_dword v59, off, s[0:3], 0 offset:180
	buffer_load_dword v60, off, s[0:3], 0 offset:176
	s_waitcnt vmcnt(3)
	buffer_store_dword v1, off, s[0:3], 0 offset:176
	s_waitcnt vmcnt(3)
	buffer_store_dword v58, off, s[0:3], 0 offset:180
	s_waitcnt vmcnt(3)
	buffer_store_dword v59, v0, s[0:3], 0 offen offset:4
	s_waitcnt vmcnt(3)
	buffer_store_dword v60, v0, s[0:3], 0 offen
.LBB27_186:
	;; [unrolled: 48-line block ×12, first 2 shown]
	s_or_b64 exec, exec, s[4:5]
	v_pk_mov_b32 v[0:1], s[10:11], s[10:11] op_sel:[0,1]
	flat_load_dword v0, v[0:1] offset:4
	s_waitcnt vmcnt(0) lgkmcnt(0)
	v_add_u32_e32 v0, -1, v0
	v_cmp_ne_u32_e32 vcc, 1, v0
	s_and_saveexec_b64 s[4:5], vcc
	s_cbranch_execz .LBB27_228
; %bb.227:
	v_mov_b32_e32 v1, 0
	v_lshl_add_u32 v0, v0, 3, v1
	buffer_load_dword v1, v0, s[0:3], 0 offen
	buffer_load_dword v58, v0, s[0:3], 0 offen offset:4
	buffer_load_dword v59, off, s[0:3], 0 offset:8
	buffer_load_dword v60, off, s[0:3], 0 offset:12
	s_waitcnt vmcnt(3)
	buffer_store_dword v1, off, s[0:3], 0 offset:8
	s_waitcnt vmcnt(3)
	buffer_store_dword v58, off, s[0:3], 0 offset:12
	s_waitcnt vmcnt(3)
	buffer_store_dword v59, v0, s[0:3], 0 offen
	s_waitcnt vmcnt(3)
	buffer_store_dword v60, v0, s[0:3], 0 offen offset:4
.LBB27_228:
	s_or_b64 exec, exec, s[4:5]
	v_pk_mov_b32 v[0:1], s[10:11], s[10:11] op_sel:[0,1]
	flat_load_dword v58, v[0:1]
	s_nop 0
	buffer_load_dword v0, off, s[0:3], 0
	buffer_load_dword v1, off, s[0:3], 0 offset:4
	s_waitcnt vmcnt(0) lgkmcnt(0)
	v_add_u32_e32 v58, -1, v58
	v_cmp_ne_u32_e32 vcc, 0, v58
	s_and_saveexec_b64 s[4:5], vcc
	s_cbranch_execz .LBB27_230
; %bb.229:
	v_mov_b32_e32 v59, 0
	v_lshl_add_u32 v58, v58, 3, v59
	buffer_load_dword v59, v58, s[0:3], 0 offen offset:4
	buffer_load_dword v60, v58, s[0:3], 0 offen
	s_waitcnt vmcnt(1)
	buffer_store_dword v59, off, s[0:3], 0 offset:4
	s_waitcnt vmcnt(1)
	buffer_store_dword v60, off, s[0:3], 0
	buffer_store_dword v1, v58, s[0:3], 0 offen offset:4
	buffer_store_dword v0, v58, s[0:3], 0 offen
	buffer_load_dword v0, off, s[0:3], 0
	s_nop 0
	buffer_load_dword v1, off, s[0:3], 0 offset:4
.LBB27_230:
	s_or_b64 exec, exec, s[4:5]
.LBB27_231:
	buffer_load_dword v58, off, s[0:3], 0 offset:8
	buffer_load_dword v59, off, s[0:3], 0 offset:12
	buffer_load_dword v60, off, s[0:3], 0 offset:16
	buffer_load_dword v61, off, s[0:3], 0 offset:20
	buffer_load_dword v62, off, s[0:3], 0 offset:24
	buffer_load_dword v63, off, s[0:3], 0 offset:28
	buffer_load_dword v64, off, s[0:3], 0 offset:32
	buffer_load_dword v65, off, s[0:3], 0 offset:36
	buffer_load_dword v66, off, s[0:3], 0 offset:40
	buffer_load_dword v67, off, s[0:3], 0 offset:44
	buffer_load_dword v68, off, s[0:3], 0 offset:48
	buffer_load_dword v69, off, s[0:3], 0 offset:52
	buffer_load_dword v70, off, s[0:3], 0 offset:56
	buffer_load_dword v71, off, s[0:3], 0 offset:60
	buffer_load_dword v72, off, s[0:3], 0 offset:64
	buffer_load_dword v73, off, s[0:3], 0 offset:68
	buffer_load_dword v74, off, s[0:3], 0 offset:72
	buffer_load_dword v75, off, s[0:3], 0 offset:76
	buffer_load_dword v76, off, s[0:3], 0 offset:80
	buffer_load_dword v77, off, s[0:3], 0 offset:84
	buffer_load_dword v78, off, s[0:3], 0 offset:88
	buffer_load_dword v79, off, s[0:3], 0 offset:92
	buffer_load_dword v80, off, s[0:3], 0 offset:96
	buffer_load_dword v81, off, s[0:3], 0 offset:100
	buffer_load_dword v82, off, s[0:3], 0 offset:104
	buffer_load_dword v83, off, s[0:3], 0 offset:108
	buffer_load_dword v84, off, s[0:3], 0 offset:112
	buffer_load_dword v85, off, s[0:3], 0 offset:116
	buffer_load_dword v86, off, s[0:3], 0 offset:120
	buffer_load_dword v87, off, s[0:3], 0 offset:124
	buffer_load_dword v88, off, s[0:3], 0 offset:128
	buffer_load_dword v89, off, s[0:3], 0 offset:132
	buffer_load_dword v90, off, s[0:3], 0 offset:136
	buffer_load_dword v91, off, s[0:3], 0 offset:140
	buffer_load_dword v92, off, s[0:3], 0 offset:144
	buffer_load_dword v93, off, s[0:3], 0 offset:148
	buffer_load_dword v94, off, s[0:3], 0 offset:152
	buffer_load_dword v95, off, s[0:3], 0 offset:156
	buffer_load_dword v96, off, s[0:3], 0 offset:160
	buffer_load_dword v97, off, s[0:3], 0 offset:164
	buffer_load_dword v98, off, s[0:3], 0 offset:168
	buffer_load_dword v99, off, s[0:3], 0 offset:172
	buffer_load_dword v100, off, s[0:3], 0 offset:176
	buffer_load_dword v101, off, s[0:3], 0 offset:180
	buffer_load_dword v102, off, s[0:3], 0 offset:184
	buffer_load_dword v103, off, s[0:3], 0 offset:188
	buffer_load_dword v104, off, s[0:3], 0 offset:192
	buffer_load_dword v105, off, s[0:3], 0 offset:196
	buffer_load_dword v106, off, s[0:3], 0 offset:200
	buffer_load_dword v107, off, s[0:3], 0 offset:204
	buffer_load_dword v108, off, s[0:3], 0 offset:208
	buffer_load_dword v109, off, s[0:3], 0 offset:212
	buffer_load_dword v110, off, s[0:3], 0 offset:216
	buffer_load_dword v111, off, s[0:3], 0 offset:220
	s_waitcnt vmcnt(54)
	global_store_dwordx2 v[48:49], v[0:1], off
	s_waitcnt vmcnt(53)
	global_store_dwordx2 v[50:51], v[58:59], off
	;; [unrolled: 2-line block ×28, first 2 shown]
	s_endpgm
	.section	.rodata,"a",@progbits
	.p2align	6, 0x0
	.amdhsa_kernel _ZN9rocsolver6v33100L18getri_kernel_smallILi28EdPdEEvT1_iilPiilS4_bb
		.amdhsa_group_segment_fixed_size 456
		.amdhsa_private_segment_fixed_size 240
		.amdhsa_kernarg_size 60
		.amdhsa_user_sgpr_count 8
		.amdhsa_user_sgpr_private_segment_buffer 1
		.amdhsa_user_sgpr_dispatch_ptr 0
		.amdhsa_user_sgpr_queue_ptr 0
		.amdhsa_user_sgpr_kernarg_segment_ptr 1
		.amdhsa_user_sgpr_dispatch_id 0
		.amdhsa_user_sgpr_flat_scratch_init 1
		.amdhsa_user_sgpr_kernarg_preload_length 0
		.amdhsa_user_sgpr_kernarg_preload_offset 0
		.amdhsa_user_sgpr_private_segment_size 0
		.amdhsa_uses_dynamic_stack 0
		.amdhsa_system_sgpr_private_segment_wavefront_offset 1
		.amdhsa_system_sgpr_workgroup_id_x 1
		.amdhsa_system_sgpr_workgroup_id_y 0
		.amdhsa_system_sgpr_workgroup_id_z 0
		.amdhsa_system_sgpr_workgroup_info 0
		.amdhsa_system_vgpr_workitem_id 0
		.amdhsa_next_free_vgpr 126
		.amdhsa_next_free_sgpr 23
		.amdhsa_accum_offset 128
		.amdhsa_reserve_vcc 1
		.amdhsa_reserve_flat_scratch 1
		.amdhsa_float_round_mode_32 0
		.amdhsa_float_round_mode_16_64 0
		.amdhsa_float_denorm_mode_32 3
		.amdhsa_float_denorm_mode_16_64 3
		.amdhsa_dx10_clamp 1
		.amdhsa_ieee_mode 1
		.amdhsa_fp16_overflow 0
		.amdhsa_tg_split 0
		.amdhsa_exception_fp_ieee_invalid_op 0
		.amdhsa_exception_fp_denorm_src 0
		.amdhsa_exception_fp_ieee_div_zero 0
		.amdhsa_exception_fp_ieee_overflow 0
		.amdhsa_exception_fp_ieee_underflow 0
		.amdhsa_exception_fp_ieee_inexact 0
		.amdhsa_exception_int_div_zero 0
	.end_amdhsa_kernel
	.section	.text._ZN9rocsolver6v33100L18getri_kernel_smallILi28EdPdEEvT1_iilPiilS4_bb,"axG",@progbits,_ZN9rocsolver6v33100L18getri_kernel_smallILi28EdPdEEvT1_iilPiilS4_bb,comdat
.Lfunc_end27:
	.size	_ZN9rocsolver6v33100L18getri_kernel_smallILi28EdPdEEvT1_iilPiilS4_bb, .Lfunc_end27-_ZN9rocsolver6v33100L18getri_kernel_smallILi28EdPdEEvT1_iilPiilS4_bb
                                        ; -- End function
	.section	.AMDGPU.csdata,"",@progbits
; Kernel info:
; codeLenInByte = 25396
; NumSgprs: 29
; NumVgprs: 126
; NumAgprs: 0
; TotalNumVgprs: 126
; ScratchSize: 240
; MemoryBound: 0
; FloatMode: 240
; IeeeMode: 1
; LDSByteSize: 456 bytes/workgroup (compile time only)
; SGPRBlocks: 3
; VGPRBlocks: 15
; NumSGPRsForWavesPerEU: 29
; NumVGPRsForWavesPerEU: 126
; AccumOffset: 128
; Occupancy: 4
; WaveLimiterHint : 1
; COMPUTE_PGM_RSRC2:SCRATCH_EN: 1
; COMPUTE_PGM_RSRC2:USER_SGPR: 8
; COMPUTE_PGM_RSRC2:TRAP_HANDLER: 0
; COMPUTE_PGM_RSRC2:TGID_X_EN: 1
; COMPUTE_PGM_RSRC2:TGID_Y_EN: 0
; COMPUTE_PGM_RSRC2:TGID_Z_EN: 0
; COMPUTE_PGM_RSRC2:TIDIG_COMP_CNT: 0
; COMPUTE_PGM_RSRC3_GFX90A:ACCUM_OFFSET: 31
; COMPUTE_PGM_RSRC3_GFX90A:TG_SPLIT: 0
	.section	.text._ZN9rocsolver6v33100L18getri_kernel_smallILi29EdPdEEvT1_iilPiilS4_bb,"axG",@progbits,_ZN9rocsolver6v33100L18getri_kernel_smallILi29EdPdEEvT1_iilPiilS4_bb,comdat
	.globl	_ZN9rocsolver6v33100L18getri_kernel_smallILi29EdPdEEvT1_iilPiilS4_bb ; -- Begin function _ZN9rocsolver6v33100L18getri_kernel_smallILi29EdPdEEvT1_iilPiilS4_bb
	.p2align	8
	.type	_ZN9rocsolver6v33100L18getri_kernel_smallILi29EdPdEEvT1_iilPiilS4_bb,@function
_ZN9rocsolver6v33100L18getri_kernel_smallILi29EdPdEEvT1_iilPiilS4_bb: ; @_ZN9rocsolver6v33100L18getri_kernel_smallILi29EdPdEEvT1_iilPiilS4_bb
; %bb.0:
	s_add_u32 flat_scratch_lo, s6, s9
	s_addc_u32 flat_scratch_hi, s7, 0
	s_add_u32 s0, s0, s9
	s_addc_u32 s1, s1, 0
	v_cmp_gt_u32_e32 vcc, 29, v0
	s_and_saveexec_b64 s[6:7], vcc
	s_cbranch_execz .LBB28_124
; %bb.1:
	s_load_dword s22, s[4:5], 0x38
	s_load_dwordx4 s[16:19], s[4:5], 0x10
	s_load_dwordx4 s[12:15], s[4:5], 0x28
                                        ; implicit-def: $sgpr10_sgpr11
	s_waitcnt lgkmcnt(0)
	s_bitcmp1_b32 s22, 8
	s_cselect_b64 s[20:21], -1, 0
	s_ashr_i32 s9, s8, 31
	s_bfe_u32 s6, s22, 0x10008
	s_cmp_eq_u32 s6, 0
	s_cbranch_scc1 .LBB28_3
; %bb.2:
	s_load_dword s6, s[4:5], 0x20
	s_mul_i32 s7, s8, s13
	s_mul_hi_u32 s10, s8, s12
	s_mul_i32 s11, s9, s12
	s_add_i32 s10, s10, s7
	s_add_i32 s11, s10, s11
	s_mul_i32 s10, s8, s12
	s_waitcnt lgkmcnt(0)
	s_ashr_i32 s7, s6, 31
	s_lshl_b64 s[10:11], s[10:11], 2
	s_add_u32 s10, s18, s10
	s_addc_u32 s11, s19, s11
	s_lshl_b64 s[6:7], s[6:7], 2
	s_add_u32 s10, s10, s6
	s_addc_u32 s11, s11, s7
.LBB28_3:
	s_load_dwordx4 s[4:7], s[4:5], 0x0
	s_mul_i32 s12, s8, s17
	s_mul_hi_u32 s13, s8, s16
	s_add_i32 s17, s13, s12
	v_lshlrev_b32_e32 v1, 3, v0
	s_waitcnt lgkmcnt(0)
	s_ashr_i32 s13, s6, 31
	s_mov_b32 s12, s6
	s_mul_i32 s6, s9, s16
	s_add_i32 s17, s17, s6
	s_mul_i32 s16, s8, s16
	s_lshl_b64 s[16:17], s[16:17], 3
	s_add_u32 s6, s4, s16
	s_addc_u32 s16, s5, s17
	s_lshl_b64 s[4:5], s[12:13], 3
	s_add_u32 s4, s6, s4
	s_addc_u32 s5, s16, s5
	s_add_i32 s6, s7, s7
	v_add_u32_e32 v4, s6, v0
	v_ashrrev_i32_e32 v5, 31, v4
	v_lshlrev_b64 v[2:3], 3, v[4:5]
	v_add_u32_e32 v6, s7, v4
	v_mov_b32_e32 v5, s5
	v_add_co_u32_e32 v2, vcc, s4, v2
	v_ashrrev_i32_e32 v7, 31, v6
	v_addc_co_u32_e32 v3, vcc, v5, v3, vcc
	v_lshlrev_b64 v[4:5], 3, v[6:7]
	v_add_u32_e32 v8, s7, v6
	v_mov_b32_e32 v7, s5
	v_add_co_u32_e32 v4, vcc, s4, v4
	v_ashrrev_i32_e32 v9, 31, v8
	v_addc_co_u32_e32 v5, vcc, v7, v5, vcc
	;; [unrolled: 6-line block ×22, first 2 shown]
	v_lshlrev_b64 v[46:47], 3, v[48:49]
	v_mov_b32_e32 v49, s5
	v_add_co_u32_e32 v46, vcc, s4, v46
	v_addc_co_u32_e32 v47, vcc, v49, v47, vcc
	v_mov_b32_e32 v51, s5
	v_add_co_u32_e32 v50, vcc, s4, v1
	s_ashr_i32 s13, s7, 31
	s_mov_b32 s12, s7
	v_add_u32_e32 v54, s7, v48
	v_addc_co_u32_e32 v51, vcc, 0, v51, vcc
	s_lshl_b64 s[12:13], s[12:13], 3
	v_ashrrev_i32_e32 v55, 31, v54
	v_mov_b32_e32 v53, s13
	v_add_co_u32_e32 v52, vcc, s12, v50
	v_lshlrev_b64 v[48:49], 3, v[54:55]
	v_addc_co_u32_e32 v53, vcc, v51, v53, vcc
	v_add_u32_e32 v56, s7, v54
	v_mov_b32_e32 v55, s5
	v_add_co_u32_e32 v48, vcc, s4, v48
	v_ashrrev_i32_e32 v57, 31, v56
	v_addc_co_u32_e32 v49, vcc, v55, v49, vcc
	v_lshlrev_b64 v[54:55], 3, v[56:57]
	v_add_u32_e32 v58, s7, v56
	v_mov_b32_e32 v57, s5
	v_add_co_u32_e32 v54, vcc, s4, v54
	v_ashrrev_i32_e32 v59, 31, v58
	v_addc_co_u32_e32 v55, vcc, v57, v55, vcc
	v_lshlrev_b64 v[56:57], 3, v[58:59]
	v_mov_b32_e32 v59, s5
	v_add_co_u32_e32 v56, vcc, s4, v56
	global_load_dwordx2 v[60:61], v1, s[4:5]
	global_load_dwordx2 v[62:63], v[52:53], off
	global_load_dwordx2 v[64:65], v[2:3], off
	;; [unrolled: 1-line block ×19, first 2 shown]
	v_addc_co_u32_e32 v57, vcc, v59, v57, vcc
	global_load_dwordx2 v[100:101], v[38:39], off
	global_load_dwordx2 v[102:103], v[40:41], off
	;; [unrolled: 1-line block ×8, first 2 shown]
	v_add_u32_e32 v58, s7, v58
	v_ashrrev_i32_e32 v59, 31, v58
	v_lshlrev_b64 v[58:59], 3, v[58:59]
	v_mov_b32_e32 v116, s5
	v_add_co_u32_e32 v58, vcc, s4, v58
	v_addc_co_u32_e32 v59, vcc, v116, v59, vcc
	global_load_dwordx2 v[116:117], v[58:59], off
	s_bitcmp0_b32 s22, 0
	s_mov_b64 s[6:7], -1
	s_waitcnt vmcnt(28)
	buffer_store_dword v61, off, s[0:3], 0 offset:4
	buffer_store_dword v60, off, s[0:3], 0
	s_waitcnt vmcnt(29)
	buffer_store_dword v63, off, s[0:3], 0 offset:12
	buffer_store_dword v62, off, s[0:3], 0 offset:8
	s_waitcnt vmcnt(30)
	buffer_store_dword v65, off, s[0:3], 0 offset:20
	buffer_store_dword v64, off, s[0:3], 0 offset:16
	s_waitcnt vmcnt(31)
	buffer_store_dword v67, off, s[0:3], 0 offset:28
	buffer_store_dword v66, off, s[0:3], 0 offset:24
	s_waitcnt vmcnt(32)
	buffer_store_dword v69, off, s[0:3], 0 offset:36
	buffer_store_dword v68, off, s[0:3], 0 offset:32
	s_waitcnt vmcnt(33)
	buffer_store_dword v71, off, s[0:3], 0 offset:44
	buffer_store_dword v70, off, s[0:3], 0 offset:40
	s_waitcnt vmcnt(34)
	buffer_store_dword v73, off, s[0:3], 0 offset:52
	buffer_store_dword v72, off, s[0:3], 0 offset:48
	s_waitcnt vmcnt(35)
	buffer_store_dword v75, off, s[0:3], 0 offset:60
	buffer_store_dword v74, off, s[0:3], 0 offset:56
	s_waitcnt vmcnt(36)
	buffer_store_dword v77, off, s[0:3], 0 offset:68
	buffer_store_dword v76, off, s[0:3], 0 offset:64
	s_waitcnt vmcnt(37)
	buffer_store_dword v78, off, s[0:3], 0 offset:72
	buffer_store_dword v79, off, s[0:3], 0 offset:76
	s_waitcnt vmcnt(38)
	buffer_store_dword v80, off, s[0:3], 0 offset:80
	buffer_store_dword v81, off, s[0:3], 0 offset:84
	s_waitcnt vmcnt(39)
	buffer_store_dword v82, off, s[0:3], 0 offset:88
	buffer_store_dword v83, off, s[0:3], 0 offset:92
	s_waitcnt vmcnt(40)
	buffer_store_dword v84, off, s[0:3], 0 offset:96
	buffer_store_dword v85, off, s[0:3], 0 offset:100
	s_waitcnt vmcnt(41)
	buffer_store_dword v86, off, s[0:3], 0 offset:104
	buffer_store_dword v87, off, s[0:3], 0 offset:108
	s_waitcnt vmcnt(42)
	buffer_store_dword v89, off, s[0:3], 0 offset:116
	buffer_store_dword v88, off, s[0:3], 0 offset:112
	s_waitcnt vmcnt(43)
	buffer_store_dword v90, off, s[0:3], 0 offset:120
	buffer_store_dword v91, off, s[0:3], 0 offset:124
	s_waitcnt vmcnt(44)
	buffer_store_dword v92, off, s[0:3], 0 offset:128
	buffer_store_dword v93, off, s[0:3], 0 offset:132
	s_waitcnt vmcnt(45)
	buffer_store_dword v94, off, s[0:3], 0 offset:136
	buffer_store_dword v95, off, s[0:3], 0 offset:140
	s_waitcnt vmcnt(46)
	buffer_store_dword v96, off, s[0:3], 0 offset:144
	buffer_store_dword v97, off, s[0:3], 0 offset:148
	s_waitcnt vmcnt(47)
	buffer_store_dword v99, off, s[0:3], 0 offset:156
	buffer_store_dword v98, off, s[0:3], 0 offset:152
	s_waitcnt vmcnt(48)
	buffer_store_dword v101, off, s[0:3], 0 offset:164
	buffer_store_dword v100, off, s[0:3], 0 offset:160
	s_waitcnt vmcnt(49)
	buffer_store_dword v102, off, s[0:3], 0 offset:168
	buffer_store_dword v103, off, s[0:3], 0 offset:172
	s_waitcnt vmcnt(50)
	buffer_store_dword v104, off, s[0:3], 0 offset:176
	buffer_store_dword v105, off, s[0:3], 0 offset:180
	s_waitcnt vmcnt(51)
	buffer_store_dword v106, off, s[0:3], 0 offset:184
	buffer_store_dword v107, off, s[0:3], 0 offset:188
	s_waitcnt vmcnt(52)
	buffer_store_dword v108, off, s[0:3], 0 offset:192
	buffer_store_dword v109, off, s[0:3], 0 offset:196
	s_waitcnt vmcnt(53)
	buffer_store_dword v111, off, s[0:3], 0 offset:204
	buffer_store_dword v110, off, s[0:3], 0 offset:200
	s_waitcnt vmcnt(54)
	buffer_store_dword v113, off, s[0:3], 0 offset:212
	buffer_store_dword v112, off, s[0:3], 0 offset:208
	s_waitcnt vmcnt(55)
	buffer_store_dword v114, off, s[0:3], 0 offset:216
	buffer_store_dword v115, off, s[0:3], 0 offset:220
	s_waitcnt vmcnt(56)
	buffer_store_dword v116, off, s[0:3], 0 offset:224
	buffer_store_dword v117, off, s[0:3], 0 offset:228
	s_cbranch_scc1 .LBB28_122
; %bb.4:
	v_cmp_eq_u32_e64 s[4:5], 0, v0
	s_and_saveexec_b64 s[6:7], s[4:5]
	s_cbranch_execz .LBB28_6
; %bb.5:
	v_mov_b32_e32 v60, 0
	ds_write_b32 v60, v60 offset:232
.LBB28_6:
	s_or_b64 exec, exec, s[6:7]
	v_mov_b32_e32 v60, 0
	v_lshl_add_u32 v60, v0, 3, v60
	s_waitcnt lgkmcnt(0)
	; wave barrier
	s_waitcnt lgkmcnt(0)
	buffer_load_dword v62, v60, s[0:3], 0 offen
	buffer_load_dword v63, v60, s[0:3], 0 offen offset:4
	s_waitcnt vmcnt(0)
	v_cmp_eq_f64_e32 vcc, 0, v[62:63]
	s_and_saveexec_b64 s[12:13], vcc
	s_cbranch_execz .LBB28_10
; %bb.7:
	v_mov_b32_e32 v61, 0
	ds_read_b32 v63, v61 offset:232
	v_add_u32_e32 v62, 1, v0
	s_waitcnt lgkmcnt(0)
	v_readfirstlane_b32 s6, v63
	s_cmp_eq_u32 s6, 0
	s_cselect_b64 s[16:17], -1, 0
	v_cmp_gt_i32_e32 vcc, s6, v62
	s_or_b64 s[16:17], s[16:17], vcc
	s_and_b64 exec, exec, s[16:17]
	s_cbranch_execz .LBB28_10
; %bb.8:
	s_mov_b64 s[16:17], 0
	v_mov_b32_e32 v63, s6
.LBB28_9:                               ; =>This Inner Loop Header: Depth=1
	ds_cmpst_rtn_b32 v63, v61, v63, v62 offset:232
	s_waitcnt lgkmcnt(0)
	v_cmp_ne_u32_e32 vcc, 0, v63
	v_cmp_le_i32_e64 s[6:7], v63, v62
	s_and_b64 s[6:7], vcc, s[6:7]
	s_and_b64 s[6:7], exec, s[6:7]
	s_or_b64 s[16:17], s[6:7], s[16:17]
	s_andn2_b64 exec, exec, s[16:17]
	s_cbranch_execnz .LBB28_9
.LBB28_10:
	s_or_b64 exec, exec, s[12:13]
	v_mov_b32_e32 v62, 0
	s_waitcnt lgkmcnt(0)
	; wave barrier
	ds_read_b32 v61, v62 offset:232
	s_and_saveexec_b64 s[6:7], s[4:5]
	s_cbranch_execz .LBB28_12
; %bb.11:
	s_lshl_b64 s[12:13], s[8:9], 2
	s_add_u32 s12, s14, s12
	s_addc_u32 s13, s15, s13
	s_waitcnt lgkmcnt(0)
	global_store_dword v62, v61, s[12:13]
.LBB28_12:
	s_or_b64 exec, exec, s[6:7]
	s_waitcnt lgkmcnt(0)
	v_cmp_ne_u32_e32 vcc, 0, v61
	s_mov_b64 s[6:7], 0
	s_cbranch_vccnz .LBB28_122
; %bb.13:
	buffer_load_dword v62, v60, s[0:3], 0 offen
	buffer_load_dword v63, v60, s[0:3], 0 offen offset:4
	s_waitcnt vmcnt(0)
	v_div_scale_f64 v[64:65], s[6:7], v[62:63], v[62:63], 1.0
	v_rcp_f64_e32 v[66:67], v[64:65]
	v_div_scale_f64 v[68:69], vcc, 1.0, v[62:63], 1.0
	v_fma_f64 v[70:71], -v[64:65], v[66:67], 1.0
	v_fmac_f64_e32 v[66:67], v[66:67], v[70:71]
	v_fma_f64 v[70:71], -v[64:65], v[66:67], 1.0
	v_fmac_f64_e32 v[66:67], v[66:67], v[70:71]
	v_mul_f64 v[70:71], v[68:69], v[66:67]
	v_fma_f64 v[64:65], -v[64:65], v[70:71], v[68:69]
	v_div_fmas_f64 v[64:65], v[64:65], v[66:67], v[70:71]
	v_div_fixup_f64 v[64:65], v[64:65], v[62:63], 1.0
	buffer_store_dword v65, v60, s[0:3], 0 offen offset:4
	buffer_store_dword v64, v60, s[0:3], 0 offen
	buffer_load_dword v67, off, s[0:3], 0 offset:12
	buffer_load_dword v66, off, s[0:3], 0 offset:8
	v_add_u32_e32 v62, 0xf0, v1
	v_xor_b32_e32 v65, 0x80000000, v65
	s_waitcnt vmcnt(0)
	ds_write2_b64 v1, v[64:65], v[66:67] offset1:30
	s_waitcnt lgkmcnt(0)
	; wave barrier
	s_waitcnt lgkmcnt(0)
	s_and_saveexec_b64 s[6:7], s[4:5]
	s_cbranch_execz .LBB28_15
; %bb.14:
	buffer_load_dword v64, v60, s[0:3], 0 offen
	buffer_load_dword v65, v60, s[0:3], 0 offen offset:4
	v_mov_b32_e32 v61, 0
	ds_read_b64 v[66:67], v62
	ds_read_b64 v[68:69], v61 offset:8
	s_waitcnt vmcnt(0) lgkmcnt(1)
	v_fma_f64 v[64:65], v[64:65], v[66:67], 0
	s_waitcnt lgkmcnt(0)
	v_mul_f64 v[64:65], v[64:65], v[68:69]
	buffer_store_dword v64, off, s[0:3], 0 offset:8
	buffer_store_dword v65, off, s[0:3], 0 offset:12
.LBB28_15:
	s_or_b64 exec, exec, s[6:7]
	s_waitcnt lgkmcnt(0)
	; wave barrier
	buffer_load_dword v64, off, s[0:3], 0 offset:16
	buffer_load_dword v65, off, s[0:3], 0 offset:20
	v_cmp_gt_u32_e32 vcc, 2, v0
	s_waitcnt vmcnt(0)
	ds_write_b64 v62, v[64:65]
	s_waitcnt lgkmcnt(0)
	; wave barrier
	s_waitcnt lgkmcnt(0)
	s_and_saveexec_b64 s[6:7], vcc
	s_cbranch_execz .LBB28_17
; %bb.16:
	buffer_load_dword v61, v60, s[0:3], 0 offen offset:4
	buffer_load_dword v68, off, s[0:3], 0 offset:8
	s_nop 0
	buffer_load_dword v60, v60, s[0:3], 0 offen
	s_nop 0
	buffer_load_dword v69, off, s[0:3], 0 offset:12
	ds_read_b64 v[70:71], v62
	v_mov_b32_e32 v63, 0
	ds_read2_b64 v[64:67], v63 offset0:2 offset1:31
	s_waitcnt vmcnt(1) lgkmcnt(1)
	v_fma_f64 v[60:61], v[60:61], v[70:71], 0
	s_waitcnt vmcnt(0) lgkmcnt(0)
	v_fma_f64 v[66:67], v[68:69], v[66:67], v[60:61]
	v_cndmask_b32_e64 v61, v61, v67, s[4:5]
	v_cndmask_b32_e64 v60, v60, v66, s[4:5]
	v_mul_f64 v[60:61], v[60:61], v[64:65]
	buffer_store_dword v61, off, s[0:3], 0 offset:20
	buffer_store_dword v60, off, s[0:3], 0 offset:16
.LBB28_17:
	s_or_b64 exec, exec, s[6:7]
	s_waitcnt lgkmcnt(0)
	; wave barrier
	buffer_load_dword v60, off, s[0:3], 0 offset:24
	buffer_load_dword v61, off, s[0:3], 0 offset:28
	v_cmp_gt_u32_e32 vcc, 3, v0
	v_add_u32_e32 v63, -1, v0
	s_waitcnt vmcnt(0)
	ds_write_b64 v62, v[60:61]
	s_waitcnt lgkmcnt(0)
	; wave barrier
	s_waitcnt lgkmcnt(0)
	s_and_saveexec_b64 s[4:5], vcc
	s_cbranch_execz .LBB28_21
; %bb.18:
	v_add_u32_e32 v64, -1, v0
	v_add_u32_e32 v65, 0xf0, v1
	v_add_u32_e32 v66, 0, v1
	s_mov_b64 s[6:7], 0
	v_pk_mov_b32 v[60:61], 0, 0
.LBB28_19:                              ; =>This Inner Loop Header: Depth=1
	buffer_load_dword v68, v66, s[0:3], 0 offen
	buffer_load_dword v69, v66, s[0:3], 0 offen offset:4
	ds_read_b64 v[70:71], v65
	v_add_u32_e32 v64, 1, v64
	v_cmp_lt_u32_e32 vcc, 1, v64
	v_add_u32_e32 v65, 8, v65
	v_add_u32_e32 v66, 8, v66
	s_or_b64 s[6:7], vcc, s[6:7]
	s_waitcnt vmcnt(0) lgkmcnt(0)
	v_fmac_f64_e32 v[60:61], v[68:69], v[70:71]
	s_andn2_b64 exec, exec, s[6:7]
	s_cbranch_execnz .LBB28_19
; %bb.20:
	s_or_b64 exec, exec, s[6:7]
	v_mov_b32_e32 v64, 0
	ds_read_b64 v[64:65], v64 offset:24
	s_waitcnt lgkmcnt(0)
	v_mul_f64 v[60:61], v[60:61], v[64:65]
	buffer_store_dword v61, off, s[0:3], 0 offset:28
	buffer_store_dword v60, off, s[0:3], 0 offset:24
.LBB28_21:
	s_or_b64 exec, exec, s[4:5]
	s_waitcnt lgkmcnt(0)
	; wave barrier
	buffer_load_dword v60, off, s[0:3], 0 offset:32
	buffer_load_dword v61, off, s[0:3], 0 offset:36
	v_cmp_gt_u32_e32 vcc, 4, v0
	s_waitcnt vmcnt(0)
	ds_write_b64 v62, v[60:61]
	s_waitcnt lgkmcnt(0)
	; wave barrier
	s_waitcnt lgkmcnt(0)
	s_and_saveexec_b64 s[4:5], vcc
	s_cbranch_execz .LBB28_25
; %bb.22:
	v_add_u32_e32 v64, -1, v0
	v_add_u32_e32 v65, 0xf0, v1
	v_add_u32_e32 v66, 0, v1
	s_mov_b64 s[6:7], 0
	v_pk_mov_b32 v[60:61], 0, 0
.LBB28_23:                              ; =>This Inner Loop Header: Depth=1
	buffer_load_dword v68, v66, s[0:3], 0 offen
	buffer_load_dword v69, v66, s[0:3], 0 offen offset:4
	ds_read_b64 v[70:71], v65
	v_add_u32_e32 v64, 1, v64
	v_cmp_lt_u32_e32 vcc, 2, v64
	v_add_u32_e32 v65, 8, v65
	v_add_u32_e32 v66, 8, v66
	s_or_b64 s[6:7], vcc, s[6:7]
	s_waitcnt vmcnt(0) lgkmcnt(0)
	v_fmac_f64_e32 v[60:61], v[68:69], v[70:71]
	s_andn2_b64 exec, exec, s[6:7]
	s_cbranch_execnz .LBB28_23
; %bb.24:
	s_or_b64 exec, exec, s[6:7]
	v_mov_b32_e32 v64, 0
	ds_read_b64 v[64:65], v64 offset:32
	s_waitcnt lgkmcnt(0)
	v_mul_f64 v[60:61], v[60:61], v[64:65]
	buffer_store_dword v61, off, s[0:3], 0 offset:36
	buffer_store_dword v60, off, s[0:3], 0 offset:32
.LBB28_25:
	s_or_b64 exec, exec, s[4:5]
	s_waitcnt lgkmcnt(0)
	; wave barrier
	buffer_load_dword v60, off, s[0:3], 0 offset:40
	buffer_load_dword v61, off, s[0:3], 0 offset:44
	v_cmp_gt_u32_e32 vcc, 5, v0
	;; [unrolled: 41-line block ×21, first 2 shown]
	s_waitcnt vmcnt(0)
	ds_write_b64 v62, v[60:61]
	s_waitcnt lgkmcnt(0)
	; wave barrier
	s_waitcnt lgkmcnt(0)
	s_and_saveexec_b64 s[4:5], vcc
	s_cbranch_execz .LBB28_105
; %bb.102:
	v_add_u32_e32 v64, -1, v0
	v_add_u32_e32 v65, 0xf0, v1
	v_add_u32_e32 v66, 0, v1
	s_mov_b64 s[6:7], 0
	v_pk_mov_b32 v[60:61], 0, 0
.LBB28_103:                             ; =>This Inner Loop Header: Depth=1
	buffer_load_dword v68, v66, s[0:3], 0 offen
	buffer_load_dword v69, v66, s[0:3], 0 offen offset:4
	ds_read_b64 v[70:71], v65
	v_add_u32_e32 v64, 1, v64
	v_cmp_lt_u32_e32 vcc, 22, v64
	v_add_u32_e32 v65, 8, v65
	v_add_u32_e32 v66, 8, v66
	s_or_b64 s[6:7], vcc, s[6:7]
	s_waitcnt vmcnt(0) lgkmcnt(0)
	v_fmac_f64_e32 v[60:61], v[68:69], v[70:71]
	s_andn2_b64 exec, exec, s[6:7]
	s_cbranch_execnz .LBB28_103
; %bb.104:
	s_or_b64 exec, exec, s[6:7]
	v_mov_b32_e32 v64, 0
	ds_read_b64 v[64:65], v64 offset:192
	s_waitcnt lgkmcnt(0)
	v_mul_f64 v[60:61], v[60:61], v[64:65]
	buffer_store_dword v61, off, s[0:3], 0 offset:196
	buffer_store_dword v60, off, s[0:3], 0 offset:192
.LBB28_105:
	s_or_b64 exec, exec, s[4:5]
	s_waitcnt lgkmcnt(0)
	; wave barrier
	buffer_load_dword v60, off, s[0:3], 0 offset:200
	buffer_load_dword v61, off, s[0:3], 0 offset:204
	v_cmp_gt_u32_e32 vcc, 25, v0
	s_waitcnt vmcnt(0)
	ds_write_b64 v62, v[60:61]
	s_waitcnt lgkmcnt(0)
	; wave barrier
	s_waitcnt lgkmcnt(0)
	s_and_saveexec_b64 s[4:5], vcc
	s_cbranch_execz .LBB28_109
; %bb.106:
	v_add_u32_e32 v64, -1, v0
	v_add_u32_e32 v65, 0xf0, v1
	v_add_u32_e32 v66, 0, v1
	s_mov_b64 s[6:7], 0
	v_pk_mov_b32 v[60:61], 0, 0
.LBB28_107:                             ; =>This Inner Loop Header: Depth=1
	buffer_load_dword v68, v66, s[0:3], 0 offen
	buffer_load_dword v69, v66, s[0:3], 0 offen offset:4
	ds_read_b64 v[70:71], v65
	v_add_u32_e32 v64, 1, v64
	v_cmp_lt_u32_e32 vcc, 23, v64
	v_add_u32_e32 v65, 8, v65
	v_add_u32_e32 v66, 8, v66
	s_or_b64 s[6:7], vcc, s[6:7]
	s_waitcnt vmcnt(0) lgkmcnt(0)
	v_fmac_f64_e32 v[60:61], v[68:69], v[70:71]
	s_andn2_b64 exec, exec, s[6:7]
	s_cbranch_execnz .LBB28_107
; %bb.108:
	s_or_b64 exec, exec, s[6:7]
	v_mov_b32_e32 v64, 0
	ds_read_b64 v[64:65], v64 offset:200
	s_waitcnt lgkmcnt(0)
	v_mul_f64 v[60:61], v[60:61], v[64:65]
	buffer_store_dword v61, off, s[0:3], 0 offset:204
	buffer_store_dword v60, off, s[0:3], 0 offset:200
.LBB28_109:
	s_or_b64 exec, exec, s[4:5]
	s_waitcnt lgkmcnt(0)
	; wave barrier
	buffer_load_dword v60, off, s[0:3], 0 offset:208
	buffer_load_dword v61, off, s[0:3], 0 offset:212
	v_cmp_gt_u32_e32 vcc, 26, v0
	;; [unrolled: 41-line block ×3, first 2 shown]
	s_waitcnt vmcnt(0)
	ds_write_b64 v62, v[60:61]
	s_waitcnt lgkmcnt(0)
	; wave barrier
	s_waitcnt lgkmcnt(0)
	s_and_saveexec_b64 s[4:5], vcc
	s_cbranch_execz .LBB28_117
; %bb.114:
	v_add_u32_e32 v64, -1, v0
	v_add_u32_e32 v65, 0xf0, v1
	v_add_u32_e32 v66, 0, v1
	s_mov_b64 s[6:7], 0
	v_pk_mov_b32 v[60:61], 0, 0
.LBB28_115:                             ; =>This Inner Loop Header: Depth=1
	buffer_load_dword v68, v66, s[0:3], 0 offen
	buffer_load_dword v69, v66, s[0:3], 0 offen offset:4
	ds_read_b64 v[70:71], v65
	v_add_u32_e32 v64, 1, v64
	v_cmp_lt_u32_e32 vcc, 25, v64
	v_add_u32_e32 v65, 8, v65
	v_add_u32_e32 v66, 8, v66
	s_or_b64 s[6:7], vcc, s[6:7]
	s_waitcnt vmcnt(0) lgkmcnt(0)
	v_fmac_f64_e32 v[60:61], v[68:69], v[70:71]
	s_andn2_b64 exec, exec, s[6:7]
	s_cbranch_execnz .LBB28_115
; %bb.116:
	s_or_b64 exec, exec, s[6:7]
	v_mov_b32_e32 v64, 0
	ds_read_b64 v[64:65], v64 offset:216
	s_waitcnt lgkmcnt(0)
	v_mul_f64 v[60:61], v[60:61], v[64:65]
	buffer_store_dword v61, off, s[0:3], 0 offset:220
	buffer_store_dword v60, off, s[0:3], 0 offset:216
.LBB28_117:
	s_or_b64 exec, exec, s[4:5]
	s_waitcnt lgkmcnt(0)
	; wave barrier
	buffer_load_dword v60, off, s[0:3], 0 offset:224
	buffer_load_dword v61, off, s[0:3], 0 offset:228
	v_cmp_ne_u32_e32 vcc, 28, v0
	s_waitcnt vmcnt(0)
	ds_write_b64 v62, v[60:61]
	s_waitcnt lgkmcnt(0)
	; wave barrier
	s_waitcnt lgkmcnt(0)
	s_and_saveexec_b64 s[4:5], vcc
	s_cbranch_execz .LBB28_121
; %bb.118:
	v_add_u32_e32 v62, 0xf0, v1
	v_add_u32_e32 v1, 0, v1
	s_mov_b64 s[6:7], 0
	v_pk_mov_b32 v[60:61], 0, 0
.LBB28_119:                             ; =>This Inner Loop Header: Depth=1
	buffer_load_dword v64, v1, s[0:3], 0 offen
	buffer_load_dword v65, v1, s[0:3], 0 offen offset:4
	ds_read_b64 v[66:67], v62
	v_add_u32_e32 v63, 1, v63
	v_cmp_lt_u32_e32 vcc, 26, v63
	v_add_u32_e32 v62, 8, v62
	v_add_u32_e32 v1, 8, v1
	s_or_b64 s[6:7], vcc, s[6:7]
	s_waitcnt vmcnt(0) lgkmcnt(0)
	v_fmac_f64_e32 v[60:61], v[64:65], v[66:67]
	s_andn2_b64 exec, exec, s[6:7]
	s_cbranch_execnz .LBB28_119
; %bb.120:
	s_or_b64 exec, exec, s[6:7]
	v_mov_b32_e32 v1, 0
	ds_read_b64 v[62:63], v1 offset:224
	s_waitcnt lgkmcnt(0)
	v_mul_f64 v[60:61], v[60:61], v[62:63]
	buffer_store_dword v61, off, s[0:3], 0 offset:228
	buffer_store_dword v60, off, s[0:3], 0 offset:224
.LBB28_121:
	s_or_b64 exec, exec, s[4:5]
	s_mov_b64 s[6:7], -1
	s_waitcnt lgkmcnt(0)
	; wave barrier
.LBB28_122:
	s_and_b64 vcc, exec, s[6:7]
	s_cbranch_vccz .LBB28_124
; %bb.123:
	s_lshl_b64 s[4:5], s[8:9], 2
	s_add_u32 s4, s14, s4
	s_addc_u32 s5, s15, s5
	v_mov_b32_e32 v1, 0
	global_load_dword v1, v1, s[4:5]
	s_waitcnt vmcnt(0)
	v_cmp_ne_u32_e32 vcc, 0, v1
	s_cbranch_vccz .LBB28_125
.LBB28_124:
	s_endpgm
.LBB28_125:
	v_mov_b32_e32 v1, 0xf0
	v_lshl_add_u32 v1, v0, 3, v1
	v_cmp_eq_u32_e32 vcc, 28, v0
	s_and_saveexec_b64 s[4:5], vcc
	s_cbranch_execz .LBB28_127
; %bb.126:
	buffer_load_dword v60, off, s[0:3], 0 offset:216
	buffer_load_dword v61, off, s[0:3], 0 offset:220
	v_mov_b32_e32 v62, 0
	buffer_store_dword v62, off, s[0:3], 0 offset:216
	buffer_store_dword v62, off, s[0:3], 0 offset:220
	s_waitcnt vmcnt(2)
	ds_write_b64 v1, v[60:61]
.LBB28_127:
	s_or_b64 exec, exec, s[4:5]
	s_waitcnt lgkmcnt(0)
	; wave barrier
	s_waitcnt lgkmcnt(0)
	buffer_load_dword v62, off, s[0:3], 0 offset:224
	buffer_load_dword v63, off, s[0:3], 0 offset:228
	;; [unrolled: 1-line block ×4, first 2 shown]
	v_mov_b32_e32 v60, 0
	ds_read_b64 v[66:67], v60 offset:464
	v_cmp_lt_u32_e32 vcc, 26, v0
	s_waitcnt vmcnt(2) lgkmcnt(0)
	v_fma_f64 v[62:63], v[62:63], v[66:67], 0
	s_waitcnt vmcnt(0)
	v_add_f64 v[62:63], v[64:65], -v[62:63]
	buffer_store_dword v62, off, s[0:3], 0 offset:216
	buffer_store_dword v63, off, s[0:3], 0 offset:220
	s_and_saveexec_b64 s[4:5], vcc
	s_cbranch_execz .LBB28_129
; %bb.128:
	buffer_load_dword v62, off, s[0:3], 0 offset:208
	buffer_load_dword v63, off, s[0:3], 0 offset:212
	s_waitcnt vmcnt(0)
	ds_write_b64 v1, v[62:63]
	buffer_store_dword v60, off, s[0:3], 0 offset:208
	buffer_store_dword v60, off, s[0:3], 0 offset:212
.LBB28_129:
	s_or_b64 exec, exec, s[4:5]
	s_waitcnt lgkmcnt(0)
	; wave barrier
	s_waitcnt lgkmcnt(0)
	buffer_load_dword v64, off, s[0:3], 0 offset:216
	buffer_load_dword v65, off, s[0:3], 0 offset:220
	;; [unrolled: 1-line block ×6, first 2 shown]
	ds_read2_b64 v[60:63], v60 offset0:57 offset1:58
	v_cmp_lt_u32_e32 vcc, 25, v0
	s_waitcnt vmcnt(4) lgkmcnt(0)
	v_fma_f64 v[60:61], v[64:65], v[60:61], 0
	s_waitcnt vmcnt(2)
	v_fmac_f64_e32 v[60:61], v[66:67], v[62:63]
	s_waitcnt vmcnt(0)
	v_add_f64 v[60:61], v[68:69], -v[60:61]
	buffer_store_dword v60, off, s[0:3], 0 offset:208
	buffer_store_dword v61, off, s[0:3], 0 offset:212
	s_and_saveexec_b64 s[4:5], vcc
	s_cbranch_execz .LBB28_131
; %bb.130:
	buffer_load_dword v60, off, s[0:3], 0 offset:200
	buffer_load_dword v61, off, s[0:3], 0 offset:204
	v_mov_b32_e32 v62, 0
	buffer_store_dword v62, off, s[0:3], 0 offset:200
	buffer_store_dword v62, off, s[0:3], 0 offset:204
	s_waitcnt vmcnt(2)
	ds_write_b64 v1, v[60:61]
.LBB28_131:
	s_or_b64 exec, exec, s[4:5]
	s_waitcnt lgkmcnt(0)
	; wave barrier
	s_waitcnt lgkmcnt(0)
	buffer_load_dword v66, off, s[0:3], 0 offset:208
	buffer_load_dword v67, off, s[0:3], 0 offset:212
	;; [unrolled: 1-line block ×8, first 2 shown]
	v_mov_b32_e32 v60, 0
	ds_read_b128 v[62:65], v60 offset:448
	ds_read_b64 v[74:75], v60 offset:464
	v_cmp_lt_u32_e32 vcc, 24, v0
	s_waitcnt vmcnt(6) lgkmcnt(1)
	v_fma_f64 v[62:63], v[66:67], v[62:63], 0
	s_waitcnt vmcnt(4)
	v_fmac_f64_e32 v[62:63], v[68:69], v[64:65]
	s_waitcnt vmcnt(2) lgkmcnt(0)
	v_fmac_f64_e32 v[62:63], v[70:71], v[74:75]
	s_waitcnt vmcnt(0)
	v_add_f64 v[62:63], v[72:73], -v[62:63]
	buffer_store_dword v62, off, s[0:3], 0 offset:200
	buffer_store_dword v63, off, s[0:3], 0 offset:204
	s_and_saveexec_b64 s[4:5], vcc
	s_cbranch_execz .LBB28_133
; %bb.132:
	buffer_load_dword v62, off, s[0:3], 0 offset:192
	buffer_load_dword v63, off, s[0:3], 0 offset:196
	s_waitcnt vmcnt(0)
	ds_write_b64 v1, v[62:63]
	buffer_store_dword v60, off, s[0:3], 0 offset:192
	buffer_store_dword v60, off, s[0:3], 0 offset:196
.LBB28_133:
	s_or_b64 exec, exec, s[4:5]
	s_waitcnt lgkmcnt(0)
	; wave barrier
	s_waitcnt lgkmcnt(0)
	buffer_load_dword v70, off, s[0:3], 0 offset:200
	buffer_load_dword v71, off, s[0:3], 0 offset:204
	;; [unrolled: 1-line block ×10, first 2 shown]
	ds_read2_b64 v[62:65], v60 offset0:55 offset1:56
	ds_read2_b64 v[66:69], v60 offset0:57 offset1:58
	v_cmp_lt_u32_e32 vcc, 23, v0
	s_waitcnt vmcnt(8) lgkmcnt(1)
	v_fma_f64 v[60:61], v[70:71], v[62:63], 0
	s_waitcnt vmcnt(6)
	v_fmac_f64_e32 v[60:61], v[72:73], v[64:65]
	s_waitcnt vmcnt(4) lgkmcnt(0)
	v_fmac_f64_e32 v[60:61], v[74:75], v[66:67]
	s_waitcnt vmcnt(2)
	v_fmac_f64_e32 v[60:61], v[76:77], v[68:69]
	s_waitcnt vmcnt(0)
	v_add_f64 v[60:61], v[78:79], -v[60:61]
	buffer_store_dword v60, off, s[0:3], 0 offset:192
	buffer_store_dword v61, off, s[0:3], 0 offset:196
	s_and_saveexec_b64 s[4:5], vcc
	s_cbranch_execz .LBB28_135
; %bb.134:
	buffer_load_dword v60, off, s[0:3], 0 offset:184
	buffer_load_dword v61, off, s[0:3], 0 offset:188
	v_mov_b32_e32 v62, 0
	buffer_store_dword v62, off, s[0:3], 0 offset:184
	buffer_store_dword v62, off, s[0:3], 0 offset:188
	s_waitcnt vmcnt(2)
	ds_write_b64 v1, v[60:61]
.LBB28_135:
	s_or_b64 exec, exec, s[4:5]
	s_waitcnt lgkmcnt(0)
	; wave barrier
	s_waitcnt lgkmcnt(0)
	buffer_load_dword v70, off, s[0:3], 0 offset:192
	buffer_load_dword v71, off, s[0:3], 0 offset:196
	;; [unrolled: 1-line block ×12, first 2 shown]
	v_mov_b32_e32 v60, 0
	ds_read_b128 v[62:65], v60 offset:432
	ds_read_b128 v[66:69], v60 offset:448
	ds_read_b64 v[82:83], v60 offset:464
	v_cmp_lt_u32_e32 vcc, 22, v0
	s_waitcnt vmcnt(10) lgkmcnt(2)
	v_fma_f64 v[62:63], v[70:71], v[62:63], 0
	s_waitcnt vmcnt(8)
	v_fmac_f64_e32 v[62:63], v[72:73], v[64:65]
	s_waitcnt vmcnt(6) lgkmcnt(1)
	v_fmac_f64_e32 v[62:63], v[74:75], v[66:67]
	s_waitcnt vmcnt(4)
	v_fmac_f64_e32 v[62:63], v[76:77], v[68:69]
	s_waitcnt vmcnt(2) lgkmcnt(0)
	v_fmac_f64_e32 v[62:63], v[78:79], v[82:83]
	s_waitcnt vmcnt(0)
	v_add_f64 v[62:63], v[80:81], -v[62:63]
	buffer_store_dword v62, off, s[0:3], 0 offset:184
	buffer_store_dword v63, off, s[0:3], 0 offset:188
	s_and_saveexec_b64 s[4:5], vcc
	s_cbranch_execz .LBB28_137
; %bb.136:
	buffer_load_dword v62, off, s[0:3], 0 offset:176
	buffer_load_dword v63, off, s[0:3], 0 offset:180
	s_waitcnt vmcnt(0)
	ds_write_b64 v1, v[62:63]
	buffer_store_dword v60, off, s[0:3], 0 offset:176
	buffer_store_dword v60, off, s[0:3], 0 offset:180
.LBB28_137:
	s_or_b64 exec, exec, s[4:5]
	s_waitcnt lgkmcnt(0)
	; wave barrier
	s_waitcnt lgkmcnt(0)
	buffer_load_dword v74, off, s[0:3], 0 offset:184
	buffer_load_dword v75, off, s[0:3], 0 offset:188
	;; [unrolled: 1-line block ×14, first 2 shown]
	ds_read2_b64 v[62:65], v60 offset0:53 offset1:54
	ds_read2_b64 v[66:69], v60 offset0:55 offset1:56
	ds_read2_b64 v[70:73], v60 offset0:57 offset1:58
	v_cmp_lt_u32_e32 vcc, 21, v0
	s_waitcnt vmcnt(12) lgkmcnt(2)
	v_fma_f64 v[60:61], v[74:75], v[62:63], 0
	s_waitcnt vmcnt(10)
	v_fmac_f64_e32 v[60:61], v[76:77], v[64:65]
	s_waitcnt vmcnt(8) lgkmcnt(1)
	v_fmac_f64_e32 v[60:61], v[78:79], v[66:67]
	s_waitcnt vmcnt(6)
	v_fmac_f64_e32 v[60:61], v[80:81], v[68:69]
	s_waitcnt vmcnt(4) lgkmcnt(0)
	v_fmac_f64_e32 v[60:61], v[82:83], v[70:71]
	s_waitcnt vmcnt(2)
	v_fmac_f64_e32 v[60:61], v[84:85], v[72:73]
	s_waitcnt vmcnt(0)
	v_add_f64 v[60:61], v[86:87], -v[60:61]
	buffer_store_dword v60, off, s[0:3], 0 offset:176
	buffer_store_dword v61, off, s[0:3], 0 offset:180
	s_and_saveexec_b64 s[4:5], vcc
	s_cbranch_execz .LBB28_139
; %bb.138:
	buffer_load_dword v60, off, s[0:3], 0 offset:168
	buffer_load_dword v61, off, s[0:3], 0 offset:172
	v_mov_b32_e32 v62, 0
	buffer_store_dword v62, off, s[0:3], 0 offset:168
	buffer_store_dword v62, off, s[0:3], 0 offset:172
	s_waitcnt vmcnt(2)
	ds_write_b64 v1, v[60:61]
.LBB28_139:
	s_or_b64 exec, exec, s[4:5]
	s_waitcnt lgkmcnt(0)
	; wave barrier
	s_waitcnt lgkmcnt(0)
	buffer_load_dword v74, off, s[0:3], 0 offset:176
	buffer_load_dword v75, off, s[0:3], 0 offset:180
	;; [unrolled: 1-line block ×16, first 2 shown]
	v_mov_b32_e32 v60, 0
	ds_read_b128 v[62:65], v60 offset:416
	ds_read_b128 v[66:69], v60 offset:432
	ds_read_b128 v[70:73], v60 offset:448
	ds_read_b64 v[90:91], v60 offset:464
	v_cmp_lt_u32_e32 vcc, 20, v0
	s_waitcnt vmcnt(14) lgkmcnt(3)
	v_fma_f64 v[62:63], v[74:75], v[62:63], 0
	s_waitcnt vmcnt(12)
	v_fmac_f64_e32 v[62:63], v[76:77], v[64:65]
	s_waitcnt vmcnt(10) lgkmcnt(2)
	v_fmac_f64_e32 v[62:63], v[78:79], v[66:67]
	s_waitcnt vmcnt(8)
	v_fmac_f64_e32 v[62:63], v[80:81], v[68:69]
	s_waitcnt vmcnt(6) lgkmcnt(1)
	v_fmac_f64_e32 v[62:63], v[82:83], v[70:71]
	;; [unrolled: 4-line block ×3, first 2 shown]
	s_waitcnt vmcnt(0)
	v_add_f64 v[62:63], v[88:89], -v[62:63]
	buffer_store_dword v62, off, s[0:3], 0 offset:168
	buffer_store_dword v63, off, s[0:3], 0 offset:172
	s_and_saveexec_b64 s[4:5], vcc
	s_cbranch_execz .LBB28_141
; %bb.140:
	buffer_load_dword v62, off, s[0:3], 0 offset:160
	buffer_load_dword v63, off, s[0:3], 0 offset:164
	s_waitcnt vmcnt(0)
	ds_write_b64 v1, v[62:63]
	buffer_store_dword v60, off, s[0:3], 0 offset:160
	buffer_store_dword v60, off, s[0:3], 0 offset:164
.LBB28_141:
	s_or_b64 exec, exec, s[4:5]
	s_waitcnt lgkmcnt(0)
	; wave barrier
	s_waitcnt lgkmcnt(0)
	buffer_load_dword v78, off, s[0:3], 0 offset:168
	buffer_load_dword v79, off, s[0:3], 0 offset:172
	;; [unrolled: 1-line block ×18, first 2 shown]
	ds_read2_b64 v[62:65], v60 offset0:51 offset1:52
	ds_read2_b64 v[66:69], v60 offset0:53 offset1:54
	ds_read2_b64 v[70:73], v60 offset0:55 offset1:56
	ds_read2_b64 v[74:77], v60 offset0:57 offset1:58
	v_cmp_lt_u32_e32 vcc, 19, v0
	s_waitcnt vmcnt(16) lgkmcnt(3)
	v_fma_f64 v[60:61], v[78:79], v[62:63], 0
	s_waitcnt vmcnt(14)
	v_fmac_f64_e32 v[60:61], v[80:81], v[64:65]
	s_waitcnt vmcnt(12) lgkmcnt(2)
	v_fmac_f64_e32 v[60:61], v[82:83], v[66:67]
	s_waitcnt vmcnt(10)
	v_fmac_f64_e32 v[60:61], v[84:85], v[68:69]
	s_waitcnt vmcnt(8) lgkmcnt(1)
	v_fmac_f64_e32 v[60:61], v[86:87], v[70:71]
	;; [unrolled: 4-line block ×3, first 2 shown]
	s_waitcnt vmcnt(2)
	v_fmac_f64_e32 v[60:61], v[92:93], v[76:77]
	s_waitcnt vmcnt(0)
	v_add_f64 v[60:61], v[94:95], -v[60:61]
	buffer_store_dword v60, off, s[0:3], 0 offset:160
	buffer_store_dword v61, off, s[0:3], 0 offset:164
	s_and_saveexec_b64 s[4:5], vcc
	s_cbranch_execz .LBB28_143
; %bb.142:
	buffer_load_dword v60, off, s[0:3], 0 offset:152
	buffer_load_dword v61, off, s[0:3], 0 offset:156
	v_mov_b32_e32 v62, 0
	buffer_store_dword v62, off, s[0:3], 0 offset:152
	buffer_store_dword v62, off, s[0:3], 0 offset:156
	s_waitcnt vmcnt(2)
	ds_write_b64 v1, v[60:61]
.LBB28_143:
	s_or_b64 exec, exec, s[4:5]
	s_waitcnt lgkmcnt(0)
	; wave barrier
	s_waitcnt lgkmcnt(0)
	buffer_load_dword v78, off, s[0:3], 0 offset:160
	buffer_load_dword v79, off, s[0:3], 0 offset:164
	;; [unrolled: 1-line block ×20, first 2 shown]
	v_mov_b32_e32 v60, 0
	ds_read_b128 v[62:65], v60 offset:400
	ds_read_b128 v[66:69], v60 offset:416
	;; [unrolled: 1-line block ×4, first 2 shown]
	ds_read_b64 v[98:99], v60 offset:464
	v_cmp_lt_u32_e32 vcc, 18, v0
	s_waitcnt vmcnt(18) lgkmcnt(4)
	v_fma_f64 v[62:63], v[78:79], v[62:63], 0
	s_waitcnt vmcnt(16)
	v_fmac_f64_e32 v[62:63], v[80:81], v[64:65]
	s_waitcnt vmcnt(14) lgkmcnt(3)
	v_fmac_f64_e32 v[62:63], v[82:83], v[66:67]
	s_waitcnt vmcnt(12)
	v_fmac_f64_e32 v[62:63], v[84:85], v[68:69]
	s_waitcnt vmcnt(10) lgkmcnt(2)
	v_fmac_f64_e32 v[62:63], v[86:87], v[70:71]
	;; [unrolled: 4-line block ×3, first 2 shown]
	s_waitcnt vmcnt(2)
	v_fmac_f64_e32 v[62:63], v[94:95], v[76:77]
	s_waitcnt lgkmcnt(0)
	v_fmac_f64_e32 v[62:63], v[92:93], v[98:99]
	s_waitcnt vmcnt(0)
	v_add_f64 v[62:63], v[96:97], -v[62:63]
	buffer_store_dword v62, off, s[0:3], 0 offset:152
	buffer_store_dword v63, off, s[0:3], 0 offset:156
	s_and_saveexec_b64 s[4:5], vcc
	s_cbranch_execz .LBB28_145
; %bb.144:
	buffer_load_dword v62, off, s[0:3], 0 offset:144
	buffer_load_dword v63, off, s[0:3], 0 offset:148
	s_waitcnt vmcnt(0)
	ds_write_b64 v1, v[62:63]
	buffer_store_dword v60, off, s[0:3], 0 offset:144
	buffer_store_dword v60, off, s[0:3], 0 offset:148
.LBB28_145:
	s_or_b64 exec, exec, s[4:5]
	s_waitcnt lgkmcnt(0)
	; wave barrier
	s_waitcnt lgkmcnt(0)
	buffer_load_dword v82, off, s[0:3], 0 offset:152
	buffer_load_dword v83, off, s[0:3], 0 offset:156
	;; [unrolled: 1-line block ×22, first 2 shown]
	ds_read2_b64 v[62:65], v60 offset0:49 offset1:50
	ds_read2_b64 v[66:69], v60 offset0:51 offset1:52
	ds_read2_b64 v[70:73], v60 offset0:53 offset1:54
	ds_read2_b64 v[74:77], v60 offset0:55 offset1:56
	ds_read2_b64 v[78:81], v60 offset0:57 offset1:58
	v_cmp_lt_u32_e32 vcc, 17, v0
	s_waitcnt vmcnt(20) lgkmcnt(4)
	v_fma_f64 v[60:61], v[82:83], v[62:63], 0
	s_waitcnt vmcnt(18)
	v_fmac_f64_e32 v[60:61], v[84:85], v[64:65]
	s_waitcnt vmcnt(16) lgkmcnt(3)
	v_fmac_f64_e32 v[60:61], v[86:87], v[66:67]
	s_waitcnt vmcnt(14)
	v_fmac_f64_e32 v[60:61], v[88:89], v[68:69]
	s_waitcnt vmcnt(12) lgkmcnt(2)
	v_fmac_f64_e32 v[60:61], v[90:91], v[70:71]
	;; [unrolled: 4-line block ×3, first 2 shown]
	s_waitcnt vmcnt(3)
	v_fmac_f64_e32 v[60:61], v[100:101], v[76:77]
	s_waitcnt lgkmcnt(0)
	v_fmac_f64_e32 v[60:61], v[98:99], v[78:79]
	s_waitcnt vmcnt(2)
	v_fmac_f64_e32 v[60:61], v[96:97], v[80:81]
	s_waitcnt vmcnt(0)
	v_add_f64 v[60:61], v[102:103], -v[60:61]
	buffer_store_dword v60, off, s[0:3], 0 offset:144
	buffer_store_dword v61, off, s[0:3], 0 offset:148
	s_and_saveexec_b64 s[4:5], vcc
	s_cbranch_execz .LBB28_147
; %bb.146:
	buffer_load_dword v60, off, s[0:3], 0 offset:136
	buffer_load_dword v61, off, s[0:3], 0 offset:140
	v_mov_b32_e32 v62, 0
	buffer_store_dword v62, off, s[0:3], 0 offset:136
	buffer_store_dword v62, off, s[0:3], 0 offset:140
	s_waitcnt vmcnt(2)
	ds_write_b64 v1, v[60:61]
.LBB28_147:
	s_or_b64 exec, exec, s[4:5]
	s_waitcnt lgkmcnt(0)
	; wave barrier
	s_waitcnt lgkmcnt(0)
	buffer_load_dword v82, off, s[0:3], 0 offset:144
	buffer_load_dword v83, off, s[0:3], 0 offset:148
	;; [unrolled: 1-line block ×24, first 2 shown]
	v_mov_b32_e32 v60, 0
	ds_read_b128 v[62:65], v60 offset:384
	ds_read_b128 v[66:69], v60 offset:400
	;; [unrolled: 1-line block ×5, first 2 shown]
	ds_read_b64 v[106:107], v60 offset:464
	v_cmp_lt_u32_e32 vcc, 16, v0
	s_waitcnt vmcnt(22) lgkmcnt(5)
	v_fma_f64 v[62:63], v[82:83], v[62:63], 0
	s_waitcnt vmcnt(20)
	v_fmac_f64_e32 v[62:63], v[84:85], v[64:65]
	s_waitcnt vmcnt(18) lgkmcnt(4)
	v_fmac_f64_e32 v[62:63], v[86:87], v[66:67]
	s_waitcnt vmcnt(16)
	v_fmac_f64_e32 v[62:63], v[88:89], v[68:69]
	s_waitcnt vmcnt(14) lgkmcnt(3)
	v_fmac_f64_e32 v[62:63], v[90:91], v[70:71]
	;; [unrolled: 4-line block ×3, first 2 shown]
	s_waitcnt vmcnt(4)
	v_fmac_f64_e32 v[62:63], v[102:103], v[76:77]
	s_waitcnt lgkmcnt(1)
	v_fmac_f64_e32 v[62:63], v[100:101], v[78:79]
	s_waitcnt vmcnt(3)
	v_fmac_f64_e32 v[62:63], v[98:99], v[80:81]
	s_waitcnt vmcnt(2) lgkmcnt(0)
	v_fmac_f64_e32 v[62:63], v[96:97], v[106:107]
	s_waitcnt vmcnt(0)
	v_add_f64 v[62:63], v[104:105], -v[62:63]
	buffer_store_dword v63, off, s[0:3], 0 offset:140
	buffer_store_dword v62, off, s[0:3], 0 offset:136
	s_and_saveexec_b64 s[4:5], vcc
	s_cbranch_execz .LBB28_149
; %bb.148:
	buffer_load_dword v62, off, s[0:3], 0 offset:128
	buffer_load_dword v63, off, s[0:3], 0 offset:132
	s_waitcnt vmcnt(0)
	ds_write_b64 v1, v[62:63]
	buffer_store_dword v60, off, s[0:3], 0 offset:128
	buffer_store_dword v60, off, s[0:3], 0 offset:132
.LBB28_149:
	s_or_b64 exec, exec, s[4:5]
	s_waitcnt lgkmcnt(0)
	; wave barrier
	s_waitcnt lgkmcnt(0)
	buffer_load_dword v86, off, s[0:3], 0 offset:136
	buffer_load_dword v87, off, s[0:3], 0 offset:140
	;; [unrolled: 1-line block ×26, first 2 shown]
	ds_read2_b64 v[62:65], v60 offset0:47 offset1:48
	ds_read2_b64 v[66:69], v60 offset0:49 offset1:50
	;; [unrolled: 1-line block ×6, first 2 shown]
	v_cmp_lt_u32_e32 vcc, 15, v0
	s_waitcnt vmcnt(24) lgkmcnt(5)
	v_fma_f64 v[60:61], v[86:87], v[62:63], 0
	s_waitcnt vmcnt(22)
	v_fmac_f64_e32 v[60:61], v[88:89], v[64:65]
	s_waitcnt vmcnt(20) lgkmcnt(4)
	v_fmac_f64_e32 v[60:61], v[90:91], v[66:67]
	s_waitcnt vmcnt(18)
	v_fmac_f64_e32 v[60:61], v[92:93], v[68:69]
	s_waitcnt vmcnt(16) lgkmcnt(3)
	v_fmac_f64_e32 v[60:61], v[94:95], v[70:71]
	;; [unrolled: 4-line block ×3, first 2 shown]
	s_waitcnt vmcnt(5)
	v_fmac_f64_e32 v[60:61], v[106:107], v[76:77]
	s_waitcnt lgkmcnt(1)
	v_fmac_f64_e32 v[60:61], v[104:105], v[78:79]
	v_fmac_f64_e32 v[60:61], v[102:103], v[80:81]
	s_waitcnt vmcnt(4) lgkmcnt(0)
	v_fmac_f64_e32 v[60:61], v[100:101], v[82:83]
	s_waitcnt vmcnt(2)
	v_fmac_f64_e32 v[60:61], v[108:109], v[84:85]
	s_waitcnt vmcnt(0)
	v_add_f64 v[60:61], v[110:111], -v[60:61]
	buffer_store_dword v61, off, s[0:3], 0 offset:132
	buffer_store_dword v60, off, s[0:3], 0 offset:128
	s_and_saveexec_b64 s[4:5], vcc
	s_cbranch_execz .LBB28_151
; %bb.150:
	buffer_load_dword v60, off, s[0:3], 0 offset:120
	buffer_load_dword v61, off, s[0:3], 0 offset:124
	v_mov_b32_e32 v62, 0
	buffer_store_dword v62, off, s[0:3], 0 offset:120
	buffer_store_dword v62, off, s[0:3], 0 offset:124
	s_waitcnt vmcnt(2)
	ds_write_b64 v1, v[60:61]
.LBB28_151:
	s_or_b64 exec, exec, s[4:5]
	s_waitcnt lgkmcnt(0)
	; wave barrier
	s_waitcnt lgkmcnt(0)
	buffer_load_dword v86, off, s[0:3], 0 offset:128
	buffer_load_dword v87, off, s[0:3], 0 offset:132
	;; [unrolled: 1-line block ×28, first 2 shown]
	v_mov_b32_e32 v60, 0
	ds_read_b128 v[62:65], v60 offset:368
	ds_read_b128 v[66:69], v60 offset:384
	;; [unrolled: 1-line block ×6, first 2 shown]
	ds_read_b64 v[114:115], v60 offset:464
	v_cmp_lt_u32_e32 vcc, 14, v0
	s_waitcnt vmcnt(26) lgkmcnt(6)
	v_fma_f64 v[62:63], v[86:87], v[62:63], 0
	s_waitcnt vmcnt(24)
	v_fmac_f64_e32 v[62:63], v[88:89], v[64:65]
	s_waitcnt vmcnt(22) lgkmcnt(5)
	v_fmac_f64_e32 v[62:63], v[90:91], v[66:67]
	s_waitcnt vmcnt(20)
	v_fmac_f64_e32 v[62:63], v[92:93], v[68:69]
	s_waitcnt vmcnt(18) lgkmcnt(4)
	v_fmac_f64_e32 v[62:63], v[94:95], v[70:71]
	;; [unrolled: 4-line block ×3, first 2 shown]
	s_waitcnt vmcnt(6)
	v_fmac_f64_e32 v[62:63], v[106:107], v[76:77]
	s_waitcnt lgkmcnt(2)
	v_fmac_f64_e32 v[62:63], v[104:105], v[78:79]
	v_fmac_f64_e32 v[62:63], v[102:103], v[80:81]
	s_waitcnt lgkmcnt(1)
	v_fmac_f64_e32 v[62:63], v[100:101], v[82:83]
	s_waitcnt vmcnt(2)
	v_fmac_f64_e32 v[62:63], v[110:111], v[84:85]
	s_waitcnt lgkmcnt(0)
	v_fmac_f64_e32 v[62:63], v[108:109], v[114:115]
	s_waitcnt vmcnt(0)
	v_add_f64 v[62:63], v[112:113], -v[62:63]
	buffer_store_dword v63, off, s[0:3], 0 offset:124
	buffer_store_dword v62, off, s[0:3], 0 offset:120
	s_and_saveexec_b64 s[4:5], vcc
	s_cbranch_execz .LBB28_153
; %bb.152:
	buffer_load_dword v62, off, s[0:3], 0 offset:112
	buffer_load_dword v63, off, s[0:3], 0 offset:116
	s_waitcnt vmcnt(0)
	ds_write_b64 v1, v[62:63]
	buffer_store_dword v60, off, s[0:3], 0 offset:112
	buffer_store_dword v60, off, s[0:3], 0 offset:116
.LBB28_153:
	s_or_b64 exec, exec, s[4:5]
	s_waitcnt lgkmcnt(0)
	; wave barrier
	s_waitcnt lgkmcnt(0)
	buffer_load_dword v90, off, s[0:3], 0 offset:120
	buffer_load_dword v91, off, s[0:3], 0 offset:124
	;; [unrolled: 1-line block ×30, first 2 shown]
	ds_read2_b64 v[62:65], v60 offset0:45 offset1:46
	ds_read2_b64 v[66:69], v60 offset0:47 offset1:48
	;; [unrolled: 1-line block ×7, first 2 shown]
	v_cmp_lt_u32_e32 vcc, 13, v0
	s_waitcnt vmcnt(28) lgkmcnt(6)
	v_fma_f64 v[60:61], v[90:91], v[62:63], 0
	s_waitcnt vmcnt(26)
	v_fmac_f64_e32 v[60:61], v[92:93], v[64:65]
	s_waitcnt vmcnt(24) lgkmcnt(5)
	v_fmac_f64_e32 v[60:61], v[94:95], v[66:67]
	s_waitcnt vmcnt(22)
	v_fmac_f64_e32 v[60:61], v[96:97], v[68:69]
	s_waitcnt vmcnt(20) lgkmcnt(4)
	v_fmac_f64_e32 v[60:61], v[98:99], v[70:71]
	;; [unrolled: 4-line block ×3, first 2 shown]
	s_waitcnt vmcnt(8)
	v_fmac_f64_e32 v[60:61], v[110:111], v[76:77]
	s_waitcnt lgkmcnt(2)
	v_fmac_f64_e32 v[60:61], v[108:109], v[78:79]
	v_fmac_f64_e32 v[60:61], v[106:107], v[80:81]
	s_waitcnt lgkmcnt(1)
	v_fmac_f64_e32 v[60:61], v[104:105], v[82:83]
	s_waitcnt vmcnt(3)
	v_fmac_f64_e32 v[60:61], v[116:117], v[84:85]
	s_waitcnt lgkmcnt(0)
	v_fmac_f64_e32 v[60:61], v[114:115], v[86:87]
	s_waitcnt vmcnt(2)
	v_fmac_f64_e32 v[60:61], v[112:113], v[88:89]
	s_waitcnt vmcnt(0)
	v_add_f64 v[60:61], v[118:119], -v[60:61]
	buffer_store_dword v61, off, s[0:3], 0 offset:116
	buffer_store_dword v60, off, s[0:3], 0 offset:112
	s_and_saveexec_b64 s[4:5], vcc
	s_cbranch_execz .LBB28_155
; %bb.154:
	buffer_load_dword v60, off, s[0:3], 0 offset:104
	buffer_load_dword v61, off, s[0:3], 0 offset:108
	v_mov_b32_e32 v62, 0
	buffer_store_dword v62, off, s[0:3], 0 offset:104
	buffer_store_dword v62, off, s[0:3], 0 offset:108
	s_waitcnt vmcnt(2)
	ds_write_b64 v1, v[60:61]
.LBB28_155:
	s_or_b64 exec, exec, s[4:5]
	s_waitcnt lgkmcnt(0)
	; wave barrier
	s_waitcnt lgkmcnt(0)
	buffer_load_dword v90, off, s[0:3], 0 offset:112
	buffer_load_dword v91, off, s[0:3], 0 offset:116
	;; [unrolled: 1-line block ×32, first 2 shown]
	v_mov_b32_e32 v60, 0
	ds_read_b128 v[62:65], v60 offset:352
	ds_read_b128 v[66:69], v60 offset:368
	;; [unrolled: 1-line block ×7, first 2 shown]
	ds_read_b64 v[122:123], v60 offset:464
	v_cmp_lt_u32_e32 vcc, 12, v0
	s_waitcnt vmcnt(30) lgkmcnt(7)
	v_fma_f64 v[62:63], v[90:91], v[62:63], 0
	s_waitcnt vmcnt(28)
	v_fmac_f64_e32 v[62:63], v[92:93], v[64:65]
	s_waitcnt vmcnt(26) lgkmcnt(6)
	v_fmac_f64_e32 v[62:63], v[94:95], v[66:67]
	s_waitcnt vmcnt(24)
	v_fmac_f64_e32 v[62:63], v[96:97], v[68:69]
	s_waitcnt vmcnt(22) lgkmcnt(5)
	v_fmac_f64_e32 v[62:63], v[98:99], v[70:71]
	s_waitcnt vmcnt(20)
	v_fmac_f64_e32 v[62:63], v[100:101], v[72:73]
	s_waitcnt vmcnt(18) lgkmcnt(4)
	v_fmac_f64_e32 v[62:63], v[102:103], v[74:75]
	s_waitcnt vmcnt(10)
	v_fmac_f64_e32 v[62:63], v[110:111], v[76:77]
	s_waitcnt lgkmcnt(3)
	v_fmac_f64_e32 v[62:63], v[108:109], v[78:79]
	v_fmac_f64_e32 v[62:63], v[106:107], v[80:81]
	s_waitcnt lgkmcnt(2)
	v_fmac_f64_e32 v[62:63], v[104:105], v[82:83]
	s_waitcnt vmcnt(4)
	v_fmac_f64_e32 v[62:63], v[118:119], v[84:85]
	s_waitcnt lgkmcnt(1)
	v_fmac_f64_e32 v[62:63], v[116:117], v[86:87]
	s_waitcnt vmcnt(3)
	v_fmac_f64_e32 v[62:63], v[114:115], v[88:89]
	s_waitcnt vmcnt(2) lgkmcnt(0)
	v_fmac_f64_e32 v[62:63], v[112:113], v[122:123]
	s_waitcnt vmcnt(0)
	v_add_f64 v[62:63], v[120:121], -v[62:63]
	buffer_store_dword v63, off, s[0:3], 0 offset:108
	buffer_store_dword v62, off, s[0:3], 0 offset:104
	s_and_saveexec_b64 s[4:5], vcc
	s_cbranch_execz .LBB28_157
; %bb.156:
	buffer_load_dword v62, off, s[0:3], 0 offset:96
	buffer_load_dword v63, off, s[0:3], 0 offset:100
	s_waitcnt vmcnt(0)
	ds_write_b64 v1, v[62:63]
	buffer_store_dword v60, off, s[0:3], 0 offset:96
	buffer_store_dword v60, off, s[0:3], 0 offset:100
.LBB28_157:
	s_or_b64 exec, exec, s[4:5]
	s_waitcnt lgkmcnt(0)
	; wave barrier
	s_waitcnt lgkmcnt(0)
	buffer_load_dword v94, off, s[0:3], 0 offset:104
	buffer_load_dword v95, off, s[0:3], 0 offset:108
	;; [unrolled: 1-line block ×34, first 2 shown]
	ds_read2_b64 v[62:65], v60 offset0:43 offset1:44
	ds_read2_b64 v[66:69], v60 offset0:45 offset1:46
	;; [unrolled: 1-line block ×8, first 2 shown]
	v_cmp_lt_u32_e32 vcc, 11, v0
	s_waitcnt vmcnt(32) lgkmcnt(7)
	v_fma_f64 v[60:61], v[94:95], v[62:63], 0
	s_waitcnt vmcnt(30)
	v_fmac_f64_e32 v[60:61], v[96:97], v[64:65]
	s_waitcnt vmcnt(28) lgkmcnt(6)
	v_fmac_f64_e32 v[60:61], v[98:99], v[66:67]
	s_waitcnt vmcnt(26)
	v_fmac_f64_e32 v[60:61], v[100:101], v[68:69]
	s_waitcnt vmcnt(24) lgkmcnt(5)
	v_fmac_f64_e32 v[60:61], v[102:103], v[70:71]
	;; [unrolled: 4-line block ×3, first 2 shown]
	s_waitcnt vmcnt(12)
	v_fmac_f64_e32 v[60:61], v[114:115], v[76:77]
	s_waitcnt lgkmcnt(3)
	v_fmac_f64_e32 v[60:61], v[112:113], v[78:79]
	v_fmac_f64_e32 v[60:61], v[110:111], v[80:81]
	s_waitcnt lgkmcnt(2)
	v_fmac_f64_e32 v[60:61], v[108:109], v[82:83]
	s_waitcnt vmcnt(5)
	v_fmac_f64_e32 v[60:61], v[122:123], v[84:85]
	s_waitcnt lgkmcnt(1)
	v_fmac_f64_e32 v[60:61], v[120:121], v[86:87]
	v_fmac_f64_e32 v[60:61], v[118:119], v[88:89]
	s_waitcnt vmcnt(4) lgkmcnt(0)
	v_fmac_f64_e32 v[60:61], v[116:117], v[90:91]
	s_waitcnt vmcnt(2)
	v_fmac_f64_e32 v[60:61], v[124:125], v[92:93]
	s_waitcnt vmcnt(0)
	v_add_f64 v[60:61], v[126:127], -v[60:61]
	buffer_store_dword v61, off, s[0:3], 0 offset:100
	buffer_store_dword v60, off, s[0:3], 0 offset:96
	s_and_saveexec_b64 s[4:5], vcc
	s_cbranch_execz .LBB28_159
; %bb.158:
	buffer_load_dword v60, off, s[0:3], 0 offset:88
	buffer_load_dword v61, off, s[0:3], 0 offset:92
	v_mov_b32_e32 v62, 0
	buffer_store_dword v62, off, s[0:3], 0 offset:88
	buffer_store_dword v62, off, s[0:3], 0 offset:92
	s_waitcnt vmcnt(2)
	ds_write_b64 v1, v[60:61]
.LBB28_159:
	s_or_b64 exec, exec, s[4:5]
	s_waitcnt lgkmcnt(0)
	; wave barrier
	s_waitcnt lgkmcnt(0)
	buffer_load_dword v60, off, s[0:3], 0 offset:88
	buffer_load_dword v61, off, s[0:3], 0 offset:92
	;; [unrolled: 1-line block ×16, first 2 shown]
	v_mov_b32_e32 v64, 0
	ds_read_b128 v[66:69], v64 offset:336
	ds_read_b128 v[70:73], v64 offset:352
	;; [unrolled: 1-line block ×4, first 2 shown]
	v_cmp_lt_u32_e32 vcc, 10, v0
	s_waitcnt vmcnt(12) lgkmcnt(3)
	v_fma_f64 v[62:63], v[62:63], v[66:67], 0
	buffer_load_dword v67, off, s[0:3], 0 offset:156
	buffer_load_dword v66, off, s[0:3], 0 offset:152
	s_waitcnt vmcnt(12)
	v_fmac_f64_e32 v[62:63], v[82:83], v[68:69]
	s_waitcnt vmcnt(10) lgkmcnt(2)
	v_fmac_f64_e32 v[62:63], v[84:85], v[70:71]
	buffer_load_dword v71, off, s[0:3], 0 offset:164
	buffer_load_dword v70, off, s[0:3], 0 offset:160
	s_waitcnt vmcnt(10)
	v_fmac_f64_e32 v[62:63], v[86:87], v[72:73]
	s_waitcnt vmcnt(8) lgkmcnt(1)
	v_fmac_f64_e32 v[62:63], v[88:89], v[74:75]
	s_waitcnt vmcnt(6)
	v_fmac_f64_e32 v[62:63], v[90:91], v[76:77]
	s_waitcnt vmcnt(4) lgkmcnt(0)
	v_fmac_f64_e32 v[62:63], v[92:93], v[78:79]
	s_waitcnt vmcnt(2)
	v_fmac_f64_e32 v[62:63], v[66:67], v[80:81]
	ds_read_b128 v[66:69], v64 offset:400
	s_waitcnt vmcnt(0) lgkmcnt(0)
	v_fmac_f64_e32 v[62:63], v[70:71], v[66:67]
	buffer_load_dword v67, off, s[0:3], 0 offset:172
	buffer_load_dword v66, off, s[0:3], 0 offset:168
	buffer_load_dword v71, off, s[0:3], 0 offset:180
	buffer_load_dword v70, off, s[0:3], 0 offset:176
	s_waitcnt vmcnt(2)
	v_fmac_f64_e32 v[62:63], v[66:67], v[68:69]
	ds_read_b128 v[66:69], v64 offset:416
	s_waitcnt vmcnt(0) lgkmcnt(0)
	v_fmac_f64_e32 v[62:63], v[70:71], v[66:67]
	buffer_load_dword v67, off, s[0:3], 0 offset:188
	buffer_load_dword v66, off, s[0:3], 0 offset:184
	buffer_load_dword v71, off, s[0:3], 0 offset:196
	buffer_load_dword v70, off, s[0:3], 0 offset:192
	s_waitcnt vmcnt(2)
	v_fmac_f64_e32 v[62:63], v[66:67], v[68:69]
	ds_read_b128 v[66:69], v64 offset:432
	s_waitcnt vmcnt(0) lgkmcnt(0)
	v_fmac_f64_e32 v[62:63], v[70:71], v[66:67]
	buffer_load_dword v67, off, s[0:3], 0 offset:204
	buffer_load_dword v66, off, s[0:3], 0 offset:200
	buffer_load_dword v71, off, s[0:3], 0 offset:212
	buffer_load_dword v70, off, s[0:3], 0 offset:208
	s_waitcnt vmcnt(2)
	v_fmac_f64_e32 v[62:63], v[66:67], v[68:69]
	ds_read_b128 v[66:69], v64 offset:448
	s_waitcnt vmcnt(0) lgkmcnt(0)
	v_fmac_f64_e32 v[62:63], v[70:71], v[66:67]
	buffer_load_dword v67, off, s[0:3], 0 offset:220
	buffer_load_dword v66, off, s[0:3], 0 offset:216
	s_waitcnt vmcnt(0)
	v_fmac_f64_e32 v[62:63], v[66:67], v[68:69]
	buffer_load_dword v67, off, s[0:3], 0 offset:228
	buffer_load_dword v66, off, s[0:3], 0 offset:224
	ds_read_b64 v[68:69], v64 offset:464
	s_waitcnt vmcnt(0) lgkmcnt(0)
	v_fmac_f64_e32 v[62:63], v[66:67], v[68:69]
	v_add_f64 v[60:61], v[60:61], -v[62:63]
	buffer_store_dword v61, off, s[0:3], 0 offset:92
	buffer_store_dword v60, off, s[0:3], 0 offset:88
	s_and_saveexec_b64 s[4:5], vcc
	s_cbranch_execz .LBB28_161
; %bb.160:
	buffer_load_dword v60, off, s[0:3], 0 offset:80
	buffer_load_dword v61, off, s[0:3], 0 offset:84
	s_waitcnt vmcnt(0)
	ds_write_b64 v1, v[60:61]
	buffer_store_dword v64, off, s[0:3], 0 offset:80
	buffer_store_dword v64, off, s[0:3], 0 offset:84
.LBB28_161:
	s_or_b64 exec, exec, s[4:5]
	s_waitcnt lgkmcnt(0)
	; wave barrier
	s_waitcnt lgkmcnt(0)
	buffer_load_dword v60, off, s[0:3], 0 offset:80
	buffer_load_dword v61, off, s[0:3], 0 offset:84
	;; [unrolled: 1-line block ×16, first 2 shown]
	ds_read2_b64 v[66:69], v64 offset0:41 offset1:42
	v_cmp_lt_u32_e32 vcc, 9, v0
	s_waitcnt vmcnt(12) lgkmcnt(0)
	v_fma_f64 v[62:63], v[62:63], v[66:67], 0
	s_waitcnt vmcnt(10)
	v_fmac_f64_e32 v[62:63], v[70:71], v[68:69]
	ds_read2_b64 v[66:69], v64 offset0:43 offset1:44
	s_waitcnt vmcnt(8) lgkmcnt(0)
	v_fmac_f64_e32 v[62:63], v[72:73], v[66:67]
	s_waitcnt vmcnt(6)
	v_fmac_f64_e32 v[62:63], v[74:75], v[68:69]
	ds_read2_b64 v[66:69], v64 offset0:45 offset1:46
	s_waitcnt vmcnt(4) lgkmcnt(0)
	v_fmac_f64_e32 v[62:63], v[76:77], v[66:67]
	;; [unrolled: 5-line block ×3, first 2 shown]
	buffer_load_dword v67, off, s[0:3], 0 offset:148
	buffer_load_dword v66, off, s[0:3], 0 offset:144
	buffer_load_dword v71, off, s[0:3], 0 offset:156
	buffer_load_dword v70, off, s[0:3], 0 offset:152
	s_waitcnt vmcnt(2)
	v_fmac_f64_e32 v[62:63], v[66:67], v[68:69]
	ds_read2_b64 v[66:69], v64 offset0:49 offset1:50
	s_waitcnt vmcnt(0) lgkmcnt(0)
	v_fmac_f64_e32 v[62:63], v[70:71], v[66:67]
	buffer_load_dword v67, off, s[0:3], 0 offset:164
	buffer_load_dword v66, off, s[0:3], 0 offset:160
	buffer_load_dword v71, off, s[0:3], 0 offset:172
	buffer_load_dword v70, off, s[0:3], 0 offset:168
	s_waitcnt vmcnt(2)
	v_fmac_f64_e32 v[62:63], v[66:67], v[68:69]
	ds_read2_b64 v[66:69], v64 offset0:51 offset1:52
	s_waitcnt vmcnt(0) lgkmcnt(0)
	v_fmac_f64_e32 v[62:63], v[70:71], v[66:67]
	;; [unrolled: 9-line block ×4, first 2 shown]
	buffer_load_dword v67, off, s[0:3], 0 offset:212
	buffer_load_dword v66, off, s[0:3], 0 offset:208
	s_waitcnt vmcnt(0)
	v_fmac_f64_e32 v[62:63], v[66:67], v[68:69]
	buffer_load_dword v69, off, s[0:3], 0 offset:220
	buffer_load_dword v68, off, s[0:3], 0 offset:216
	ds_read2_b64 v[64:67], v64 offset0:57 offset1:58
	s_waitcnt vmcnt(0) lgkmcnt(0)
	v_fmac_f64_e32 v[62:63], v[68:69], v[64:65]
	buffer_load_dword v65, off, s[0:3], 0 offset:228
	buffer_load_dword v64, off, s[0:3], 0 offset:224
	s_waitcnt vmcnt(0)
	v_fmac_f64_e32 v[62:63], v[64:65], v[66:67]
	v_add_f64 v[60:61], v[60:61], -v[62:63]
	buffer_store_dword v61, off, s[0:3], 0 offset:84
	buffer_store_dword v60, off, s[0:3], 0 offset:80
	s_and_saveexec_b64 s[4:5], vcc
	s_cbranch_execz .LBB28_163
; %bb.162:
	buffer_load_dword v60, off, s[0:3], 0 offset:72
	buffer_load_dword v61, off, s[0:3], 0 offset:76
	v_mov_b32_e32 v62, 0
	buffer_store_dword v62, off, s[0:3], 0 offset:72
	buffer_store_dword v62, off, s[0:3], 0 offset:76
	s_waitcnt vmcnt(2)
	ds_write_b64 v1, v[60:61]
.LBB28_163:
	s_or_b64 exec, exec, s[4:5]
	s_waitcnt lgkmcnt(0)
	; wave barrier
	s_waitcnt lgkmcnt(0)
	buffer_load_dword v60, off, s[0:3], 0 offset:72
	buffer_load_dword v61, off, s[0:3], 0 offset:76
	;; [unrolled: 1-line block ×16, first 2 shown]
	v_mov_b32_e32 v64, 0
	ds_read_b128 v[66:69], v64 offset:320
	ds_read_b128 v[70:73], v64 offset:336
	;; [unrolled: 1-line block ×4, first 2 shown]
	v_cmp_lt_u32_e32 vcc, 8, v0
	s_waitcnt vmcnt(12) lgkmcnt(3)
	v_fma_f64 v[62:63], v[62:63], v[66:67], 0
	buffer_load_dword v67, off, s[0:3], 0 offset:140
	buffer_load_dword v66, off, s[0:3], 0 offset:136
	s_waitcnt vmcnt(12)
	v_fmac_f64_e32 v[62:63], v[82:83], v[68:69]
	s_waitcnt vmcnt(10) lgkmcnt(2)
	v_fmac_f64_e32 v[62:63], v[84:85], v[70:71]
	buffer_load_dword v71, off, s[0:3], 0 offset:148
	buffer_load_dword v70, off, s[0:3], 0 offset:144
	s_waitcnt vmcnt(10)
	v_fmac_f64_e32 v[62:63], v[86:87], v[72:73]
	s_waitcnt vmcnt(8) lgkmcnt(1)
	v_fmac_f64_e32 v[62:63], v[88:89], v[74:75]
	s_waitcnt vmcnt(6)
	v_fmac_f64_e32 v[62:63], v[90:91], v[76:77]
	s_waitcnt vmcnt(4) lgkmcnt(0)
	v_fmac_f64_e32 v[62:63], v[92:93], v[78:79]
	s_waitcnt vmcnt(2)
	v_fmac_f64_e32 v[62:63], v[66:67], v[80:81]
	ds_read_b128 v[66:69], v64 offset:384
	s_waitcnt vmcnt(0) lgkmcnt(0)
	v_fmac_f64_e32 v[62:63], v[70:71], v[66:67]
	buffer_load_dword v67, off, s[0:3], 0 offset:156
	buffer_load_dword v66, off, s[0:3], 0 offset:152
	buffer_load_dword v71, off, s[0:3], 0 offset:164
	buffer_load_dword v70, off, s[0:3], 0 offset:160
	s_waitcnt vmcnt(2)
	v_fmac_f64_e32 v[62:63], v[66:67], v[68:69]
	ds_read_b128 v[66:69], v64 offset:400
	s_waitcnt vmcnt(0) lgkmcnt(0)
	v_fmac_f64_e32 v[62:63], v[70:71], v[66:67]
	buffer_load_dword v67, off, s[0:3], 0 offset:172
	buffer_load_dword v66, off, s[0:3], 0 offset:168
	buffer_load_dword v71, off, s[0:3], 0 offset:180
	buffer_load_dword v70, off, s[0:3], 0 offset:176
	s_waitcnt vmcnt(2)
	v_fmac_f64_e32 v[62:63], v[66:67], v[68:69]
	ds_read_b128 v[66:69], v64 offset:416
	s_waitcnt vmcnt(0) lgkmcnt(0)
	v_fmac_f64_e32 v[62:63], v[70:71], v[66:67]
	buffer_load_dword v67, off, s[0:3], 0 offset:188
	buffer_load_dword v66, off, s[0:3], 0 offset:184
	buffer_load_dword v71, off, s[0:3], 0 offset:196
	buffer_load_dword v70, off, s[0:3], 0 offset:192
	s_waitcnt vmcnt(2)
	v_fmac_f64_e32 v[62:63], v[66:67], v[68:69]
	ds_read_b128 v[66:69], v64 offset:432
	s_waitcnt vmcnt(0) lgkmcnt(0)
	v_fmac_f64_e32 v[62:63], v[70:71], v[66:67]
	buffer_load_dword v67, off, s[0:3], 0 offset:204
	buffer_load_dword v66, off, s[0:3], 0 offset:200
	buffer_load_dword v71, off, s[0:3], 0 offset:212
	buffer_load_dword v70, off, s[0:3], 0 offset:208
	s_waitcnt vmcnt(2)
	v_fmac_f64_e32 v[62:63], v[66:67], v[68:69]
	ds_read_b128 v[66:69], v64 offset:448
	s_waitcnt vmcnt(0) lgkmcnt(0)
	v_fmac_f64_e32 v[62:63], v[70:71], v[66:67]
	buffer_load_dword v67, off, s[0:3], 0 offset:220
	buffer_load_dword v66, off, s[0:3], 0 offset:216
	s_waitcnt vmcnt(0)
	v_fmac_f64_e32 v[62:63], v[66:67], v[68:69]
	buffer_load_dword v67, off, s[0:3], 0 offset:228
	buffer_load_dword v66, off, s[0:3], 0 offset:224
	ds_read_b64 v[68:69], v64 offset:464
	s_waitcnt vmcnt(0) lgkmcnt(0)
	v_fmac_f64_e32 v[62:63], v[66:67], v[68:69]
	v_add_f64 v[60:61], v[60:61], -v[62:63]
	buffer_store_dword v61, off, s[0:3], 0 offset:76
	buffer_store_dword v60, off, s[0:3], 0 offset:72
	s_and_saveexec_b64 s[4:5], vcc
	s_cbranch_execz .LBB28_165
; %bb.164:
	buffer_load_dword v60, off, s[0:3], 0 offset:64
	buffer_load_dword v61, off, s[0:3], 0 offset:68
	s_waitcnt vmcnt(0)
	ds_write_b64 v1, v[60:61]
	buffer_store_dword v64, off, s[0:3], 0 offset:64
	buffer_store_dword v64, off, s[0:3], 0 offset:68
.LBB28_165:
	s_or_b64 exec, exec, s[4:5]
	s_waitcnt lgkmcnt(0)
	; wave barrier
	s_waitcnt lgkmcnt(0)
	buffer_load_dword v60, off, s[0:3], 0 offset:64
	buffer_load_dword v61, off, s[0:3], 0 offset:68
	;; [unrolled: 1-line block ×16, first 2 shown]
	ds_read2_b64 v[66:69], v64 offset0:39 offset1:40
	v_cmp_lt_u32_e32 vcc, 7, v0
	s_waitcnt vmcnt(12) lgkmcnt(0)
	v_fma_f64 v[62:63], v[62:63], v[66:67], 0
	s_waitcnt vmcnt(10)
	v_fmac_f64_e32 v[62:63], v[70:71], v[68:69]
	ds_read2_b64 v[66:69], v64 offset0:41 offset1:42
	s_waitcnt vmcnt(8) lgkmcnt(0)
	v_fmac_f64_e32 v[62:63], v[72:73], v[66:67]
	s_waitcnt vmcnt(6)
	v_fmac_f64_e32 v[62:63], v[74:75], v[68:69]
	ds_read2_b64 v[66:69], v64 offset0:43 offset1:44
	s_waitcnt vmcnt(4) lgkmcnt(0)
	v_fmac_f64_e32 v[62:63], v[76:77], v[66:67]
	;; [unrolled: 5-line block ×3, first 2 shown]
	buffer_load_dword v67, off, s[0:3], 0 offset:132
	buffer_load_dword v66, off, s[0:3], 0 offset:128
	buffer_load_dword v71, off, s[0:3], 0 offset:140
	buffer_load_dword v70, off, s[0:3], 0 offset:136
	s_waitcnt vmcnt(2)
	v_fmac_f64_e32 v[62:63], v[66:67], v[68:69]
	ds_read2_b64 v[66:69], v64 offset0:47 offset1:48
	s_waitcnt vmcnt(0) lgkmcnt(0)
	v_fmac_f64_e32 v[62:63], v[70:71], v[66:67]
	buffer_load_dword v67, off, s[0:3], 0 offset:148
	buffer_load_dword v66, off, s[0:3], 0 offset:144
	buffer_load_dword v71, off, s[0:3], 0 offset:156
	buffer_load_dword v70, off, s[0:3], 0 offset:152
	s_waitcnt vmcnt(2)
	v_fmac_f64_e32 v[62:63], v[66:67], v[68:69]
	ds_read2_b64 v[66:69], v64 offset0:49 offset1:50
	s_waitcnt vmcnt(0) lgkmcnt(0)
	v_fmac_f64_e32 v[62:63], v[70:71], v[66:67]
	;; [unrolled: 9-line block ×5, first 2 shown]
	buffer_load_dword v67, off, s[0:3], 0 offset:212
	buffer_load_dword v66, off, s[0:3], 0 offset:208
	s_waitcnt vmcnt(0)
	v_fmac_f64_e32 v[62:63], v[66:67], v[68:69]
	buffer_load_dword v69, off, s[0:3], 0 offset:220
	buffer_load_dword v68, off, s[0:3], 0 offset:216
	ds_read2_b64 v[64:67], v64 offset0:57 offset1:58
	s_waitcnt vmcnt(0) lgkmcnt(0)
	v_fmac_f64_e32 v[62:63], v[68:69], v[64:65]
	buffer_load_dword v65, off, s[0:3], 0 offset:228
	buffer_load_dword v64, off, s[0:3], 0 offset:224
	s_waitcnt vmcnt(0)
	v_fmac_f64_e32 v[62:63], v[64:65], v[66:67]
	v_add_f64 v[60:61], v[60:61], -v[62:63]
	buffer_store_dword v61, off, s[0:3], 0 offset:68
	buffer_store_dword v60, off, s[0:3], 0 offset:64
	s_and_saveexec_b64 s[4:5], vcc
	s_cbranch_execz .LBB28_167
; %bb.166:
	buffer_load_dword v60, off, s[0:3], 0 offset:56
	buffer_load_dword v61, off, s[0:3], 0 offset:60
	v_mov_b32_e32 v62, 0
	buffer_store_dword v62, off, s[0:3], 0 offset:56
	buffer_store_dword v62, off, s[0:3], 0 offset:60
	s_waitcnt vmcnt(2)
	ds_write_b64 v1, v[60:61]
.LBB28_167:
	s_or_b64 exec, exec, s[4:5]
	s_waitcnt lgkmcnt(0)
	; wave barrier
	s_waitcnt lgkmcnt(0)
	buffer_load_dword v60, off, s[0:3], 0 offset:56
	buffer_load_dword v61, off, s[0:3], 0 offset:60
	;; [unrolled: 1-line block ×16, first 2 shown]
	v_mov_b32_e32 v64, 0
	ds_read_b128 v[66:69], v64 offset:304
	ds_read_b128 v[70:73], v64 offset:320
	;; [unrolled: 1-line block ×4, first 2 shown]
	v_cmp_lt_u32_e32 vcc, 6, v0
	s_waitcnt vmcnt(12) lgkmcnt(3)
	v_fma_f64 v[62:63], v[62:63], v[66:67], 0
	buffer_load_dword v67, off, s[0:3], 0 offset:124
	buffer_load_dword v66, off, s[0:3], 0 offset:120
	s_waitcnt vmcnt(12)
	v_fmac_f64_e32 v[62:63], v[82:83], v[68:69]
	s_waitcnt vmcnt(10) lgkmcnt(2)
	v_fmac_f64_e32 v[62:63], v[84:85], v[70:71]
	buffer_load_dword v71, off, s[0:3], 0 offset:132
	buffer_load_dword v70, off, s[0:3], 0 offset:128
	s_waitcnt vmcnt(10)
	v_fmac_f64_e32 v[62:63], v[86:87], v[72:73]
	s_waitcnt vmcnt(8) lgkmcnt(1)
	v_fmac_f64_e32 v[62:63], v[88:89], v[74:75]
	s_waitcnt vmcnt(6)
	v_fmac_f64_e32 v[62:63], v[90:91], v[76:77]
	s_waitcnt vmcnt(4) lgkmcnt(0)
	v_fmac_f64_e32 v[62:63], v[92:93], v[78:79]
	s_waitcnt vmcnt(2)
	v_fmac_f64_e32 v[62:63], v[66:67], v[80:81]
	ds_read_b128 v[66:69], v64 offset:368
	s_waitcnt vmcnt(0) lgkmcnt(0)
	v_fmac_f64_e32 v[62:63], v[70:71], v[66:67]
	buffer_load_dword v67, off, s[0:3], 0 offset:140
	buffer_load_dword v66, off, s[0:3], 0 offset:136
	buffer_load_dword v71, off, s[0:3], 0 offset:148
	buffer_load_dword v70, off, s[0:3], 0 offset:144
	s_waitcnt vmcnt(2)
	v_fmac_f64_e32 v[62:63], v[66:67], v[68:69]
	ds_read_b128 v[66:69], v64 offset:384
	s_waitcnt vmcnt(0) lgkmcnt(0)
	v_fmac_f64_e32 v[62:63], v[70:71], v[66:67]
	buffer_load_dword v67, off, s[0:3], 0 offset:156
	buffer_load_dword v66, off, s[0:3], 0 offset:152
	buffer_load_dword v71, off, s[0:3], 0 offset:164
	buffer_load_dword v70, off, s[0:3], 0 offset:160
	s_waitcnt vmcnt(2)
	v_fmac_f64_e32 v[62:63], v[66:67], v[68:69]
	ds_read_b128 v[66:69], v64 offset:400
	s_waitcnt vmcnt(0) lgkmcnt(0)
	v_fmac_f64_e32 v[62:63], v[70:71], v[66:67]
	buffer_load_dword v67, off, s[0:3], 0 offset:172
	buffer_load_dword v66, off, s[0:3], 0 offset:168
	buffer_load_dword v71, off, s[0:3], 0 offset:180
	buffer_load_dword v70, off, s[0:3], 0 offset:176
	s_waitcnt vmcnt(2)
	v_fmac_f64_e32 v[62:63], v[66:67], v[68:69]
	ds_read_b128 v[66:69], v64 offset:416
	s_waitcnt vmcnt(0) lgkmcnt(0)
	v_fmac_f64_e32 v[62:63], v[70:71], v[66:67]
	buffer_load_dword v67, off, s[0:3], 0 offset:188
	buffer_load_dword v66, off, s[0:3], 0 offset:184
	buffer_load_dword v71, off, s[0:3], 0 offset:196
	buffer_load_dword v70, off, s[0:3], 0 offset:192
	s_waitcnt vmcnt(2)
	v_fmac_f64_e32 v[62:63], v[66:67], v[68:69]
	ds_read_b128 v[66:69], v64 offset:432
	s_waitcnt vmcnt(0) lgkmcnt(0)
	v_fmac_f64_e32 v[62:63], v[70:71], v[66:67]
	buffer_load_dword v67, off, s[0:3], 0 offset:204
	buffer_load_dword v66, off, s[0:3], 0 offset:200
	buffer_load_dword v71, off, s[0:3], 0 offset:212
	buffer_load_dword v70, off, s[0:3], 0 offset:208
	s_waitcnt vmcnt(2)
	v_fmac_f64_e32 v[62:63], v[66:67], v[68:69]
	ds_read_b128 v[66:69], v64 offset:448
	s_waitcnt vmcnt(0) lgkmcnt(0)
	v_fmac_f64_e32 v[62:63], v[70:71], v[66:67]
	buffer_load_dword v67, off, s[0:3], 0 offset:220
	buffer_load_dword v66, off, s[0:3], 0 offset:216
	s_waitcnt vmcnt(0)
	v_fmac_f64_e32 v[62:63], v[66:67], v[68:69]
	buffer_load_dword v67, off, s[0:3], 0 offset:228
	buffer_load_dword v66, off, s[0:3], 0 offset:224
	ds_read_b64 v[68:69], v64 offset:464
	s_waitcnt vmcnt(0) lgkmcnt(0)
	v_fmac_f64_e32 v[62:63], v[66:67], v[68:69]
	v_add_f64 v[60:61], v[60:61], -v[62:63]
	buffer_store_dword v61, off, s[0:3], 0 offset:60
	buffer_store_dword v60, off, s[0:3], 0 offset:56
	s_and_saveexec_b64 s[4:5], vcc
	s_cbranch_execz .LBB28_169
; %bb.168:
	buffer_load_dword v60, off, s[0:3], 0 offset:48
	buffer_load_dword v61, off, s[0:3], 0 offset:52
	s_waitcnt vmcnt(0)
	ds_write_b64 v1, v[60:61]
	buffer_store_dword v64, off, s[0:3], 0 offset:48
	buffer_store_dword v64, off, s[0:3], 0 offset:52
.LBB28_169:
	s_or_b64 exec, exec, s[4:5]
	s_waitcnt lgkmcnt(0)
	; wave barrier
	s_waitcnt lgkmcnt(0)
	buffer_load_dword v60, off, s[0:3], 0 offset:48
	buffer_load_dword v61, off, s[0:3], 0 offset:52
	;; [unrolled: 1-line block ×16, first 2 shown]
	ds_read2_b64 v[66:69], v64 offset0:37 offset1:38
	v_cmp_lt_u32_e32 vcc, 5, v0
	s_waitcnt vmcnt(12) lgkmcnt(0)
	v_fma_f64 v[62:63], v[62:63], v[66:67], 0
	s_waitcnt vmcnt(10)
	v_fmac_f64_e32 v[62:63], v[70:71], v[68:69]
	ds_read2_b64 v[66:69], v64 offset0:39 offset1:40
	s_waitcnt vmcnt(8) lgkmcnt(0)
	v_fmac_f64_e32 v[62:63], v[72:73], v[66:67]
	s_waitcnt vmcnt(6)
	v_fmac_f64_e32 v[62:63], v[74:75], v[68:69]
	ds_read2_b64 v[66:69], v64 offset0:41 offset1:42
	s_waitcnt vmcnt(4) lgkmcnt(0)
	v_fmac_f64_e32 v[62:63], v[76:77], v[66:67]
	;; [unrolled: 5-line block ×3, first 2 shown]
	buffer_load_dword v67, off, s[0:3], 0 offset:116
	buffer_load_dword v66, off, s[0:3], 0 offset:112
	buffer_load_dword v71, off, s[0:3], 0 offset:124
	buffer_load_dword v70, off, s[0:3], 0 offset:120
	s_waitcnt vmcnt(2)
	v_fmac_f64_e32 v[62:63], v[66:67], v[68:69]
	ds_read2_b64 v[66:69], v64 offset0:45 offset1:46
	s_waitcnt vmcnt(0) lgkmcnt(0)
	v_fmac_f64_e32 v[62:63], v[70:71], v[66:67]
	buffer_load_dword v67, off, s[0:3], 0 offset:132
	buffer_load_dword v66, off, s[0:3], 0 offset:128
	buffer_load_dword v71, off, s[0:3], 0 offset:140
	buffer_load_dword v70, off, s[0:3], 0 offset:136
	s_waitcnt vmcnt(2)
	v_fmac_f64_e32 v[62:63], v[66:67], v[68:69]
	ds_read2_b64 v[66:69], v64 offset0:47 offset1:48
	s_waitcnt vmcnt(0) lgkmcnt(0)
	v_fmac_f64_e32 v[62:63], v[70:71], v[66:67]
	;; [unrolled: 9-line block ×6, first 2 shown]
	buffer_load_dword v67, off, s[0:3], 0 offset:212
	buffer_load_dword v66, off, s[0:3], 0 offset:208
	s_waitcnt vmcnt(0)
	v_fmac_f64_e32 v[62:63], v[66:67], v[68:69]
	buffer_load_dword v69, off, s[0:3], 0 offset:220
	buffer_load_dword v68, off, s[0:3], 0 offset:216
	ds_read2_b64 v[64:67], v64 offset0:57 offset1:58
	s_waitcnt vmcnt(0) lgkmcnt(0)
	v_fmac_f64_e32 v[62:63], v[68:69], v[64:65]
	buffer_load_dword v65, off, s[0:3], 0 offset:228
	buffer_load_dword v64, off, s[0:3], 0 offset:224
	s_waitcnt vmcnt(0)
	v_fmac_f64_e32 v[62:63], v[64:65], v[66:67]
	v_add_f64 v[60:61], v[60:61], -v[62:63]
	buffer_store_dword v61, off, s[0:3], 0 offset:52
	buffer_store_dword v60, off, s[0:3], 0 offset:48
	s_and_saveexec_b64 s[4:5], vcc
	s_cbranch_execz .LBB28_171
; %bb.170:
	buffer_load_dword v60, off, s[0:3], 0 offset:40
	buffer_load_dword v61, off, s[0:3], 0 offset:44
	v_mov_b32_e32 v62, 0
	buffer_store_dword v62, off, s[0:3], 0 offset:40
	buffer_store_dword v62, off, s[0:3], 0 offset:44
	s_waitcnt vmcnt(2)
	ds_write_b64 v1, v[60:61]
.LBB28_171:
	s_or_b64 exec, exec, s[4:5]
	s_waitcnt lgkmcnt(0)
	; wave barrier
	s_waitcnt lgkmcnt(0)
	buffer_load_dword v60, off, s[0:3], 0 offset:40
	buffer_load_dword v61, off, s[0:3], 0 offset:44
	buffer_load_dword v62, off, s[0:3], 0 offset:48
	buffer_load_dword v63, off, s[0:3], 0 offset:52
	buffer_load_dword v82, off, s[0:3], 0 offset:56
	buffer_load_dword v83, off, s[0:3], 0 offset:60
	buffer_load_dword v84, off, s[0:3], 0 offset:64
	buffer_load_dword v85, off, s[0:3], 0 offset:68
	buffer_load_dword v86, off, s[0:3], 0 offset:72
	buffer_load_dword v87, off, s[0:3], 0 offset:76
	buffer_load_dword v88, off, s[0:3], 0 offset:80
	buffer_load_dword v89, off, s[0:3], 0 offset:84
	buffer_load_dword v90, off, s[0:3], 0 offset:88
	buffer_load_dword v91, off, s[0:3], 0 offset:92
	buffer_load_dword v92, off, s[0:3], 0 offset:96
	buffer_load_dword v93, off, s[0:3], 0 offset:100
	v_mov_b32_e32 v64, 0
	ds_read_b128 v[66:69], v64 offset:288
	ds_read_b128 v[70:73], v64 offset:304
	;; [unrolled: 1-line block ×4, first 2 shown]
	v_cmp_lt_u32_e32 vcc, 4, v0
	s_waitcnt vmcnt(12) lgkmcnt(3)
	v_fma_f64 v[62:63], v[62:63], v[66:67], 0
	buffer_load_dword v67, off, s[0:3], 0 offset:108
	buffer_load_dword v66, off, s[0:3], 0 offset:104
	s_waitcnt vmcnt(12)
	v_fmac_f64_e32 v[62:63], v[82:83], v[68:69]
	s_waitcnt vmcnt(10) lgkmcnt(2)
	v_fmac_f64_e32 v[62:63], v[84:85], v[70:71]
	buffer_load_dword v71, off, s[0:3], 0 offset:116
	buffer_load_dword v70, off, s[0:3], 0 offset:112
	s_waitcnt vmcnt(10)
	v_fmac_f64_e32 v[62:63], v[86:87], v[72:73]
	s_waitcnt vmcnt(8) lgkmcnt(1)
	v_fmac_f64_e32 v[62:63], v[88:89], v[74:75]
	s_waitcnt vmcnt(6)
	v_fmac_f64_e32 v[62:63], v[90:91], v[76:77]
	s_waitcnt vmcnt(4) lgkmcnt(0)
	v_fmac_f64_e32 v[62:63], v[92:93], v[78:79]
	s_waitcnt vmcnt(2)
	v_fmac_f64_e32 v[62:63], v[66:67], v[80:81]
	ds_read_b128 v[66:69], v64 offset:352
	s_waitcnt vmcnt(0) lgkmcnt(0)
	v_fmac_f64_e32 v[62:63], v[70:71], v[66:67]
	buffer_load_dword v67, off, s[0:3], 0 offset:124
	buffer_load_dword v66, off, s[0:3], 0 offset:120
	buffer_load_dword v71, off, s[0:3], 0 offset:132
	buffer_load_dword v70, off, s[0:3], 0 offset:128
	s_waitcnt vmcnt(2)
	v_fmac_f64_e32 v[62:63], v[66:67], v[68:69]
	ds_read_b128 v[66:69], v64 offset:368
	s_waitcnt vmcnt(0) lgkmcnt(0)
	v_fmac_f64_e32 v[62:63], v[70:71], v[66:67]
	buffer_load_dword v67, off, s[0:3], 0 offset:140
	buffer_load_dword v66, off, s[0:3], 0 offset:136
	buffer_load_dword v71, off, s[0:3], 0 offset:148
	buffer_load_dword v70, off, s[0:3], 0 offset:144
	;; [unrolled: 9-line block ×6, first 2 shown]
	s_waitcnt vmcnt(2)
	v_fmac_f64_e32 v[62:63], v[66:67], v[68:69]
	ds_read_b128 v[66:69], v64 offset:448
	s_waitcnt vmcnt(0) lgkmcnt(0)
	v_fmac_f64_e32 v[62:63], v[70:71], v[66:67]
	buffer_load_dword v67, off, s[0:3], 0 offset:220
	buffer_load_dword v66, off, s[0:3], 0 offset:216
	s_waitcnt vmcnt(0)
	v_fmac_f64_e32 v[62:63], v[66:67], v[68:69]
	buffer_load_dword v67, off, s[0:3], 0 offset:228
	buffer_load_dword v66, off, s[0:3], 0 offset:224
	ds_read_b64 v[68:69], v64 offset:464
	s_waitcnt vmcnt(0) lgkmcnt(0)
	v_fmac_f64_e32 v[62:63], v[66:67], v[68:69]
	v_add_f64 v[60:61], v[60:61], -v[62:63]
	buffer_store_dword v61, off, s[0:3], 0 offset:44
	buffer_store_dword v60, off, s[0:3], 0 offset:40
	s_and_saveexec_b64 s[4:5], vcc
	s_cbranch_execz .LBB28_173
; %bb.172:
	buffer_load_dword v60, off, s[0:3], 0 offset:32
	buffer_load_dword v61, off, s[0:3], 0 offset:36
	s_waitcnt vmcnt(0)
	ds_write_b64 v1, v[60:61]
	buffer_store_dword v64, off, s[0:3], 0 offset:32
	buffer_store_dword v64, off, s[0:3], 0 offset:36
.LBB28_173:
	s_or_b64 exec, exec, s[4:5]
	s_waitcnt lgkmcnt(0)
	; wave barrier
	s_waitcnt lgkmcnt(0)
	buffer_load_dword v60, off, s[0:3], 0 offset:32
	buffer_load_dword v61, off, s[0:3], 0 offset:36
	;; [unrolled: 1-line block ×16, first 2 shown]
	ds_read2_b64 v[66:69], v64 offset0:35 offset1:36
	v_cmp_lt_u32_e32 vcc, 3, v0
	s_waitcnt vmcnt(12) lgkmcnt(0)
	v_fma_f64 v[62:63], v[62:63], v[66:67], 0
	s_waitcnt vmcnt(10)
	v_fmac_f64_e32 v[62:63], v[70:71], v[68:69]
	ds_read2_b64 v[66:69], v64 offset0:37 offset1:38
	s_waitcnt vmcnt(8) lgkmcnt(0)
	v_fmac_f64_e32 v[62:63], v[72:73], v[66:67]
	s_waitcnt vmcnt(6)
	v_fmac_f64_e32 v[62:63], v[74:75], v[68:69]
	ds_read2_b64 v[66:69], v64 offset0:39 offset1:40
	s_waitcnt vmcnt(4) lgkmcnt(0)
	v_fmac_f64_e32 v[62:63], v[76:77], v[66:67]
	;; [unrolled: 5-line block ×3, first 2 shown]
	buffer_load_dword v67, off, s[0:3], 0 offset:100
	buffer_load_dword v66, off, s[0:3], 0 offset:96
	buffer_load_dword v71, off, s[0:3], 0 offset:108
	buffer_load_dword v70, off, s[0:3], 0 offset:104
	s_waitcnt vmcnt(2)
	v_fmac_f64_e32 v[62:63], v[66:67], v[68:69]
	ds_read2_b64 v[66:69], v64 offset0:43 offset1:44
	s_waitcnt vmcnt(0) lgkmcnt(0)
	v_fmac_f64_e32 v[62:63], v[70:71], v[66:67]
	buffer_load_dword v67, off, s[0:3], 0 offset:116
	buffer_load_dword v66, off, s[0:3], 0 offset:112
	buffer_load_dword v71, off, s[0:3], 0 offset:124
	buffer_load_dword v70, off, s[0:3], 0 offset:120
	s_waitcnt vmcnt(2)
	v_fmac_f64_e32 v[62:63], v[66:67], v[68:69]
	ds_read2_b64 v[66:69], v64 offset0:45 offset1:46
	s_waitcnt vmcnt(0) lgkmcnt(0)
	v_fmac_f64_e32 v[62:63], v[70:71], v[66:67]
	;; [unrolled: 9-line block ×7, first 2 shown]
	buffer_load_dword v67, off, s[0:3], 0 offset:212
	buffer_load_dword v66, off, s[0:3], 0 offset:208
	s_waitcnt vmcnt(0)
	v_fmac_f64_e32 v[62:63], v[66:67], v[68:69]
	buffer_load_dword v69, off, s[0:3], 0 offset:220
	buffer_load_dword v68, off, s[0:3], 0 offset:216
	ds_read2_b64 v[64:67], v64 offset0:57 offset1:58
	s_waitcnt vmcnt(0) lgkmcnt(0)
	v_fmac_f64_e32 v[62:63], v[68:69], v[64:65]
	buffer_load_dword v65, off, s[0:3], 0 offset:228
	buffer_load_dword v64, off, s[0:3], 0 offset:224
	s_waitcnt vmcnt(0)
	v_fmac_f64_e32 v[62:63], v[64:65], v[66:67]
	v_add_f64 v[60:61], v[60:61], -v[62:63]
	buffer_store_dword v61, off, s[0:3], 0 offset:36
	buffer_store_dword v60, off, s[0:3], 0 offset:32
	s_and_saveexec_b64 s[4:5], vcc
	s_cbranch_execz .LBB28_175
; %bb.174:
	buffer_load_dword v60, off, s[0:3], 0 offset:24
	buffer_load_dword v61, off, s[0:3], 0 offset:28
	v_mov_b32_e32 v62, 0
	buffer_store_dword v62, off, s[0:3], 0 offset:24
	buffer_store_dword v62, off, s[0:3], 0 offset:28
	s_waitcnt vmcnt(2)
	ds_write_b64 v1, v[60:61]
.LBB28_175:
	s_or_b64 exec, exec, s[4:5]
	s_waitcnt lgkmcnt(0)
	; wave barrier
	s_waitcnt lgkmcnt(0)
	buffer_load_dword v60, off, s[0:3], 0 offset:24
	buffer_load_dword v61, off, s[0:3], 0 offset:28
	;; [unrolled: 1-line block ×16, first 2 shown]
	v_mov_b32_e32 v64, 0
	ds_read_b128 v[66:69], v64 offset:272
	ds_read_b128 v[70:73], v64 offset:288
	;; [unrolled: 1-line block ×4, first 2 shown]
	v_cmp_lt_u32_e32 vcc, 2, v0
	s_waitcnt vmcnt(12) lgkmcnt(3)
	v_fma_f64 v[62:63], v[62:63], v[66:67], 0
	buffer_load_dword v67, off, s[0:3], 0 offset:92
	buffer_load_dword v66, off, s[0:3], 0 offset:88
	s_waitcnt vmcnt(12)
	v_fmac_f64_e32 v[62:63], v[82:83], v[68:69]
	s_waitcnt vmcnt(10) lgkmcnt(2)
	v_fmac_f64_e32 v[62:63], v[84:85], v[70:71]
	buffer_load_dword v71, off, s[0:3], 0 offset:100
	buffer_load_dword v70, off, s[0:3], 0 offset:96
	s_waitcnt vmcnt(10)
	v_fmac_f64_e32 v[62:63], v[86:87], v[72:73]
	s_waitcnt vmcnt(8) lgkmcnt(1)
	v_fmac_f64_e32 v[62:63], v[88:89], v[74:75]
	s_waitcnt vmcnt(6)
	v_fmac_f64_e32 v[62:63], v[90:91], v[76:77]
	s_waitcnt vmcnt(4) lgkmcnt(0)
	v_fmac_f64_e32 v[62:63], v[92:93], v[78:79]
	s_waitcnt vmcnt(2)
	v_fmac_f64_e32 v[62:63], v[66:67], v[80:81]
	ds_read_b128 v[66:69], v64 offset:336
	s_waitcnt vmcnt(0) lgkmcnt(0)
	v_fmac_f64_e32 v[62:63], v[70:71], v[66:67]
	buffer_load_dword v67, off, s[0:3], 0 offset:108
	buffer_load_dword v66, off, s[0:3], 0 offset:104
	buffer_load_dword v71, off, s[0:3], 0 offset:116
	buffer_load_dword v70, off, s[0:3], 0 offset:112
	s_waitcnt vmcnt(2)
	v_fmac_f64_e32 v[62:63], v[66:67], v[68:69]
	ds_read_b128 v[66:69], v64 offset:352
	s_waitcnt vmcnt(0) lgkmcnt(0)
	v_fmac_f64_e32 v[62:63], v[70:71], v[66:67]
	buffer_load_dword v67, off, s[0:3], 0 offset:124
	buffer_load_dword v66, off, s[0:3], 0 offset:120
	buffer_load_dword v71, off, s[0:3], 0 offset:132
	buffer_load_dword v70, off, s[0:3], 0 offset:128
	;; [unrolled: 9-line block ×7, first 2 shown]
	s_waitcnt vmcnt(2)
	v_fmac_f64_e32 v[62:63], v[66:67], v[68:69]
	ds_read_b128 v[66:69], v64 offset:448
	s_waitcnt vmcnt(0) lgkmcnt(0)
	v_fmac_f64_e32 v[62:63], v[70:71], v[66:67]
	buffer_load_dword v67, off, s[0:3], 0 offset:220
	buffer_load_dword v66, off, s[0:3], 0 offset:216
	s_waitcnt vmcnt(0)
	v_fmac_f64_e32 v[62:63], v[66:67], v[68:69]
	buffer_load_dword v67, off, s[0:3], 0 offset:228
	buffer_load_dword v66, off, s[0:3], 0 offset:224
	ds_read_b64 v[68:69], v64 offset:464
	s_waitcnt vmcnt(0) lgkmcnt(0)
	v_fmac_f64_e32 v[62:63], v[66:67], v[68:69]
	v_add_f64 v[60:61], v[60:61], -v[62:63]
	buffer_store_dword v61, off, s[0:3], 0 offset:28
	buffer_store_dword v60, off, s[0:3], 0 offset:24
	s_and_saveexec_b64 s[4:5], vcc
	s_cbranch_execz .LBB28_177
; %bb.176:
	buffer_load_dword v60, off, s[0:3], 0 offset:16
	buffer_load_dword v61, off, s[0:3], 0 offset:20
	s_waitcnt vmcnt(0)
	ds_write_b64 v1, v[60:61]
	buffer_store_dword v64, off, s[0:3], 0 offset:16
	buffer_store_dword v64, off, s[0:3], 0 offset:20
.LBB28_177:
	s_or_b64 exec, exec, s[4:5]
	s_waitcnt lgkmcnt(0)
	; wave barrier
	s_waitcnt lgkmcnt(0)
	buffer_load_dword v60, off, s[0:3], 0 offset:16
	buffer_load_dword v61, off, s[0:3], 0 offset:20
	;; [unrolled: 1-line block ×16, first 2 shown]
	ds_read2_b64 v[66:69], v64 offset0:33 offset1:34
	v_cmp_lt_u32_e32 vcc, 1, v0
	s_waitcnt vmcnt(12) lgkmcnt(0)
	v_fma_f64 v[62:63], v[62:63], v[66:67], 0
	s_waitcnt vmcnt(10)
	v_fmac_f64_e32 v[62:63], v[70:71], v[68:69]
	ds_read2_b64 v[66:69], v64 offset0:35 offset1:36
	s_waitcnt vmcnt(8) lgkmcnt(0)
	v_fmac_f64_e32 v[62:63], v[72:73], v[66:67]
	s_waitcnt vmcnt(6)
	v_fmac_f64_e32 v[62:63], v[74:75], v[68:69]
	ds_read2_b64 v[66:69], v64 offset0:37 offset1:38
	s_waitcnt vmcnt(4) lgkmcnt(0)
	v_fmac_f64_e32 v[62:63], v[76:77], v[66:67]
	;; [unrolled: 5-line block ×3, first 2 shown]
	buffer_load_dword v67, off, s[0:3], 0 offset:84
	buffer_load_dword v66, off, s[0:3], 0 offset:80
	buffer_load_dword v71, off, s[0:3], 0 offset:92
	buffer_load_dword v70, off, s[0:3], 0 offset:88
	s_waitcnt vmcnt(2)
	v_fmac_f64_e32 v[62:63], v[66:67], v[68:69]
	ds_read2_b64 v[66:69], v64 offset0:41 offset1:42
	s_waitcnt vmcnt(0) lgkmcnt(0)
	v_fmac_f64_e32 v[62:63], v[70:71], v[66:67]
	buffer_load_dword v67, off, s[0:3], 0 offset:100
	buffer_load_dword v66, off, s[0:3], 0 offset:96
	buffer_load_dword v71, off, s[0:3], 0 offset:108
	buffer_load_dword v70, off, s[0:3], 0 offset:104
	s_waitcnt vmcnt(2)
	v_fmac_f64_e32 v[62:63], v[66:67], v[68:69]
	ds_read2_b64 v[66:69], v64 offset0:43 offset1:44
	s_waitcnt vmcnt(0) lgkmcnt(0)
	v_fmac_f64_e32 v[62:63], v[70:71], v[66:67]
	;; [unrolled: 9-line block ×8, first 2 shown]
	buffer_load_dword v67, off, s[0:3], 0 offset:212
	buffer_load_dword v66, off, s[0:3], 0 offset:208
	s_waitcnt vmcnt(0)
	v_fmac_f64_e32 v[62:63], v[66:67], v[68:69]
	buffer_load_dword v69, off, s[0:3], 0 offset:220
	buffer_load_dword v68, off, s[0:3], 0 offset:216
	ds_read2_b64 v[64:67], v64 offset0:57 offset1:58
	s_waitcnt vmcnt(0) lgkmcnt(0)
	v_fmac_f64_e32 v[62:63], v[68:69], v[64:65]
	buffer_load_dword v65, off, s[0:3], 0 offset:228
	buffer_load_dword v64, off, s[0:3], 0 offset:224
	s_waitcnt vmcnt(0)
	v_fmac_f64_e32 v[62:63], v[64:65], v[66:67]
	v_add_f64 v[60:61], v[60:61], -v[62:63]
	buffer_store_dword v61, off, s[0:3], 0 offset:20
	buffer_store_dword v60, off, s[0:3], 0 offset:16
	s_and_saveexec_b64 s[4:5], vcc
	s_cbranch_execz .LBB28_179
; %bb.178:
	buffer_load_dword v60, off, s[0:3], 0 offset:8
	buffer_load_dword v61, off, s[0:3], 0 offset:12
	v_mov_b32_e32 v62, 0
	buffer_store_dword v62, off, s[0:3], 0 offset:8
	buffer_store_dword v62, off, s[0:3], 0 offset:12
	s_waitcnt vmcnt(2)
	ds_write_b64 v1, v[60:61]
.LBB28_179:
	s_or_b64 exec, exec, s[4:5]
	s_waitcnt lgkmcnt(0)
	; wave barrier
	s_waitcnt lgkmcnt(0)
	buffer_load_dword v60, off, s[0:3], 0 offset:8
	buffer_load_dword v61, off, s[0:3], 0 offset:12
	;; [unrolled: 1-line block ×16, first 2 shown]
	v_mov_b32_e32 v64, 0
	ds_read_b128 v[66:69], v64 offset:256
	ds_read_b128 v[70:73], v64 offset:272
	;; [unrolled: 1-line block ×4, first 2 shown]
	v_cmp_ne_u32_e32 vcc, 0, v0
	s_waitcnt vmcnt(12) lgkmcnt(3)
	v_fma_f64 v[62:63], v[62:63], v[66:67], 0
	buffer_load_dword v67, off, s[0:3], 0 offset:76
	buffer_load_dword v66, off, s[0:3], 0 offset:72
	s_waitcnt vmcnt(12)
	v_fmac_f64_e32 v[62:63], v[82:83], v[68:69]
	s_waitcnt vmcnt(10) lgkmcnt(2)
	v_fmac_f64_e32 v[62:63], v[84:85], v[70:71]
	buffer_load_dword v71, off, s[0:3], 0 offset:84
	buffer_load_dword v70, off, s[0:3], 0 offset:80
	s_waitcnt vmcnt(10)
	v_fmac_f64_e32 v[62:63], v[86:87], v[72:73]
	s_waitcnt vmcnt(8) lgkmcnt(1)
	v_fmac_f64_e32 v[62:63], v[88:89], v[74:75]
	s_waitcnt vmcnt(6)
	v_fmac_f64_e32 v[62:63], v[90:91], v[76:77]
	s_waitcnt vmcnt(4) lgkmcnt(0)
	v_fmac_f64_e32 v[62:63], v[92:93], v[78:79]
	s_waitcnt vmcnt(2)
	v_fmac_f64_e32 v[62:63], v[66:67], v[80:81]
	ds_read_b128 v[66:69], v64 offset:320
	s_waitcnt vmcnt(0) lgkmcnt(0)
	v_fmac_f64_e32 v[62:63], v[70:71], v[66:67]
	buffer_load_dword v67, off, s[0:3], 0 offset:92
	buffer_load_dword v66, off, s[0:3], 0 offset:88
	buffer_load_dword v71, off, s[0:3], 0 offset:100
	buffer_load_dword v70, off, s[0:3], 0 offset:96
	s_waitcnt vmcnt(2)
	v_fmac_f64_e32 v[62:63], v[66:67], v[68:69]
	ds_read_b128 v[66:69], v64 offset:336
	s_waitcnt vmcnt(0) lgkmcnt(0)
	v_fmac_f64_e32 v[62:63], v[70:71], v[66:67]
	buffer_load_dword v67, off, s[0:3], 0 offset:108
	buffer_load_dword v66, off, s[0:3], 0 offset:104
	buffer_load_dword v71, off, s[0:3], 0 offset:116
	buffer_load_dword v70, off, s[0:3], 0 offset:112
	;; [unrolled: 9-line block ×8, first 2 shown]
	s_waitcnt vmcnt(2)
	v_fmac_f64_e32 v[62:63], v[66:67], v[68:69]
	ds_read_b128 v[66:69], v64 offset:448
	s_waitcnt vmcnt(0) lgkmcnt(0)
	v_fmac_f64_e32 v[62:63], v[70:71], v[66:67]
	buffer_load_dword v67, off, s[0:3], 0 offset:220
	buffer_load_dword v66, off, s[0:3], 0 offset:216
	s_waitcnt vmcnt(0)
	v_fmac_f64_e32 v[62:63], v[66:67], v[68:69]
	buffer_load_dword v67, off, s[0:3], 0 offset:228
	buffer_load_dword v66, off, s[0:3], 0 offset:224
	ds_read_b64 v[68:69], v64 offset:464
	s_waitcnt vmcnt(0) lgkmcnt(0)
	v_fmac_f64_e32 v[62:63], v[66:67], v[68:69]
	v_add_f64 v[60:61], v[60:61], -v[62:63]
	buffer_store_dword v61, off, s[0:3], 0 offset:12
	buffer_store_dword v60, off, s[0:3], 0 offset:8
	s_and_saveexec_b64 s[4:5], vcc
	s_cbranch_execz .LBB28_181
; %bb.180:
	buffer_load_dword v60, off, s[0:3], 0
	buffer_load_dword v61, off, s[0:3], 0 offset:4
	s_waitcnt vmcnt(0)
	ds_write_b64 v1, v[60:61]
	buffer_store_dword v64, off, s[0:3], 0
	buffer_store_dword v64, off, s[0:3], 0 offset:4
.LBB28_181:
	s_or_b64 exec, exec, s[4:5]
	s_waitcnt lgkmcnt(0)
	; wave barrier
	s_waitcnt lgkmcnt(0)
	buffer_load_dword v0, off, s[0:3], 0
	buffer_load_dword v1, off, s[0:3], 0 offset:4
	buffer_load_dword v66, off, s[0:3], 0 offset:8
	;; [unrolled: 1-line block ×15, first 2 shown]
	ds_read2_b64 v[60:63], v64 offset0:31 offset1:32
	s_and_b64 vcc, exec, s[20:21]
	s_waitcnt vmcnt(12) lgkmcnt(0)
	v_fma_f64 v[60:61], v[66:67], v[60:61], 0
	s_waitcnt vmcnt(10)
	v_fmac_f64_e32 v[60:61], v[68:69], v[62:63]
	ds_read2_b64 v[66:69], v64 offset0:33 offset1:34
	s_waitcnt vmcnt(8) lgkmcnt(0)
	v_fmac_f64_e32 v[60:61], v[70:71], v[66:67]
	s_waitcnt vmcnt(6)
	v_fmac_f64_e32 v[60:61], v[72:73], v[68:69]
	ds_read2_b64 v[66:69], v64 offset0:35 offset1:36
	s_waitcnt vmcnt(4) lgkmcnt(0)
	v_fmac_f64_e32 v[60:61], v[74:75], v[66:67]
	s_waitcnt vmcnt(2)
	v_fmac_f64_e32 v[60:61], v[76:77], v[68:69]
	ds_read2_b64 v[66:69], v64 offset0:37 offset1:38
	buffer_load_dword v63, off, s[0:3], 0 offset:68
	buffer_load_dword v62, off, s[0:3], 0 offset:64
	s_waitcnt vmcnt(2) lgkmcnt(0)
	v_fmac_f64_e32 v[60:61], v[78:79], v[66:67]
	s_waitcnt vmcnt(0)
	v_fmac_f64_e32 v[60:61], v[62:63], v[68:69]
	buffer_load_dword v63, off, s[0:3], 0 offset:76
	buffer_load_dword v62, off, s[0:3], 0 offset:72
	ds_read2_b64 v[66:69], v64 offset0:39 offset1:40
	s_waitcnt vmcnt(0) lgkmcnt(0)
	v_fmac_f64_e32 v[60:61], v[62:63], v[66:67]
	buffer_load_dword v63, off, s[0:3], 0 offset:84
	buffer_load_dword v62, off, s[0:3], 0 offset:80
	s_waitcnt vmcnt(0)
	v_fmac_f64_e32 v[60:61], v[62:63], v[68:69]
	buffer_load_dword v63, off, s[0:3], 0 offset:92
	buffer_load_dword v62, off, s[0:3], 0 offset:88
	ds_read2_b64 v[66:69], v64 offset0:41 offset1:42
	s_waitcnt vmcnt(0) lgkmcnt(0)
	v_fmac_f64_e32 v[60:61], v[62:63], v[66:67]
	buffer_load_dword v63, off, s[0:3], 0 offset:100
	buffer_load_dword v62, off, s[0:3], 0 offset:96
	;; [unrolled: 9-line block ×10, first 2 shown]
	s_waitcnt vmcnt(0)
	v_fmac_f64_e32 v[60:61], v[64:65], v[66:67]
	v_add_f64 v[0:1], v[0:1], -v[60:61]
	buffer_store_dword v1, off, s[0:3], 0 offset:4
	buffer_store_dword v0, off, s[0:3], 0
	s_cbranch_vccz .LBB28_239
; %bb.182:
	v_pk_mov_b32 v[0:1], s[10:11], s[10:11] op_sel:[0,1]
	flat_load_dword v0, v[0:1] offset:108
	s_waitcnt vmcnt(0) lgkmcnt(0)
	v_add_u32_e32 v0, -1, v0
	v_cmp_ne_u32_e32 vcc, 27, v0
	s_and_saveexec_b64 s[4:5], vcc
	s_cbranch_execz .LBB28_184
; %bb.183:
	v_mov_b32_e32 v1, 0
	v_lshl_add_u32 v0, v0, 3, v1
	buffer_load_dword v1, v0, s[0:3], 0 offen
	buffer_load_dword v60, v0, s[0:3], 0 offen offset:4
	s_waitcnt vmcnt(1)
	buffer_store_dword v1, off, s[0:3], 0 offset:216
	s_waitcnt vmcnt(1)
	buffer_store_dword v60, off, s[0:3], 0 offset:220
	buffer_store_dword v62, v0, s[0:3], 0 offen
	buffer_store_dword v63, v0, s[0:3], 0 offen offset:4
.LBB28_184:
	s_or_b64 exec, exec, s[4:5]
	v_pk_mov_b32 v[0:1], s[10:11], s[10:11] op_sel:[0,1]
	flat_load_dword v0, v[0:1] offset:104
	s_waitcnt vmcnt(0) lgkmcnt(0)
	v_add_u32_e32 v0, -1, v0
	v_cmp_ne_u32_e32 vcc, 26, v0
	s_and_saveexec_b64 s[4:5], vcc
	s_cbranch_execz .LBB28_186
; %bb.185:
	v_mov_b32_e32 v1, 0
	v_lshl_add_u32 v0, v0, 3, v1
	buffer_load_dword v1, v0, s[0:3], 0 offen
	buffer_load_dword v60, v0, s[0:3], 0 offen offset:4
	buffer_load_dword v61, off, s[0:3], 0 offset:212
	buffer_load_dword v62, off, s[0:3], 0 offset:208
	s_waitcnt vmcnt(3)
	buffer_store_dword v1, off, s[0:3], 0 offset:208
	s_waitcnt vmcnt(3)
	buffer_store_dword v60, off, s[0:3], 0 offset:212
	s_waitcnt vmcnt(3)
	buffer_store_dword v61, v0, s[0:3], 0 offen offset:4
	s_waitcnt vmcnt(3)
	buffer_store_dword v62, v0, s[0:3], 0 offen
.LBB28_186:
	s_or_b64 exec, exec, s[4:5]
	v_pk_mov_b32 v[0:1], s[10:11], s[10:11] op_sel:[0,1]
	flat_load_dword v0, v[0:1] offset:100
	s_waitcnt vmcnt(0) lgkmcnt(0)
	v_add_u32_e32 v0, -1, v0
	v_cmp_ne_u32_e32 vcc, 25, v0
	s_and_saveexec_b64 s[4:5], vcc
	s_cbranch_execz .LBB28_188
; %bb.187:
	v_mov_b32_e32 v1, 0
	v_lshl_add_u32 v0, v0, 3, v1
	buffer_load_dword v1, v0, s[0:3], 0 offen
	buffer_load_dword v60, v0, s[0:3], 0 offen offset:4
	buffer_load_dword v61, off, s[0:3], 0 offset:200
	buffer_load_dword v62, off, s[0:3], 0 offset:204
	s_waitcnt vmcnt(3)
	buffer_store_dword v1, off, s[0:3], 0 offset:200
	s_waitcnt vmcnt(3)
	buffer_store_dword v60, off, s[0:3], 0 offset:204
	s_waitcnt vmcnt(3)
	buffer_store_dword v61, v0, s[0:3], 0 offen
	s_waitcnt vmcnt(3)
	buffer_store_dword v62, v0, s[0:3], 0 offen offset:4
.LBB28_188:
	s_or_b64 exec, exec, s[4:5]
	v_pk_mov_b32 v[0:1], s[10:11], s[10:11] op_sel:[0,1]
	flat_load_dword v0, v[0:1] offset:96
	s_waitcnt vmcnt(0) lgkmcnt(0)
	v_add_u32_e32 v0, -1, v0
	v_cmp_ne_u32_e32 vcc, 24, v0
	s_and_saveexec_b64 s[4:5], vcc
	s_cbranch_execz .LBB28_190
; %bb.189:
	v_mov_b32_e32 v1, 0
	v_lshl_add_u32 v0, v0, 3, v1
	buffer_load_dword v1, v0, s[0:3], 0 offen
	buffer_load_dword v60, v0, s[0:3], 0 offen offset:4
	buffer_load_dword v61, off, s[0:3], 0 offset:196
	buffer_load_dword v62, off, s[0:3], 0 offset:192
	s_waitcnt vmcnt(3)
	buffer_store_dword v1, off, s[0:3], 0 offset:192
	s_waitcnt vmcnt(3)
	buffer_store_dword v60, off, s[0:3], 0 offset:196
	s_waitcnt vmcnt(3)
	buffer_store_dword v61, v0, s[0:3], 0 offen offset:4
	s_waitcnt vmcnt(3)
	buffer_store_dword v62, v0, s[0:3], 0 offen
.LBB28_190:
	s_or_b64 exec, exec, s[4:5]
	v_pk_mov_b32 v[0:1], s[10:11], s[10:11] op_sel:[0,1]
	flat_load_dword v0, v[0:1] offset:92
	s_waitcnt vmcnt(0) lgkmcnt(0)
	v_add_u32_e32 v0, -1, v0
	v_cmp_ne_u32_e32 vcc, 23, v0
	s_and_saveexec_b64 s[4:5], vcc
	s_cbranch_execz .LBB28_192
; %bb.191:
	v_mov_b32_e32 v1, 0
	v_lshl_add_u32 v0, v0, 3, v1
	buffer_load_dword v1, v0, s[0:3], 0 offen
	buffer_load_dword v60, v0, s[0:3], 0 offen offset:4
	buffer_load_dword v61, off, s[0:3], 0 offset:184
	buffer_load_dword v62, off, s[0:3], 0 offset:188
	s_waitcnt vmcnt(3)
	buffer_store_dword v1, off, s[0:3], 0 offset:184
	s_waitcnt vmcnt(3)
	buffer_store_dword v60, off, s[0:3], 0 offset:188
	s_waitcnt vmcnt(3)
	buffer_store_dword v61, v0, s[0:3], 0 offen
	s_waitcnt vmcnt(3)
	buffer_store_dword v62, v0, s[0:3], 0 offen offset:4
.LBB28_192:
	;; [unrolled: 48-line block ×13, first 2 shown]
	s_or_b64 exec, exec, s[4:5]
	v_pk_mov_b32 v[0:1], s[10:11], s[10:11] op_sel:[0,1]
	flat_load_dword v60, v[0:1]
	s_nop 0
	buffer_load_dword v0, off, s[0:3], 0
	buffer_load_dword v1, off, s[0:3], 0 offset:4
	s_waitcnt vmcnt(0) lgkmcnt(0)
	v_add_u32_e32 v60, -1, v60
	v_cmp_ne_u32_e32 vcc, 0, v60
	s_and_saveexec_b64 s[4:5], vcc
	s_cbranch_execz .LBB28_238
; %bb.237:
	v_mov_b32_e32 v61, 0
	v_lshl_add_u32 v60, v60, 3, v61
	buffer_load_dword v61, v60, s[0:3], 0 offen offset:4
	buffer_load_dword v62, v60, s[0:3], 0 offen
	s_waitcnt vmcnt(1)
	buffer_store_dword v61, off, s[0:3], 0 offset:4
	s_waitcnt vmcnt(1)
	buffer_store_dword v62, off, s[0:3], 0
	buffer_store_dword v1, v60, s[0:3], 0 offen offset:4
	buffer_store_dword v0, v60, s[0:3], 0 offen
	buffer_load_dword v0, off, s[0:3], 0
	s_nop 0
	buffer_load_dword v1, off, s[0:3], 0 offset:4
.LBB28_238:
	s_or_b64 exec, exec, s[4:5]
.LBB28_239:
	buffer_load_dword v60, off, s[0:3], 0 offset:8
	buffer_load_dword v61, off, s[0:3], 0 offset:12
	;; [unrolled: 1-line block ×56, first 2 shown]
	s_waitcnt vmcnt(56)
	global_store_dwordx2 v[50:51], v[0:1], off
	s_waitcnt vmcnt(55)
	global_store_dwordx2 v[52:53], v[60:61], off
	;; [unrolled: 2-line block ×29, first 2 shown]
	s_endpgm
	.section	.rodata,"a",@progbits
	.p2align	6, 0x0
	.amdhsa_kernel _ZN9rocsolver6v33100L18getri_kernel_smallILi29EdPdEEvT1_iilPiilS4_bb
		.amdhsa_group_segment_fixed_size 472
		.amdhsa_private_segment_fixed_size 240
		.amdhsa_kernarg_size 60
		.amdhsa_user_sgpr_count 8
		.amdhsa_user_sgpr_private_segment_buffer 1
		.amdhsa_user_sgpr_dispatch_ptr 0
		.amdhsa_user_sgpr_queue_ptr 0
		.amdhsa_user_sgpr_kernarg_segment_ptr 1
		.amdhsa_user_sgpr_dispatch_id 0
		.amdhsa_user_sgpr_flat_scratch_init 1
		.amdhsa_user_sgpr_kernarg_preload_length 0
		.amdhsa_user_sgpr_kernarg_preload_offset 0
		.amdhsa_user_sgpr_private_segment_size 0
		.amdhsa_uses_dynamic_stack 0
		.amdhsa_system_sgpr_private_segment_wavefront_offset 1
		.amdhsa_system_sgpr_workgroup_id_x 1
		.amdhsa_system_sgpr_workgroup_id_y 0
		.amdhsa_system_sgpr_workgroup_id_z 0
		.amdhsa_system_sgpr_workgroup_info 0
		.amdhsa_system_vgpr_workitem_id 0
		.amdhsa_next_free_vgpr 128
		.amdhsa_next_free_sgpr 23
		.amdhsa_accum_offset 128
		.amdhsa_reserve_vcc 1
		.amdhsa_reserve_flat_scratch 1
		.amdhsa_float_round_mode_32 0
		.amdhsa_float_round_mode_16_64 0
		.amdhsa_float_denorm_mode_32 3
		.amdhsa_float_denorm_mode_16_64 3
		.amdhsa_dx10_clamp 1
		.amdhsa_ieee_mode 1
		.amdhsa_fp16_overflow 0
		.amdhsa_tg_split 0
		.amdhsa_exception_fp_ieee_invalid_op 0
		.amdhsa_exception_fp_denorm_src 0
		.amdhsa_exception_fp_ieee_div_zero 0
		.amdhsa_exception_fp_ieee_overflow 0
		.amdhsa_exception_fp_ieee_underflow 0
		.amdhsa_exception_fp_ieee_inexact 0
		.amdhsa_exception_int_div_zero 0
	.end_amdhsa_kernel
	.section	.text._ZN9rocsolver6v33100L18getri_kernel_smallILi29EdPdEEvT1_iilPiilS4_bb,"axG",@progbits,_ZN9rocsolver6v33100L18getri_kernel_smallILi29EdPdEEvT1_iilPiilS4_bb,comdat
.Lfunc_end28:
	.size	_ZN9rocsolver6v33100L18getri_kernel_smallILi29EdPdEEvT1_iilPiilS4_bb, .Lfunc_end28-_ZN9rocsolver6v33100L18getri_kernel_smallILi29EdPdEEvT1_iilPiilS4_bb
                                        ; -- End function
	.section	.AMDGPU.csdata,"",@progbits
; Kernel info:
; codeLenInByte = 26696
; NumSgprs: 29
; NumVgprs: 128
; NumAgprs: 0
; TotalNumVgprs: 128
; ScratchSize: 240
; MemoryBound: 0
; FloatMode: 240
; IeeeMode: 1
; LDSByteSize: 472 bytes/workgroup (compile time only)
; SGPRBlocks: 3
; VGPRBlocks: 15
; NumSGPRsForWavesPerEU: 29
; NumVGPRsForWavesPerEU: 128
; AccumOffset: 128
; Occupancy: 4
; WaveLimiterHint : 1
; COMPUTE_PGM_RSRC2:SCRATCH_EN: 1
; COMPUTE_PGM_RSRC2:USER_SGPR: 8
; COMPUTE_PGM_RSRC2:TRAP_HANDLER: 0
; COMPUTE_PGM_RSRC2:TGID_X_EN: 1
; COMPUTE_PGM_RSRC2:TGID_Y_EN: 0
; COMPUTE_PGM_RSRC2:TGID_Z_EN: 0
; COMPUTE_PGM_RSRC2:TIDIG_COMP_CNT: 0
; COMPUTE_PGM_RSRC3_GFX90A:ACCUM_OFFSET: 31
; COMPUTE_PGM_RSRC3_GFX90A:TG_SPLIT: 0
	.section	.text._ZN9rocsolver6v33100L18getri_kernel_smallILi30EdPdEEvT1_iilPiilS4_bb,"axG",@progbits,_ZN9rocsolver6v33100L18getri_kernel_smallILi30EdPdEEvT1_iilPiilS4_bb,comdat
	.globl	_ZN9rocsolver6v33100L18getri_kernel_smallILi30EdPdEEvT1_iilPiilS4_bb ; -- Begin function _ZN9rocsolver6v33100L18getri_kernel_smallILi30EdPdEEvT1_iilPiilS4_bb
	.p2align	8
	.type	_ZN9rocsolver6v33100L18getri_kernel_smallILi30EdPdEEvT1_iilPiilS4_bb,@function
_ZN9rocsolver6v33100L18getri_kernel_smallILi30EdPdEEvT1_iilPiilS4_bb: ; @_ZN9rocsolver6v33100L18getri_kernel_smallILi30EdPdEEvT1_iilPiilS4_bb
; %bb.0:
	s_add_u32 flat_scratch_lo, s6, s9
	s_addc_u32 flat_scratch_hi, s7, 0
	s_add_u32 s0, s0, s9
	s_addc_u32 s1, s1, 0
	v_cmp_gt_u32_e32 vcc, 30, v0
	s_and_saveexec_b64 s[6:7], vcc
	s_cbranch_execz .LBB29_128
; %bb.1:
	s_load_dword s22, s[4:5], 0x38
	s_load_dwordx4 s[16:19], s[4:5], 0x10
	s_load_dwordx4 s[12:15], s[4:5], 0x28
                                        ; implicit-def: $sgpr10_sgpr11
	s_waitcnt lgkmcnt(0)
	s_bitcmp1_b32 s22, 8
	s_cselect_b64 s[20:21], -1, 0
	s_ashr_i32 s9, s8, 31
	s_bfe_u32 s6, s22, 0x10008
	s_cmp_eq_u32 s6, 0
	s_cbranch_scc1 .LBB29_3
; %bb.2:
	s_load_dword s6, s[4:5], 0x20
	s_mul_i32 s7, s8, s13
	s_mul_hi_u32 s10, s8, s12
	s_mul_i32 s11, s9, s12
	s_add_i32 s10, s10, s7
	s_add_i32 s11, s10, s11
	s_mul_i32 s10, s8, s12
	s_waitcnt lgkmcnt(0)
	s_ashr_i32 s7, s6, 31
	s_lshl_b64 s[10:11], s[10:11], 2
	s_add_u32 s10, s18, s10
	s_addc_u32 s11, s19, s11
	s_lshl_b64 s[6:7], s[6:7], 2
	s_add_u32 s10, s10, s6
	s_addc_u32 s11, s11, s7
.LBB29_3:
	s_load_dwordx4 s[4:7], s[4:5], 0x0
	s_mul_i32 s12, s8, s17
	s_mul_hi_u32 s13, s8, s16
	s_add_i32 s17, s13, s12
	s_waitcnt lgkmcnt(0)
	s_ashr_i32 s13, s6, 31
	s_mov_b32 s12, s6
	s_mul_i32 s6, s9, s16
	s_add_i32 s17, s17, s6
	s_mul_i32 s16, s8, s16
	s_lshl_b64 s[16:17], s[16:17], 3
	s_add_u32 s6, s4, s16
	s_addc_u32 s16, s5, s17
	s_lshl_b64 s[4:5], s[12:13], 3
	s_add_u32 s4, s6, s4
	s_addc_u32 s5, s16, s5
	s_add_i32 s6, s7, s7
	v_add_u32_e32 v4, s6, v0
	v_ashrrev_i32_e32 v5, 31, v4
	v_lshlrev_b64 v[2:3], 3, v[4:5]
	v_add_u32_e32 v6, s7, v4
	v_mov_b32_e32 v1, s5
	v_add_co_u32_e32 v2, vcc, s4, v2
	v_ashrrev_i32_e32 v7, 31, v6
	v_addc_co_u32_e32 v3, vcc, v1, v3, vcc
	v_lshlrev_b64 v[4:5], 3, v[6:7]
	v_add_u32_e32 v8, s7, v6
	v_add_co_u32_e32 v4, vcc, s4, v4
	v_ashrrev_i32_e32 v9, 31, v8
	v_addc_co_u32_e32 v5, vcc, v1, v5, vcc
	v_lshlrev_b64 v[6:7], 3, v[8:9]
	v_add_u32_e32 v10, s7, v8
	;; [unrolled: 5-line block ×22, first 2 shown]
	v_add_co_u32_e32 v46, vcc, s4, v46
	v_ashrrev_i32_e32 v51, 31, v50
	v_addc_co_u32_e32 v47, vcc, v1, v47, vcc
	v_lshlrev_b64 v[48:49], 3, v[50:51]
	v_add_co_u32_e32 v48, vcc, s4, v48
	v_addc_co_u32_e32 v49, vcc, v1, v49, vcc
	v_lshlrev_b32_e32 v1, 3, v0
	v_mov_b32_e32 v53, s5
	v_add_co_u32_e32 v52, vcc, s4, v1
	s_ashr_i32 s13, s7, 31
	s_mov_b32 s12, s7
	v_add_u32_e32 v56, s7, v50
	v_addc_co_u32_e32 v53, vcc, 0, v53, vcc
	s_lshl_b64 s[12:13], s[12:13], 3
	v_ashrrev_i32_e32 v57, 31, v56
	v_mov_b32_e32 v55, s13
	v_add_co_u32_e32 v54, vcc, s12, v52
	v_lshlrev_b64 v[50:51], 3, v[56:57]
	v_addc_co_u32_e32 v55, vcc, v53, v55, vcc
	v_add_u32_e32 v58, s7, v56
	v_mov_b32_e32 v57, s5
	v_add_co_u32_e32 v50, vcc, s4, v50
	v_ashrrev_i32_e32 v59, 31, v58
	v_addc_co_u32_e32 v51, vcc, v57, v51, vcc
	v_lshlrev_b64 v[56:57], 3, v[58:59]
	v_add_u32_e32 v60, s7, v58
	v_mov_b32_e32 v59, s5
	v_add_co_u32_e32 v56, vcc, s4, v56
	v_ashrrev_i32_e32 v61, 31, v60
	v_addc_co_u32_e32 v57, vcc, v59, v57, vcc
	v_lshlrev_b64 v[58:59], 3, v[60:61]
	v_mov_b32_e32 v61, s5
	v_add_co_u32_e32 v58, vcc, s4, v58
	global_load_dwordx2 v[62:63], v1, s[4:5]
	global_load_dwordx2 v[64:65], v[54:55], off
	global_load_dwordx2 v[66:67], v[2:3], off
	;; [unrolled: 1-line block ×20, first 2 shown]
	v_addc_co_u32_e32 v59, vcc, v61, v59, vcc
	global_load_dwordx2 v[104:105], v[40:41], off
	global_load_dwordx2 v[106:107], v[42:43], off
	;; [unrolled: 1-line block ×8, first 2 shown]
	v_add_u32_e32 v60, s7, v60
	v_ashrrev_i32_e32 v61, 31, v60
	v_lshlrev_b64 v[60:61], 3, v[60:61]
	v_mov_b32_e32 v120, s5
	v_add_co_u32_e32 v60, vcc, s4, v60
	v_addc_co_u32_e32 v61, vcc, v120, v61, vcc
	global_load_dwordx2 v[120:121], v[60:61], off
	s_bitcmp0_b32 s22, 0
	s_mov_b64 s[6:7], -1
	s_waitcnt vmcnt(29)
	buffer_store_dword v63, off, s[0:3], 0 offset:4
	buffer_store_dword v62, off, s[0:3], 0
	s_waitcnt vmcnt(30)
	buffer_store_dword v65, off, s[0:3], 0 offset:12
	buffer_store_dword v64, off, s[0:3], 0 offset:8
	s_waitcnt vmcnt(31)
	buffer_store_dword v67, off, s[0:3], 0 offset:20
	buffer_store_dword v66, off, s[0:3], 0 offset:16
	;; [unrolled: 3-line block ×29, first 2 shown]
	s_cbranch_scc1 .LBB29_126
; %bb.4:
	v_cmp_eq_u32_e64 s[4:5], 0, v0
	s_and_saveexec_b64 s[6:7], s[4:5]
	s_cbranch_execz .LBB29_6
; %bb.5:
	v_mov_b32_e32 v62, 0
	ds_write_b32 v62, v62 offset:480
.LBB29_6:
	s_or_b64 exec, exec, s[6:7]
	v_mov_b32_e32 v62, 0
	v_lshl_add_u32 v62, v0, 3, v62
	s_waitcnt lgkmcnt(0)
	; wave barrier
	s_waitcnt lgkmcnt(0)
	buffer_load_dword v64, v62, s[0:3], 0 offen
	buffer_load_dword v65, v62, s[0:3], 0 offen offset:4
	s_waitcnt vmcnt(0)
	v_cmp_eq_f64_e32 vcc, 0, v[64:65]
	s_and_saveexec_b64 s[12:13], vcc
	s_cbranch_execz .LBB29_10
; %bb.7:
	v_mov_b32_e32 v63, 0
	ds_read_b32 v65, v63 offset:480
	v_add_u32_e32 v64, 1, v0
	s_waitcnt lgkmcnt(0)
	v_readfirstlane_b32 s6, v65
	s_cmp_eq_u32 s6, 0
	s_cselect_b64 s[16:17], -1, 0
	v_cmp_gt_i32_e32 vcc, s6, v64
	s_or_b64 s[16:17], s[16:17], vcc
	s_and_b64 exec, exec, s[16:17]
	s_cbranch_execz .LBB29_10
; %bb.8:
	s_mov_b64 s[16:17], 0
	v_mov_b32_e32 v65, s6
.LBB29_9:                               ; =>This Inner Loop Header: Depth=1
	ds_cmpst_rtn_b32 v65, v63, v65, v64 offset:480
	s_waitcnt lgkmcnt(0)
	v_cmp_ne_u32_e32 vcc, 0, v65
	v_cmp_le_i32_e64 s[6:7], v65, v64
	s_and_b64 s[6:7], vcc, s[6:7]
	s_and_b64 s[6:7], exec, s[6:7]
	s_or_b64 s[16:17], s[6:7], s[16:17]
	s_andn2_b64 exec, exec, s[16:17]
	s_cbranch_execnz .LBB29_9
.LBB29_10:
	s_or_b64 exec, exec, s[12:13]
	v_mov_b32_e32 v64, 0
	s_waitcnt lgkmcnt(0)
	; wave barrier
	ds_read_b32 v63, v64 offset:480
	s_and_saveexec_b64 s[6:7], s[4:5]
	s_cbranch_execz .LBB29_12
; %bb.11:
	s_lshl_b64 s[12:13], s[8:9], 2
	s_add_u32 s12, s14, s12
	s_addc_u32 s13, s15, s13
	s_waitcnt lgkmcnt(0)
	global_store_dword v64, v63, s[12:13]
.LBB29_12:
	s_or_b64 exec, exec, s[6:7]
	s_waitcnt lgkmcnt(0)
	v_cmp_ne_u32_e32 vcc, 0, v63
	s_mov_b64 s[6:7], 0
	s_cbranch_vccnz .LBB29_126
; %bb.13:
	buffer_load_dword v64, v62, s[0:3], 0 offen
	buffer_load_dword v65, v62, s[0:3], 0 offen offset:4
	s_waitcnt vmcnt(0)
	v_div_scale_f64 v[66:67], s[6:7], v[64:65], v[64:65], 1.0
	v_rcp_f64_e32 v[68:69], v[66:67]
	v_div_scale_f64 v[70:71], vcc, 1.0, v[64:65], 1.0
	v_fma_f64 v[72:73], -v[66:67], v[68:69], 1.0
	v_fmac_f64_e32 v[68:69], v[68:69], v[72:73]
	v_fma_f64 v[72:73], -v[66:67], v[68:69], 1.0
	v_fmac_f64_e32 v[68:69], v[68:69], v[72:73]
	v_mul_f64 v[72:73], v[70:71], v[68:69]
	v_fma_f64 v[66:67], -v[66:67], v[72:73], v[70:71]
	v_div_fmas_f64 v[66:67], v[66:67], v[68:69], v[72:73]
	v_div_fixup_f64 v[66:67], v[66:67], v[64:65], 1.0
	buffer_store_dword v67, v62, s[0:3], 0 offen offset:4
	buffer_store_dword v66, v62, s[0:3], 0 offen
	buffer_load_dword v69, off, s[0:3], 0 offset:12
	buffer_load_dword v68, off, s[0:3], 0 offset:8
	v_add_u32_e32 v64, 0xf0, v1
	v_xor_b32_e32 v67, 0x80000000, v67
	s_waitcnt vmcnt(0)
	ds_write2_b64 v1, v[66:67], v[68:69] offset1:30
	s_waitcnt lgkmcnt(0)
	; wave barrier
	s_waitcnt lgkmcnt(0)
	s_and_saveexec_b64 s[6:7], s[4:5]
	s_cbranch_execz .LBB29_15
; %bb.14:
	buffer_load_dword v66, v62, s[0:3], 0 offen
	buffer_load_dword v67, v62, s[0:3], 0 offen offset:4
	v_mov_b32_e32 v63, 0
	ds_read_b64 v[68:69], v64
	ds_read_b64 v[70:71], v63 offset:8
	s_waitcnt vmcnt(0) lgkmcnt(1)
	v_fma_f64 v[66:67], v[66:67], v[68:69], 0
	s_waitcnt lgkmcnt(0)
	v_mul_f64 v[66:67], v[66:67], v[70:71]
	buffer_store_dword v66, off, s[0:3], 0 offset:8
	buffer_store_dword v67, off, s[0:3], 0 offset:12
.LBB29_15:
	s_or_b64 exec, exec, s[6:7]
	s_waitcnt lgkmcnt(0)
	; wave barrier
	buffer_load_dword v66, off, s[0:3], 0 offset:16
	buffer_load_dword v67, off, s[0:3], 0 offset:20
	v_cmp_gt_u32_e32 vcc, 2, v0
	s_waitcnt vmcnt(0)
	ds_write_b64 v64, v[66:67]
	s_waitcnt lgkmcnt(0)
	; wave barrier
	s_waitcnt lgkmcnt(0)
	s_and_saveexec_b64 s[6:7], vcc
	s_cbranch_execz .LBB29_17
; %bb.16:
	buffer_load_dword v63, v62, s[0:3], 0 offen offset:4
	buffer_load_dword v70, off, s[0:3], 0 offset:8
	s_nop 0
	buffer_load_dword v62, v62, s[0:3], 0 offen
	s_nop 0
	buffer_load_dword v71, off, s[0:3], 0 offset:12
	ds_read_b64 v[72:73], v64
	v_mov_b32_e32 v65, 0
	ds_read2_b64 v[66:69], v65 offset0:2 offset1:31
	s_waitcnt vmcnt(1) lgkmcnt(1)
	v_fma_f64 v[62:63], v[62:63], v[72:73], 0
	s_waitcnt vmcnt(0) lgkmcnt(0)
	v_fma_f64 v[68:69], v[70:71], v[68:69], v[62:63]
	v_cndmask_b32_e64 v63, v63, v69, s[4:5]
	v_cndmask_b32_e64 v62, v62, v68, s[4:5]
	v_mul_f64 v[62:63], v[62:63], v[66:67]
	buffer_store_dword v63, off, s[0:3], 0 offset:20
	buffer_store_dword v62, off, s[0:3], 0 offset:16
.LBB29_17:
	s_or_b64 exec, exec, s[6:7]
	s_waitcnt lgkmcnt(0)
	; wave barrier
	buffer_load_dword v62, off, s[0:3], 0 offset:24
	buffer_load_dword v63, off, s[0:3], 0 offset:28
	v_cmp_gt_u32_e32 vcc, 3, v0
	v_add_u32_e32 v65, -1, v0
	s_waitcnt vmcnt(0)
	ds_write_b64 v64, v[62:63]
	s_waitcnt lgkmcnt(0)
	; wave barrier
	s_waitcnt lgkmcnt(0)
	s_and_saveexec_b64 s[4:5], vcc
	s_cbranch_execz .LBB29_21
; %bb.18:
	v_add_u32_e32 v66, -1, v0
	v_add_u32_e32 v67, 0xf0, v1
	v_add_u32_e32 v68, 0, v1
	s_mov_b64 s[6:7], 0
	v_pk_mov_b32 v[62:63], 0, 0
.LBB29_19:                              ; =>This Inner Loop Header: Depth=1
	buffer_load_dword v70, v68, s[0:3], 0 offen
	buffer_load_dword v71, v68, s[0:3], 0 offen offset:4
	ds_read_b64 v[72:73], v67
	v_add_u32_e32 v66, 1, v66
	v_cmp_lt_u32_e32 vcc, 1, v66
	v_add_u32_e32 v67, 8, v67
	v_add_u32_e32 v68, 8, v68
	s_or_b64 s[6:7], vcc, s[6:7]
	s_waitcnt vmcnt(0) lgkmcnt(0)
	v_fmac_f64_e32 v[62:63], v[70:71], v[72:73]
	s_andn2_b64 exec, exec, s[6:7]
	s_cbranch_execnz .LBB29_19
; %bb.20:
	s_or_b64 exec, exec, s[6:7]
	v_mov_b32_e32 v66, 0
	ds_read_b64 v[66:67], v66 offset:24
	s_waitcnt lgkmcnt(0)
	v_mul_f64 v[62:63], v[62:63], v[66:67]
	buffer_store_dword v63, off, s[0:3], 0 offset:28
	buffer_store_dword v62, off, s[0:3], 0 offset:24
.LBB29_21:
	s_or_b64 exec, exec, s[4:5]
	s_waitcnt lgkmcnt(0)
	; wave barrier
	buffer_load_dword v62, off, s[0:3], 0 offset:32
	buffer_load_dword v63, off, s[0:3], 0 offset:36
	v_cmp_gt_u32_e32 vcc, 4, v0
	s_waitcnt vmcnt(0)
	ds_write_b64 v64, v[62:63]
	s_waitcnt lgkmcnt(0)
	; wave barrier
	s_waitcnt lgkmcnt(0)
	s_and_saveexec_b64 s[4:5], vcc
	s_cbranch_execz .LBB29_25
; %bb.22:
	v_add_u32_e32 v66, -1, v0
	v_add_u32_e32 v67, 0xf0, v1
	v_add_u32_e32 v68, 0, v1
	s_mov_b64 s[6:7], 0
	v_pk_mov_b32 v[62:63], 0, 0
.LBB29_23:                              ; =>This Inner Loop Header: Depth=1
	buffer_load_dword v70, v68, s[0:3], 0 offen
	buffer_load_dword v71, v68, s[0:3], 0 offen offset:4
	ds_read_b64 v[72:73], v67
	v_add_u32_e32 v66, 1, v66
	v_cmp_lt_u32_e32 vcc, 2, v66
	v_add_u32_e32 v67, 8, v67
	v_add_u32_e32 v68, 8, v68
	s_or_b64 s[6:7], vcc, s[6:7]
	s_waitcnt vmcnt(0) lgkmcnt(0)
	v_fmac_f64_e32 v[62:63], v[70:71], v[72:73]
	s_andn2_b64 exec, exec, s[6:7]
	s_cbranch_execnz .LBB29_23
; %bb.24:
	s_or_b64 exec, exec, s[6:7]
	v_mov_b32_e32 v66, 0
	ds_read_b64 v[66:67], v66 offset:32
	s_waitcnt lgkmcnt(0)
	v_mul_f64 v[62:63], v[62:63], v[66:67]
	buffer_store_dword v63, off, s[0:3], 0 offset:36
	buffer_store_dword v62, off, s[0:3], 0 offset:32
.LBB29_25:
	s_or_b64 exec, exec, s[4:5]
	s_waitcnt lgkmcnt(0)
	; wave barrier
	buffer_load_dword v62, off, s[0:3], 0 offset:40
	buffer_load_dword v63, off, s[0:3], 0 offset:44
	v_cmp_gt_u32_e32 vcc, 5, v0
	;; [unrolled: 41-line block ×21, first 2 shown]
	s_waitcnt vmcnt(0)
	ds_write_b64 v64, v[62:63]
	s_waitcnt lgkmcnt(0)
	; wave barrier
	s_waitcnt lgkmcnt(0)
	s_and_saveexec_b64 s[4:5], vcc
	s_cbranch_execz .LBB29_105
; %bb.102:
	v_add_u32_e32 v66, -1, v0
	v_add_u32_e32 v67, 0xf0, v1
	v_add_u32_e32 v68, 0, v1
	s_mov_b64 s[6:7], 0
	v_pk_mov_b32 v[62:63], 0, 0
.LBB29_103:                             ; =>This Inner Loop Header: Depth=1
	buffer_load_dword v70, v68, s[0:3], 0 offen
	buffer_load_dword v71, v68, s[0:3], 0 offen offset:4
	ds_read_b64 v[72:73], v67
	v_add_u32_e32 v66, 1, v66
	v_cmp_lt_u32_e32 vcc, 22, v66
	v_add_u32_e32 v67, 8, v67
	v_add_u32_e32 v68, 8, v68
	s_or_b64 s[6:7], vcc, s[6:7]
	s_waitcnt vmcnt(0) lgkmcnt(0)
	v_fmac_f64_e32 v[62:63], v[70:71], v[72:73]
	s_andn2_b64 exec, exec, s[6:7]
	s_cbranch_execnz .LBB29_103
; %bb.104:
	s_or_b64 exec, exec, s[6:7]
	v_mov_b32_e32 v66, 0
	ds_read_b64 v[66:67], v66 offset:192
	s_waitcnt lgkmcnt(0)
	v_mul_f64 v[62:63], v[62:63], v[66:67]
	buffer_store_dword v63, off, s[0:3], 0 offset:196
	buffer_store_dword v62, off, s[0:3], 0 offset:192
.LBB29_105:
	s_or_b64 exec, exec, s[4:5]
	s_waitcnt lgkmcnt(0)
	; wave barrier
	buffer_load_dword v62, off, s[0:3], 0 offset:200
	buffer_load_dword v63, off, s[0:3], 0 offset:204
	v_cmp_gt_u32_e32 vcc, 25, v0
	s_waitcnt vmcnt(0)
	ds_write_b64 v64, v[62:63]
	s_waitcnt lgkmcnt(0)
	; wave barrier
	s_waitcnt lgkmcnt(0)
	s_and_saveexec_b64 s[4:5], vcc
	s_cbranch_execz .LBB29_109
; %bb.106:
	v_add_u32_e32 v66, -1, v0
	v_add_u32_e32 v67, 0xf0, v1
	v_add_u32_e32 v68, 0, v1
	s_mov_b64 s[6:7], 0
	v_pk_mov_b32 v[62:63], 0, 0
.LBB29_107:                             ; =>This Inner Loop Header: Depth=1
	buffer_load_dword v70, v68, s[0:3], 0 offen
	buffer_load_dword v71, v68, s[0:3], 0 offen offset:4
	ds_read_b64 v[72:73], v67
	v_add_u32_e32 v66, 1, v66
	v_cmp_lt_u32_e32 vcc, 23, v66
	v_add_u32_e32 v67, 8, v67
	v_add_u32_e32 v68, 8, v68
	s_or_b64 s[6:7], vcc, s[6:7]
	s_waitcnt vmcnt(0) lgkmcnt(0)
	v_fmac_f64_e32 v[62:63], v[70:71], v[72:73]
	s_andn2_b64 exec, exec, s[6:7]
	s_cbranch_execnz .LBB29_107
; %bb.108:
	s_or_b64 exec, exec, s[6:7]
	v_mov_b32_e32 v66, 0
	ds_read_b64 v[66:67], v66 offset:200
	s_waitcnt lgkmcnt(0)
	v_mul_f64 v[62:63], v[62:63], v[66:67]
	buffer_store_dword v63, off, s[0:3], 0 offset:204
	buffer_store_dword v62, off, s[0:3], 0 offset:200
.LBB29_109:
	s_or_b64 exec, exec, s[4:5]
	s_waitcnt lgkmcnt(0)
	; wave barrier
	buffer_load_dword v62, off, s[0:3], 0 offset:208
	buffer_load_dword v63, off, s[0:3], 0 offset:212
	v_cmp_gt_u32_e32 vcc, 26, v0
	;; [unrolled: 41-line block ×4, first 2 shown]
	s_waitcnt vmcnt(0)
	ds_write_b64 v64, v[62:63]
	s_waitcnt lgkmcnt(0)
	; wave barrier
	s_waitcnt lgkmcnt(0)
	s_and_saveexec_b64 s[4:5], vcc
	s_cbranch_execz .LBB29_121
; %bb.118:
	v_add_u32_e32 v66, -1, v0
	v_add_u32_e32 v67, 0xf0, v1
	v_add_u32_e32 v68, 0, v1
	s_mov_b64 s[6:7], 0
	v_pk_mov_b32 v[62:63], 0, 0
.LBB29_119:                             ; =>This Inner Loop Header: Depth=1
	buffer_load_dword v70, v68, s[0:3], 0 offen
	buffer_load_dword v71, v68, s[0:3], 0 offen offset:4
	ds_read_b64 v[72:73], v67
	v_add_u32_e32 v66, 1, v66
	v_cmp_lt_u32_e32 vcc, 26, v66
	v_add_u32_e32 v67, 8, v67
	v_add_u32_e32 v68, 8, v68
	s_or_b64 s[6:7], vcc, s[6:7]
	s_waitcnt vmcnt(0) lgkmcnt(0)
	v_fmac_f64_e32 v[62:63], v[70:71], v[72:73]
	s_andn2_b64 exec, exec, s[6:7]
	s_cbranch_execnz .LBB29_119
; %bb.120:
	s_or_b64 exec, exec, s[6:7]
	v_mov_b32_e32 v66, 0
	ds_read_b64 v[66:67], v66 offset:224
	s_waitcnt lgkmcnt(0)
	v_mul_f64 v[62:63], v[62:63], v[66:67]
	buffer_store_dword v63, off, s[0:3], 0 offset:228
	buffer_store_dword v62, off, s[0:3], 0 offset:224
.LBB29_121:
	s_or_b64 exec, exec, s[4:5]
	s_waitcnt lgkmcnt(0)
	; wave barrier
	buffer_load_dword v62, off, s[0:3], 0 offset:232
	buffer_load_dword v63, off, s[0:3], 0 offset:236
	v_cmp_ne_u32_e32 vcc, 29, v0
	s_waitcnt vmcnt(0)
	ds_write_b64 v64, v[62:63]
	s_waitcnt lgkmcnt(0)
	; wave barrier
	s_waitcnt lgkmcnt(0)
	s_and_saveexec_b64 s[4:5], vcc
	s_cbranch_execz .LBB29_125
; %bb.122:
	v_add_u32_e32 v64, 0xf0, v1
	v_add_u32_e32 v1, 0, v1
	s_mov_b64 s[6:7], 0
	v_pk_mov_b32 v[62:63], 0, 0
.LBB29_123:                             ; =>This Inner Loop Header: Depth=1
	buffer_load_dword v66, v1, s[0:3], 0 offen
	buffer_load_dword v67, v1, s[0:3], 0 offen offset:4
	ds_read_b64 v[68:69], v64
	v_add_u32_e32 v65, 1, v65
	v_cmp_lt_u32_e32 vcc, 27, v65
	v_add_u32_e32 v64, 8, v64
	v_add_u32_e32 v1, 8, v1
	s_or_b64 s[6:7], vcc, s[6:7]
	s_waitcnt vmcnt(0) lgkmcnt(0)
	v_fmac_f64_e32 v[62:63], v[66:67], v[68:69]
	s_andn2_b64 exec, exec, s[6:7]
	s_cbranch_execnz .LBB29_123
; %bb.124:
	s_or_b64 exec, exec, s[6:7]
	v_mov_b32_e32 v1, 0
	ds_read_b64 v[64:65], v1 offset:232
	s_waitcnt lgkmcnt(0)
	v_mul_f64 v[62:63], v[62:63], v[64:65]
	buffer_store_dword v63, off, s[0:3], 0 offset:236
	buffer_store_dword v62, off, s[0:3], 0 offset:232
.LBB29_125:
	s_or_b64 exec, exec, s[4:5]
	s_mov_b64 s[6:7], -1
	s_waitcnt lgkmcnt(0)
	; wave barrier
.LBB29_126:
	s_and_b64 vcc, exec, s[6:7]
	s_cbranch_vccz .LBB29_128
; %bb.127:
	s_lshl_b64 s[4:5], s[8:9], 2
	s_add_u32 s4, s14, s4
	s_addc_u32 s5, s15, s5
	v_mov_b32_e32 v1, 0
	global_load_dword v1, v1, s[4:5]
	s_waitcnt vmcnt(0)
	v_cmp_ne_u32_e32 vcc, 0, v1
	s_cbranch_vccz .LBB29_129
.LBB29_128:
	s_endpgm
.LBB29_129:
	v_mov_b32_e32 v1, 0xf0
	v_lshl_add_u32 v1, v0, 3, v1
	v_cmp_eq_u32_e32 vcc, 29, v0
	s_and_saveexec_b64 s[4:5], vcc
	s_cbranch_execz .LBB29_131
; %bb.130:
	buffer_load_dword v62, off, s[0:3], 0 offset:224
	buffer_load_dword v63, off, s[0:3], 0 offset:228
	v_mov_b32_e32 v64, 0
	buffer_store_dword v64, off, s[0:3], 0 offset:224
	buffer_store_dword v64, off, s[0:3], 0 offset:228
	s_waitcnt vmcnt(2)
	ds_write_b64 v1, v[62:63]
.LBB29_131:
	s_or_b64 exec, exec, s[4:5]
	s_waitcnt lgkmcnt(0)
	; wave barrier
	s_waitcnt lgkmcnt(0)
	buffer_load_dword v64, off, s[0:3], 0 offset:232
	buffer_load_dword v65, off, s[0:3], 0 offset:236
	;; [unrolled: 1-line block ×4, first 2 shown]
	v_mov_b32_e32 v62, 0
	ds_read_b64 v[68:69], v62 offset:472
	v_cmp_lt_u32_e32 vcc, 27, v0
	s_waitcnt vmcnt(2) lgkmcnt(0)
	v_fma_f64 v[64:65], v[64:65], v[68:69], 0
	s_waitcnt vmcnt(0)
	v_add_f64 v[64:65], v[66:67], -v[64:65]
	buffer_store_dword v64, off, s[0:3], 0 offset:224
	buffer_store_dword v65, off, s[0:3], 0 offset:228
	s_and_saveexec_b64 s[4:5], vcc
	s_cbranch_execz .LBB29_133
; %bb.132:
	buffer_load_dword v64, off, s[0:3], 0 offset:216
	buffer_load_dword v65, off, s[0:3], 0 offset:220
	s_waitcnt vmcnt(0)
	ds_write_b64 v1, v[64:65]
	buffer_store_dword v62, off, s[0:3], 0 offset:216
	buffer_store_dword v62, off, s[0:3], 0 offset:220
.LBB29_133:
	s_or_b64 exec, exec, s[4:5]
	s_waitcnt lgkmcnt(0)
	; wave barrier
	s_waitcnt lgkmcnt(0)
	buffer_load_dword v66, off, s[0:3], 0 offset:224
	buffer_load_dword v67, off, s[0:3], 0 offset:228
	buffer_load_dword v68, off, s[0:3], 0 offset:232
	buffer_load_dword v69, off, s[0:3], 0 offset:236
	buffer_load_dword v70, off, s[0:3], 0 offset:216
	buffer_load_dword v71, off, s[0:3], 0 offset:220
	ds_read_b128 v[62:65], v62 offset:464
	v_cmp_lt_u32_e32 vcc, 26, v0
	s_waitcnt vmcnt(4) lgkmcnt(0)
	v_fma_f64 v[62:63], v[66:67], v[62:63], 0
	s_waitcnt vmcnt(2)
	v_fmac_f64_e32 v[62:63], v[68:69], v[64:65]
	s_waitcnt vmcnt(0)
	v_add_f64 v[62:63], v[70:71], -v[62:63]
	buffer_store_dword v62, off, s[0:3], 0 offset:216
	buffer_store_dword v63, off, s[0:3], 0 offset:220
	s_and_saveexec_b64 s[4:5], vcc
	s_cbranch_execz .LBB29_135
; %bb.134:
	buffer_load_dword v62, off, s[0:3], 0 offset:208
	buffer_load_dword v63, off, s[0:3], 0 offset:212
	v_mov_b32_e32 v64, 0
	buffer_store_dword v64, off, s[0:3], 0 offset:208
	buffer_store_dword v64, off, s[0:3], 0 offset:212
	s_waitcnt vmcnt(2)
	ds_write_b64 v1, v[62:63]
.LBB29_135:
	s_or_b64 exec, exec, s[4:5]
	s_waitcnt lgkmcnt(0)
	; wave barrier
	s_waitcnt lgkmcnt(0)
	buffer_load_dword v68, off, s[0:3], 0 offset:216
	buffer_load_dword v69, off, s[0:3], 0 offset:220
	;; [unrolled: 1-line block ×8, first 2 shown]
	v_mov_b32_e32 v62, 0
	ds_read2_b64 v[64:67], v62 offset0:57 offset1:58
	ds_read_b64 v[76:77], v62 offset:472
	v_cmp_lt_u32_e32 vcc, 25, v0
	s_waitcnt vmcnt(6) lgkmcnt(1)
	v_fma_f64 v[64:65], v[68:69], v[64:65], 0
	s_waitcnt vmcnt(4)
	v_fmac_f64_e32 v[64:65], v[70:71], v[66:67]
	s_waitcnt vmcnt(2) lgkmcnt(0)
	v_fmac_f64_e32 v[64:65], v[72:73], v[76:77]
	s_waitcnt vmcnt(0)
	v_add_f64 v[64:65], v[74:75], -v[64:65]
	buffer_store_dword v64, off, s[0:3], 0 offset:208
	buffer_store_dword v65, off, s[0:3], 0 offset:212
	s_and_saveexec_b64 s[4:5], vcc
	s_cbranch_execz .LBB29_137
; %bb.136:
	buffer_load_dword v64, off, s[0:3], 0 offset:200
	buffer_load_dword v65, off, s[0:3], 0 offset:204
	s_waitcnt vmcnt(0)
	ds_write_b64 v1, v[64:65]
	buffer_store_dword v62, off, s[0:3], 0 offset:200
	buffer_store_dword v62, off, s[0:3], 0 offset:204
.LBB29_137:
	s_or_b64 exec, exec, s[4:5]
	s_waitcnt lgkmcnt(0)
	; wave barrier
	s_waitcnt lgkmcnt(0)
	buffer_load_dword v72, off, s[0:3], 0 offset:208
	buffer_load_dword v73, off, s[0:3], 0 offset:212
	;; [unrolled: 1-line block ×10, first 2 shown]
	ds_read_b128 v[64:67], v62 offset:448
	ds_read_b128 v[68:71], v62 offset:464
	v_cmp_lt_u32_e32 vcc, 24, v0
	s_waitcnt vmcnt(8) lgkmcnt(1)
	v_fma_f64 v[62:63], v[72:73], v[64:65], 0
	s_waitcnt vmcnt(6)
	v_fmac_f64_e32 v[62:63], v[74:75], v[66:67]
	s_waitcnt vmcnt(4) lgkmcnt(0)
	v_fmac_f64_e32 v[62:63], v[76:77], v[68:69]
	s_waitcnt vmcnt(2)
	v_fmac_f64_e32 v[62:63], v[78:79], v[70:71]
	s_waitcnt vmcnt(0)
	v_add_f64 v[62:63], v[80:81], -v[62:63]
	buffer_store_dword v62, off, s[0:3], 0 offset:200
	buffer_store_dword v63, off, s[0:3], 0 offset:204
	s_and_saveexec_b64 s[4:5], vcc
	s_cbranch_execz .LBB29_139
; %bb.138:
	buffer_load_dword v62, off, s[0:3], 0 offset:192
	buffer_load_dword v63, off, s[0:3], 0 offset:196
	v_mov_b32_e32 v64, 0
	buffer_store_dword v64, off, s[0:3], 0 offset:192
	buffer_store_dword v64, off, s[0:3], 0 offset:196
	s_waitcnt vmcnt(2)
	ds_write_b64 v1, v[62:63]
.LBB29_139:
	s_or_b64 exec, exec, s[4:5]
	s_waitcnt lgkmcnt(0)
	; wave barrier
	s_waitcnt lgkmcnt(0)
	buffer_load_dword v72, off, s[0:3], 0 offset:200
	buffer_load_dword v73, off, s[0:3], 0 offset:204
	;; [unrolled: 1-line block ×12, first 2 shown]
	v_mov_b32_e32 v62, 0
	ds_read2_b64 v[64:67], v62 offset0:55 offset1:56
	ds_read2_b64 v[68:71], v62 offset0:57 offset1:58
	ds_read_b64 v[84:85], v62 offset:472
	v_cmp_lt_u32_e32 vcc, 23, v0
	s_waitcnt vmcnt(10) lgkmcnt(2)
	v_fma_f64 v[64:65], v[72:73], v[64:65], 0
	s_waitcnt vmcnt(8)
	v_fmac_f64_e32 v[64:65], v[74:75], v[66:67]
	s_waitcnt vmcnt(6) lgkmcnt(1)
	v_fmac_f64_e32 v[64:65], v[76:77], v[68:69]
	s_waitcnt vmcnt(4)
	v_fmac_f64_e32 v[64:65], v[78:79], v[70:71]
	s_waitcnt vmcnt(2) lgkmcnt(0)
	v_fmac_f64_e32 v[64:65], v[80:81], v[84:85]
	s_waitcnt vmcnt(0)
	v_add_f64 v[64:65], v[82:83], -v[64:65]
	buffer_store_dword v64, off, s[0:3], 0 offset:192
	buffer_store_dword v65, off, s[0:3], 0 offset:196
	s_and_saveexec_b64 s[4:5], vcc
	s_cbranch_execz .LBB29_141
; %bb.140:
	buffer_load_dword v64, off, s[0:3], 0 offset:184
	buffer_load_dword v65, off, s[0:3], 0 offset:188
	s_waitcnt vmcnt(0)
	ds_write_b64 v1, v[64:65]
	buffer_store_dword v62, off, s[0:3], 0 offset:184
	buffer_store_dword v62, off, s[0:3], 0 offset:188
.LBB29_141:
	s_or_b64 exec, exec, s[4:5]
	s_waitcnt lgkmcnt(0)
	; wave barrier
	s_waitcnt lgkmcnt(0)
	buffer_load_dword v76, off, s[0:3], 0 offset:192
	buffer_load_dword v77, off, s[0:3], 0 offset:196
	;; [unrolled: 1-line block ×14, first 2 shown]
	ds_read_b128 v[64:67], v62 offset:432
	ds_read_b128 v[68:71], v62 offset:448
	;; [unrolled: 1-line block ×3, first 2 shown]
	v_cmp_lt_u32_e32 vcc, 22, v0
	s_waitcnt vmcnt(12) lgkmcnt(2)
	v_fma_f64 v[62:63], v[76:77], v[64:65], 0
	s_waitcnt vmcnt(10)
	v_fmac_f64_e32 v[62:63], v[78:79], v[66:67]
	s_waitcnt vmcnt(8) lgkmcnt(1)
	v_fmac_f64_e32 v[62:63], v[80:81], v[68:69]
	s_waitcnt vmcnt(6)
	v_fmac_f64_e32 v[62:63], v[82:83], v[70:71]
	s_waitcnt vmcnt(4) lgkmcnt(0)
	v_fmac_f64_e32 v[62:63], v[84:85], v[72:73]
	s_waitcnt vmcnt(2)
	v_fmac_f64_e32 v[62:63], v[86:87], v[74:75]
	s_waitcnt vmcnt(0)
	v_add_f64 v[62:63], v[88:89], -v[62:63]
	buffer_store_dword v62, off, s[0:3], 0 offset:184
	buffer_store_dword v63, off, s[0:3], 0 offset:188
	s_and_saveexec_b64 s[4:5], vcc
	s_cbranch_execz .LBB29_143
; %bb.142:
	buffer_load_dword v62, off, s[0:3], 0 offset:176
	buffer_load_dword v63, off, s[0:3], 0 offset:180
	v_mov_b32_e32 v64, 0
	buffer_store_dword v64, off, s[0:3], 0 offset:176
	buffer_store_dword v64, off, s[0:3], 0 offset:180
	s_waitcnt vmcnt(2)
	ds_write_b64 v1, v[62:63]
.LBB29_143:
	s_or_b64 exec, exec, s[4:5]
	s_waitcnt lgkmcnt(0)
	; wave barrier
	s_waitcnt lgkmcnt(0)
	buffer_load_dword v76, off, s[0:3], 0 offset:184
	buffer_load_dword v77, off, s[0:3], 0 offset:188
	;; [unrolled: 1-line block ×16, first 2 shown]
	v_mov_b32_e32 v62, 0
	ds_read2_b64 v[64:67], v62 offset0:53 offset1:54
	ds_read2_b64 v[68:71], v62 offset0:55 offset1:56
	;; [unrolled: 1-line block ×3, first 2 shown]
	ds_read_b64 v[92:93], v62 offset:472
	v_cmp_lt_u32_e32 vcc, 21, v0
	s_waitcnt vmcnt(14) lgkmcnt(3)
	v_fma_f64 v[64:65], v[76:77], v[64:65], 0
	s_waitcnt vmcnt(12)
	v_fmac_f64_e32 v[64:65], v[78:79], v[66:67]
	s_waitcnt vmcnt(10) lgkmcnt(2)
	v_fmac_f64_e32 v[64:65], v[80:81], v[68:69]
	s_waitcnt vmcnt(8)
	v_fmac_f64_e32 v[64:65], v[82:83], v[70:71]
	s_waitcnt vmcnt(6) lgkmcnt(1)
	v_fmac_f64_e32 v[64:65], v[84:85], v[72:73]
	;; [unrolled: 4-line block ×3, first 2 shown]
	s_waitcnt vmcnt(0)
	v_add_f64 v[64:65], v[90:91], -v[64:65]
	buffer_store_dword v64, off, s[0:3], 0 offset:176
	buffer_store_dword v65, off, s[0:3], 0 offset:180
	s_and_saveexec_b64 s[4:5], vcc
	s_cbranch_execz .LBB29_145
; %bb.144:
	buffer_load_dword v64, off, s[0:3], 0 offset:168
	buffer_load_dword v65, off, s[0:3], 0 offset:172
	s_waitcnt vmcnt(0)
	ds_write_b64 v1, v[64:65]
	buffer_store_dword v62, off, s[0:3], 0 offset:168
	buffer_store_dword v62, off, s[0:3], 0 offset:172
.LBB29_145:
	s_or_b64 exec, exec, s[4:5]
	s_waitcnt lgkmcnt(0)
	; wave barrier
	s_waitcnt lgkmcnt(0)
	buffer_load_dword v80, off, s[0:3], 0 offset:176
	buffer_load_dword v81, off, s[0:3], 0 offset:180
	;; [unrolled: 1-line block ×18, first 2 shown]
	ds_read_b128 v[64:67], v62 offset:416
	ds_read_b128 v[68:71], v62 offset:432
	;; [unrolled: 1-line block ×4, first 2 shown]
	v_cmp_lt_u32_e32 vcc, 20, v0
	s_waitcnt vmcnt(16) lgkmcnt(3)
	v_fma_f64 v[62:63], v[80:81], v[64:65], 0
	s_waitcnt vmcnt(14)
	v_fmac_f64_e32 v[62:63], v[82:83], v[66:67]
	s_waitcnt vmcnt(12) lgkmcnt(2)
	v_fmac_f64_e32 v[62:63], v[84:85], v[68:69]
	s_waitcnt vmcnt(10)
	v_fmac_f64_e32 v[62:63], v[86:87], v[70:71]
	s_waitcnt vmcnt(8) lgkmcnt(1)
	v_fmac_f64_e32 v[62:63], v[88:89], v[72:73]
	;; [unrolled: 4-line block ×3, first 2 shown]
	s_waitcnt vmcnt(2)
	v_fmac_f64_e32 v[62:63], v[94:95], v[78:79]
	s_waitcnt vmcnt(0)
	v_add_f64 v[62:63], v[96:97], -v[62:63]
	buffer_store_dword v62, off, s[0:3], 0 offset:168
	buffer_store_dword v63, off, s[0:3], 0 offset:172
	s_and_saveexec_b64 s[4:5], vcc
	s_cbranch_execz .LBB29_147
; %bb.146:
	buffer_load_dword v62, off, s[0:3], 0 offset:160
	buffer_load_dword v63, off, s[0:3], 0 offset:164
	v_mov_b32_e32 v64, 0
	buffer_store_dword v64, off, s[0:3], 0 offset:160
	buffer_store_dword v64, off, s[0:3], 0 offset:164
	s_waitcnt vmcnt(2)
	ds_write_b64 v1, v[62:63]
.LBB29_147:
	s_or_b64 exec, exec, s[4:5]
	s_waitcnt lgkmcnt(0)
	; wave barrier
	s_waitcnt lgkmcnt(0)
	buffer_load_dword v80, off, s[0:3], 0 offset:168
	buffer_load_dword v81, off, s[0:3], 0 offset:172
	;; [unrolled: 1-line block ×20, first 2 shown]
	v_mov_b32_e32 v62, 0
	ds_read2_b64 v[64:67], v62 offset0:51 offset1:52
	ds_read2_b64 v[68:71], v62 offset0:53 offset1:54
	;; [unrolled: 1-line block ×4, first 2 shown]
	ds_read_b64 v[100:101], v62 offset:472
	v_cmp_lt_u32_e32 vcc, 19, v0
	s_waitcnt vmcnt(18) lgkmcnt(4)
	v_fma_f64 v[64:65], v[80:81], v[64:65], 0
	s_waitcnt vmcnt(16)
	v_fmac_f64_e32 v[64:65], v[82:83], v[66:67]
	s_waitcnt vmcnt(14) lgkmcnt(3)
	v_fmac_f64_e32 v[64:65], v[84:85], v[68:69]
	s_waitcnt vmcnt(12)
	v_fmac_f64_e32 v[64:65], v[86:87], v[70:71]
	s_waitcnt vmcnt(10) lgkmcnt(2)
	v_fmac_f64_e32 v[64:65], v[88:89], v[72:73]
	;; [unrolled: 4-line block ×3, first 2 shown]
	s_waitcnt vmcnt(2)
	v_fmac_f64_e32 v[64:65], v[96:97], v[78:79]
	s_waitcnt lgkmcnt(0)
	v_fmac_f64_e32 v[64:65], v[94:95], v[100:101]
	s_waitcnt vmcnt(0)
	v_add_f64 v[64:65], v[98:99], -v[64:65]
	buffer_store_dword v64, off, s[0:3], 0 offset:160
	buffer_store_dword v65, off, s[0:3], 0 offset:164
	s_and_saveexec_b64 s[4:5], vcc
	s_cbranch_execz .LBB29_149
; %bb.148:
	buffer_load_dword v64, off, s[0:3], 0 offset:152
	buffer_load_dword v65, off, s[0:3], 0 offset:156
	s_waitcnt vmcnt(0)
	ds_write_b64 v1, v[64:65]
	buffer_store_dword v62, off, s[0:3], 0 offset:152
	buffer_store_dword v62, off, s[0:3], 0 offset:156
.LBB29_149:
	s_or_b64 exec, exec, s[4:5]
	s_waitcnt lgkmcnt(0)
	; wave barrier
	s_waitcnt lgkmcnt(0)
	buffer_load_dword v84, off, s[0:3], 0 offset:160
	buffer_load_dword v85, off, s[0:3], 0 offset:164
	buffer_load_dword v86, off, s[0:3], 0 offset:168
	buffer_load_dword v87, off, s[0:3], 0 offset:172
	buffer_load_dword v88, off, s[0:3], 0 offset:176
	buffer_load_dword v89, off, s[0:3], 0 offset:180
	buffer_load_dword v90, off, s[0:3], 0 offset:184
	buffer_load_dword v91, off, s[0:3], 0 offset:188
	buffer_load_dword v92, off, s[0:3], 0 offset:192
	buffer_load_dword v93, off, s[0:3], 0 offset:196
	buffer_load_dword v94, off, s[0:3], 0 offset:200
	buffer_load_dword v95, off, s[0:3], 0 offset:204
	buffer_load_dword v96, off, s[0:3], 0 offset:208
	buffer_load_dword v97, off, s[0:3], 0 offset:212
	buffer_load_dword v98, off, s[0:3], 0 offset:232
	buffer_load_dword v101, off, s[0:3], 0 offset:228
	buffer_load_dword v100, off, s[0:3], 0 offset:224
	buffer_load_dword v103, off, s[0:3], 0 offset:220
	buffer_load_dword v102, off, s[0:3], 0 offset:216
	buffer_load_dword v99, off, s[0:3], 0 offset:236
	buffer_load_dword v104, off, s[0:3], 0 offset:152
	buffer_load_dword v105, off, s[0:3], 0 offset:156
	ds_read_b128 v[64:67], v62 offset:400
	ds_read_b128 v[68:71], v62 offset:416
	;; [unrolled: 1-line block ×5, first 2 shown]
	v_cmp_lt_u32_e32 vcc, 18, v0
	s_waitcnt vmcnt(20) lgkmcnt(4)
	v_fma_f64 v[62:63], v[84:85], v[64:65], 0
	s_waitcnt vmcnt(18)
	v_fmac_f64_e32 v[62:63], v[86:87], v[66:67]
	s_waitcnt vmcnt(16) lgkmcnt(3)
	v_fmac_f64_e32 v[62:63], v[88:89], v[68:69]
	s_waitcnt vmcnt(14)
	v_fmac_f64_e32 v[62:63], v[90:91], v[70:71]
	s_waitcnt vmcnt(12) lgkmcnt(2)
	v_fmac_f64_e32 v[62:63], v[92:93], v[72:73]
	;; [unrolled: 4-line block ×3, first 2 shown]
	s_waitcnt vmcnt(3)
	v_fmac_f64_e32 v[62:63], v[102:103], v[78:79]
	s_waitcnt lgkmcnt(0)
	v_fmac_f64_e32 v[62:63], v[100:101], v[80:81]
	s_waitcnt vmcnt(2)
	v_fmac_f64_e32 v[62:63], v[98:99], v[82:83]
	s_waitcnt vmcnt(0)
	v_add_f64 v[62:63], v[104:105], -v[62:63]
	buffer_store_dword v62, off, s[0:3], 0 offset:152
	buffer_store_dword v63, off, s[0:3], 0 offset:156
	s_and_saveexec_b64 s[4:5], vcc
	s_cbranch_execz .LBB29_151
; %bb.150:
	buffer_load_dword v62, off, s[0:3], 0 offset:144
	buffer_load_dword v63, off, s[0:3], 0 offset:148
	v_mov_b32_e32 v64, 0
	buffer_store_dword v64, off, s[0:3], 0 offset:144
	buffer_store_dword v64, off, s[0:3], 0 offset:148
	s_waitcnt vmcnt(2)
	ds_write_b64 v1, v[62:63]
.LBB29_151:
	s_or_b64 exec, exec, s[4:5]
	s_waitcnt lgkmcnt(0)
	; wave barrier
	s_waitcnt lgkmcnt(0)
	buffer_load_dword v84, off, s[0:3], 0 offset:152
	buffer_load_dword v85, off, s[0:3], 0 offset:156
	;; [unrolled: 1-line block ×24, first 2 shown]
	v_mov_b32_e32 v62, 0
	ds_read2_b64 v[64:67], v62 offset0:49 offset1:50
	ds_read2_b64 v[68:71], v62 offset0:51 offset1:52
	;; [unrolled: 1-line block ×5, first 2 shown]
	ds_read_b64 v[108:109], v62 offset:472
	v_cmp_lt_u32_e32 vcc, 17, v0
	s_waitcnt vmcnt(22) lgkmcnt(5)
	v_fma_f64 v[64:65], v[84:85], v[64:65], 0
	s_waitcnt vmcnt(20)
	v_fmac_f64_e32 v[64:65], v[86:87], v[66:67]
	s_waitcnt vmcnt(18) lgkmcnt(4)
	v_fmac_f64_e32 v[64:65], v[88:89], v[68:69]
	s_waitcnt vmcnt(16)
	v_fmac_f64_e32 v[64:65], v[90:91], v[70:71]
	s_waitcnt vmcnt(14) lgkmcnt(3)
	v_fmac_f64_e32 v[64:65], v[92:93], v[72:73]
	s_waitcnt vmcnt(12)
	v_fmac_f64_e32 v[64:65], v[94:95], v[74:75]
	s_waitcnt vmcnt(10) lgkmcnt(2)
	v_fmac_f64_e32 v[64:65], v[96:97], v[76:77]
	s_waitcnt vmcnt(4)
	v_fmac_f64_e32 v[64:65], v[104:105], v[78:79]
	s_waitcnt lgkmcnt(1)
	v_fmac_f64_e32 v[64:65], v[102:103], v[80:81]
	s_waitcnt vmcnt(3)
	v_fmac_f64_e32 v[64:65], v[100:101], v[82:83]
	s_waitcnt vmcnt(2) lgkmcnt(0)
	v_fmac_f64_e32 v[64:65], v[98:99], v[108:109]
	s_waitcnt vmcnt(0)
	v_add_f64 v[64:65], v[106:107], -v[64:65]
	buffer_store_dword v65, off, s[0:3], 0 offset:148
	buffer_store_dword v64, off, s[0:3], 0 offset:144
	s_and_saveexec_b64 s[4:5], vcc
	s_cbranch_execz .LBB29_153
; %bb.152:
	buffer_load_dword v64, off, s[0:3], 0 offset:136
	buffer_load_dword v65, off, s[0:3], 0 offset:140
	s_waitcnt vmcnt(0)
	ds_write_b64 v1, v[64:65]
	buffer_store_dword v62, off, s[0:3], 0 offset:136
	buffer_store_dword v62, off, s[0:3], 0 offset:140
.LBB29_153:
	s_or_b64 exec, exec, s[4:5]
	s_waitcnt lgkmcnt(0)
	; wave barrier
	s_waitcnt lgkmcnt(0)
	buffer_load_dword v88, off, s[0:3], 0 offset:144
	buffer_load_dword v89, off, s[0:3], 0 offset:148
	;; [unrolled: 1-line block ×26, first 2 shown]
	ds_read_b128 v[64:67], v62 offset:384
	ds_read_b128 v[68:71], v62 offset:400
	;; [unrolled: 1-line block ×6, first 2 shown]
	v_cmp_lt_u32_e32 vcc, 16, v0
	s_waitcnt vmcnt(24) lgkmcnt(5)
	v_fma_f64 v[62:63], v[88:89], v[64:65], 0
	s_waitcnt vmcnt(22)
	v_fmac_f64_e32 v[62:63], v[90:91], v[66:67]
	s_waitcnt vmcnt(20) lgkmcnt(4)
	v_fmac_f64_e32 v[62:63], v[92:93], v[68:69]
	s_waitcnt vmcnt(18)
	v_fmac_f64_e32 v[62:63], v[94:95], v[70:71]
	s_waitcnt vmcnt(16) lgkmcnt(3)
	v_fmac_f64_e32 v[62:63], v[96:97], v[72:73]
	;; [unrolled: 4-line block ×3, first 2 shown]
	s_waitcnt vmcnt(5)
	v_fmac_f64_e32 v[62:63], v[108:109], v[78:79]
	s_waitcnt lgkmcnt(1)
	v_fmac_f64_e32 v[62:63], v[106:107], v[80:81]
	v_fmac_f64_e32 v[62:63], v[104:105], v[82:83]
	s_waitcnt vmcnt(4) lgkmcnt(0)
	v_fmac_f64_e32 v[62:63], v[102:103], v[84:85]
	s_waitcnt vmcnt(2)
	v_fmac_f64_e32 v[62:63], v[110:111], v[86:87]
	s_waitcnt vmcnt(0)
	v_add_f64 v[62:63], v[112:113], -v[62:63]
	buffer_store_dword v63, off, s[0:3], 0 offset:140
	buffer_store_dword v62, off, s[0:3], 0 offset:136
	s_and_saveexec_b64 s[4:5], vcc
	s_cbranch_execz .LBB29_155
; %bb.154:
	buffer_load_dword v62, off, s[0:3], 0 offset:128
	buffer_load_dword v63, off, s[0:3], 0 offset:132
	v_mov_b32_e32 v64, 0
	buffer_store_dword v64, off, s[0:3], 0 offset:128
	buffer_store_dword v64, off, s[0:3], 0 offset:132
	s_waitcnt vmcnt(2)
	ds_write_b64 v1, v[62:63]
.LBB29_155:
	s_or_b64 exec, exec, s[4:5]
	s_waitcnt lgkmcnt(0)
	; wave barrier
	s_waitcnt lgkmcnt(0)
	buffer_load_dword v88, off, s[0:3], 0 offset:136
	buffer_load_dword v89, off, s[0:3], 0 offset:140
	;; [unrolled: 1-line block ×28, first 2 shown]
	v_mov_b32_e32 v62, 0
	ds_read2_b64 v[64:67], v62 offset0:47 offset1:48
	ds_read2_b64 v[68:71], v62 offset0:49 offset1:50
	;; [unrolled: 1-line block ×6, first 2 shown]
	ds_read_b64 v[116:117], v62 offset:472
	v_cmp_lt_u32_e32 vcc, 15, v0
	s_waitcnt vmcnt(26) lgkmcnt(6)
	v_fma_f64 v[64:65], v[88:89], v[64:65], 0
	s_waitcnt vmcnt(24)
	v_fmac_f64_e32 v[64:65], v[90:91], v[66:67]
	s_waitcnt vmcnt(22) lgkmcnt(5)
	v_fmac_f64_e32 v[64:65], v[92:93], v[68:69]
	s_waitcnt vmcnt(20)
	v_fmac_f64_e32 v[64:65], v[94:95], v[70:71]
	s_waitcnt vmcnt(18) lgkmcnt(4)
	v_fmac_f64_e32 v[64:65], v[96:97], v[72:73]
	;; [unrolled: 4-line block ×3, first 2 shown]
	s_waitcnt vmcnt(6)
	v_fmac_f64_e32 v[64:65], v[108:109], v[78:79]
	s_waitcnt lgkmcnt(2)
	v_fmac_f64_e32 v[64:65], v[106:107], v[80:81]
	v_fmac_f64_e32 v[64:65], v[104:105], v[82:83]
	s_waitcnt lgkmcnt(1)
	v_fmac_f64_e32 v[64:65], v[102:103], v[84:85]
	s_waitcnt vmcnt(2)
	v_fmac_f64_e32 v[64:65], v[112:113], v[86:87]
	s_waitcnt lgkmcnt(0)
	v_fmac_f64_e32 v[64:65], v[110:111], v[116:117]
	s_waitcnt vmcnt(0)
	v_add_f64 v[64:65], v[114:115], -v[64:65]
	buffer_store_dword v65, off, s[0:3], 0 offset:132
	buffer_store_dword v64, off, s[0:3], 0 offset:128
	s_and_saveexec_b64 s[4:5], vcc
	s_cbranch_execz .LBB29_157
; %bb.156:
	buffer_load_dword v64, off, s[0:3], 0 offset:120
	buffer_load_dword v65, off, s[0:3], 0 offset:124
	s_waitcnt vmcnt(0)
	ds_write_b64 v1, v[64:65]
	buffer_store_dword v62, off, s[0:3], 0 offset:120
	buffer_store_dword v62, off, s[0:3], 0 offset:124
.LBB29_157:
	s_or_b64 exec, exec, s[4:5]
	s_waitcnt lgkmcnt(0)
	; wave barrier
	s_waitcnt lgkmcnt(0)
	buffer_load_dword v92, off, s[0:3], 0 offset:128
	buffer_load_dword v93, off, s[0:3], 0 offset:132
	;; [unrolled: 1-line block ×30, first 2 shown]
	ds_read_b128 v[64:67], v62 offset:368
	ds_read_b128 v[68:71], v62 offset:384
	;; [unrolled: 1-line block ×7, first 2 shown]
	v_cmp_lt_u32_e32 vcc, 14, v0
	s_waitcnt vmcnt(28) lgkmcnt(6)
	v_fma_f64 v[62:63], v[92:93], v[64:65], 0
	s_waitcnt vmcnt(26)
	v_fmac_f64_e32 v[62:63], v[94:95], v[66:67]
	s_waitcnt vmcnt(24) lgkmcnt(5)
	v_fmac_f64_e32 v[62:63], v[96:97], v[68:69]
	s_waitcnt vmcnt(22)
	v_fmac_f64_e32 v[62:63], v[98:99], v[70:71]
	s_waitcnt vmcnt(20) lgkmcnt(4)
	v_fmac_f64_e32 v[62:63], v[100:101], v[72:73]
	;; [unrolled: 4-line block ×3, first 2 shown]
	s_waitcnt vmcnt(8)
	v_fmac_f64_e32 v[62:63], v[112:113], v[78:79]
	s_waitcnt lgkmcnt(2)
	v_fmac_f64_e32 v[62:63], v[110:111], v[80:81]
	v_fmac_f64_e32 v[62:63], v[108:109], v[82:83]
	s_waitcnt lgkmcnt(1)
	v_fmac_f64_e32 v[62:63], v[106:107], v[84:85]
	s_waitcnt vmcnt(3)
	v_fmac_f64_e32 v[62:63], v[118:119], v[86:87]
	s_waitcnt lgkmcnt(0)
	v_fmac_f64_e32 v[62:63], v[116:117], v[88:89]
	s_waitcnt vmcnt(2)
	v_fmac_f64_e32 v[62:63], v[114:115], v[90:91]
	s_waitcnt vmcnt(0)
	v_add_f64 v[62:63], v[120:121], -v[62:63]
	buffer_store_dword v63, off, s[0:3], 0 offset:124
	buffer_store_dword v62, off, s[0:3], 0 offset:120
	s_and_saveexec_b64 s[4:5], vcc
	s_cbranch_execz .LBB29_159
; %bb.158:
	buffer_load_dword v62, off, s[0:3], 0 offset:112
	buffer_load_dword v63, off, s[0:3], 0 offset:116
	v_mov_b32_e32 v64, 0
	buffer_store_dword v64, off, s[0:3], 0 offset:112
	buffer_store_dword v64, off, s[0:3], 0 offset:116
	s_waitcnt vmcnt(2)
	ds_write_b64 v1, v[62:63]
.LBB29_159:
	s_or_b64 exec, exec, s[4:5]
	s_waitcnt lgkmcnt(0)
	; wave barrier
	s_waitcnt lgkmcnt(0)
	buffer_load_dword v92, off, s[0:3], 0 offset:120
	buffer_load_dword v93, off, s[0:3], 0 offset:124
	;; [unrolled: 1-line block ×32, first 2 shown]
	v_mov_b32_e32 v62, 0
	ds_read2_b64 v[64:67], v62 offset0:45 offset1:46
	ds_read2_b64 v[68:71], v62 offset0:47 offset1:48
	;; [unrolled: 1-line block ×7, first 2 shown]
	ds_read_b64 v[124:125], v62 offset:472
	v_cmp_lt_u32_e32 vcc, 13, v0
	s_waitcnt vmcnt(30) lgkmcnt(7)
	v_fma_f64 v[64:65], v[92:93], v[64:65], 0
	s_waitcnt vmcnt(28)
	v_fmac_f64_e32 v[64:65], v[94:95], v[66:67]
	s_waitcnt vmcnt(26) lgkmcnt(6)
	v_fmac_f64_e32 v[64:65], v[96:97], v[68:69]
	s_waitcnt vmcnt(24)
	v_fmac_f64_e32 v[64:65], v[98:99], v[70:71]
	s_waitcnt vmcnt(22) lgkmcnt(5)
	v_fmac_f64_e32 v[64:65], v[100:101], v[72:73]
	;; [unrolled: 4-line block ×3, first 2 shown]
	s_waitcnt vmcnt(10)
	v_fmac_f64_e32 v[64:65], v[112:113], v[78:79]
	s_waitcnt lgkmcnt(3)
	v_fmac_f64_e32 v[64:65], v[110:111], v[80:81]
	v_fmac_f64_e32 v[64:65], v[108:109], v[82:83]
	s_waitcnt lgkmcnt(2)
	v_fmac_f64_e32 v[64:65], v[106:107], v[84:85]
	s_waitcnt vmcnt(4)
	v_fmac_f64_e32 v[64:65], v[120:121], v[86:87]
	s_waitcnt lgkmcnt(1)
	v_fmac_f64_e32 v[64:65], v[118:119], v[88:89]
	s_waitcnt vmcnt(3)
	v_fmac_f64_e32 v[64:65], v[116:117], v[90:91]
	s_waitcnt vmcnt(2) lgkmcnt(0)
	v_fmac_f64_e32 v[64:65], v[114:115], v[124:125]
	s_waitcnt vmcnt(0)
	v_add_f64 v[64:65], v[122:123], -v[64:65]
	buffer_store_dword v65, off, s[0:3], 0 offset:116
	buffer_store_dword v64, off, s[0:3], 0 offset:112
	s_and_saveexec_b64 s[4:5], vcc
	s_cbranch_execz .LBB29_161
; %bb.160:
	buffer_load_dword v64, off, s[0:3], 0 offset:104
	buffer_load_dword v65, off, s[0:3], 0 offset:108
	s_waitcnt vmcnt(0)
	ds_write_b64 v1, v[64:65]
	buffer_store_dword v62, off, s[0:3], 0 offset:104
	buffer_store_dword v62, off, s[0:3], 0 offset:108
.LBB29_161:
	s_or_b64 exec, exec, s[4:5]
	s_waitcnt lgkmcnt(0)
	; wave barrier
	s_waitcnt lgkmcnt(0)
	buffer_load_dword v80, off, s[0:3], 0 offset:104
	buffer_load_dword v81, off, s[0:3], 0 offset:108
	buffer_load_dword v82, off, s[0:3], 0 offset:112
	buffer_load_dword v83, off, s[0:3], 0 offset:116
	buffer_load_dword v84, off, s[0:3], 0 offset:120
	buffer_load_dword v85, off, s[0:3], 0 offset:124
	buffer_load_dword v86, off, s[0:3], 0 offset:128
	buffer_load_dword v87, off, s[0:3], 0 offset:132
	buffer_load_dword v88, off, s[0:3], 0 offset:136
	buffer_load_dword v89, off, s[0:3], 0 offset:140
	buffer_load_dword v90, off, s[0:3], 0 offset:144
	buffer_load_dword v91, off, s[0:3], 0 offset:148
	buffer_load_dword v92, off, s[0:3], 0 offset:152
	buffer_load_dword v93, off, s[0:3], 0 offset:156
	buffer_load_dword v94, off, s[0:3], 0 offset:160
	buffer_load_dword v95, off, s[0:3], 0 offset:164
	ds_read_b128 v[64:67], v62 offset:352
	ds_read_b128 v[68:71], v62 offset:368
	;; [unrolled: 1-line block ×4, first 2 shown]
	v_cmp_lt_u32_e32 vcc, 12, v0
	s_waitcnt vmcnt(12) lgkmcnt(3)
	v_fma_f64 v[82:83], v[82:83], v[64:65], 0
	buffer_load_dword v65, off, s[0:3], 0 offset:172
	buffer_load_dword v64, off, s[0:3], 0 offset:168
	s_waitcnt vmcnt(12)
	v_fmac_f64_e32 v[82:83], v[84:85], v[66:67]
	s_waitcnt vmcnt(10) lgkmcnt(2)
	v_fmac_f64_e32 v[82:83], v[86:87], v[68:69]
	buffer_load_dword v69, off, s[0:3], 0 offset:180
	buffer_load_dword v68, off, s[0:3], 0 offset:176
	s_waitcnt vmcnt(10)
	v_fmac_f64_e32 v[82:83], v[88:89], v[70:71]
	s_waitcnt vmcnt(8) lgkmcnt(1)
	v_fmac_f64_e32 v[82:83], v[90:91], v[72:73]
	s_waitcnt vmcnt(6)
	v_fmac_f64_e32 v[82:83], v[92:93], v[74:75]
	s_waitcnt vmcnt(4) lgkmcnt(0)
	v_fmac_f64_e32 v[82:83], v[94:95], v[76:77]
	s_waitcnt vmcnt(2)
	v_fmac_f64_e32 v[82:83], v[64:65], v[78:79]
	ds_read_b128 v[64:67], v62 offset:416
	s_waitcnt vmcnt(0) lgkmcnt(0)
	v_fmac_f64_e32 v[82:83], v[68:69], v[64:65]
	buffer_load_dword v65, off, s[0:3], 0 offset:188
	buffer_load_dword v64, off, s[0:3], 0 offset:184
	;; [unrolled: 1-line block ×4, first 2 shown]
	s_waitcnt vmcnt(2)
	v_fmac_f64_e32 v[82:83], v[64:65], v[66:67]
	ds_read_b128 v[64:67], v62 offset:432
	s_waitcnt vmcnt(0) lgkmcnt(0)
	v_fmac_f64_e32 v[82:83], v[68:69], v[64:65]
	buffer_load_dword v65, off, s[0:3], 0 offset:204
	buffer_load_dword v64, off, s[0:3], 0 offset:200
	;; [unrolled: 1-line block ×4, first 2 shown]
	s_waitcnt vmcnt(2)
	v_fmac_f64_e32 v[82:83], v[64:65], v[66:67]
	ds_read_b128 v[64:67], v62 offset:448
	s_waitcnt vmcnt(0) lgkmcnt(0)
	v_fmac_f64_e32 v[82:83], v[68:69], v[64:65]
	buffer_load_dword v65, off, s[0:3], 0 offset:220
	buffer_load_dword v64, off, s[0:3], 0 offset:216
	s_waitcnt vmcnt(0)
	v_fmac_f64_e32 v[82:83], v[64:65], v[66:67]
	buffer_load_dword v67, off, s[0:3], 0 offset:228
	buffer_load_dword v66, off, s[0:3], 0 offset:224
	ds_read_b128 v[62:65], v62 offset:464
	s_waitcnt vmcnt(0) lgkmcnt(0)
	v_fmac_f64_e32 v[82:83], v[66:67], v[62:63]
	buffer_load_dword v63, off, s[0:3], 0 offset:236
	buffer_load_dword v62, off, s[0:3], 0 offset:232
	s_waitcnt vmcnt(0)
	v_fmac_f64_e32 v[82:83], v[62:63], v[64:65]
	v_add_f64 v[62:63], v[80:81], -v[82:83]
	buffer_store_dword v63, off, s[0:3], 0 offset:108
	buffer_store_dword v62, off, s[0:3], 0 offset:104
	s_and_saveexec_b64 s[4:5], vcc
	s_cbranch_execz .LBB29_163
; %bb.162:
	buffer_load_dword v62, off, s[0:3], 0 offset:96
	buffer_load_dword v63, off, s[0:3], 0 offset:100
	v_mov_b32_e32 v64, 0
	buffer_store_dword v64, off, s[0:3], 0 offset:96
	buffer_store_dword v64, off, s[0:3], 0 offset:100
	s_waitcnt vmcnt(2)
	ds_write_b64 v1, v[62:63]
.LBB29_163:
	s_or_b64 exec, exec, s[4:5]
	s_waitcnt lgkmcnt(0)
	; wave barrier
	s_waitcnt lgkmcnt(0)
	buffer_load_dword v62, off, s[0:3], 0 offset:96
	buffer_load_dword v63, off, s[0:3], 0 offset:100
	;; [unrolled: 1-line block ×16, first 2 shown]
	v_mov_b32_e32 v66, 0
	ds_read2_b64 v[68:71], v66 offset0:43 offset1:44
	v_cmp_lt_u32_e32 vcc, 11, v0
	s_waitcnt vmcnt(12) lgkmcnt(0)
	v_fma_f64 v[64:65], v[64:65], v[68:69], 0
	s_waitcnt vmcnt(10)
	v_fmac_f64_e32 v[64:65], v[72:73], v[70:71]
	ds_read2_b64 v[68:71], v66 offset0:45 offset1:46
	s_waitcnt vmcnt(8) lgkmcnt(0)
	v_fmac_f64_e32 v[64:65], v[74:75], v[68:69]
	s_waitcnt vmcnt(6)
	v_fmac_f64_e32 v[64:65], v[76:77], v[70:71]
	ds_read2_b64 v[68:71], v66 offset0:47 offset1:48
	s_waitcnt vmcnt(4) lgkmcnt(0)
	v_fmac_f64_e32 v[64:65], v[78:79], v[68:69]
	;; [unrolled: 5-line block ×3, first 2 shown]
	buffer_load_dword v69, off, s[0:3], 0 offset:164
	buffer_load_dword v68, off, s[0:3], 0 offset:160
	buffer_load_dword v73, off, s[0:3], 0 offset:172
	buffer_load_dword v72, off, s[0:3], 0 offset:168
	s_waitcnt vmcnt(2)
	v_fmac_f64_e32 v[64:65], v[68:69], v[70:71]
	ds_read2_b64 v[68:71], v66 offset0:51 offset1:52
	s_waitcnt vmcnt(0) lgkmcnt(0)
	v_fmac_f64_e32 v[64:65], v[72:73], v[68:69]
	buffer_load_dword v69, off, s[0:3], 0 offset:180
	buffer_load_dword v68, off, s[0:3], 0 offset:176
	buffer_load_dword v73, off, s[0:3], 0 offset:188
	buffer_load_dword v72, off, s[0:3], 0 offset:184
	s_waitcnt vmcnt(2)
	v_fmac_f64_e32 v[64:65], v[68:69], v[70:71]
	ds_read2_b64 v[68:71], v66 offset0:53 offset1:54
	s_waitcnt vmcnt(0) lgkmcnt(0)
	v_fmac_f64_e32 v[64:65], v[72:73], v[68:69]
	;; [unrolled: 9-line block ×4, first 2 shown]
	buffer_load_dword v69, off, s[0:3], 0 offset:228
	buffer_load_dword v68, off, s[0:3], 0 offset:224
	s_waitcnt vmcnt(0)
	v_fmac_f64_e32 v[64:65], v[68:69], v[70:71]
	buffer_load_dword v69, off, s[0:3], 0 offset:236
	buffer_load_dword v68, off, s[0:3], 0 offset:232
	ds_read_b64 v[70:71], v66 offset:472
	s_waitcnt vmcnt(0) lgkmcnt(0)
	v_fmac_f64_e32 v[64:65], v[68:69], v[70:71]
	v_add_f64 v[62:63], v[62:63], -v[64:65]
	buffer_store_dword v63, off, s[0:3], 0 offset:100
	buffer_store_dword v62, off, s[0:3], 0 offset:96
	s_and_saveexec_b64 s[4:5], vcc
	s_cbranch_execz .LBB29_165
; %bb.164:
	buffer_load_dword v62, off, s[0:3], 0 offset:88
	buffer_load_dword v63, off, s[0:3], 0 offset:92
	s_waitcnt vmcnt(0)
	ds_write_b64 v1, v[62:63]
	buffer_store_dword v66, off, s[0:3], 0 offset:88
	buffer_store_dword v66, off, s[0:3], 0 offset:92
.LBB29_165:
	s_or_b64 exec, exec, s[4:5]
	s_waitcnt lgkmcnt(0)
	; wave barrier
	s_waitcnt lgkmcnt(0)
	buffer_load_dword v62, off, s[0:3], 0 offset:88
	buffer_load_dword v63, off, s[0:3], 0 offset:92
	;; [unrolled: 1-line block ×16, first 2 shown]
	ds_read_b128 v[68:71], v66 offset:336
	ds_read_b128 v[72:75], v66 offset:352
	;; [unrolled: 1-line block ×4, first 2 shown]
	v_cmp_lt_u32_e32 vcc, 10, v0
	s_waitcnt vmcnt(12) lgkmcnt(3)
	v_fma_f64 v[64:65], v[64:65], v[68:69], 0
	buffer_load_dword v69, off, s[0:3], 0 offset:156
	buffer_load_dword v68, off, s[0:3], 0 offset:152
	s_waitcnt vmcnt(12)
	v_fmac_f64_e32 v[64:65], v[84:85], v[70:71]
	s_waitcnt vmcnt(10) lgkmcnt(2)
	v_fmac_f64_e32 v[64:65], v[86:87], v[72:73]
	buffer_load_dword v73, off, s[0:3], 0 offset:164
	buffer_load_dword v72, off, s[0:3], 0 offset:160
	s_waitcnt vmcnt(10)
	v_fmac_f64_e32 v[64:65], v[88:89], v[74:75]
	s_waitcnt vmcnt(8) lgkmcnt(1)
	v_fmac_f64_e32 v[64:65], v[90:91], v[76:77]
	s_waitcnt vmcnt(6)
	v_fmac_f64_e32 v[64:65], v[92:93], v[78:79]
	s_waitcnt vmcnt(4) lgkmcnt(0)
	v_fmac_f64_e32 v[64:65], v[94:95], v[80:81]
	s_waitcnt vmcnt(2)
	v_fmac_f64_e32 v[64:65], v[68:69], v[82:83]
	ds_read_b128 v[68:71], v66 offset:400
	s_waitcnt vmcnt(0) lgkmcnt(0)
	v_fmac_f64_e32 v[64:65], v[72:73], v[68:69]
	buffer_load_dword v69, off, s[0:3], 0 offset:172
	buffer_load_dword v68, off, s[0:3], 0 offset:168
	buffer_load_dword v73, off, s[0:3], 0 offset:180
	buffer_load_dword v72, off, s[0:3], 0 offset:176
	s_waitcnt vmcnt(2)
	v_fmac_f64_e32 v[64:65], v[68:69], v[70:71]
	ds_read_b128 v[68:71], v66 offset:416
	s_waitcnt vmcnt(0) lgkmcnt(0)
	v_fmac_f64_e32 v[64:65], v[72:73], v[68:69]
	buffer_load_dword v69, off, s[0:3], 0 offset:188
	buffer_load_dword v68, off, s[0:3], 0 offset:184
	buffer_load_dword v73, off, s[0:3], 0 offset:196
	buffer_load_dword v72, off, s[0:3], 0 offset:192
	;; [unrolled: 9-line block ×3, first 2 shown]
	s_waitcnt vmcnt(2)
	v_fmac_f64_e32 v[64:65], v[68:69], v[70:71]
	ds_read_b128 v[68:71], v66 offset:448
	s_waitcnt vmcnt(0) lgkmcnt(0)
	v_fmac_f64_e32 v[64:65], v[72:73], v[68:69]
	buffer_load_dword v69, off, s[0:3], 0 offset:220
	buffer_load_dword v68, off, s[0:3], 0 offset:216
	s_waitcnt vmcnt(0)
	v_fmac_f64_e32 v[64:65], v[68:69], v[70:71]
	buffer_load_dword v71, off, s[0:3], 0 offset:228
	buffer_load_dword v70, off, s[0:3], 0 offset:224
	ds_read_b128 v[66:69], v66 offset:464
	s_waitcnt vmcnt(0) lgkmcnt(0)
	v_fmac_f64_e32 v[64:65], v[70:71], v[66:67]
	buffer_load_dword v67, off, s[0:3], 0 offset:236
	buffer_load_dword v66, off, s[0:3], 0 offset:232
	s_waitcnt vmcnt(0)
	v_fmac_f64_e32 v[64:65], v[66:67], v[68:69]
	v_add_f64 v[62:63], v[62:63], -v[64:65]
	buffer_store_dword v63, off, s[0:3], 0 offset:92
	buffer_store_dword v62, off, s[0:3], 0 offset:88
	s_and_saveexec_b64 s[4:5], vcc
	s_cbranch_execz .LBB29_167
; %bb.166:
	buffer_load_dword v62, off, s[0:3], 0 offset:80
	buffer_load_dword v63, off, s[0:3], 0 offset:84
	v_mov_b32_e32 v64, 0
	buffer_store_dword v64, off, s[0:3], 0 offset:80
	buffer_store_dword v64, off, s[0:3], 0 offset:84
	s_waitcnt vmcnt(2)
	ds_write_b64 v1, v[62:63]
.LBB29_167:
	s_or_b64 exec, exec, s[4:5]
	s_waitcnt lgkmcnt(0)
	; wave barrier
	s_waitcnt lgkmcnt(0)
	buffer_load_dword v62, off, s[0:3], 0 offset:80
	buffer_load_dword v63, off, s[0:3], 0 offset:84
	;; [unrolled: 1-line block ×16, first 2 shown]
	v_mov_b32_e32 v66, 0
	ds_read2_b64 v[68:71], v66 offset0:41 offset1:42
	v_cmp_lt_u32_e32 vcc, 9, v0
	s_waitcnt vmcnt(12) lgkmcnt(0)
	v_fma_f64 v[64:65], v[64:65], v[68:69], 0
	s_waitcnt vmcnt(10)
	v_fmac_f64_e32 v[64:65], v[72:73], v[70:71]
	ds_read2_b64 v[68:71], v66 offset0:43 offset1:44
	s_waitcnt vmcnt(8) lgkmcnt(0)
	v_fmac_f64_e32 v[64:65], v[74:75], v[68:69]
	s_waitcnt vmcnt(6)
	v_fmac_f64_e32 v[64:65], v[76:77], v[70:71]
	ds_read2_b64 v[68:71], v66 offset0:45 offset1:46
	s_waitcnt vmcnt(4) lgkmcnt(0)
	v_fmac_f64_e32 v[64:65], v[78:79], v[68:69]
	;; [unrolled: 5-line block ×3, first 2 shown]
	buffer_load_dword v69, off, s[0:3], 0 offset:148
	buffer_load_dword v68, off, s[0:3], 0 offset:144
	buffer_load_dword v73, off, s[0:3], 0 offset:156
	buffer_load_dword v72, off, s[0:3], 0 offset:152
	s_waitcnt vmcnt(2)
	v_fmac_f64_e32 v[64:65], v[68:69], v[70:71]
	ds_read2_b64 v[68:71], v66 offset0:49 offset1:50
	s_waitcnt vmcnt(0) lgkmcnt(0)
	v_fmac_f64_e32 v[64:65], v[72:73], v[68:69]
	buffer_load_dword v69, off, s[0:3], 0 offset:164
	buffer_load_dword v68, off, s[0:3], 0 offset:160
	buffer_load_dword v73, off, s[0:3], 0 offset:172
	buffer_load_dword v72, off, s[0:3], 0 offset:168
	s_waitcnt vmcnt(2)
	v_fmac_f64_e32 v[64:65], v[68:69], v[70:71]
	ds_read2_b64 v[68:71], v66 offset0:51 offset1:52
	s_waitcnt vmcnt(0) lgkmcnt(0)
	v_fmac_f64_e32 v[64:65], v[72:73], v[68:69]
	;; [unrolled: 9-line block ×5, first 2 shown]
	buffer_load_dword v69, off, s[0:3], 0 offset:228
	buffer_load_dword v68, off, s[0:3], 0 offset:224
	s_waitcnt vmcnt(0)
	v_fmac_f64_e32 v[64:65], v[68:69], v[70:71]
	buffer_load_dword v69, off, s[0:3], 0 offset:236
	buffer_load_dword v68, off, s[0:3], 0 offset:232
	ds_read_b64 v[70:71], v66 offset:472
	s_waitcnt vmcnt(0) lgkmcnt(0)
	v_fmac_f64_e32 v[64:65], v[68:69], v[70:71]
	v_add_f64 v[62:63], v[62:63], -v[64:65]
	buffer_store_dword v63, off, s[0:3], 0 offset:84
	buffer_store_dword v62, off, s[0:3], 0 offset:80
	s_and_saveexec_b64 s[4:5], vcc
	s_cbranch_execz .LBB29_169
; %bb.168:
	buffer_load_dword v62, off, s[0:3], 0 offset:72
	buffer_load_dword v63, off, s[0:3], 0 offset:76
	s_waitcnt vmcnt(0)
	ds_write_b64 v1, v[62:63]
	buffer_store_dword v66, off, s[0:3], 0 offset:72
	buffer_store_dword v66, off, s[0:3], 0 offset:76
.LBB29_169:
	s_or_b64 exec, exec, s[4:5]
	s_waitcnt lgkmcnt(0)
	; wave barrier
	s_waitcnt lgkmcnt(0)
	buffer_load_dword v62, off, s[0:3], 0 offset:72
	buffer_load_dword v63, off, s[0:3], 0 offset:76
	;; [unrolled: 1-line block ×16, first 2 shown]
	ds_read_b128 v[68:71], v66 offset:320
	ds_read_b128 v[72:75], v66 offset:336
	;; [unrolled: 1-line block ×4, first 2 shown]
	v_cmp_lt_u32_e32 vcc, 8, v0
	s_waitcnt vmcnt(12) lgkmcnt(3)
	v_fma_f64 v[64:65], v[64:65], v[68:69], 0
	buffer_load_dword v69, off, s[0:3], 0 offset:140
	buffer_load_dword v68, off, s[0:3], 0 offset:136
	s_waitcnt vmcnt(12)
	v_fmac_f64_e32 v[64:65], v[84:85], v[70:71]
	s_waitcnt vmcnt(10) lgkmcnt(2)
	v_fmac_f64_e32 v[64:65], v[86:87], v[72:73]
	buffer_load_dword v73, off, s[0:3], 0 offset:148
	buffer_load_dword v72, off, s[0:3], 0 offset:144
	s_waitcnt vmcnt(10)
	v_fmac_f64_e32 v[64:65], v[88:89], v[74:75]
	s_waitcnt vmcnt(8) lgkmcnt(1)
	v_fmac_f64_e32 v[64:65], v[90:91], v[76:77]
	s_waitcnt vmcnt(6)
	v_fmac_f64_e32 v[64:65], v[92:93], v[78:79]
	s_waitcnt vmcnt(4) lgkmcnt(0)
	v_fmac_f64_e32 v[64:65], v[94:95], v[80:81]
	s_waitcnt vmcnt(2)
	v_fmac_f64_e32 v[64:65], v[68:69], v[82:83]
	ds_read_b128 v[68:71], v66 offset:384
	s_waitcnt vmcnt(0) lgkmcnt(0)
	v_fmac_f64_e32 v[64:65], v[72:73], v[68:69]
	buffer_load_dword v69, off, s[0:3], 0 offset:156
	buffer_load_dword v68, off, s[0:3], 0 offset:152
	buffer_load_dword v73, off, s[0:3], 0 offset:164
	buffer_load_dword v72, off, s[0:3], 0 offset:160
	s_waitcnt vmcnt(2)
	v_fmac_f64_e32 v[64:65], v[68:69], v[70:71]
	ds_read_b128 v[68:71], v66 offset:400
	s_waitcnt vmcnt(0) lgkmcnt(0)
	v_fmac_f64_e32 v[64:65], v[72:73], v[68:69]
	buffer_load_dword v69, off, s[0:3], 0 offset:172
	buffer_load_dword v68, off, s[0:3], 0 offset:168
	buffer_load_dword v73, off, s[0:3], 0 offset:180
	buffer_load_dword v72, off, s[0:3], 0 offset:176
	;; [unrolled: 9-line block ×4, first 2 shown]
	s_waitcnt vmcnt(2)
	v_fmac_f64_e32 v[64:65], v[68:69], v[70:71]
	ds_read_b128 v[68:71], v66 offset:448
	s_waitcnt vmcnt(0) lgkmcnt(0)
	v_fmac_f64_e32 v[64:65], v[72:73], v[68:69]
	buffer_load_dword v69, off, s[0:3], 0 offset:220
	buffer_load_dword v68, off, s[0:3], 0 offset:216
	s_waitcnt vmcnt(0)
	v_fmac_f64_e32 v[64:65], v[68:69], v[70:71]
	buffer_load_dword v71, off, s[0:3], 0 offset:228
	buffer_load_dword v70, off, s[0:3], 0 offset:224
	ds_read_b128 v[66:69], v66 offset:464
	s_waitcnt vmcnt(0) lgkmcnt(0)
	v_fmac_f64_e32 v[64:65], v[70:71], v[66:67]
	buffer_load_dword v67, off, s[0:3], 0 offset:236
	buffer_load_dword v66, off, s[0:3], 0 offset:232
	s_waitcnt vmcnt(0)
	v_fmac_f64_e32 v[64:65], v[66:67], v[68:69]
	v_add_f64 v[62:63], v[62:63], -v[64:65]
	buffer_store_dword v63, off, s[0:3], 0 offset:76
	buffer_store_dword v62, off, s[0:3], 0 offset:72
	s_and_saveexec_b64 s[4:5], vcc
	s_cbranch_execz .LBB29_171
; %bb.170:
	buffer_load_dword v62, off, s[0:3], 0 offset:64
	buffer_load_dword v63, off, s[0:3], 0 offset:68
	v_mov_b32_e32 v64, 0
	buffer_store_dword v64, off, s[0:3], 0 offset:64
	buffer_store_dword v64, off, s[0:3], 0 offset:68
	s_waitcnt vmcnt(2)
	ds_write_b64 v1, v[62:63]
.LBB29_171:
	s_or_b64 exec, exec, s[4:5]
	s_waitcnt lgkmcnt(0)
	; wave barrier
	s_waitcnt lgkmcnt(0)
	buffer_load_dword v62, off, s[0:3], 0 offset:64
	buffer_load_dword v63, off, s[0:3], 0 offset:68
	;; [unrolled: 1-line block ×16, first 2 shown]
	v_mov_b32_e32 v66, 0
	ds_read2_b64 v[68:71], v66 offset0:39 offset1:40
	v_cmp_lt_u32_e32 vcc, 7, v0
	s_waitcnt vmcnt(12) lgkmcnt(0)
	v_fma_f64 v[64:65], v[64:65], v[68:69], 0
	s_waitcnt vmcnt(10)
	v_fmac_f64_e32 v[64:65], v[72:73], v[70:71]
	ds_read2_b64 v[68:71], v66 offset0:41 offset1:42
	s_waitcnt vmcnt(8) lgkmcnt(0)
	v_fmac_f64_e32 v[64:65], v[74:75], v[68:69]
	s_waitcnt vmcnt(6)
	v_fmac_f64_e32 v[64:65], v[76:77], v[70:71]
	ds_read2_b64 v[68:71], v66 offset0:43 offset1:44
	s_waitcnt vmcnt(4) lgkmcnt(0)
	v_fmac_f64_e32 v[64:65], v[78:79], v[68:69]
	s_waitcnt vmcnt(2)
	v_fmac_f64_e32 v[64:65], v[80:81], v[70:71]
	ds_read2_b64 v[68:71], v66 offset0:45 offset1:46
	s_waitcnt vmcnt(0) lgkmcnt(0)
	v_fmac_f64_e32 v[64:65], v[82:83], v[68:69]
	buffer_load_dword v69, off, s[0:3], 0 offset:132
	buffer_load_dword v68, off, s[0:3], 0 offset:128
	buffer_load_dword v73, off, s[0:3], 0 offset:140
	buffer_load_dword v72, off, s[0:3], 0 offset:136
	s_waitcnt vmcnt(2)
	v_fmac_f64_e32 v[64:65], v[68:69], v[70:71]
	ds_read2_b64 v[68:71], v66 offset0:47 offset1:48
	s_waitcnt vmcnt(0) lgkmcnt(0)
	v_fmac_f64_e32 v[64:65], v[72:73], v[68:69]
	buffer_load_dword v69, off, s[0:3], 0 offset:148
	buffer_load_dword v68, off, s[0:3], 0 offset:144
	buffer_load_dword v73, off, s[0:3], 0 offset:156
	buffer_load_dword v72, off, s[0:3], 0 offset:152
	s_waitcnt vmcnt(2)
	v_fmac_f64_e32 v[64:65], v[68:69], v[70:71]
	ds_read2_b64 v[68:71], v66 offset0:49 offset1:50
	s_waitcnt vmcnt(0) lgkmcnt(0)
	v_fmac_f64_e32 v[64:65], v[72:73], v[68:69]
	;; [unrolled: 9-line block ×6, first 2 shown]
	buffer_load_dword v69, off, s[0:3], 0 offset:228
	buffer_load_dword v68, off, s[0:3], 0 offset:224
	s_waitcnt vmcnt(0)
	v_fmac_f64_e32 v[64:65], v[68:69], v[70:71]
	buffer_load_dword v69, off, s[0:3], 0 offset:236
	buffer_load_dword v68, off, s[0:3], 0 offset:232
	ds_read_b64 v[70:71], v66 offset:472
	s_waitcnt vmcnt(0) lgkmcnt(0)
	v_fmac_f64_e32 v[64:65], v[68:69], v[70:71]
	v_add_f64 v[62:63], v[62:63], -v[64:65]
	buffer_store_dword v63, off, s[0:3], 0 offset:68
	buffer_store_dword v62, off, s[0:3], 0 offset:64
	s_and_saveexec_b64 s[4:5], vcc
	s_cbranch_execz .LBB29_173
; %bb.172:
	buffer_load_dword v62, off, s[0:3], 0 offset:56
	buffer_load_dword v63, off, s[0:3], 0 offset:60
	s_waitcnt vmcnt(0)
	ds_write_b64 v1, v[62:63]
	buffer_store_dword v66, off, s[0:3], 0 offset:56
	buffer_store_dword v66, off, s[0:3], 0 offset:60
.LBB29_173:
	s_or_b64 exec, exec, s[4:5]
	s_waitcnt lgkmcnt(0)
	; wave barrier
	s_waitcnt lgkmcnt(0)
	buffer_load_dword v62, off, s[0:3], 0 offset:56
	buffer_load_dword v63, off, s[0:3], 0 offset:60
	;; [unrolled: 1-line block ×16, first 2 shown]
	ds_read_b128 v[68:71], v66 offset:304
	ds_read_b128 v[72:75], v66 offset:320
	;; [unrolled: 1-line block ×4, first 2 shown]
	v_cmp_lt_u32_e32 vcc, 6, v0
	s_waitcnt vmcnt(12) lgkmcnt(3)
	v_fma_f64 v[64:65], v[64:65], v[68:69], 0
	buffer_load_dword v69, off, s[0:3], 0 offset:124
	buffer_load_dword v68, off, s[0:3], 0 offset:120
	s_waitcnt vmcnt(12)
	v_fmac_f64_e32 v[64:65], v[84:85], v[70:71]
	s_waitcnt vmcnt(10) lgkmcnt(2)
	v_fmac_f64_e32 v[64:65], v[86:87], v[72:73]
	buffer_load_dword v73, off, s[0:3], 0 offset:132
	buffer_load_dword v72, off, s[0:3], 0 offset:128
	s_waitcnt vmcnt(10)
	v_fmac_f64_e32 v[64:65], v[88:89], v[74:75]
	s_waitcnt vmcnt(8) lgkmcnt(1)
	v_fmac_f64_e32 v[64:65], v[90:91], v[76:77]
	s_waitcnt vmcnt(6)
	v_fmac_f64_e32 v[64:65], v[92:93], v[78:79]
	s_waitcnt vmcnt(4) lgkmcnt(0)
	v_fmac_f64_e32 v[64:65], v[94:95], v[80:81]
	s_waitcnt vmcnt(2)
	v_fmac_f64_e32 v[64:65], v[68:69], v[82:83]
	ds_read_b128 v[68:71], v66 offset:368
	s_waitcnt vmcnt(0) lgkmcnt(0)
	v_fmac_f64_e32 v[64:65], v[72:73], v[68:69]
	buffer_load_dword v69, off, s[0:3], 0 offset:140
	buffer_load_dword v68, off, s[0:3], 0 offset:136
	buffer_load_dword v73, off, s[0:3], 0 offset:148
	buffer_load_dword v72, off, s[0:3], 0 offset:144
	s_waitcnt vmcnt(2)
	v_fmac_f64_e32 v[64:65], v[68:69], v[70:71]
	ds_read_b128 v[68:71], v66 offset:384
	s_waitcnt vmcnt(0) lgkmcnt(0)
	v_fmac_f64_e32 v[64:65], v[72:73], v[68:69]
	buffer_load_dword v69, off, s[0:3], 0 offset:156
	buffer_load_dword v68, off, s[0:3], 0 offset:152
	buffer_load_dword v73, off, s[0:3], 0 offset:164
	buffer_load_dword v72, off, s[0:3], 0 offset:160
	;; [unrolled: 9-line block ×5, first 2 shown]
	s_waitcnt vmcnt(2)
	v_fmac_f64_e32 v[64:65], v[68:69], v[70:71]
	ds_read_b128 v[68:71], v66 offset:448
	s_waitcnt vmcnt(0) lgkmcnt(0)
	v_fmac_f64_e32 v[64:65], v[72:73], v[68:69]
	buffer_load_dword v69, off, s[0:3], 0 offset:220
	buffer_load_dword v68, off, s[0:3], 0 offset:216
	s_waitcnt vmcnt(0)
	v_fmac_f64_e32 v[64:65], v[68:69], v[70:71]
	buffer_load_dword v71, off, s[0:3], 0 offset:228
	buffer_load_dword v70, off, s[0:3], 0 offset:224
	ds_read_b128 v[66:69], v66 offset:464
	s_waitcnt vmcnt(0) lgkmcnt(0)
	v_fmac_f64_e32 v[64:65], v[70:71], v[66:67]
	buffer_load_dword v67, off, s[0:3], 0 offset:236
	buffer_load_dword v66, off, s[0:3], 0 offset:232
	s_waitcnt vmcnt(0)
	v_fmac_f64_e32 v[64:65], v[66:67], v[68:69]
	v_add_f64 v[62:63], v[62:63], -v[64:65]
	buffer_store_dword v63, off, s[0:3], 0 offset:60
	buffer_store_dword v62, off, s[0:3], 0 offset:56
	s_and_saveexec_b64 s[4:5], vcc
	s_cbranch_execz .LBB29_175
; %bb.174:
	buffer_load_dword v62, off, s[0:3], 0 offset:48
	buffer_load_dword v63, off, s[0:3], 0 offset:52
	v_mov_b32_e32 v64, 0
	buffer_store_dword v64, off, s[0:3], 0 offset:48
	buffer_store_dword v64, off, s[0:3], 0 offset:52
	s_waitcnt vmcnt(2)
	ds_write_b64 v1, v[62:63]
.LBB29_175:
	s_or_b64 exec, exec, s[4:5]
	s_waitcnt lgkmcnt(0)
	; wave barrier
	s_waitcnt lgkmcnt(0)
	buffer_load_dword v62, off, s[0:3], 0 offset:48
	buffer_load_dword v63, off, s[0:3], 0 offset:52
	buffer_load_dword v64, off, s[0:3], 0 offset:56
	buffer_load_dword v65, off, s[0:3], 0 offset:60
	buffer_load_dword v72, off, s[0:3], 0 offset:64
	buffer_load_dword v73, off, s[0:3], 0 offset:68
	buffer_load_dword v74, off, s[0:3], 0 offset:72
	buffer_load_dword v75, off, s[0:3], 0 offset:76
	buffer_load_dword v76, off, s[0:3], 0 offset:80
	buffer_load_dword v77, off, s[0:3], 0 offset:84
	buffer_load_dword v78, off, s[0:3], 0 offset:88
	buffer_load_dword v79, off, s[0:3], 0 offset:92
	buffer_load_dword v80, off, s[0:3], 0 offset:96
	buffer_load_dword v81, off, s[0:3], 0 offset:100
	buffer_load_dword v82, off, s[0:3], 0 offset:104
	buffer_load_dword v83, off, s[0:3], 0 offset:108
	v_mov_b32_e32 v66, 0
	ds_read2_b64 v[68:71], v66 offset0:37 offset1:38
	v_cmp_lt_u32_e32 vcc, 5, v0
	s_waitcnt vmcnt(12) lgkmcnt(0)
	v_fma_f64 v[64:65], v[64:65], v[68:69], 0
	s_waitcnt vmcnt(10)
	v_fmac_f64_e32 v[64:65], v[72:73], v[70:71]
	ds_read2_b64 v[68:71], v66 offset0:39 offset1:40
	s_waitcnt vmcnt(8) lgkmcnt(0)
	v_fmac_f64_e32 v[64:65], v[74:75], v[68:69]
	s_waitcnt vmcnt(6)
	v_fmac_f64_e32 v[64:65], v[76:77], v[70:71]
	ds_read2_b64 v[68:71], v66 offset0:41 offset1:42
	s_waitcnt vmcnt(4) lgkmcnt(0)
	v_fmac_f64_e32 v[64:65], v[78:79], v[68:69]
	;; [unrolled: 5-line block ×3, first 2 shown]
	buffer_load_dword v69, off, s[0:3], 0 offset:116
	buffer_load_dword v68, off, s[0:3], 0 offset:112
	buffer_load_dword v73, off, s[0:3], 0 offset:124
	buffer_load_dword v72, off, s[0:3], 0 offset:120
	s_waitcnt vmcnt(2)
	v_fmac_f64_e32 v[64:65], v[68:69], v[70:71]
	ds_read2_b64 v[68:71], v66 offset0:45 offset1:46
	s_waitcnt vmcnt(0) lgkmcnt(0)
	v_fmac_f64_e32 v[64:65], v[72:73], v[68:69]
	buffer_load_dword v69, off, s[0:3], 0 offset:132
	buffer_load_dword v68, off, s[0:3], 0 offset:128
	buffer_load_dword v73, off, s[0:3], 0 offset:140
	buffer_load_dword v72, off, s[0:3], 0 offset:136
	s_waitcnt vmcnt(2)
	v_fmac_f64_e32 v[64:65], v[68:69], v[70:71]
	ds_read2_b64 v[68:71], v66 offset0:47 offset1:48
	s_waitcnt vmcnt(0) lgkmcnt(0)
	v_fmac_f64_e32 v[64:65], v[72:73], v[68:69]
	;; [unrolled: 9-line block ×7, first 2 shown]
	buffer_load_dword v69, off, s[0:3], 0 offset:228
	buffer_load_dword v68, off, s[0:3], 0 offset:224
	s_waitcnt vmcnt(0)
	v_fmac_f64_e32 v[64:65], v[68:69], v[70:71]
	buffer_load_dword v69, off, s[0:3], 0 offset:236
	buffer_load_dword v68, off, s[0:3], 0 offset:232
	ds_read_b64 v[70:71], v66 offset:472
	s_waitcnt vmcnt(0) lgkmcnt(0)
	v_fmac_f64_e32 v[64:65], v[68:69], v[70:71]
	v_add_f64 v[62:63], v[62:63], -v[64:65]
	buffer_store_dword v63, off, s[0:3], 0 offset:52
	buffer_store_dword v62, off, s[0:3], 0 offset:48
	s_and_saveexec_b64 s[4:5], vcc
	s_cbranch_execz .LBB29_177
; %bb.176:
	buffer_load_dword v62, off, s[0:3], 0 offset:40
	buffer_load_dword v63, off, s[0:3], 0 offset:44
	s_waitcnt vmcnt(0)
	ds_write_b64 v1, v[62:63]
	buffer_store_dword v66, off, s[0:3], 0 offset:40
	buffer_store_dword v66, off, s[0:3], 0 offset:44
.LBB29_177:
	s_or_b64 exec, exec, s[4:5]
	s_waitcnt lgkmcnt(0)
	; wave barrier
	s_waitcnt lgkmcnt(0)
	buffer_load_dword v62, off, s[0:3], 0 offset:40
	buffer_load_dword v63, off, s[0:3], 0 offset:44
	;; [unrolled: 1-line block ×16, first 2 shown]
	ds_read_b128 v[68:71], v66 offset:288
	ds_read_b128 v[72:75], v66 offset:304
	ds_read_b128 v[76:79], v66 offset:320
	ds_read_b128 v[80:83], v66 offset:336
	v_cmp_lt_u32_e32 vcc, 4, v0
	s_waitcnt vmcnt(12) lgkmcnt(3)
	v_fma_f64 v[64:65], v[64:65], v[68:69], 0
	buffer_load_dword v69, off, s[0:3], 0 offset:108
	buffer_load_dword v68, off, s[0:3], 0 offset:104
	s_waitcnt vmcnt(12)
	v_fmac_f64_e32 v[64:65], v[84:85], v[70:71]
	s_waitcnt vmcnt(10) lgkmcnt(2)
	v_fmac_f64_e32 v[64:65], v[86:87], v[72:73]
	buffer_load_dword v73, off, s[0:3], 0 offset:116
	buffer_load_dword v72, off, s[0:3], 0 offset:112
	s_waitcnt vmcnt(10)
	v_fmac_f64_e32 v[64:65], v[88:89], v[74:75]
	s_waitcnt vmcnt(8) lgkmcnt(1)
	v_fmac_f64_e32 v[64:65], v[90:91], v[76:77]
	s_waitcnt vmcnt(6)
	v_fmac_f64_e32 v[64:65], v[92:93], v[78:79]
	s_waitcnt vmcnt(4) lgkmcnt(0)
	v_fmac_f64_e32 v[64:65], v[94:95], v[80:81]
	s_waitcnt vmcnt(2)
	v_fmac_f64_e32 v[64:65], v[68:69], v[82:83]
	ds_read_b128 v[68:71], v66 offset:352
	s_waitcnt vmcnt(0) lgkmcnt(0)
	v_fmac_f64_e32 v[64:65], v[72:73], v[68:69]
	buffer_load_dword v69, off, s[0:3], 0 offset:124
	buffer_load_dword v68, off, s[0:3], 0 offset:120
	buffer_load_dword v73, off, s[0:3], 0 offset:132
	buffer_load_dword v72, off, s[0:3], 0 offset:128
	s_waitcnt vmcnt(2)
	v_fmac_f64_e32 v[64:65], v[68:69], v[70:71]
	ds_read_b128 v[68:71], v66 offset:368
	s_waitcnt vmcnt(0) lgkmcnt(0)
	v_fmac_f64_e32 v[64:65], v[72:73], v[68:69]
	buffer_load_dword v69, off, s[0:3], 0 offset:140
	buffer_load_dword v68, off, s[0:3], 0 offset:136
	buffer_load_dword v73, off, s[0:3], 0 offset:148
	buffer_load_dword v72, off, s[0:3], 0 offset:144
	;; [unrolled: 9-line block ×6, first 2 shown]
	s_waitcnt vmcnt(2)
	v_fmac_f64_e32 v[64:65], v[68:69], v[70:71]
	ds_read_b128 v[68:71], v66 offset:448
	s_waitcnt vmcnt(0) lgkmcnt(0)
	v_fmac_f64_e32 v[64:65], v[72:73], v[68:69]
	buffer_load_dword v69, off, s[0:3], 0 offset:220
	buffer_load_dword v68, off, s[0:3], 0 offset:216
	s_waitcnt vmcnt(0)
	v_fmac_f64_e32 v[64:65], v[68:69], v[70:71]
	buffer_load_dword v71, off, s[0:3], 0 offset:228
	buffer_load_dword v70, off, s[0:3], 0 offset:224
	ds_read_b128 v[66:69], v66 offset:464
	s_waitcnt vmcnt(0) lgkmcnt(0)
	v_fmac_f64_e32 v[64:65], v[70:71], v[66:67]
	buffer_load_dword v67, off, s[0:3], 0 offset:236
	buffer_load_dword v66, off, s[0:3], 0 offset:232
	s_waitcnt vmcnt(0)
	v_fmac_f64_e32 v[64:65], v[66:67], v[68:69]
	v_add_f64 v[62:63], v[62:63], -v[64:65]
	buffer_store_dword v63, off, s[0:3], 0 offset:44
	buffer_store_dword v62, off, s[0:3], 0 offset:40
	s_and_saveexec_b64 s[4:5], vcc
	s_cbranch_execz .LBB29_179
; %bb.178:
	buffer_load_dword v62, off, s[0:3], 0 offset:32
	buffer_load_dword v63, off, s[0:3], 0 offset:36
	v_mov_b32_e32 v64, 0
	buffer_store_dword v64, off, s[0:3], 0 offset:32
	buffer_store_dword v64, off, s[0:3], 0 offset:36
	s_waitcnt vmcnt(2)
	ds_write_b64 v1, v[62:63]
.LBB29_179:
	s_or_b64 exec, exec, s[4:5]
	s_waitcnt lgkmcnt(0)
	; wave barrier
	s_waitcnt lgkmcnt(0)
	buffer_load_dword v62, off, s[0:3], 0 offset:32
	buffer_load_dword v63, off, s[0:3], 0 offset:36
	;; [unrolled: 1-line block ×16, first 2 shown]
	v_mov_b32_e32 v66, 0
	ds_read2_b64 v[68:71], v66 offset0:35 offset1:36
	v_cmp_lt_u32_e32 vcc, 3, v0
	s_waitcnt vmcnt(12) lgkmcnt(0)
	v_fma_f64 v[64:65], v[64:65], v[68:69], 0
	s_waitcnt vmcnt(10)
	v_fmac_f64_e32 v[64:65], v[72:73], v[70:71]
	ds_read2_b64 v[68:71], v66 offset0:37 offset1:38
	s_waitcnt vmcnt(8) lgkmcnt(0)
	v_fmac_f64_e32 v[64:65], v[74:75], v[68:69]
	s_waitcnt vmcnt(6)
	v_fmac_f64_e32 v[64:65], v[76:77], v[70:71]
	ds_read2_b64 v[68:71], v66 offset0:39 offset1:40
	s_waitcnt vmcnt(4) lgkmcnt(0)
	v_fmac_f64_e32 v[64:65], v[78:79], v[68:69]
	;; [unrolled: 5-line block ×3, first 2 shown]
	buffer_load_dword v69, off, s[0:3], 0 offset:100
	buffer_load_dword v68, off, s[0:3], 0 offset:96
	buffer_load_dword v73, off, s[0:3], 0 offset:108
	buffer_load_dword v72, off, s[0:3], 0 offset:104
	s_waitcnt vmcnt(2)
	v_fmac_f64_e32 v[64:65], v[68:69], v[70:71]
	ds_read2_b64 v[68:71], v66 offset0:43 offset1:44
	s_waitcnt vmcnt(0) lgkmcnt(0)
	v_fmac_f64_e32 v[64:65], v[72:73], v[68:69]
	buffer_load_dword v69, off, s[0:3], 0 offset:116
	buffer_load_dword v68, off, s[0:3], 0 offset:112
	buffer_load_dword v73, off, s[0:3], 0 offset:124
	buffer_load_dword v72, off, s[0:3], 0 offset:120
	s_waitcnt vmcnt(2)
	v_fmac_f64_e32 v[64:65], v[68:69], v[70:71]
	ds_read2_b64 v[68:71], v66 offset0:45 offset1:46
	s_waitcnt vmcnt(0) lgkmcnt(0)
	v_fmac_f64_e32 v[64:65], v[72:73], v[68:69]
	buffer_load_dword v69, off, s[0:3], 0 offset:132
	buffer_load_dword v68, off, s[0:3], 0 offset:128
	buffer_load_dword v73, off, s[0:3], 0 offset:140
	buffer_load_dword v72, off, s[0:3], 0 offset:136
	s_waitcnt vmcnt(2)
	v_fmac_f64_e32 v[64:65], v[68:69], v[70:71]
	ds_read2_b64 v[68:71], v66 offset0:47 offset1:48
	s_waitcnt vmcnt(0) lgkmcnt(0)
	v_fmac_f64_e32 v[64:65], v[72:73], v[68:69]
	buffer_load_dword v69, off, s[0:3], 0 offset:148
	buffer_load_dword v68, off, s[0:3], 0 offset:144
	buffer_load_dword v73, off, s[0:3], 0 offset:156
	buffer_load_dword v72, off, s[0:3], 0 offset:152
	s_waitcnt vmcnt(2)
	v_fmac_f64_e32 v[64:65], v[68:69], v[70:71]
	ds_read2_b64 v[68:71], v66 offset0:49 offset1:50
	s_waitcnt vmcnt(0) lgkmcnt(0)
	v_fmac_f64_e32 v[64:65], v[72:73], v[68:69]
	buffer_load_dword v69, off, s[0:3], 0 offset:164
	buffer_load_dword v68, off, s[0:3], 0 offset:160
	buffer_load_dword v73, off, s[0:3], 0 offset:172
	buffer_load_dword v72, off, s[0:3], 0 offset:168
	s_waitcnt vmcnt(2)
	v_fmac_f64_e32 v[64:65], v[68:69], v[70:71]
	ds_read2_b64 v[68:71], v66 offset0:51 offset1:52
	s_waitcnt vmcnt(0) lgkmcnt(0)
	v_fmac_f64_e32 v[64:65], v[72:73], v[68:69]
	buffer_load_dword v69, off, s[0:3], 0 offset:180
	buffer_load_dword v68, off, s[0:3], 0 offset:176
	buffer_load_dword v73, off, s[0:3], 0 offset:188
	buffer_load_dword v72, off, s[0:3], 0 offset:184
	s_waitcnt vmcnt(2)
	v_fmac_f64_e32 v[64:65], v[68:69], v[70:71]
	ds_read2_b64 v[68:71], v66 offset0:53 offset1:54
	s_waitcnt vmcnt(0) lgkmcnt(0)
	v_fmac_f64_e32 v[64:65], v[72:73], v[68:69]
	buffer_load_dword v69, off, s[0:3], 0 offset:196
	buffer_load_dword v68, off, s[0:3], 0 offset:192
	buffer_load_dword v73, off, s[0:3], 0 offset:204
	buffer_load_dword v72, off, s[0:3], 0 offset:200
	s_waitcnt vmcnt(2)
	v_fmac_f64_e32 v[64:65], v[68:69], v[70:71]
	ds_read2_b64 v[68:71], v66 offset0:55 offset1:56
	s_waitcnt vmcnt(0) lgkmcnt(0)
	v_fmac_f64_e32 v[64:65], v[72:73], v[68:69]
	buffer_load_dword v69, off, s[0:3], 0 offset:212
	buffer_load_dword v68, off, s[0:3], 0 offset:208
	buffer_load_dword v73, off, s[0:3], 0 offset:220
	buffer_load_dword v72, off, s[0:3], 0 offset:216
	s_waitcnt vmcnt(2)
	v_fmac_f64_e32 v[64:65], v[68:69], v[70:71]
	ds_read2_b64 v[68:71], v66 offset0:57 offset1:58
	s_waitcnt vmcnt(0) lgkmcnt(0)
	v_fmac_f64_e32 v[64:65], v[72:73], v[68:69]
	buffer_load_dword v69, off, s[0:3], 0 offset:228
	buffer_load_dword v68, off, s[0:3], 0 offset:224
	s_waitcnt vmcnt(0)
	v_fmac_f64_e32 v[64:65], v[68:69], v[70:71]
	buffer_load_dword v69, off, s[0:3], 0 offset:236
	buffer_load_dword v68, off, s[0:3], 0 offset:232
	ds_read_b64 v[70:71], v66 offset:472
	s_waitcnt vmcnt(0) lgkmcnt(0)
	v_fmac_f64_e32 v[64:65], v[68:69], v[70:71]
	v_add_f64 v[62:63], v[62:63], -v[64:65]
	buffer_store_dword v63, off, s[0:3], 0 offset:36
	buffer_store_dword v62, off, s[0:3], 0 offset:32
	s_and_saveexec_b64 s[4:5], vcc
	s_cbranch_execz .LBB29_181
; %bb.180:
	buffer_load_dword v62, off, s[0:3], 0 offset:24
	buffer_load_dword v63, off, s[0:3], 0 offset:28
	s_waitcnt vmcnt(0)
	ds_write_b64 v1, v[62:63]
	buffer_store_dword v66, off, s[0:3], 0 offset:24
	buffer_store_dword v66, off, s[0:3], 0 offset:28
.LBB29_181:
	s_or_b64 exec, exec, s[4:5]
	s_waitcnt lgkmcnt(0)
	; wave barrier
	s_waitcnt lgkmcnt(0)
	buffer_load_dword v62, off, s[0:3], 0 offset:24
	buffer_load_dword v63, off, s[0:3], 0 offset:28
	;; [unrolled: 1-line block ×16, first 2 shown]
	ds_read_b128 v[68:71], v66 offset:272
	ds_read_b128 v[72:75], v66 offset:288
	;; [unrolled: 1-line block ×4, first 2 shown]
	v_cmp_lt_u32_e32 vcc, 2, v0
	s_waitcnt vmcnt(12) lgkmcnt(3)
	v_fma_f64 v[64:65], v[64:65], v[68:69], 0
	buffer_load_dword v69, off, s[0:3], 0 offset:92
	buffer_load_dword v68, off, s[0:3], 0 offset:88
	s_waitcnt vmcnt(12)
	v_fmac_f64_e32 v[64:65], v[84:85], v[70:71]
	s_waitcnt vmcnt(10) lgkmcnt(2)
	v_fmac_f64_e32 v[64:65], v[86:87], v[72:73]
	buffer_load_dword v73, off, s[0:3], 0 offset:100
	buffer_load_dword v72, off, s[0:3], 0 offset:96
	s_waitcnt vmcnt(10)
	v_fmac_f64_e32 v[64:65], v[88:89], v[74:75]
	s_waitcnt vmcnt(8) lgkmcnt(1)
	v_fmac_f64_e32 v[64:65], v[90:91], v[76:77]
	s_waitcnt vmcnt(6)
	v_fmac_f64_e32 v[64:65], v[92:93], v[78:79]
	s_waitcnt vmcnt(4) lgkmcnt(0)
	v_fmac_f64_e32 v[64:65], v[94:95], v[80:81]
	s_waitcnt vmcnt(2)
	v_fmac_f64_e32 v[64:65], v[68:69], v[82:83]
	ds_read_b128 v[68:71], v66 offset:336
	s_waitcnt vmcnt(0) lgkmcnt(0)
	v_fmac_f64_e32 v[64:65], v[72:73], v[68:69]
	buffer_load_dword v69, off, s[0:3], 0 offset:108
	buffer_load_dword v68, off, s[0:3], 0 offset:104
	buffer_load_dword v73, off, s[0:3], 0 offset:116
	buffer_load_dword v72, off, s[0:3], 0 offset:112
	s_waitcnt vmcnt(2)
	v_fmac_f64_e32 v[64:65], v[68:69], v[70:71]
	ds_read_b128 v[68:71], v66 offset:352
	s_waitcnt vmcnt(0) lgkmcnt(0)
	v_fmac_f64_e32 v[64:65], v[72:73], v[68:69]
	buffer_load_dword v69, off, s[0:3], 0 offset:124
	buffer_load_dword v68, off, s[0:3], 0 offset:120
	buffer_load_dword v73, off, s[0:3], 0 offset:132
	buffer_load_dword v72, off, s[0:3], 0 offset:128
	s_waitcnt vmcnt(2)
	v_fmac_f64_e32 v[64:65], v[68:69], v[70:71]
	ds_read_b128 v[68:71], v66 offset:368
	s_waitcnt vmcnt(0) lgkmcnt(0)
	v_fmac_f64_e32 v[64:65], v[72:73], v[68:69]
	buffer_load_dword v69, off, s[0:3], 0 offset:140
	buffer_load_dword v68, off, s[0:3], 0 offset:136
	buffer_load_dword v73, off, s[0:3], 0 offset:148
	buffer_load_dword v72, off, s[0:3], 0 offset:144
	s_waitcnt vmcnt(2)
	v_fmac_f64_e32 v[64:65], v[68:69], v[70:71]
	ds_read_b128 v[68:71], v66 offset:384
	s_waitcnt vmcnt(0) lgkmcnt(0)
	v_fmac_f64_e32 v[64:65], v[72:73], v[68:69]
	buffer_load_dword v69, off, s[0:3], 0 offset:156
	buffer_load_dword v68, off, s[0:3], 0 offset:152
	buffer_load_dword v73, off, s[0:3], 0 offset:164
	buffer_load_dword v72, off, s[0:3], 0 offset:160
	s_waitcnt vmcnt(2)
	v_fmac_f64_e32 v[64:65], v[68:69], v[70:71]
	ds_read_b128 v[68:71], v66 offset:400
	s_waitcnt vmcnt(0) lgkmcnt(0)
	v_fmac_f64_e32 v[64:65], v[72:73], v[68:69]
	buffer_load_dword v69, off, s[0:3], 0 offset:172
	buffer_load_dword v68, off, s[0:3], 0 offset:168
	buffer_load_dword v73, off, s[0:3], 0 offset:180
	buffer_load_dword v72, off, s[0:3], 0 offset:176
	s_waitcnt vmcnt(2)
	v_fmac_f64_e32 v[64:65], v[68:69], v[70:71]
	ds_read_b128 v[68:71], v66 offset:416
	s_waitcnt vmcnt(0) lgkmcnt(0)
	v_fmac_f64_e32 v[64:65], v[72:73], v[68:69]
	buffer_load_dword v69, off, s[0:3], 0 offset:188
	buffer_load_dword v68, off, s[0:3], 0 offset:184
	buffer_load_dword v73, off, s[0:3], 0 offset:196
	buffer_load_dword v72, off, s[0:3], 0 offset:192
	s_waitcnt vmcnt(2)
	v_fmac_f64_e32 v[64:65], v[68:69], v[70:71]
	ds_read_b128 v[68:71], v66 offset:432
	s_waitcnt vmcnt(0) lgkmcnt(0)
	v_fmac_f64_e32 v[64:65], v[72:73], v[68:69]
	buffer_load_dword v69, off, s[0:3], 0 offset:204
	buffer_load_dword v68, off, s[0:3], 0 offset:200
	buffer_load_dword v73, off, s[0:3], 0 offset:212
	buffer_load_dword v72, off, s[0:3], 0 offset:208
	s_waitcnt vmcnt(2)
	v_fmac_f64_e32 v[64:65], v[68:69], v[70:71]
	ds_read_b128 v[68:71], v66 offset:448
	s_waitcnt vmcnt(0) lgkmcnt(0)
	v_fmac_f64_e32 v[64:65], v[72:73], v[68:69]
	buffer_load_dword v69, off, s[0:3], 0 offset:220
	buffer_load_dword v68, off, s[0:3], 0 offset:216
	s_waitcnt vmcnt(0)
	v_fmac_f64_e32 v[64:65], v[68:69], v[70:71]
	buffer_load_dword v71, off, s[0:3], 0 offset:228
	buffer_load_dword v70, off, s[0:3], 0 offset:224
	ds_read_b128 v[66:69], v66 offset:464
	s_waitcnt vmcnt(0) lgkmcnt(0)
	v_fmac_f64_e32 v[64:65], v[70:71], v[66:67]
	buffer_load_dword v67, off, s[0:3], 0 offset:236
	buffer_load_dword v66, off, s[0:3], 0 offset:232
	s_waitcnt vmcnt(0)
	v_fmac_f64_e32 v[64:65], v[66:67], v[68:69]
	v_add_f64 v[62:63], v[62:63], -v[64:65]
	buffer_store_dword v63, off, s[0:3], 0 offset:28
	buffer_store_dword v62, off, s[0:3], 0 offset:24
	s_and_saveexec_b64 s[4:5], vcc
	s_cbranch_execz .LBB29_183
; %bb.182:
	buffer_load_dword v62, off, s[0:3], 0 offset:16
	buffer_load_dword v63, off, s[0:3], 0 offset:20
	v_mov_b32_e32 v64, 0
	buffer_store_dword v64, off, s[0:3], 0 offset:16
	buffer_store_dword v64, off, s[0:3], 0 offset:20
	s_waitcnt vmcnt(2)
	ds_write_b64 v1, v[62:63]
.LBB29_183:
	s_or_b64 exec, exec, s[4:5]
	s_waitcnt lgkmcnt(0)
	; wave barrier
	s_waitcnt lgkmcnt(0)
	buffer_load_dword v62, off, s[0:3], 0 offset:16
	buffer_load_dword v63, off, s[0:3], 0 offset:20
	buffer_load_dword v64, off, s[0:3], 0 offset:24
	buffer_load_dword v65, off, s[0:3], 0 offset:28
	buffer_load_dword v72, off, s[0:3], 0 offset:32
	buffer_load_dword v73, off, s[0:3], 0 offset:36
	buffer_load_dword v74, off, s[0:3], 0 offset:40
	buffer_load_dword v75, off, s[0:3], 0 offset:44
	buffer_load_dword v76, off, s[0:3], 0 offset:48
	buffer_load_dword v77, off, s[0:3], 0 offset:52
	buffer_load_dword v78, off, s[0:3], 0 offset:56
	buffer_load_dword v79, off, s[0:3], 0 offset:60
	buffer_load_dword v80, off, s[0:3], 0 offset:64
	buffer_load_dword v81, off, s[0:3], 0 offset:68
	buffer_load_dword v82, off, s[0:3], 0 offset:72
	buffer_load_dword v83, off, s[0:3], 0 offset:76
	v_mov_b32_e32 v66, 0
	ds_read2_b64 v[68:71], v66 offset0:33 offset1:34
	v_cmp_lt_u32_e32 vcc, 1, v0
	s_waitcnt vmcnt(12) lgkmcnt(0)
	v_fma_f64 v[64:65], v[64:65], v[68:69], 0
	s_waitcnt vmcnt(10)
	v_fmac_f64_e32 v[64:65], v[72:73], v[70:71]
	ds_read2_b64 v[68:71], v66 offset0:35 offset1:36
	s_waitcnt vmcnt(8) lgkmcnt(0)
	v_fmac_f64_e32 v[64:65], v[74:75], v[68:69]
	s_waitcnt vmcnt(6)
	v_fmac_f64_e32 v[64:65], v[76:77], v[70:71]
	ds_read2_b64 v[68:71], v66 offset0:37 offset1:38
	s_waitcnt vmcnt(4) lgkmcnt(0)
	v_fmac_f64_e32 v[64:65], v[78:79], v[68:69]
	;; [unrolled: 5-line block ×3, first 2 shown]
	buffer_load_dword v69, off, s[0:3], 0 offset:84
	buffer_load_dword v68, off, s[0:3], 0 offset:80
	buffer_load_dword v73, off, s[0:3], 0 offset:92
	buffer_load_dword v72, off, s[0:3], 0 offset:88
	s_waitcnt vmcnt(2)
	v_fmac_f64_e32 v[64:65], v[68:69], v[70:71]
	ds_read2_b64 v[68:71], v66 offset0:41 offset1:42
	s_waitcnt vmcnt(0) lgkmcnt(0)
	v_fmac_f64_e32 v[64:65], v[72:73], v[68:69]
	buffer_load_dword v69, off, s[0:3], 0 offset:100
	buffer_load_dword v68, off, s[0:3], 0 offset:96
	buffer_load_dword v73, off, s[0:3], 0 offset:108
	buffer_load_dword v72, off, s[0:3], 0 offset:104
	s_waitcnt vmcnt(2)
	v_fmac_f64_e32 v[64:65], v[68:69], v[70:71]
	ds_read2_b64 v[68:71], v66 offset0:43 offset1:44
	s_waitcnt vmcnt(0) lgkmcnt(0)
	v_fmac_f64_e32 v[64:65], v[72:73], v[68:69]
	;; [unrolled: 9-line block ×9, first 2 shown]
	buffer_load_dword v69, off, s[0:3], 0 offset:228
	buffer_load_dword v68, off, s[0:3], 0 offset:224
	s_waitcnt vmcnt(0)
	v_fmac_f64_e32 v[64:65], v[68:69], v[70:71]
	buffer_load_dword v69, off, s[0:3], 0 offset:236
	buffer_load_dword v68, off, s[0:3], 0 offset:232
	ds_read_b64 v[70:71], v66 offset:472
	s_waitcnt vmcnt(0) lgkmcnt(0)
	v_fmac_f64_e32 v[64:65], v[68:69], v[70:71]
	v_add_f64 v[62:63], v[62:63], -v[64:65]
	buffer_store_dword v63, off, s[0:3], 0 offset:20
	buffer_store_dword v62, off, s[0:3], 0 offset:16
	s_and_saveexec_b64 s[4:5], vcc
	s_cbranch_execz .LBB29_185
; %bb.184:
	buffer_load_dword v62, off, s[0:3], 0 offset:8
	buffer_load_dword v63, off, s[0:3], 0 offset:12
	s_waitcnt vmcnt(0)
	ds_write_b64 v1, v[62:63]
	buffer_store_dword v66, off, s[0:3], 0 offset:8
	buffer_store_dword v66, off, s[0:3], 0 offset:12
.LBB29_185:
	s_or_b64 exec, exec, s[4:5]
	s_waitcnt lgkmcnt(0)
	; wave barrier
	s_waitcnt lgkmcnt(0)
	buffer_load_dword v62, off, s[0:3], 0 offset:8
	buffer_load_dword v63, off, s[0:3], 0 offset:12
	;; [unrolled: 1-line block ×16, first 2 shown]
	ds_read_b128 v[68:71], v66 offset:256
	ds_read_b128 v[72:75], v66 offset:272
	;; [unrolled: 1-line block ×4, first 2 shown]
	v_cmp_ne_u32_e32 vcc, 0, v0
	s_waitcnt vmcnt(12) lgkmcnt(3)
	v_fma_f64 v[64:65], v[64:65], v[68:69], 0
	buffer_load_dword v69, off, s[0:3], 0 offset:76
	buffer_load_dword v68, off, s[0:3], 0 offset:72
	s_waitcnt vmcnt(12)
	v_fmac_f64_e32 v[64:65], v[84:85], v[70:71]
	s_waitcnt vmcnt(10) lgkmcnt(2)
	v_fmac_f64_e32 v[64:65], v[86:87], v[72:73]
	buffer_load_dword v73, off, s[0:3], 0 offset:84
	buffer_load_dword v72, off, s[0:3], 0 offset:80
	s_waitcnt vmcnt(10)
	v_fmac_f64_e32 v[64:65], v[88:89], v[74:75]
	s_waitcnt vmcnt(8) lgkmcnt(1)
	v_fmac_f64_e32 v[64:65], v[90:91], v[76:77]
	s_waitcnt vmcnt(6)
	v_fmac_f64_e32 v[64:65], v[92:93], v[78:79]
	s_waitcnt vmcnt(4) lgkmcnt(0)
	v_fmac_f64_e32 v[64:65], v[94:95], v[80:81]
	s_waitcnt vmcnt(2)
	v_fmac_f64_e32 v[64:65], v[68:69], v[82:83]
	ds_read_b128 v[68:71], v66 offset:320
	s_waitcnt vmcnt(0) lgkmcnt(0)
	v_fmac_f64_e32 v[64:65], v[72:73], v[68:69]
	buffer_load_dword v69, off, s[0:3], 0 offset:92
	buffer_load_dword v68, off, s[0:3], 0 offset:88
	buffer_load_dword v73, off, s[0:3], 0 offset:100
	buffer_load_dword v72, off, s[0:3], 0 offset:96
	s_waitcnt vmcnt(2)
	v_fmac_f64_e32 v[64:65], v[68:69], v[70:71]
	ds_read_b128 v[68:71], v66 offset:336
	s_waitcnt vmcnt(0) lgkmcnt(0)
	v_fmac_f64_e32 v[64:65], v[72:73], v[68:69]
	buffer_load_dword v69, off, s[0:3], 0 offset:108
	buffer_load_dword v68, off, s[0:3], 0 offset:104
	buffer_load_dword v73, off, s[0:3], 0 offset:116
	buffer_load_dword v72, off, s[0:3], 0 offset:112
	;; [unrolled: 9-line block ×8, first 2 shown]
	s_waitcnt vmcnt(2)
	v_fmac_f64_e32 v[64:65], v[68:69], v[70:71]
	ds_read_b128 v[68:71], v66 offset:448
	s_waitcnt vmcnt(0) lgkmcnt(0)
	v_fmac_f64_e32 v[64:65], v[72:73], v[68:69]
	buffer_load_dword v69, off, s[0:3], 0 offset:220
	buffer_load_dword v68, off, s[0:3], 0 offset:216
	s_waitcnt vmcnt(0)
	v_fmac_f64_e32 v[64:65], v[68:69], v[70:71]
	buffer_load_dword v71, off, s[0:3], 0 offset:228
	buffer_load_dword v70, off, s[0:3], 0 offset:224
	ds_read_b128 v[66:69], v66 offset:464
	s_waitcnt vmcnt(0) lgkmcnt(0)
	v_fmac_f64_e32 v[64:65], v[70:71], v[66:67]
	buffer_load_dword v67, off, s[0:3], 0 offset:236
	buffer_load_dword v66, off, s[0:3], 0 offset:232
	s_waitcnt vmcnt(0)
	v_fmac_f64_e32 v[64:65], v[66:67], v[68:69]
	v_add_f64 v[62:63], v[62:63], -v[64:65]
	buffer_store_dword v63, off, s[0:3], 0 offset:12
	buffer_store_dword v62, off, s[0:3], 0 offset:8
	s_and_saveexec_b64 s[4:5], vcc
	s_cbranch_execz .LBB29_187
; %bb.186:
	buffer_load_dword v62, off, s[0:3], 0
	buffer_load_dword v63, off, s[0:3], 0 offset:4
	v_mov_b32_e32 v0, 0
	buffer_store_dword v0, off, s[0:3], 0
	buffer_store_dword v0, off, s[0:3], 0 offset:4
	s_waitcnt vmcnt(2)
	ds_write_b64 v1, v[62:63]
.LBB29_187:
	s_or_b64 exec, exec, s[4:5]
	s_waitcnt lgkmcnt(0)
	; wave barrier
	s_waitcnt lgkmcnt(0)
	buffer_load_dword v0, off, s[0:3], 0
	buffer_load_dword v1, off, s[0:3], 0 offset:4
	buffer_load_dword v66, off, s[0:3], 0 offset:8
	buffer_load_dword v67, off, s[0:3], 0 offset:12
	buffer_load_dword v68, off, s[0:3], 0 offset:16
	buffer_load_dword v69, off, s[0:3], 0 offset:20
	buffer_load_dword v70, off, s[0:3], 0 offset:24
	buffer_load_dword v71, off, s[0:3], 0 offset:28
	buffer_load_dword v72, off, s[0:3], 0 offset:32
	buffer_load_dword v73, off, s[0:3], 0 offset:36
	buffer_load_dword v74, off, s[0:3], 0 offset:40
	buffer_load_dword v75, off, s[0:3], 0 offset:44
	buffer_load_dword v76, off, s[0:3], 0 offset:48
	buffer_load_dword v77, off, s[0:3], 0 offset:52
	buffer_load_dword v78, off, s[0:3], 0 offset:56
	buffer_load_dword v79, off, s[0:3], 0 offset:60
	v_mov_b32_e32 v80, 0
	ds_read2_b64 v[62:65], v80 offset0:31 offset1:32
	s_and_b64 vcc, exec, s[20:21]
	s_waitcnt vmcnt(12) lgkmcnt(0)
	v_fma_f64 v[62:63], v[66:67], v[62:63], 0
	s_waitcnt vmcnt(10)
	v_fmac_f64_e32 v[62:63], v[68:69], v[64:65]
	ds_read2_b64 v[64:67], v80 offset0:33 offset1:34
	s_waitcnt vmcnt(8) lgkmcnt(0)
	v_fmac_f64_e32 v[62:63], v[70:71], v[64:65]
	s_waitcnt vmcnt(6)
	v_fmac_f64_e32 v[62:63], v[72:73], v[66:67]
	ds_read2_b64 v[64:67], v80 offset0:35 offset1:36
	s_waitcnt vmcnt(4) lgkmcnt(0)
	v_fmac_f64_e32 v[62:63], v[74:75], v[64:65]
	s_waitcnt vmcnt(2)
	v_fmac_f64_e32 v[62:63], v[76:77], v[66:67]
	ds_read2_b64 v[64:67], v80 offset0:37 offset1:38
	s_waitcnt vmcnt(0) lgkmcnt(0)
	v_fmac_f64_e32 v[62:63], v[78:79], v[64:65]
	buffer_load_dword v65, off, s[0:3], 0 offset:68
	buffer_load_dword v64, off, s[0:3], 0 offset:64
	buffer_load_dword v69, off, s[0:3], 0 offset:76
	buffer_load_dword v68, off, s[0:3], 0 offset:72
	s_waitcnt vmcnt(2)
	v_fmac_f64_e32 v[62:63], v[64:65], v[66:67]
	ds_read2_b64 v[64:67], v80 offset0:39 offset1:40
	s_waitcnt vmcnt(0) lgkmcnt(0)
	v_fmac_f64_e32 v[62:63], v[68:69], v[64:65]
	buffer_load_dword v65, off, s[0:3], 0 offset:84
	buffer_load_dword v64, off, s[0:3], 0 offset:80
	buffer_load_dword v69, off, s[0:3], 0 offset:92
	buffer_load_dword v68, off, s[0:3], 0 offset:88
	s_waitcnt vmcnt(2)
	v_fmac_f64_e32 v[62:63], v[64:65], v[66:67]
	ds_read2_b64 v[64:67], v80 offset0:41 offset1:42
	s_waitcnt vmcnt(0) lgkmcnt(0)
	v_fmac_f64_e32 v[62:63], v[68:69], v[64:65]
	;; [unrolled: 9-line block ×10, first 2 shown]
	buffer_load_dword v65, off, s[0:3], 0 offset:228
	buffer_load_dword v64, off, s[0:3], 0 offset:224
	s_waitcnt vmcnt(0)
	v_fmac_f64_e32 v[62:63], v[64:65], v[66:67]
	buffer_load_dword v67, off, s[0:3], 0 offset:236
	buffer_load_dword v66, off, s[0:3], 0 offset:232
	ds_read_b64 v[68:69], v80 offset:472
	s_waitcnt vmcnt(0) lgkmcnt(0)
	v_fmac_f64_e32 v[62:63], v[66:67], v[68:69]
	v_add_f64 v[0:1], v[0:1], -v[62:63]
	buffer_store_dword v1, off, s[0:3], 0 offset:4
	buffer_store_dword v0, off, s[0:3], 0
	s_cbranch_vccz .LBB29_247
; %bb.188:
	v_pk_mov_b32 v[0:1], s[10:11], s[10:11] op_sel:[0,1]
	flat_load_dword v0, v[0:1] offset:112
	s_waitcnt vmcnt(0) lgkmcnt(0)
	v_add_u32_e32 v0, -1, v0
	v_cmp_ne_u32_e32 vcc, 28, v0
	s_and_saveexec_b64 s[4:5], vcc
	s_cbranch_execz .LBB29_190
; %bb.189:
	v_mov_b32_e32 v1, 0
	v_lshl_add_u32 v0, v0, 3, v1
	buffer_load_dword v1, v0, s[0:3], 0 offen offset:4
	buffer_load_dword v62, v0, s[0:3], 0 offen
	s_waitcnt vmcnt(1)
	buffer_store_dword v1, off, s[0:3], 0 offset:228
	s_waitcnt vmcnt(1)
	buffer_store_dword v62, off, s[0:3], 0 offset:224
	buffer_store_dword v65, v0, s[0:3], 0 offen offset:4
	buffer_store_dword v64, v0, s[0:3], 0 offen
.LBB29_190:
	s_or_b64 exec, exec, s[4:5]
	v_pk_mov_b32 v[0:1], s[10:11], s[10:11] op_sel:[0,1]
	flat_load_dword v0, v[0:1] offset:108
	s_waitcnt vmcnt(0) lgkmcnt(0)
	v_add_u32_e32 v0, -1, v0
	v_cmp_ne_u32_e32 vcc, 27, v0
	s_and_saveexec_b64 s[4:5], vcc
	s_cbranch_execz .LBB29_192
; %bb.191:
	v_mov_b32_e32 v1, 0
	v_lshl_add_u32 v0, v0, 3, v1
	buffer_load_dword v1, v0, s[0:3], 0 offen
	buffer_load_dword v62, v0, s[0:3], 0 offen offset:4
	buffer_load_dword v63, off, s[0:3], 0 offset:216
	buffer_load_dword v64, off, s[0:3], 0 offset:220
	s_waitcnt vmcnt(3)
	buffer_store_dword v1, off, s[0:3], 0 offset:216
	s_waitcnt vmcnt(3)
	buffer_store_dword v62, off, s[0:3], 0 offset:220
	s_waitcnt vmcnt(3)
	buffer_store_dword v63, v0, s[0:3], 0 offen
	s_waitcnt vmcnt(3)
	buffer_store_dword v64, v0, s[0:3], 0 offen offset:4
.LBB29_192:
	s_or_b64 exec, exec, s[4:5]
	v_pk_mov_b32 v[0:1], s[10:11], s[10:11] op_sel:[0,1]
	flat_load_dword v0, v[0:1] offset:104
	s_waitcnt vmcnt(0) lgkmcnt(0)
	v_add_u32_e32 v0, -1, v0
	v_cmp_ne_u32_e32 vcc, 26, v0
	s_and_saveexec_b64 s[4:5], vcc
	s_cbranch_execz .LBB29_194
; %bb.193:
	v_mov_b32_e32 v1, 0
	v_lshl_add_u32 v0, v0, 3, v1
	buffer_load_dword v1, v0, s[0:3], 0 offen
	buffer_load_dword v62, v0, s[0:3], 0 offen offset:4
	buffer_load_dword v63, off, s[0:3], 0 offset:212
	buffer_load_dword v64, off, s[0:3], 0 offset:208
	s_waitcnt vmcnt(3)
	buffer_store_dword v1, off, s[0:3], 0 offset:208
	s_waitcnt vmcnt(3)
	buffer_store_dword v62, off, s[0:3], 0 offset:212
	s_waitcnt vmcnt(3)
	buffer_store_dword v63, v0, s[0:3], 0 offen offset:4
	s_waitcnt vmcnt(3)
	buffer_store_dword v64, v0, s[0:3], 0 offen
.LBB29_194:
	s_or_b64 exec, exec, s[4:5]
	v_pk_mov_b32 v[0:1], s[10:11], s[10:11] op_sel:[0,1]
	flat_load_dword v0, v[0:1] offset:100
	s_waitcnt vmcnt(0) lgkmcnt(0)
	v_add_u32_e32 v0, -1, v0
	v_cmp_ne_u32_e32 vcc, 25, v0
	s_and_saveexec_b64 s[4:5], vcc
	s_cbranch_execz .LBB29_196
; %bb.195:
	v_mov_b32_e32 v1, 0
	v_lshl_add_u32 v0, v0, 3, v1
	buffer_load_dword v1, v0, s[0:3], 0 offen
	buffer_load_dword v62, v0, s[0:3], 0 offen offset:4
	buffer_load_dword v63, off, s[0:3], 0 offset:200
	buffer_load_dword v64, off, s[0:3], 0 offset:204
	s_waitcnt vmcnt(3)
	buffer_store_dword v1, off, s[0:3], 0 offset:200
	s_waitcnt vmcnt(3)
	buffer_store_dword v62, off, s[0:3], 0 offset:204
	s_waitcnt vmcnt(3)
	buffer_store_dword v63, v0, s[0:3], 0 offen
	s_waitcnt vmcnt(3)
	buffer_store_dword v64, v0, s[0:3], 0 offen offset:4
.LBB29_196:
	s_or_b64 exec, exec, s[4:5]
	v_pk_mov_b32 v[0:1], s[10:11], s[10:11] op_sel:[0,1]
	flat_load_dword v0, v[0:1] offset:96
	s_waitcnt vmcnt(0) lgkmcnt(0)
	v_add_u32_e32 v0, -1, v0
	v_cmp_ne_u32_e32 vcc, 24, v0
	s_and_saveexec_b64 s[4:5], vcc
	s_cbranch_execz .LBB29_198
; %bb.197:
	v_mov_b32_e32 v1, 0
	v_lshl_add_u32 v0, v0, 3, v1
	buffer_load_dword v1, v0, s[0:3], 0 offen
	buffer_load_dword v62, v0, s[0:3], 0 offen offset:4
	buffer_load_dword v63, off, s[0:3], 0 offset:196
	buffer_load_dword v64, off, s[0:3], 0 offset:192
	s_waitcnt vmcnt(3)
	buffer_store_dword v1, off, s[0:3], 0 offset:192
	s_waitcnt vmcnt(3)
	buffer_store_dword v62, off, s[0:3], 0 offset:196
	s_waitcnt vmcnt(3)
	buffer_store_dword v63, v0, s[0:3], 0 offen offset:4
	s_waitcnt vmcnt(3)
	buffer_store_dword v64, v0, s[0:3], 0 offen
.LBB29_198:
	;; [unrolled: 48-line block ×13, first 2 shown]
	s_or_b64 exec, exec, s[4:5]
	v_pk_mov_b32 v[0:1], s[10:11], s[10:11] op_sel:[0,1]
	flat_load_dword v0, v[0:1] offset:4
	s_waitcnt vmcnt(0) lgkmcnt(0)
	v_add_u32_e32 v0, -1, v0
	v_cmp_ne_u32_e32 vcc, 1, v0
	s_and_saveexec_b64 s[4:5], vcc
	s_cbranch_execz .LBB29_244
; %bb.243:
	v_mov_b32_e32 v1, 0
	v_lshl_add_u32 v0, v0, 3, v1
	buffer_load_dword v1, v0, s[0:3], 0 offen
	buffer_load_dword v62, v0, s[0:3], 0 offen offset:4
	buffer_load_dword v63, off, s[0:3], 0 offset:8
	buffer_load_dword v64, off, s[0:3], 0 offset:12
	s_waitcnt vmcnt(3)
	buffer_store_dword v1, off, s[0:3], 0 offset:8
	s_waitcnt vmcnt(3)
	buffer_store_dword v62, off, s[0:3], 0 offset:12
	s_waitcnt vmcnt(3)
	buffer_store_dword v63, v0, s[0:3], 0 offen
	s_waitcnt vmcnt(3)
	buffer_store_dword v64, v0, s[0:3], 0 offen offset:4
.LBB29_244:
	s_or_b64 exec, exec, s[4:5]
	v_pk_mov_b32 v[0:1], s[10:11], s[10:11] op_sel:[0,1]
	flat_load_dword v62, v[0:1]
	s_nop 0
	buffer_load_dword v0, off, s[0:3], 0
	buffer_load_dword v1, off, s[0:3], 0 offset:4
	s_waitcnt vmcnt(0) lgkmcnt(0)
	v_add_u32_e32 v62, -1, v62
	v_cmp_ne_u32_e32 vcc, 0, v62
	s_and_saveexec_b64 s[4:5], vcc
	s_cbranch_execz .LBB29_246
; %bb.245:
	v_mov_b32_e32 v63, 0
	v_lshl_add_u32 v62, v62, 3, v63
	buffer_load_dword v63, v62, s[0:3], 0 offen offset:4
	buffer_load_dword v64, v62, s[0:3], 0 offen
	s_waitcnt vmcnt(1)
	buffer_store_dword v63, off, s[0:3], 0 offset:4
	s_waitcnt vmcnt(1)
	buffer_store_dword v64, off, s[0:3], 0
	buffer_store_dword v1, v62, s[0:3], 0 offen offset:4
	buffer_store_dword v0, v62, s[0:3], 0 offen
	buffer_load_dword v0, off, s[0:3], 0
	s_nop 0
	buffer_load_dword v1, off, s[0:3], 0 offset:4
.LBB29_246:
	s_or_b64 exec, exec, s[4:5]
.LBB29_247:
	buffer_load_dword v62, off, s[0:3], 0 offset:8
	buffer_load_dword v63, off, s[0:3], 0 offset:12
	;; [unrolled: 1-line block ×58, first 2 shown]
	s_waitcnt vmcnt(58)
	global_store_dwordx2 v[52:53], v[0:1], off
	s_waitcnt vmcnt(57)
	global_store_dwordx2 v[54:55], v[62:63], off
	;; [unrolled: 2-line block ×30, first 2 shown]
	s_endpgm
	.section	.rodata,"a",@progbits
	.p2align	6, 0x0
	.amdhsa_kernel _ZN9rocsolver6v33100L18getri_kernel_smallILi30EdPdEEvT1_iilPiilS4_bb
		.amdhsa_group_segment_fixed_size 488
		.amdhsa_private_segment_fixed_size 256
		.amdhsa_kernarg_size 60
		.amdhsa_user_sgpr_count 8
		.amdhsa_user_sgpr_private_segment_buffer 1
		.amdhsa_user_sgpr_dispatch_ptr 0
		.amdhsa_user_sgpr_queue_ptr 0
		.amdhsa_user_sgpr_kernarg_segment_ptr 1
		.amdhsa_user_sgpr_dispatch_id 0
		.amdhsa_user_sgpr_flat_scratch_init 1
		.amdhsa_user_sgpr_kernarg_preload_length 0
		.amdhsa_user_sgpr_kernarg_preload_offset 0
		.amdhsa_user_sgpr_private_segment_size 0
		.amdhsa_uses_dynamic_stack 0
		.amdhsa_system_sgpr_private_segment_wavefront_offset 1
		.amdhsa_system_sgpr_workgroup_id_x 1
		.amdhsa_system_sgpr_workgroup_id_y 0
		.amdhsa_system_sgpr_workgroup_id_z 0
		.amdhsa_system_sgpr_workgroup_info 0
		.amdhsa_system_vgpr_workitem_id 0
		.amdhsa_next_free_vgpr 126
		.amdhsa_next_free_sgpr 23
		.amdhsa_accum_offset 128
		.amdhsa_reserve_vcc 1
		.amdhsa_reserve_flat_scratch 1
		.amdhsa_float_round_mode_32 0
		.amdhsa_float_round_mode_16_64 0
		.amdhsa_float_denorm_mode_32 3
		.amdhsa_float_denorm_mode_16_64 3
		.amdhsa_dx10_clamp 1
		.amdhsa_ieee_mode 1
		.amdhsa_fp16_overflow 0
		.amdhsa_tg_split 0
		.amdhsa_exception_fp_ieee_invalid_op 0
		.amdhsa_exception_fp_denorm_src 0
		.amdhsa_exception_fp_ieee_div_zero 0
		.amdhsa_exception_fp_ieee_overflow 0
		.amdhsa_exception_fp_ieee_underflow 0
		.amdhsa_exception_fp_ieee_inexact 0
		.amdhsa_exception_int_div_zero 0
	.end_amdhsa_kernel
	.section	.text._ZN9rocsolver6v33100L18getri_kernel_smallILi30EdPdEEvT1_iilPiilS4_bb,"axG",@progbits,_ZN9rocsolver6v33100L18getri_kernel_smallILi30EdPdEEvT1_iilPiilS4_bb,comdat
.Lfunc_end29:
	.size	_ZN9rocsolver6v33100L18getri_kernel_smallILi30EdPdEEvT1_iilPiilS4_bb, .Lfunc_end29-_ZN9rocsolver6v33100L18getri_kernel_smallILi30EdPdEEvT1_iilPiilS4_bb
                                        ; -- End function
	.section	.AMDGPU.csdata,"",@progbits
; Kernel info:
; codeLenInByte = 27948
; NumSgprs: 29
; NumVgprs: 126
; NumAgprs: 0
; TotalNumVgprs: 126
; ScratchSize: 256
; MemoryBound: 0
; FloatMode: 240
; IeeeMode: 1
; LDSByteSize: 488 bytes/workgroup (compile time only)
; SGPRBlocks: 3
; VGPRBlocks: 15
; NumSGPRsForWavesPerEU: 29
; NumVGPRsForWavesPerEU: 126
; AccumOffset: 128
; Occupancy: 4
; WaveLimiterHint : 1
; COMPUTE_PGM_RSRC2:SCRATCH_EN: 1
; COMPUTE_PGM_RSRC2:USER_SGPR: 8
; COMPUTE_PGM_RSRC2:TRAP_HANDLER: 0
; COMPUTE_PGM_RSRC2:TGID_X_EN: 1
; COMPUTE_PGM_RSRC2:TGID_Y_EN: 0
; COMPUTE_PGM_RSRC2:TGID_Z_EN: 0
; COMPUTE_PGM_RSRC2:TIDIG_COMP_CNT: 0
; COMPUTE_PGM_RSRC3_GFX90A:ACCUM_OFFSET: 31
; COMPUTE_PGM_RSRC3_GFX90A:TG_SPLIT: 0
	.section	.text._ZN9rocsolver6v33100L18getri_kernel_smallILi31EdPdEEvT1_iilPiilS4_bb,"axG",@progbits,_ZN9rocsolver6v33100L18getri_kernel_smallILi31EdPdEEvT1_iilPiilS4_bb,comdat
	.globl	_ZN9rocsolver6v33100L18getri_kernel_smallILi31EdPdEEvT1_iilPiilS4_bb ; -- Begin function _ZN9rocsolver6v33100L18getri_kernel_smallILi31EdPdEEvT1_iilPiilS4_bb
	.p2align	8
	.type	_ZN9rocsolver6v33100L18getri_kernel_smallILi31EdPdEEvT1_iilPiilS4_bb,@function
_ZN9rocsolver6v33100L18getri_kernel_smallILi31EdPdEEvT1_iilPiilS4_bb: ; @_ZN9rocsolver6v33100L18getri_kernel_smallILi31EdPdEEvT1_iilPiilS4_bb
; %bb.0:
	s_add_u32 flat_scratch_lo, s6, s9
	s_addc_u32 flat_scratch_hi, s7, 0
	s_add_u32 s0, s0, s9
	s_addc_u32 s1, s1, 0
	v_cmp_gt_u32_e32 vcc, 31, v0
	s_and_saveexec_b64 s[6:7], vcc
	s_cbranch_execz .LBB30_132
; %bb.1:
	s_load_dword s22, s[4:5], 0x38
	s_load_dwordx4 s[16:19], s[4:5], 0x10
	s_load_dwordx4 s[12:15], s[4:5], 0x28
                                        ; implicit-def: $sgpr10_sgpr11
	s_waitcnt lgkmcnt(0)
	s_bitcmp1_b32 s22, 8
	s_cselect_b64 s[20:21], -1, 0
	s_ashr_i32 s9, s8, 31
	s_bfe_u32 s6, s22, 0x10008
	s_cmp_eq_u32 s6, 0
	s_cbranch_scc1 .LBB30_3
; %bb.2:
	s_load_dword s6, s[4:5], 0x20
	s_mul_i32 s7, s8, s13
	s_mul_hi_u32 s10, s8, s12
	s_mul_i32 s11, s9, s12
	s_add_i32 s10, s10, s7
	s_add_i32 s11, s10, s11
	s_mul_i32 s10, s8, s12
	s_waitcnt lgkmcnt(0)
	s_ashr_i32 s7, s6, 31
	s_lshl_b64 s[10:11], s[10:11], 2
	s_add_u32 s10, s18, s10
	s_addc_u32 s11, s19, s11
	s_lshl_b64 s[6:7], s[6:7], 2
	s_add_u32 s10, s10, s6
	s_addc_u32 s11, s11, s7
.LBB30_3:
	s_load_dwordx4 s[4:7], s[4:5], 0x0
	s_mul_i32 s12, s8, s17
	s_mul_hi_u32 s13, s8, s16
	s_add_i32 s17, s13, s12
	s_waitcnt lgkmcnt(0)
	s_ashr_i32 s13, s6, 31
	s_mov_b32 s12, s6
	s_mul_i32 s6, s9, s16
	s_add_i32 s17, s17, s6
	s_mul_i32 s16, s8, s16
	s_lshl_b64 s[16:17], s[16:17], 3
	s_add_u32 s6, s4, s16
	s_addc_u32 s16, s5, s17
	s_lshl_b64 s[4:5], s[12:13], 3
	s_add_u32 s4, s6, s4
	s_addc_u32 s5, s16, s5
	s_add_i32 s6, s7, s7
	v_add_u32_e32 v4, s6, v0
	v_ashrrev_i32_e32 v5, 31, v4
	v_lshlrev_b64 v[2:3], 3, v[4:5]
	v_add_u32_e32 v6, s7, v4
	v_mov_b32_e32 v1, s5
	v_add_co_u32_e32 v2, vcc, s4, v2
	v_ashrrev_i32_e32 v7, 31, v6
	v_addc_co_u32_e32 v3, vcc, v1, v3, vcc
	v_lshlrev_b64 v[4:5], 3, v[6:7]
	v_add_u32_e32 v8, s7, v6
	v_add_co_u32_e32 v4, vcc, s4, v4
	v_ashrrev_i32_e32 v9, 31, v8
	v_addc_co_u32_e32 v5, vcc, v1, v5, vcc
	v_lshlrev_b64 v[6:7], 3, v[8:9]
	v_add_u32_e32 v10, s7, v8
	;; [unrolled: 5-line block ×22, first 2 shown]
	v_add_co_u32_e32 v46, vcc, s4, v46
	v_ashrrev_i32_e32 v51, 31, v50
	v_addc_co_u32_e32 v47, vcc, v1, v47, vcc
	v_lshlrev_b64 v[48:49], 3, v[50:51]
	v_add_co_u32_e32 v48, vcc, s4, v48
	v_addc_co_u32_e32 v49, vcc, v1, v49, vcc
	v_lshlrev_b32_e32 v1, 3, v0
	global_load_dwordx2 v[64:65], v1, s[4:5]
	global_load_dwordx2 v[68:69], v[2:3], off
	global_load_dwordx2 v[70:71], v[4:5], off
	;; [unrolled: 1-line block ×3, first 2 shown]
	v_add_u32_e32 v52, s7, v50
	v_ashrrev_i32_e32 v53, 31, v52
	v_lshlrev_b64 v[50:51], 3, v[52:53]
	v_mov_b32_e32 v53, s5
	v_add_co_u32_e32 v50, vcc, s4, v50
	v_addc_co_u32_e32 v51, vcc, v53, v51, vcc
	v_mov_b32_e32 v55, s5
	v_add_co_u32_e32 v54, vcc, s4, v1
	s_ashr_i32 s13, s7, 31
	s_mov_b32 s12, s7
	v_add_u32_e32 v58, s7, v52
	v_addc_co_u32_e32 v55, vcc, 0, v55, vcc
	s_lshl_b64 s[12:13], s[12:13], 3
	v_ashrrev_i32_e32 v59, 31, v58
	v_mov_b32_e32 v57, s13
	v_add_co_u32_e32 v56, vcc, s12, v54
	v_lshlrev_b64 v[52:53], 3, v[58:59]
	v_addc_co_u32_e32 v57, vcc, v55, v57, vcc
	v_add_u32_e32 v60, s7, v58
	v_mov_b32_e32 v59, s5
	v_add_co_u32_e32 v52, vcc, s4, v52
	v_ashrrev_i32_e32 v61, 31, v60
	v_addc_co_u32_e32 v53, vcc, v59, v53, vcc
	v_lshlrev_b64 v[58:59], 3, v[60:61]
	v_add_u32_e32 v62, s7, v60
	v_mov_b32_e32 v61, s5
	v_add_co_u32_e32 v58, vcc, s4, v58
	v_ashrrev_i32_e32 v63, 31, v62
	v_addc_co_u32_e32 v59, vcc, v61, v59, vcc
	v_lshlrev_b64 v[60:61], 3, v[62:63]
	v_mov_b32_e32 v63, s5
	v_add_co_u32_e32 v60, vcc, s4, v60
	v_add_u32_e32 v62, s7, v62
	v_addc_co_u32_e32 v61, vcc, v63, v61, vcc
	v_ashrrev_i32_e32 v63, 31, v62
	v_lshlrev_b64 v[62:63], 3, v[62:63]
	v_mov_b32_e32 v116, s5
	v_add_co_u32_e32 v62, vcc, s4, v62
	global_load_dwordx2 v[66:67], v[56:57], off
	global_load_dwordx2 v[74:75], v[8:9], off
	;; [unrolled: 1-line block ×22, first 2 shown]
	v_addc_co_u32_e32 v63, vcc, v116, v63, vcc
	global_load_dwordx2 v[116:117], v[50:51], off
	global_load_dwordx2 v[118:119], v[62:63], off
	;; [unrolled: 1-line block ×4, first 2 shown]
	s_bitcmp0_b32 s22, 0
	s_mov_b64 s[6:7], -1
	s_waitcnt vmcnt(29)
	buffer_store_dword v65, off, s[0:3], 0 offset:4
	buffer_store_dword v64, off, s[0:3], 0
	global_load_dwordx2 v[64:65], v[60:61], off
	s_waitcnt vmcnt(28)
	buffer_store_dword v67, off, s[0:3], 0 offset:12
	buffer_store_dword v66, off, s[0:3], 0 offset:8
	;; [unrolled: 1-line block ×8, first 2 shown]
	s_waitcnt vmcnt(35)
	buffer_store_dword v75, off, s[0:3], 0 offset:44
	buffer_store_dword v74, off, s[0:3], 0 offset:40
	s_waitcnt vmcnt(36)
	buffer_store_dword v77, off, s[0:3], 0 offset:52
	buffer_store_dword v76, off, s[0:3], 0 offset:48
	;; [unrolled: 3-line block ×25, first 2 shown]
	buffer_store_dword v118, off, s[0:3], 0 offset:240
	buffer_store_dword v119, off, s[0:3], 0 offset:244
	s_cbranch_scc1 .LBB30_130
; %bb.4:
	v_cmp_eq_u32_e64 s[4:5], 0, v0
	s_and_saveexec_b64 s[6:7], s[4:5]
	s_cbranch_execz .LBB30_6
; %bb.5:
	v_mov_b32_e32 v64, 0
	ds_write_b32 v64, v64 offset:248
.LBB30_6:
	s_or_b64 exec, exec, s[6:7]
	v_mov_b32_e32 v64, 0
	v_lshl_add_u32 v64, v0, 3, v64
	s_waitcnt lgkmcnt(0)
	; wave barrier
	s_waitcnt lgkmcnt(0)
	buffer_load_dword v66, v64, s[0:3], 0 offen
	buffer_load_dword v67, v64, s[0:3], 0 offen offset:4
	s_waitcnt vmcnt(0)
	v_cmp_eq_f64_e32 vcc, 0, v[66:67]
	s_and_saveexec_b64 s[12:13], vcc
	s_cbranch_execz .LBB30_10
; %bb.7:
	v_mov_b32_e32 v65, 0
	ds_read_b32 v67, v65 offset:248
	v_add_u32_e32 v66, 1, v0
	s_waitcnt lgkmcnt(0)
	v_readfirstlane_b32 s6, v67
	s_cmp_eq_u32 s6, 0
	s_cselect_b64 s[16:17], -1, 0
	v_cmp_gt_i32_e32 vcc, s6, v66
	s_or_b64 s[16:17], s[16:17], vcc
	s_and_b64 exec, exec, s[16:17]
	s_cbranch_execz .LBB30_10
; %bb.8:
	s_mov_b64 s[16:17], 0
	v_mov_b32_e32 v67, s6
.LBB30_9:                               ; =>This Inner Loop Header: Depth=1
	ds_cmpst_rtn_b32 v67, v65, v67, v66 offset:248
	s_waitcnt lgkmcnt(0)
	v_cmp_ne_u32_e32 vcc, 0, v67
	v_cmp_le_i32_e64 s[6:7], v67, v66
	s_and_b64 s[6:7], vcc, s[6:7]
	s_and_b64 s[6:7], exec, s[6:7]
	s_or_b64 s[16:17], s[6:7], s[16:17]
	s_andn2_b64 exec, exec, s[16:17]
	s_cbranch_execnz .LBB30_9
.LBB30_10:
	s_or_b64 exec, exec, s[12:13]
	v_mov_b32_e32 v66, 0
	s_waitcnt lgkmcnt(0)
	; wave barrier
	ds_read_b32 v65, v66 offset:248
	s_and_saveexec_b64 s[6:7], s[4:5]
	s_cbranch_execz .LBB30_12
; %bb.11:
	s_lshl_b64 s[12:13], s[8:9], 2
	s_add_u32 s12, s14, s12
	s_addc_u32 s13, s15, s13
	s_waitcnt lgkmcnt(0)
	global_store_dword v66, v65, s[12:13]
.LBB30_12:
	s_or_b64 exec, exec, s[6:7]
	s_waitcnt lgkmcnt(0)
	v_cmp_ne_u32_e32 vcc, 0, v65
	s_mov_b64 s[6:7], 0
	s_cbranch_vccnz .LBB30_130
; %bb.13:
	buffer_load_dword v66, v64, s[0:3], 0 offen
	buffer_load_dword v67, v64, s[0:3], 0 offen offset:4
	s_waitcnt vmcnt(0)
	v_div_scale_f64 v[68:69], s[6:7], v[66:67], v[66:67], 1.0
	v_rcp_f64_e32 v[70:71], v[68:69]
	v_div_scale_f64 v[72:73], vcc, 1.0, v[66:67], 1.0
	v_fma_f64 v[74:75], -v[68:69], v[70:71], 1.0
	v_fmac_f64_e32 v[70:71], v[70:71], v[74:75]
	v_fma_f64 v[74:75], -v[68:69], v[70:71], 1.0
	v_fmac_f64_e32 v[70:71], v[70:71], v[74:75]
	v_mul_f64 v[74:75], v[72:73], v[70:71]
	v_fma_f64 v[68:69], -v[68:69], v[74:75], v[72:73]
	v_div_fmas_f64 v[68:69], v[68:69], v[70:71], v[74:75]
	v_div_fixup_f64 v[68:69], v[68:69], v[66:67], 1.0
	buffer_store_dword v69, v64, s[0:3], 0 offen offset:4
	buffer_store_dword v68, v64, s[0:3], 0 offen
	buffer_load_dword v71, off, s[0:3], 0 offset:12
	buffer_load_dword v70, off, s[0:3], 0 offset:8
	v_add_u32_e32 v66, 0x100, v1
	v_xor_b32_e32 v69, 0x80000000, v69
	s_waitcnt vmcnt(0)
	ds_write2_b64 v1, v[68:69], v[70:71] offset1:32
	s_waitcnt lgkmcnt(0)
	; wave barrier
	s_waitcnt lgkmcnt(0)
	s_and_saveexec_b64 s[6:7], s[4:5]
	s_cbranch_execz .LBB30_15
; %bb.14:
	buffer_load_dword v68, v64, s[0:3], 0 offen
	buffer_load_dword v69, v64, s[0:3], 0 offen offset:4
	v_mov_b32_e32 v65, 0
	ds_read_b64 v[70:71], v66
	ds_read_b64 v[72:73], v65 offset:8
	s_waitcnt vmcnt(0) lgkmcnt(1)
	v_fma_f64 v[68:69], v[68:69], v[70:71], 0
	s_waitcnt lgkmcnt(0)
	v_mul_f64 v[68:69], v[68:69], v[72:73]
	buffer_store_dword v68, off, s[0:3], 0 offset:8
	buffer_store_dword v69, off, s[0:3], 0 offset:12
.LBB30_15:
	s_or_b64 exec, exec, s[6:7]
	s_waitcnt lgkmcnt(0)
	; wave barrier
	buffer_load_dword v68, off, s[0:3], 0 offset:16
	buffer_load_dword v69, off, s[0:3], 0 offset:20
	v_cmp_gt_u32_e32 vcc, 2, v0
	s_waitcnt vmcnt(0)
	ds_write_b64 v66, v[68:69]
	s_waitcnt lgkmcnt(0)
	; wave barrier
	s_waitcnt lgkmcnt(0)
	s_and_saveexec_b64 s[6:7], vcc
	s_cbranch_execz .LBB30_17
; %bb.16:
	buffer_load_dword v65, v64, s[0:3], 0 offen offset:4
	buffer_load_dword v72, off, s[0:3], 0 offset:8
	s_nop 0
	buffer_load_dword v64, v64, s[0:3], 0 offen
	s_nop 0
	buffer_load_dword v73, off, s[0:3], 0 offset:12
	ds_read_b64 v[74:75], v66
	v_mov_b32_e32 v67, 0
	ds_read2_b64 v[68:71], v67 offset0:2 offset1:33
	s_waitcnt vmcnt(1) lgkmcnt(1)
	v_fma_f64 v[64:65], v[64:65], v[74:75], 0
	s_waitcnt vmcnt(0) lgkmcnt(0)
	v_fma_f64 v[70:71], v[72:73], v[70:71], v[64:65]
	v_cndmask_b32_e64 v65, v65, v71, s[4:5]
	v_cndmask_b32_e64 v64, v64, v70, s[4:5]
	v_mul_f64 v[64:65], v[64:65], v[68:69]
	buffer_store_dword v65, off, s[0:3], 0 offset:20
	buffer_store_dword v64, off, s[0:3], 0 offset:16
.LBB30_17:
	s_or_b64 exec, exec, s[6:7]
	s_waitcnt lgkmcnt(0)
	; wave barrier
	buffer_load_dword v64, off, s[0:3], 0 offset:24
	buffer_load_dword v65, off, s[0:3], 0 offset:28
	v_cmp_gt_u32_e32 vcc, 3, v0
	v_add_u32_e32 v67, -1, v0
	s_waitcnt vmcnt(0)
	ds_write_b64 v66, v[64:65]
	s_waitcnt lgkmcnt(0)
	; wave barrier
	s_waitcnt lgkmcnt(0)
	s_and_saveexec_b64 s[4:5], vcc
	s_cbranch_execz .LBB30_21
; %bb.18:
	v_add_u32_e32 v68, -1, v0
	v_add_u32_e32 v69, 0x100, v1
	v_add_u32_e32 v70, 0, v1
	s_mov_b64 s[6:7], 0
	v_pk_mov_b32 v[64:65], 0, 0
.LBB30_19:                              ; =>This Inner Loop Header: Depth=1
	buffer_load_dword v72, v70, s[0:3], 0 offen
	buffer_load_dword v73, v70, s[0:3], 0 offen offset:4
	ds_read_b64 v[74:75], v69
	v_add_u32_e32 v68, 1, v68
	v_cmp_lt_u32_e32 vcc, 1, v68
	v_add_u32_e32 v69, 8, v69
	v_add_u32_e32 v70, 8, v70
	s_or_b64 s[6:7], vcc, s[6:7]
	s_waitcnt vmcnt(0) lgkmcnt(0)
	v_fmac_f64_e32 v[64:65], v[72:73], v[74:75]
	s_andn2_b64 exec, exec, s[6:7]
	s_cbranch_execnz .LBB30_19
; %bb.20:
	s_or_b64 exec, exec, s[6:7]
	v_mov_b32_e32 v68, 0
	ds_read_b64 v[68:69], v68 offset:24
	s_waitcnt lgkmcnt(0)
	v_mul_f64 v[64:65], v[64:65], v[68:69]
	buffer_store_dword v65, off, s[0:3], 0 offset:28
	buffer_store_dword v64, off, s[0:3], 0 offset:24
.LBB30_21:
	s_or_b64 exec, exec, s[4:5]
	s_waitcnt lgkmcnt(0)
	; wave barrier
	buffer_load_dword v64, off, s[0:3], 0 offset:32
	buffer_load_dword v65, off, s[0:3], 0 offset:36
	v_cmp_gt_u32_e32 vcc, 4, v0
	s_waitcnt vmcnt(0)
	ds_write_b64 v66, v[64:65]
	s_waitcnt lgkmcnt(0)
	; wave barrier
	s_waitcnt lgkmcnt(0)
	s_and_saveexec_b64 s[4:5], vcc
	s_cbranch_execz .LBB30_25
; %bb.22:
	v_add_u32_e32 v68, -1, v0
	v_add_u32_e32 v69, 0x100, v1
	v_add_u32_e32 v70, 0, v1
	s_mov_b64 s[6:7], 0
	v_pk_mov_b32 v[64:65], 0, 0
.LBB30_23:                              ; =>This Inner Loop Header: Depth=1
	buffer_load_dword v72, v70, s[0:3], 0 offen
	buffer_load_dword v73, v70, s[0:3], 0 offen offset:4
	ds_read_b64 v[74:75], v69
	v_add_u32_e32 v68, 1, v68
	v_cmp_lt_u32_e32 vcc, 2, v68
	v_add_u32_e32 v69, 8, v69
	v_add_u32_e32 v70, 8, v70
	s_or_b64 s[6:7], vcc, s[6:7]
	s_waitcnt vmcnt(0) lgkmcnt(0)
	v_fmac_f64_e32 v[64:65], v[72:73], v[74:75]
	s_andn2_b64 exec, exec, s[6:7]
	s_cbranch_execnz .LBB30_23
; %bb.24:
	s_or_b64 exec, exec, s[6:7]
	v_mov_b32_e32 v68, 0
	ds_read_b64 v[68:69], v68 offset:32
	s_waitcnt lgkmcnt(0)
	v_mul_f64 v[64:65], v[64:65], v[68:69]
	buffer_store_dword v65, off, s[0:3], 0 offset:36
	buffer_store_dword v64, off, s[0:3], 0 offset:32
.LBB30_25:
	s_or_b64 exec, exec, s[4:5]
	s_waitcnt lgkmcnt(0)
	; wave barrier
	buffer_load_dword v64, off, s[0:3], 0 offset:40
	buffer_load_dword v65, off, s[0:3], 0 offset:44
	v_cmp_gt_u32_e32 vcc, 5, v0
	;; [unrolled: 41-line block ×21, first 2 shown]
	s_waitcnt vmcnt(0)
	ds_write_b64 v66, v[64:65]
	s_waitcnt lgkmcnt(0)
	; wave barrier
	s_waitcnt lgkmcnt(0)
	s_and_saveexec_b64 s[4:5], vcc
	s_cbranch_execz .LBB30_105
; %bb.102:
	v_add_u32_e32 v68, -1, v0
	v_add_u32_e32 v69, 0x100, v1
	v_add_u32_e32 v70, 0, v1
	s_mov_b64 s[6:7], 0
	v_pk_mov_b32 v[64:65], 0, 0
.LBB30_103:                             ; =>This Inner Loop Header: Depth=1
	buffer_load_dword v72, v70, s[0:3], 0 offen
	buffer_load_dword v73, v70, s[0:3], 0 offen offset:4
	ds_read_b64 v[74:75], v69
	v_add_u32_e32 v68, 1, v68
	v_cmp_lt_u32_e32 vcc, 22, v68
	v_add_u32_e32 v69, 8, v69
	v_add_u32_e32 v70, 8, v70
	s_or_b64 s[6:7], vcc, s[6:7]
	s_waitcnt vmcnt(0) lgkmcnt(0)
	v_fmac_f64_e32 v[64:65], v[72:73], v[74:75]
	s_andn2_b64 exec, exec, s[6:7]
	s_cbranch_execnz .LBB30_103
; %bb.104:
	s_or_b64 exec, exec, s[6:7]
	v_mov_b32_e32 v68, 0
	ds_read_b64 v[68:69], v68 offset:192
	s_waitcnt lgkmcnt(0)
	v_mul_f64 v[64:65], v[64:65], v[68:69]
	buffer_store_dword v65, off, s[0:3], 0 offset:196
	buffer_store_dword v64, off, s[0:3], 0 offset:192
.LBB30_105:
	s_or_b64 exec, exec, s[4:5]
	s_waitcnt lgkmcnt(0)
	; wave barrier
	buffer_load_dword v64, off, s[0:3], 0 offset:200
	buffer_load_dword v65, off, s[0:3], 0 offset:204
	v_cmp_gt_u32_e32 vcc, 25, v0
	s_waitcnt vmcnt(0)
	ds_write_b64 v66, v[64:65]
	s_waitcnt lgkmcnt(0)
	; wave barrier
	s_waitcnt lgkmcnt(0)
	s_and_saveexec_b64 s[4:5], vcc
	s_cbranch_execz .LBB30_109
; %bb.106:
	v_add_u32_e32 v68, -1, v0
	v_add_u32_e32 v69, 0x100, v1
	v_add_u32_e32 v70, 0, v1
	s_mov_b64 s[6:7], 0
	v_pk_mov_b32 v[64:65], 0, 0
.LBB30_107:                             ; =>This Inner Loop Header: Depth=1
	buffer_load_dword v72, v70, s[0:3], 0 offen
	buffer_load_dword v73, v70, s[0:3], 0 offen offset:4
	ds_read_b64 v[74:75], v69
	v_add_u32_e32 v68, 1, v68
	v_cmp_lt_u32_e32 vcc, 23, v68
	v_add_u32_e32 v69, 8, v69
	v_add_u32_e32 v70, 8, v70
	s_or_b64 s[6:7], vcc, s[6:7]
	s_waitcnt vmcnt(0) lgkmcnt(0)
	v_fmac_f64_e32 v[64:65], v[72:73], v[74:75]
	s_andn2_b64 exec, exec, s[6:7]
	s_cbranch_execnz .LBB30_107
; %bb.108:
	s_or_b64 exec, exec, s[6:7]
	v_mov_b32_e32 v68, 0
	ds_read_b64 v[68:69], v68 offset:200
	s_waitcnt lgkmcnt(0)
	v_mul_f64 v[64:65], v[64:65], v[68:69]
	buffer_store_dword v65, off, s[0:3], 0 offset:204
	buffer_store_dword v64, off, s[0:3], 0 offset:200
.LBB30_109:
	s_or_b64 exec, exec, s[4:5]
	s_waitcnt lgkmcnt(0)
	; wave barrier
	buffer_load_dword v64, off, s[0:3], 0 offset:208
	buffer_load_dword v65, off, s[0:3], 0 offset:212
	v_cmp_gt_u32_e32 vcc, 26, v0
	;; [unrolled: 41-line block ×5, first 2 shown]
	s_waitcnt vmcnt(0)
	ds_write_b64 v66, v[64:65]
	s_waitcnt lgkmcnt(0)
	; wave barrier
	s_waitcnt lgkmcnt(0)
	s_and_saveexec_b64 s[4:5], vcc
	s_cbranch_execz .LBB30_125
; %bb.122:
	v_add_u32_e32 v68, -1, v0
	v_add_u32_e32 v69, 0x100, v1
	v_add_u32_e32 v70, 0, v1
	s_mov_b64 s[6:7], 0
	v_pk_mov_b32 v[64:65], 0, 0
.LBB30_123:                             ; =>This Inner Loop Header: Depth=1
	buffer_load_dword v72, v70, s[0:3], 0 offen
	buffer_load_dword v73, v70, s[0:3], 0 offen offset:4
	ds_read_b64 v[74:75], v69
	v_add_u32_e32 v68, 1, v68
	v_cmp_lt_u32_e32 vcc, 27, v68
	v_add_u32_e32 v69, 8, v69
	v_add_u32_e32 v70, 8, v70
	s_or_b64 s[6:7], vcc, s[6:7]
	s_waitcnt vmcnt(0) lgkmcnt(0)
	v_fmac_f64_e32 v[64:65], v[72:73], v[74:75]
	s_andn2_b64 exec, exec, s[6:7]
	s_cbranch_execnz .LBB30_123
; %bb.124:
	s_or_b64 exec, exec, s[6:7]
	v_mov_b32_e32 v68, 0
	ds_read_b64 v[68:69], v68 offset:232
	s_waitcnt lgkmcnt(0)
	v_mul_f64 v[64:65], v[64:65], v[68:69]
	buffer_store_dword v65, off, s[0:3], 0 offset:236
	buffer_store_dword v64, off, s[0:3], 0 offset:232
.LBB30_125:
	s_or_b64 exec, exec, s[4:5]
	s_waitcnt lgkmcnt(0)
	; wave barrier
	buffer_load_dword v64, off, s[0:3], 0 offset:240
	buffer_load_dword v65, off, s[0:3], 0 offset:244
	v_cmp_ne_u32_e32 vcc, 30, v0
	s_waitcnt vmcnt(0)
	ds_write_b64 v66, v[64:65]
	s_waitcnt lgkmcnt(0)
	; wave barrier
	s_waitcnt lgkmcnt(0)
	s_and_saveexec_b64 s[4:5], vcc
	s_cbranch_execz .LBB30_129
; %bb.126:
	v_add_u32_e32 v66, 0x100, v1
	v_add_u32_e32 v1, 0, v1
	s_mov_b64 s[6:7], 0
	v_pk_mov_b32 v[64:65], 0, 0
.LBB30_127:                             ; =>This Inner Loop Header: Depth=1
	buffer_load_dword v68, v1, s[0:3], 0 offen
	buffer_load_dword v69, v1, s[0:3], 0 offen offset:4
	ds_read_b64 v[70:71], v66
	v_add_u32_e32 v67, 1, v67
	v_cmp_lt_u32_e32 vcc, 28, v67
	v_add_u32_e32 v66, 8, v66
	v_add_u32_e32 v1, 8, v1
	s_or_b64 s[6:7], vcc, s[6:7]
	s_waitcnt vmcnt(0) lgkmcnt(0)
	v_fmac_f64_e32 v[64:65], v[68:69], v[70:71]
	s_andn2_b64 exec, exec, s[6:7]
	s_cbranch_execnz .LBB30_127
; %bb.128:
	s_or_b64 exec, exec, s[6:7]
	v_mov_b32_e32 v1, 0
	ds_read_b64 v[66:67], v1 offset:240
	s_waitcnt lgkmcnt(0)
	v_mul_f64 v[64:65], v[64:65], v[66:67]
	buffer_store_dword v65, off, s[0:3], 0 offset:244
	buffer_store_dword v64, off, s[0:3], 0 offset:240
.LBB30_129:
	s_or_b64 exec, exec, s[4:5]
	s_mov_b64 s[6:7], -1
	s_waitcnt lgkmcnt(0)
	; wave barrier
.LBB30_130:
	s_and_b64 vcc, exec, s[6:7]
	s_cbranch_vccz .LBB30_132
; %bb.131:
	s_lshl_b64 s[4:5], s[8:9], 2
	s_add_u32 s4, s14, s4
	s_addc_u32 s5, s15, s5
	v_mov_b32_e32 v1, 0
	global_load_dword v1, v1, s[4:5]
	s_waitcnt vmcnt(0)
	v_cmp_ne_u32_e32 vcc, 0, v1
	s_cbranch_vccz .LBB30_133
.LBB30_132:
	s_endpgm
.LBB30_133:
	v_mov_b32_e32 v1, 0x100
	v_lshl_add_u32 v1, v0, 3, v1
	v_cmp_eq_u32_e32 vcc, 30, v0
	s_and_saveexec_b64 s[4:5], vcc
	s_cbranch_execz .LBB30_135
; %bb.134:
	buffer_load_dword v64, off, s[0:3], 0 offset:232
	buffer_load_dword v65, off, s[0:3], 0 offset:236
	v_mov_b32_e32 v66, 0
	buffer_store_dword v66, off, s[0:3], 0 offset:232
	buffer_store_dword v66, off, s[0:3], 0 offset:236
	s_waitcnt vmcnt(2)
	ds_write_b64 v1, v[64:65]
.LBB30_135:
	s_or_b64 exec, exec, s[4:5]
	s_waitcnt lgkmcnt(0)
	; wave barrier
	s_waitcnt lgkmcnt(0)
	buffer_load_dword v66, off, s[0:3], 0 offset:240
	buffer_load_dword v67, off, s[0:3], 0 offset:244
	;; [unrolled: 1-line block ×4, first 2 shown]
	v_mov_b32_e32 v64, 0
	ds_read_b64 v[70:71], v64 offset:496
	v_cmp_lt_u32_e32 vcc, 28, v0
	s_waitcnt vmcnt(2) lgkmcnt(0)
	v_fma_f64 v[66:67], v[66:67], v[70:71], 0
	s_waitcnt vmcnt(0)
	v_add_f64 v[66:67], v[68:69], -v[66:67]
	buffer_store_dword v66, off, s[0:3], 0 offset:232
	buffer_store_dword v67, off, s[0:3], 0 offset:236
	s_and_saveexec_b64 s[4:5], vcc
	s_cbranch_execz .LBB30_137
; %bb.136:
	buffer_load_dword v66, off, s[0:3], 0 offset:224
	buffer_load_dword v67, off, s[0:3], 0 offset:228
	s_waitcnt vmcnt(0)
	ds_write_b64 v1, v[66:67]
	buffer_store_dword v64, off, s[0:3], 0 offset:224
	buffer_store_dword v64, off, s[0:3], 0 offset:228
.LBB30_137:
	s_or_b64 exec, exec, s[4:5]
	s_waitcnt lgkmcnt(0)
	; wave barrier
	s_waitcnt lgkmcnt(0)
	buffer_load_dword v68, off, s[0:3], 0 offset:232
	buffer_load_dword v69, off, s[0:3], 0 offset:236
	;; [unrolled: 1-line block ×6, first 2 shown]
	ds_read2_b64 v[64:67], v64 offset0:61 offset1:62
	v_cmp_lt_u32_e32 vcc, 27, v0
	s_waitcnt vmcnt(4) lgkmcnt(0)
	v_fma_f64 v[64:65], v[68:69], v[64:65], 0
	s_waitcnt vmcnt(2)
	v_fmac_f64_e32 v[64:65], v[70:71], v[66:67]
	s_waitcnt vmcnt(0)
	v_add_f64 v[64:65], v[72:73], -v[64:65]
	buffer_store_dword v64, off, s[0:3], 0 offset:224
	buffer_store_dword v65, off, s[0:3], 0 offset:228
	s_and_saveexec_b64 s[4:5], vcc
	s_cbranch_execz .LBB30_139
; %bb.138:
	buffer_load_dword v64, off, s[0:3], 0 offset:216
	buffer_load_dword v65, off, s[0:3], 0 offset:220
	v_mov_b32_e32 v66, 0
	buffer_store_dword v66, off, s[0:3], 0 offset:216
	buffer_store_dword v66, off, s[0:3], 0 offset:220
	s_waitcnt vmcnt(2)
	ds_write_b64 v1, v[64:65]
.LBB30_139:
	s_or_b64 exec, exec, s[4:5]
	s_waitcnt lgkmcnt(0)
	; wave barrier
	s_waitcnt lgkmcnt(0)
	buffer_load_dword v70, off, s[0:3], 0 offset:224
	buffer_load_dword v71, off, s[0:3], 0 offset:228
	buffer_load_dword v72, off, s[0:3], 0 offset:232
	buffer_load_dword v73, off, s[0:3], 0 offset:236
	buffer_load_dword v74, off, s[0:3], 0 offset:240
	buffer_load_dword v75, off, s[0:3], 0 offset:244
	buffer_load_dword v76, off, s[0:3], 0 offset:216
	buffer_load_dword v77, off, s[0:3], 0 offset:220
	v_mov_b32_e32 v64, 0
	ds_read_b128 v[66:69], v64 offset:480
	ds_read_b64 v[78:79], v64 offset:496
	v_cmp_lt_u32_e32 vcc, 26, v0
	s_waitcnt vmcnt(6) lgkmcnt(1)
	v_fma_f64 v[66:67], v[70:71], v[66:67], 0
	s_waitcnt vmcnt(4)
	v_fmac_f64_e32 v[66:67], v[72:73], v[68:69]
	s_waitcnt vmcnt(2) lgkmcnt(0)
	v_fmac_f64_e32 v[66:67], v[74:75], v[78:79]
	s_waitcnt vmcnt(0)
	v_add_f64 v[66:67], v[76:77], -v[66:67]
	buffer_store_dword v66, off, s[0:3], 0 offset:216
	buffer_store_dword v67, off, s[0:3], 0 offset:220
	s_and_saveexec_b64 s[4:5], vcc
	s_cbranch_execz .LBB30_141
; %bb.140:
	buffer_load_dword v66, off, s[0:3], 0 offset:208
	buffer_load_dword v67, off, s[0:3], 0 offset:212
	s_waitcnt vmcnt(0)
	ds_write_b64 v1, v[66:67]
	buffer_store_dword v64, off, s[0:3], 0 offset:208
	buffer_store_dword v64, off, s[0:3], 0 offset:212
.LBB30_141:
	s_or_b64 exec, exec, s[4:5]
	s_waitcnt lgkmcnt(0)
	; wave barrier
	s_waitcnt lgkmcnt(0)
	buffer_load_dword v74, off, s[0:3], 0 offset:216
	buffer_load_dword v75, off, s[0:3], 0 offset:220
	;; [unrolled: 1-line block ×10, first 2 shown]
	ds_read2_b64 v[66:69], v64 offset0:59 offset1:60
	ds_read2_b64 v[70:73], v64 offset0:61 offset1:62
	v_cmp_lt_u32_e32 vcc, 25, v0
	s_waitcnt vmcnt(8) lgkmcnt(1)
	v_fma_f64 v[64:65], v[74:75], v[66:67], 0
	s_waitcnt vmcnt(6)
	v_fmac_f64_e32 v[64:65], v[76:77], v[68:69]
	s_waitcnt vmcnt(4) lgkmcnt(0)
	v_fmac_f64_e32 v[64:65], v[78:79], v[70:71]
	s_waitcnt vmcnt(2)
	v_fmac_f64_e32 v[64:65], v[80:81], v[72:73]
	s_waitcnt vmcnt(0)
	v_add_f64 v[64:65], v[82:83], -v[64:65]
	buffer_store_dword v64, off, s[0:3], 0 offset:208
	buffer_store_dword v65, off, s[0:3], 0 offset:212
	s_and_saveexec_b64 s[4:5], vcc
	s_cbranch_execz .LBB30_143
; %bb.142:
	buffer_load_dword v64, off, s[0:3], 0 offset:200
	buffer_load_dword v65, off, s[0:3], 0 offset:204
	v_mov_b32_e32 v66, 0
	buffer_store_dword v66, off, s[0:3], 0 offset:200
	buffer_store_dword v66, off, s[0:3], 0 offset:204
	s_waitcnt vmcnt(2)
	ds_write_b64 v1, v[64:65]
.LBB30_143:
	s_or_b64 exec, exec, s[4:5]
	s_waitcnt lgkmcnt(0)
	; wave barrier
	s_waitcnt lgkmcnt(0)
	buffer_load_dword v74, off, s[0:3], 0 offset:208
	buffer_load_dword v75, off, s[0:3], 0 offset:212
	;; [unrolled: 1-line block ×12, first 2 shown]
	v_mov_b32_e32 v64, 0
	ds_read_b128 v[66:69], v64 offset:464
	ds_read_b128 v[70:73], v64 offset:480
	ds_read_b64 v[86:87], v64 offset:496
	v_cmp_lt_u32_e32 vcc, 24, v0
	s_waitcnt vmcnt(10) lgkmcnt(2)
	v_fma_f64 v[66:67], v[74:75], v[66:67], 0
	s_waitcnt vmcnt(8)
	v_fmac_f64_e32 v[66:67], v[76:77], v[68:69]
	s_waitcnt vmcnt(6) lgkmcnt(1)
	v_fmac_f64_e32 v[66:67], v[78:79], v[70:71]
	s_waitcnt vmcnt(4)
	v_fmac_f64_e32 v[66:67], v[80:81], v[72:73]
	s_waitcnt vmcnt(2) lgkmcnt(0)
	v_fmac_f64_e32 v[66:67], v[82:83], v[86:87]
	s_waitcnt vmcnt(0)
	v_add_f64 v[66:67], v[84:85], -v[66:67]
	buffer_store_dword v66, off, s[0:3], 0 offset:200
	buffer_store_dword v67, off, s[0:3], 0 offset:204
	s_and_saveexec_b64 s[4:5], vcc
	s_cbranch_execz .LBB30_145
; %bb.144:
	buffer_load_dword v66, off, s[0:3], 0 offset:192
	buffer_load_dword v67, off, s[0:3], 0 offset:196
	s_waitcnt vmcnt(0)
	ds_write_b64 v1, v[66:67]
	buffer_store_dword v64, off, s[0:3], 0 offset:192
	buffer_store_dword v64, off, s[0:3], 0 offset:196
.LBB30_145:
	s_or_b64 exec, exec, s[4:5]
	s_waitcnt lgkmcnt(0)
	; wave barrier
	s_waitcnt lgkmcnt(0)
	buffer_load_dword v78, off, s[0:3], 0 offset:200
	buffer_load_dword v79, off, s[0:3], 0 offset:204
	;; [unrolled: 1-line block ×14, first 2 shown]
	ds_read2_b64 v[66:69], v64 offset0:57 offset1:58
	ds_read2_b64 v[70:73], v64 offset0:59 offset1:60
	;; [unrolled: 1-line block ×3, first 2 shown]
	v_cmp_lt_u32_e32 vcc, 23, v0
	s_waitcnt vmcnt(12) lgkmcnt(2)
	v_fma_f64 v[64:65], v[78:79], v[66:67], 0
	s_waitcnt vmcnt(10)
	v_fmac_f64_e32 v[64:65], v[80:81], v[68:69]
	s_waitcnt vmcnt(8) lgkmcnt(1)
	v_fmac_f64_e32 v[64:65], v[82:83], v[70:71]
	s_waitcnt vmcnt(6)
	v_fmac_f64_e32 v[64:65], v[84:85], v[72:73]
	s_waitcnt vmcnt(4) lgkmcnt(0)
	v_fmac_f64_e32 v[64:65], v[86:87], v[74:75]
	s_waitcnt vmcnt(2)
	v_fmac_f64_e32 v[64:65], v[88:89], v[76:77]
	s_waitcnt vmcnt(0)
	v_add_f64 v[64:65], v[90:91], -v[64:65]
	buffer_store_dword v64, off, s[0:3], 0 offset:192
	buffer_store_dword v65, off, s[0:3], 0 offset:196
	s_and_saveexec_b64 s[4:5], vcc
	s_cbranch_execz .LBB30_147
; %bb.146:
	buffer_load_dword v64, off, s[0:3], 0 offset:184
	buffer_load_dword v65, off, s[0:3], 0 offset:188
	v_mov_b32_e32 v66, 0
	buffer_store_dword v66, off, s[0:3], 0 offset:184
	buffer_store_dword v66, off, s[0:3], 0 offset:188
	s_waitcnt vmcnt(2)
	ds_write_b64 v1, v[64:65]
.LBB30_147:
	s_or_b64 exec, exec, s[4:5]
	s_waitcnt lgkmcnt(0)
	; wave barrier
	s_waitcnt lgkmcnt(0)
	buffer_load_dword v78, off, s[0:3], 0 offset:192
	buffer_load_dword v79, off, s[0:3], 0 offset:196
	;; [unrolled: 1-line block ×16, first 2 shown]
	v_mov_b32_e32 v64, 0
	ds_read_b128 v[66:69], v64 offset:448
	ds_read_b128 v[70:73], v64 offset:464
	;; [unrolled: 1-line block ×3, first 2 shown]
	ds_read_b64 v[94:95], v64 offset:496
	v_cmp_lt_u32_e32 vcc, 22, v0
	s_waitcnt vmcnt(14) lgkmcnt(3)
	v_fma_f64 v[66:67], v[78:79], v[66:67], 0
	s_waitcnt vmcnt(12)
	v_fmac_f64_e32 v[66:67], v[80:81], v[68:69]
	s_waitcnt vmcnt(10) lgkmcnt(2)
	v_fmac_f64_e32 v[66:67], v[82:83], v[70:71]
	s_waitcnt vmcnt(8)
	v_fmac_f64_e32 v[66:67], v[84:85], v[72:73]
	s_waitcnt vmcnt(6) lgkmcnt(1)
	v_fmac_f64_e32 v[66:67], v[86:87], v[74:75]
	;; [unrolled: 4-line block ×3, first 2 shown]
	s_waitcnt vmcnt(0)
	v_add_f64 v[66:67], v[92:93], -v[66:67]
	buffer_store_dword v66, off, s[0:3], 0 offset:184
	buffer_store_dword v67, off, s[0:3], 0 offset:188
	s_and_saveexec_b64 s[4:5], vcc
	s_cbranch_execz .LBB30_149
; %bb.148:
	buffer_load_dword v66, off, s[0:3], 0 offset:176
	buffer_load_dword v67, off, s[0:3], 0 offset:180
	s_waitcnt vmcnt(0)
	ds_write_b64 v1, v[66:67]
	buffer_store_dword v64, off, s[0:3], 0 offset:176
	buffer_store_dword v64, off, s[0:3], 0 offset:180
.LBB30_149:
	s_or_b64 exec, exec, s[4:5]
	s_waitcnt lgkmcnt(0)
	; wave barrier
	s_waitcnt lgkmcnt(0)
	buffer_load_dword v82, off, s[0:3], 0 offset:184
	buffer_load_dword v83, off, s[0:3], 0 offset:188
	;; [unrolled: 1-line block ×18, first 2 shown]
	ds_read2_b64 v[66:69], v64 offset0:55 offset1:56
	ds_read2_b64 v[70:73], v64 offset0:57 offset1:58
	;; [unrolled: 1-line block ×4, first 2 shown]
	v_cmp_lt_u32_e32 vcc, 21, v0
	s_waitcnt vmcnt(16) lgkmcnt(3)
	v_fma_f64 v[64:65], v[82:83], v[66:67], 0
	s_waitcnt vmcnt(14)
	v_fmac_f64_e32 v[64:65], v[84:85], v[68:69]
	s_waitcnt vmcnt(12) lgkmcnt(2)
	v_fmac_f64_e32 v[64:65], v[86:87], v[70:71]
	s_waitcnt vmcnt(10)
	v_fmac_f64_e32 v[64:65], v[88:89], v[72:73]
	s_waitcnt vmcnt(8) lgkmcnt(1)
	v_fmac_f64_e32 v[64:65], v[90:91], v[74:75]
	s_waitcnt vmcnt(6)
	v_fmac_f64_e32 v[64:65], v[92:93], v[76:77]
	s_waitcnt vmcnt(4) lgkmcnt(0)
	v_fmac_f64_e32 v[64:65], v[94:95], v[78:79]
	s_waitcnt vmcnt(2)
	v_fmac_f64_e32 v[64:65], v[96:97], v[80:81]
	s_waitcnt vmcnt(0)
	v_add_f64 v[64:65], v[98:99], -v[64:65]
	buffer_store_dword v64, off, s[0:3], 0 offset:176
	buffer_store_dword v65, off, s[0:3], 0 offset:180
	s_and_saveexec_b64 s[4:5], vcc
	s_cbranch_execz .LBB30_151
; %bb.150:
	buffer_load_dword v64, off, s[0:3], 0 offset:168
	buffer_load_dword v65, off, s[0:3], 0 offset:172
	v_mov_b32_e32 v66, 0
	buffer_store_dword v66, off, s[0:3], 0 offset:168
	buffer_store_dword v66, off, s[0:3], 0 offset:172
	s_waitcnt vmcnt(2)
	ds_write_b64 v1, v[64:65]
.LBB30_151:
	s_or_b64 exec, exec, s[4:5]
	s_waitcnt lgkmcnt(0)
	; wave barrier
	s_waitcnt lgkmcnt(0)
	buffer_load_dword v82, off, s[0:3], 0 offset:176
	buffer_load_dword v83, off, s[0:3], 0 offset:180
	;; [unrolled: 1-line block ×20, first 2 shown]
	v_mov_b32_e32 v64, 0
	ds_read_b128 v[66:69], v64 offset:432
	ds_read_b128 v[70:73], v64 offset:448
	;; [unrolled: 1-line block ×4, first 2 shown]
	ds_read_b64 v[102:103], v64 offset:496
	v_cmp_lt_u32_e32 vcc, 20, v0
	s_waitcnt vmcnt(18) lgkmcnt(4)
	v_fma_f64 v[66:67], v[82:83], v[66:67], 0
	s_waitcnt vmcnt(16)
	v_fmac_f64_e32 v[66:67], v[84:85], v[68:69]
	s_waitcnt vmcnt(14) lgkmcnt(3)
	v_fmac_f64_e32 v[66:67], v[86:87], v[70:71]
	s_waitcnt vmcnt(12)
	v_fmac_f64_e32 v[66:67], v[88:89], v[72:73]
	s_waitcnt vmcnt(10) lgkmcnt(2)
	v_fmac_f64_e32 v[66:67], v[90:91], v[74:75]
	;; [unrolled: 4-line block ×3, first 2 shown]
	s_waitcnt vmcnt(2)
	v_fmac_f64_e32 v[66:67], v[98:99], v[80:81]
	s_waitcnt lgkmcnt(0)
	v_fmac_f64_e32 v[66:67], v[96:97], v[102:103]
	s_waitcnt vmcnt(0)
	v_add_f64 v[66:67], v[100:101], -v[66:67]
	buffer_store_dword v66, off, s[0:3], 0 offset:168
	buffer_store_dword v67, off, s[0:3], 0 offset:172
	s_and_saveexec_b64 s[4:5], vcc
	s_cbranch_execz .LBB30_153
; %bb.152:
	buffer_load_dword v66, off, s[0:3], 0 offset:160
	buffer_load_dword v67, off, s[0:3], 0 offset:164
	s_waitcnt vmcnt(0)
	ds_write_b64 v1, v[66:67]
	buffer_store_dword v64, off, s[0:3], 0 offset:160
	buffer_store_dword v64, off, s[0:3], 0 offset:164
.LBB30_153:
	s_or_b64 exec, exec, s[4:5]
	s_waitcnt lgkmcnt(0)
	; wave barrier
	s_waitcnt lgkmcnt(0)
	buffer_load_dword v86, off, s[0:3], 0 offset:168
	buffer_load_dword v87, off, s[0:3], 0 offset:172
	buffer_load_dword v88, off, s[0:3], 0 offset:176
	buffer_load_dword v89, off, s[0:3], 0 offset:180
	buffer_load_dword v90, off, s[0:3], 0 offset:184
	buffer_load_dword v91, off, s[0:3], 0 offset:188
	buffer_load_dword v92, off, s[0:3], 0 offset:192
	buffer_load_dword v93, off, s[0:3], 0 offset:196
	buffer_load_dword v94, off, s[0:3], 0 offset:200
	buffer_load_dword v95, off, s[0:3], 0 offset:204
	buffer_load_dword v96, off, s[0:3], 0 offset:208
	buffer_load_dword v97, off, s[0:3], 0 offset:212
	buffer_load_dword v98, off, s[0:3], 0 offset:216
	buffer_load_dword v99, off, s[0:3], 0 offset:220
	buffer_load_dword v100, off, s[0:3], 0 offset:240
	buffer_load_dword v103, off, s[0:3], 0 offset:236
	buffer_load_dword v102, off, s[0:3], 0 offset:232
	buffer_load_dword v105, off, s[0:3], 0 offset:228
	buffer_load_dword v104, off, s[0:3], 0 offset:224
	buffer_load_dword v101, off, s[0:3], 0 offset:244
	buffer_load_dword v106, off, s[0:3], 0 offset:160
	buffer_load_dword v107, off, s[0:3], 0 offset:164
	ds_read2_b64 v[66:69], v64 offset0:53 offset1:54
	ds_read2_b64 v[70:73], v64 offset0:55 offset1:56
	;; [unrolled: 1-line block ×5, first 2 shown]
	v_cmp_lt_u32_e32 vcc, 19, v0
	s_waitcnt vmcnt(20) lgkmcnt(4)
	v_fma_f64 v[64:65], v[86:87], v[66:67], 0
	s_waitcnt vmcnt(18)
	v_fmac_f64_e32 v[64:65], v[88:89], v[68:69]
	s_waitcnt vmcnt(16) lgkmcnt(3)
	v_fmac_f64_e32 v[64:65], v[90:91], v[70:71]
	s_waitcnt vmcnt(14)
	v_fmac_f64_e32 v[64:65], v[92:93], v[72:73]
	s_waitcnt vmcnt(12) lgkmcnt(2)
	v_fmac_f64_e32 v[64:65], v[94:95], v[74:75]
	;; [unrolled: 4-line block ×3, first 2 shown]
	s_waitcnt vmcnt(3)
	v_fmac_f64_e32 v[64:65], v[104:105], v[80:81]
	s_waitcnt lgkmcnt(0)
	v_fmac_f64_e32 v[64:65], v[102:103], v[82:83]
	s_waitcnt vmcnt(2)
	v_fmac_f64_e32 v[64:65], v[100:101], v[84:85]
	s_waitcnt vmcnt(0)
	v_add_f64 v[64:65], v[106:107], -v[64:65]
	buffer_store_dword v64, off, s[0:3], 0 offset:160
	buffer_store_dword v65, off, s[0:3], 0 offset:164
	s_and_saveexec_b64 s[4:5], vcc
	s_cbranch_execz .LBB30_155
; %bb.154:
	buffer_load_dword v64, off, s[0:3], 0 offset:152
	buffer_load_dword v65, off, s[0:3], 0 offset:156
	v_mov_b32_e32 v66, 0
	buffer_store_dword v66, off, s[0:3], 0 offset:152
	buffer_store_dword v66, off, s[0:3], 0 offset:156
	s_waitcnt vmcnt(2)
	ds_write_b64 v1, v[64:65]
.LBB30_155:
	s_or_b64 exec, exec, s[4:5]
	s_waitcnt lgkmcnt(0)
	; wave barrier
	s_waitcnt lgkmcnt(0)
	buffer_load_dword v86, off, s[0:3], 0 offset:160
	buffer_load_dword v87, off, s[0:3], 0 offset:164
	buffer_load_dword v88, off, s[0:3], 0 offset:168
	buffer_load_dword v89, off, s[0:3], 0 offset:172
	buffer_load_dword v90, off, s[0:3], 0 offset:176
	buffer_load_dword v91, off, s[0:3], 0 offset:180
	buffer_load_dword v92, off, s[0:3], 0 offset:184
	buffer_load_dword v93, off, s[0:3], 0 offset:188
	buffer_load_dword v94, off, s[0:3], 0 offset:192
	buffer_load_dword v95, off, s[0:3], 0 offset:196
	buffer_load_dword v96, off, s[0:3], 0 offset:200
	buffer_load_dword v97, off, s[0:3], 0 offset:204
	buffer_load_dword v98, off, s[0:3], 0 offset:208
	buffer_load_dword v99, off, s[0:3], 0 offset:212
	buffer_load_dword v100, off, s[0:3], 0 offset:240
	buffer_load_dword v102, off, s[0:3], 0 offset:232
	buffer_load_dword v105, off, s[0:3], 0 offset:228
	buffer_load_dword v104, off, s[0:3], 0 offset:224
	buffer_load_dword v107, off, s[0:3], 0 offset:220
	buffer_load_dword v106, off, s[0:3], 0 offset:216
	buffer_load_dword v103, off, s[0:3], 0 offset:236
	buffer_load_dword v101, off, s[0:3], 0 offset:244
	buffer_load_dword v108, off, s[0:3], 0 offset:152
	buffer_load_dword v109, off, s[0:3], 0 offset:156
	v_mov_b32_e32 v64, 0
	ds_read_b128 v[66:69], v64 offset:416
	ds_read_b128 v[70:73], v64 offset:432
	;; [unrolled: 1-line block ×5, first 2 shown]
	ds_read_b64 v[110:111], v64 offset:496
	v_cmp_lt_u32_e32 vcc, 18, v0
	s_waitcnt vmcnt(22) lgkmcnt(5)
	v_fma_f64 v[66:67], v[86:87], v[66:67], 0
	s_waitcnt vmcnt(20)
	v_fmac_f64_e32 v[66:67], v[88:89], v[68:69]
	s_waitcnt vmcnt(18) lgkmcnt(4)
	v_fmac_f64_e32 v[66:67], v[90:91], v[70:71]
	s_waitcnt vmcnt(16)
	v_fmac_f64_e32 v[66:67], v[92:93], v[72:73]
	s_waitcnt vmcnt(14) lgkmcnt(3)
	v_fmac_f64_e32 v[66:67], v[94:95], v[74:75]
	;; [unrolled: 4-line block ×3, first 2 shown]
	s_waitcnt vmcnt(4)
	v_fmac_f64_e32 v[66:67], v[106:107], v[80:81]
	s_waitcnt lgkmcnt(1)
	v_fmac_f64_e32 v[66:67], v[104:105], v[82:83]
	s_waitcnt vmcnt(3)
	v_fmac_f64_e32 v[66:67], v[102:103], v[84:85]
	s_waitcnt vmcnt(2) lgkmcnt(0)
	v_fmac_f64_e32 v[66:67], v[100:101], v[110:111]
	s_waitcnt vmcnt(0)
	v_add_f64 v[66:67], v[108:109], -v[66:67]
	buffer_store_dword v67, off, s[0:3], 0 offset:156
	buffer_store_dword v66, off, s[0:3], 0 offset:152
	s_and_saveexec_b64 s[4:5], vcc
	s_cbranch_execz .LBB30_157
; %bb.156:
	buffer_load_dword v66, off, s[0:3], 0 offset:144
	buffer_load_dword v67, off, s[0:3], 0 offset:148
	s_waitcnt vmcnt(0)
	ds_write_b64 v1, v[66:67]
	buffer_store_dword v64, off, s[0:3], 0 offset:144
	buffer_store_dword v64, off, s[0:3], 0 offset:148
.LBB30_157:
	s_or_b64 exec, exec, s[4:5]
	s_waitcnt lgkmcnt(0)
	; wave barrier
	s_waitcnt lgkmcnt(0)
	buffer_load_dword v90, off, s[0:3], 0 offset:152
	buffer_load_dword v91, off, s[0:3], 0 offset:156
	;; [unrolled: 1-line block ×26, first 2 shown]
	ds_read2_b64 v[66:69], v64 offset0:51 offset1:52
	ds_read2_b64 v[70:73], v64 offset0:53 offset1:54
	;; [unrolled: 1-line block ×6, first 2 shown]
	v_cmp_lt_u32_e32 vcc, 17, v0
	s_waitcnt vmcnt(24) lgkmcnt(5)
	v_fma_f64 v[64:65], v[90:91], v[66:67], 0
	s_waitcnt vmcnt(22)
	v_fmac_f64_e32 v[64:65], v[92:93], v[68:69]
	s_waitcnt vmcnt(20) lgkmcnt(4)
	v_fmac_f64_e32 v[64:65], v[94:95], v[70:71]
	s_waitcnt vmcnt(18)
	v_fmac_f64_e32 v[64:65], v[96:97], v[72:73]
	s_waitcnt vmcnt(16) lgkmcnt(3)
	v_fmac_f64_e32 v[64:65], v[98:99], v[74:75]
	;; [unrolled: 4-line block ×3, first 2 shown]
	s_waitcnt vmcnt(5)
	v_fmac_f64_e32 v[64:65], v[110:111], v[80:81]
	s_waitcnt lgkmcnt(1)
	v_fmac_f64_e32 v[64:65], v[108:109], v[82:83]
	v_fmac_f64_e32 v[64:65], v[106:107], v[84:85]
	s_waitcnt vmcnt(4) lgkmcnt(0)
	v_fmac_f64_e32 v[64:65], v[104:105], v[86:87]
	s_waitcnt vmcnt(2)
	v_fmac_f64_e32 v[64:65], v[112:113], v[88:89]
	s_waitcnt vmcnt(0)
	v_add_f64 v[64:65], v[114:115], -v[64:65]
	buffer_store_dword v65, off, s[0:3], 0 offset:148
	buffer_store_dword v64, off, s[0:3], 0 offset:144
	s_and_saveexec_b64 s[4:5], vcc
	s_cbranch_execz .LBB30_159
; %bb.158:
	buffer_load_dword v64, off, s[0:3], 0 offset:136
	buffer_load_dword v65, off, s[0:3], 0 offset:140
	v_mov_b32_e32 v66, 0
	buffer_store_dword v66, off, s[0:3], 0 offset:136
	buffer_store_dword v66, off, s[0:3], 0 offset:140
	s_waitcnt vmcnt(2)
	ds_write_b64 v1, v[64:65]
.LBB30_159:
	s_or_b64 exec, exec, s[4:5]
	s_waitcnt lgkmcnt(0)
	; wave barrier
	s_waitcnt lgkmcnt(0)
	buffer_load_dword v90, off, s[0:3], 0 offset:144
	buffer_load_dword v91, off, s[0:3], 0 offset:148
	;; [unrolled: 1-line block ×28, first 2 shown]
	v_mov_b32_e32 v64, 0
	ds_read_b128 v[66:69], v64 offset:400
	ds_read_b128 v[70:73], v64 offset:416
	;; [unrolled: 1-line block ×6, first 2 shown]
	ds_read_b64 v[118:119], v64 offset:496
	v_cmp_lt_u32_e32 vcc, 16, v0
	s_waitcnt vmcnt(26) lgkmcnt(6)
	v_fma_f64 v[66:67], v[90:91], v[66:67], 0
	s_waitcnt vmcnt(24)
	v_fmac_f64_e32 v[66:67], v[92:93], v[68:69]
	s_waitcnt vmcnt(22) lgkmcnt(5)
	v_fmac_f64_e32 v[66:67], v[94:95], v[70:71]
	s_waitcnt vmcnt(20)
	v_fmac_f64_e32 v[66:67], v[96:97], v[72:73]
	s_waitcnt vmcnt(18) lgkmcnt(4)
	v_fmac_f64_e32 v[66:67], v[98:99], v[74:75]
	;; [unrolled: 4-line block ×3, first 2 shown]
	s_waitcnt vmcnt(6)
	v_fmac_f64_e32 v[66:67], v[110:111], v[80:81]
	s_waitcnt lgkmcnt(2)
	v_fmac_f64_e32 v[66:67], v[108:109], v[82:83]
	v_fmac_f64_e32 v[66:67], v[106:107], v[84:85]
	s_waitcnt lgkmcnt(1)
	v_fmac_f64_e32 v[66:67], v[104:105], v[86:87]
	s_waitcnt vmcnt(2)
	v_fmac_f64_e32 v[66:67], v[114:115], v[88:89]
	s_waitcnt lgkmcnt(0)
	v_fmac_f64_e32 v[66:67], v[112:113], v[118:119]
	s_waitcnt vmcnt(0)
	v_add_f64 v[66:67], v[116:117], -v[66:67]
	buffer_store_dword v67, off, s[0:3], 0 offset:140
	buffer_store_dword v66, off, s[0:3], 0 offset:136
	s_and_saveexec_b64 s[4:5], vcc
	s_cbranch_execz .LBB30_161
; %bb.160:
	buffer_load_dword v66, off, s[0:3], 0 offset:128
	buffer_load_dword v67, off, s[0:3], 0 offset:132
	s_waitcnt vmcnt(0)
	ds_write_b64 v1, v[66:67]
	buffer_store_dword v64, off, s[0:3], 0 offset:128
	buffer_store_dword v64, off, s[0:3], 0 offset:132
.LBB30_161:
	s_or_b64 exec, exec, s[4:5]
	s_waitcnt lgkmcnt(0)
	; wave barrier
	s_waitcnt lgkmcnt(0)
	buffer_load_dword v94, off, s[0:3], 0 offset:136
	buffer_load_dword v95, off, s[0:3], 0 offset:140
	buffer_load_dword v96, off, s[0:3], 0 offset:144
	buffer_load_dword v97, off, s[0:3], 0 offset:148
	buffer_load_dword v98, off, s[0:3], 0 offset:152
	buffer_load_dword v99, off, s[0:3], 0 offset:156
	buffer_load_dword v100, off, s[0:3], 0 offset:160
	buffer_load_dword v101, off, s[0:3], 0 offset:164
	buffer_load_dword v102, off, s[0:3], 0 offset:168
	buffer_load_dword v103, off, s[0:3], 0 offset:172
	buffer_load_dword v104, off, s[0:3], 0 offset:176
	buffer_load_dword v105, off, s[0:3], 0 offset:180
	buffer_load_dword v106, off, s[0:3], 0 offset:184
	buffer_load_dword v107, off, s[0:3], 0 offset:188
	buffer_load_dword v109, off, s[0:3], 0 offset:220
	buffer_load_dword v108, off, s[0:3], 0 offset:216
	buffer_load_dword v111, off, s[0:3], 0 offset:212
	buffer_load_dword v110, off, s[0:3], 0 offset:208
	buffer_load_dword v113, off, s[0:3], 0 offset:204
	buffer_load_dword v112, off, s[0:3], 0 offset:200
	buffer_load_dword v115, off, s[0:3], 0 offset:196
	buffer_load_dword v114, off, s[0:3], 0 offset:192
	buffer_load_dword v116, off, s[0:3], 0 offset:240
	buffer_load_dword v119, off, s[0:3], 0 offset:236
	buffer_load_dword v118, off, s[0:3], 0 offset:232
	buffer_load_dword v121, off, s[0:3], 0 offset:228
	buffer_load_dword v120, off, s[0:3], 0 offset:224
	buffer_load_dword v117, off, s[0:3], 0 offset:244
	buffer_load_dword v122, off, s[0:3], 0 offset:128
	buffer_load_dword v123, off, s[0:3], 0 offset:132
	ds_read2_b64 v[66:69], v64 offset0:49 offset1:50
	ds_read2_b64 v[70:73], v64 offset0:51 offset1:52
	;; [unrolled: 1-line block ×7, first 2 shown]
	v_cmp_lt_u32_e32 vcc, 15, v0
	s_waitcnt vmcnt(28) lgkmcnt(6)
	v_fma_f64 v[64:65], v[94:95], v[66:67], 0
	s_waitcnt vmcnt(26)
	v_fmac_f64_e32 v[64:65], v[96:97], v[68:69]
	s_waitcnt vmcnt(24) lgkmcnt(5)
	v_fmac_f64_e32 v[64:65], v[98:99], v[70:71]
	s_waitcnt vmcnt(22)
	v_fmac_f64_e32 v[64:65], v[100:101], v[72:73]
	s_waitcnt vmcnt(20) lgkmcnt(4)
	v_fmac_f64_e32 v[64:65], v[102:103], v[74:75]
	;; [unrolled: 4-line block ×3, first 2 shown]
	s_waitcnt vmcnt(8)
	v_fmac_f64_e32 v[64:65], v[114:115], v[80:81]
	s_waitcnt lgkmcnt(2)
	v_fmac_f64_e32 v[64:65], v[112:113], v[82:83]
	v_fmac_f64_e32 v[64:65], v[110:111], v[84:85]
	s_waitcnt lgkmcnt(1)
	v_fmac_f64_e32 v[64:65], v[108:109], v[86:87]
	s_waitcnt vmcnt(3)
	v_fmac_f64_e32 v[64:65], v[120:121], v[88:89]
	s_waitcnt lgkmcnt(0)
	v_fmac_f64_e32 v[64:65], v[118:119], v[90:91]
	s_waitcnt vmcnt(2)
	v_fmac_f64_e32 v[64:65], v[116:117], v[92:93]
	s_waitcnt vmcnt(0)
	v_add_f64 v[64:65], v[122:123], -v[64:65]
	buffer_store_dword v65, off, s[0:3], 0 offset:132
	buffer_store_dword v64, off, s[0:3], 0 offset:128
	s_and_saveexec_b64 s[4:5], vcc
	s_cbranch_execz .LBB30_163
; %bb.162:
	buffer_load_dword v64, off, s[0:3], 0 offset:120
	buffer_load_dword v65, off, s[0:3], 0 offset:124
	v_mov_b32_e32 v66, 0
	buffer_store_dword v66, off, s[0:3], 0 offset:120
	buffer_store_dword v66, off, s[0:3], 0 offset:124
	s_waitcnt vmcnt(2)
	ds_write_b64 v1, v[64:65]
.LBB30_163:
	s_or_b64 exec, exec, s[4:5]
	s_waitcnt lgkmcnt(0)
	; wave barrier
	s_waitcnt lgkmcnt(0)
	buffer_load_dword v82, off, s[0:3], 0 offset:120
	buffer_load_dword v83, off, s[0:3], 0 offset:124
	;; [unrolled: 1-line block ×16, first 2 shown]
	v_mov_b32_e32 v64, 0
	ds_read_b128 v[66:69], v64 offset:384
	ds_read_b128 v[70:73], v64 offset:400
	;; [unrolled: 1-line block ×4, first 2 shown]
	v_cmp_lt_u32_e32 vcc, 14, v0
	s_waitcnt vmcnt(12) lgkmcnt(3)
	v_fma_f64 v[84:85], v[84:85], v[66:67], 0
	buffer_load_dword v67, off, s[0:3], 0 offset:188
	buffer_load_dword v66, off, s[0:3], 0 offset:184
	s_waitcnt vmcnt(12)
	v_fmac_f64_e32 v[84:85], v[86:87], v[68:69]
	s_waitcnt vmcnt(10) lgkmcnt(2)
	v_fmac_f64_e32 v[84:85], v[88:89], v[70:71]
	buffer_load_dword v71, off, s[0:3], 0 offset:196
	buffer_load_dword v70, off, s[0:3], 0 offset:192
	s_waitcnt vmcnt(10)
	v_fmac_f64_e32 v[84:85], v[90:91], v[72:73]
	s_waitcnt vmcnt(8) lgkmcnt(1)
	v_fmac_f64_e32 v[84:85], v[92:93], v[74:75]
	s_waitcnt vmcnt(6)
	v_fmac_f64_e32 v[84:85], v[94:95], v[76:77]
	s_waitcnt vmcnt(4) lgkmcnt(0)
	v_fmac_f64_e32 v[84:85], v[96:97], v[78:79]
	s_waitcnt vmcnt(2)
	v_fmac_f64_e32 v[84:85], v[66:67], v[80:81]
	ds_read_b128 v[66:69], v64 offset:448
	s_waitcnt vmcnt(0) lgkmcnt(0)
	v_fmac_f64_e32 v[84:85], v[70:71], v[66:67]
	buffer_load_dword v67, off, s[0:3], 0 offset:204
	buffer_load_dword v66, off, s[0:3], 0 offset:200
	;; [unrolled: 1-line block ×4, first 2 shown]
	s_waitcnt vmcnt(2)
	v_fmac_f64_e32 v[84:85], v[66:67], v[68:69]
	ds_read_b128 v[66:69], v64 offset:464
	s_waitcnt vmcnt(0) lgkmcnt(0)
	v_fmac_f64_e32 v[84:85], v[70:71], v[66:67]
	buffer_load_dword v67, off, s[0:3], 0 offset:220
	buffer_load_dword v66, off, s[0:3], 0 offset:216
	;; [unrolled: 1-line block ×4, first 2 shown]
	s_waitcnt vmcnt(2)
	v_fmac_f64_e32 v[84:85], v[66:67], v[68:69]
	ds_read_b128 v[66:69], v64 offset:480
	s_waitcnt vmcnt(0) lgkmcnt(0)
	v_fmac_f64_e32 v[84:85], v[70:71], v[66:67]
	buffer_load_dword v67, off, s[0:3], 0 offset:236
	buffer_load_dword v66, off, s[0:3], 0 offset:232
	s_waitcnt vmcnt(0)
	v_fmac_f64_e32 v[84:85], v[66:67], v[68:69]
	buffer_load_dword v67, off, s[0:3], 0 offset:244
	buffer_load_dword v66, off, s[0:3], 0 offset:240
	ds_read_b64 v[68:69], v64 offset:496
	s_waitcnt vmcnt(0) lgkmcnt(0)
	v_fmac_f64_e32 v[84:85], v[66:67], v[68:69]
	v_add_f64 v[66:67], v[82:83], -v[84:85]
	buffer_store_dword v67, off, s[0:3], 0 offset:124
	buffer_store_dword v66, off, s[0:3], 0 offset:120
	s_and_saveexec_b64 s[4:5], vcc
	s_cbranch_execz .LBB30_165
; %bb.164:
	buffer_load_dword v66, off, s[0:3], 0 offset:112
	buffer_load_dword v67, off, s[0:3], 0 offset:116
	s_waitcnt vmcnt(0)
	ds_write_b64 v1, v[66:67]
	buffer_store_dword v64, off, s[0:3], 0 offset:112
	buffer_store_dword v64, off, s[0:3], 0 offset:116
.LBB30_165:
	s_or_b64 exec, exec, s[4:5]
	s_waitcnt lgkmcnt(0)
	; wave barrier
	s_waitcnt lgkmcnt(0)
	buffer_load_dword v70, off, s[0:3], 0 offset:112
	buffer_load_dword v71, off, s[0:3], 0 offset:116
	;; [unrolled: 1-line block ×16, first 2 shown]
	ds_read2_b64 v[66:69], v64 offset0:47 offset1:48
	v_cmp_lt_u32_e32 vcc, 13, v0
	s_waitcnt vmcnt(12) lgkmcnt(0)
	v_fma_f64 v[72:73], v[72:73], v[66:67], 0
	s_waitcnt vmcnt(10)
	v_fmac_f64_e32 v[72:73], v[74:75], v[68:69]
	ds_read2_b64 v[66:69], v64 offset0:49 offset1:50
	s_waitcnt vmcnt(8) lgkmcnt(0)
	v_fmac_f64_e32 v[72:73], v[76:77], v[66:67]
	s_waitcnt vmcnt(6)
	v_fmac_f64_e32 v[72:73], v[78:79], v[68:69]
	ds_read2_b64 v[66:69], v64 offset0:51 offset1:52
	s_waitcnt vmcnt(4) lgkmcnt(0)
	v_fmac_f64_e32 v[72:73], v[80:81], v[66:67]
	;; [unrolled: 5-line block ×3, first 2 shown]
	buffer_load_dword v67, off, s[0:3], 0 offset:180
	buffer_load_dword v66, off, s[0:3], 0 offset:176
	buffer_load_dword v75, off, s[0:3], 0 offset:188
	buffer_load_dword v74, off, s[0:3], 0 offset:184
	s_waitcnt vmcnt(2)
	v_fmac_f64_e32 v[72:73], v[66:67], v[68:69]
	ds_read2_b64 v[66:69], v64 offset0:55 offset1:56
	s_waitcnt vmcnt(0) lgkmcnt(0)
	v_fmac_f64_e32 v[72:73], v[74:75], v[66:67]
	buffer_load_dword v67, off, s[0:3], 0 offset:196
	buffer_load_dword v66, off, s[0:3], 0 offset:192
	buffer_load_dword v75, off, s[0:3], 0 offset:204
	buffer_load_dword v74, off, s[0:3], 0 offset:200
	s_waitcnt vmcnt(2)
	v_fmac_f64_e32 v[72:73], v[66:67], v[68:69]
	ds_read2_b64 v[66:69], v64 offset0:57 offset1:58
	s_waitcnt vmcnt(0) lgkmcnt(0)
	v_fmac_f64_e32 v[72:73], v[74:75], v[66:67]
	;; [unrolled: 9-line block ×3, first 2 shown]
	buffer_load_dword v67, off, s[0:3], 0 offset:228
	buffer_load_dword v66, off, s[0:3], 0 offset:224
	s_waitcnt vmcnt(0)
	v_fmac_f64_e32 v[72:73], v[66:67], v[68:69]
	buffer_load_dword v69, off, s[0:3], 0 offset:236
	buffer_load_dword v68, off, s[0:3], 0 offset:232
	ds_read2_b64 v[64:67], v64 offset0:61 offset1:62
	s_waitcnt vmcnt(0) lgkmcnt(0)
	v_fmac_f64_e32 v[72:73], v[68:69], v[64:65]
	buffer_load_dword v65, off, s[0:3], 0 offset:244
	buffer_load_dword v64, off, s[0:3], 0 offset:240
	s_waitcnt vmcnt(0)
	v_fmac_f64_e32 v[72:73], v[64:65], v[66:67]
	v_add_f64 v[64:65], v[70:71], -v[72:73]
	buffer_store_dword v65, off, s[0:3], 0 offset:116
	buffer_store_dword v64, off, s[0:3], 0 offset:112
	s_and_saveexec_b64 s[4:5], vcc
	s_cbranch_execz .LBB30_167
; %bb.166:
	buffer_load_dword v64, off, s[0:3], 0 offset:104
	buffer_load_dword v65, off, s[0:3], 0 offset:108
	v_mov_b32_e32 v66, 0
	buffer_store_dword v66, off, s[0:3], 0 offset:104
	buffer_store_dword v66, off, s[0:3], 0 offset:108
	s_waitcnt vmcnt(2)
	ds_write_b64 v1, v[64:65]
.LBB30_167:
	s_or_b64 exec, exec, s[4:5]
	s_waitcnt lgkmcnt(0)
	; wave barrier
	s_waitcnt lgkmcnt(0)
	buffer_load_dword v64, off, s[0:3], 0 offset:104
	buffer_load_dword v65, off, s[0:3], 0 offset:108
	;; [unrolled: 1-line block ×16, first 2 shown]
	v_mov_b32_e32 v68, 0
	ds_read_b128 v[70:73], v68 offset:368
	ds_read_b128 v[74:77], v68 offset:384
	;; [unrolled: 1-line block ×4, first 2 shown]
	v_cmp_lt_u32_e32 vcc, 12, v0
	s_waitcnt vmcnt(12) lgkmcnt(3)
	v_fma_f64 v[66:67], v[66:67], v[70:71], 0
	buffer_load_dword v71, off, s[0:3], 0 offset:172
	buffer_load_dword v70, off, s[0:3], 0 offset:168
	s_waitcnt vmcnt(12)
	v_fmac_f64_e32 v[66:67], v[86:87], v[72:73]
	s_waitcnt vmcnt(10) lgkmcnt(2)
	v_fmac_f64_e32 v[66:67], v[88:89], v[74:75]
	buffer_load_dword v75, off, s[0:3], 0 offset:180
	buffer_load_dword v74, off, s[0:3], 0 offset:176
	s_waitcnt vmcnt(10)
	v_fmac_f64_e32 v[66:67], v[90:91], v[76:77]
	s_waitcnt vmcnt(8) lgkmcnt(1)
	v_fmac_f64_e32 v[66:67], v[92:93], v[78:79]
	s_waitcnt vmcnt(6)
	v_fmac_f64_e32 v[66:67], v[94:95], v[80:81]
	s_waitcnt vmcnt(4) lgkmcnt(0)
	v_fmac_f64_e32 v[66:67], v[96:97], v[82:83]
	s_waitcnt vmcnt(2)
	v_fmac_f64_e32 v[66:67], v[70:71], v[84:85]
	ds_read_b128 v[70:73], v68 offset:432
	s_waitcnt vmcnt(0) lgkmcnt(0)
	v_fmac_f64_e32 v[66:67], v[74:75], v[70:71]
	buffer_load_dword v71, off, s[0:3], 0 offset:188
	buffer_load_dword v70, off, s[0:3], 0 offset:184
	buffer_load_dword v75, off, s[0:3], 0 offset:196
	buffer_load_dword v74, off, s[0:3], 0 offset:192
	s_waitcnt vmcnt(2)
	v_fmac_f64_e32 v[66:67], v[70:71], v[72:73]
	ds_read_b128 v[70:73], v68 offset:448
	s_waitcnt vmcnt(0) lgkmcnt(0)
	v_fmac_f64_e32 v[66:67], v[74:75], v[70:71]
	buffer_load_dword v71, off, s[0:3], 0 offset:204
	buffer_load_dword v70, off, s[0:3], 0 offset:200
	buffer_load_dword v75, off, s[0:3], 0 offset:212
	buffer_load_dword v74, off, s[0:3], 0 offset:208
	;; [unrolled: 9-line block ×3, first 2 shown]
	s_waitcnt vmcnt(2)
	v_fmac_f64_e32 v[66:67], v[70:71], v[72:73]
	ds_read_b128 v[70:73], v68 offset:480
	s_waitcnt vmcnt(0) lgkmcnt(0)
	v_fmac_f64_e32 v[66:67], v[74:75], v[70:71]
	buffer_load_dword v71, off, s[0:3], 0 offset:236
	buffer_load_dword v70, off, s[0:3], 0 offset:232
	s_waitcnt vmcnt(0)
	v_fmac_f64_e32 v[66:67], v[70:71], v[72:73]
	buffer_load_dword v71, off, s[0:3], 0 offset:244
	buffer_load_dword v70, off, s[0:3], 0 offset:240
	ds_read_b64 v[72:73], v68 offset:496
	s_waitcnt vmcnt(0) lgkmcnt(0)
	v_fmac_f64_e32 v[66:67], v[70:71], v[72:73]
	v_add_f64 v[64:65], v[64:65], -v[66:67]
	buffer_store_dword v65, off, s[0:3], 0 offset:108
	buffer_store_dword v64, off, s[0:3], 0 offset:104
	s_and_saveexec_b64 s[4:5], vcc
	s_cbranch_execz .LBB30_169
; %bb.168:
	buffer_load_dword v64, off, s[0:3], 0 offset:96
	buffer_load_dword v65, off, s[0:3], 0 offset:100
	s_waitcnt vmcnt(0)
	ds_write_b64 v1, v[64:65]
	buffer_store_dword v68, off, s[0:3], 0 offset:96
	buffer_store_dword v68, off, s[0:3], 0 offset:100
.LBB30_169:
	s_or_b64 exec, exec, s[4:5]
	s_waitcnt lgkmcnt(0)
	; wave barrier
	s_waitcnt lgkmcnt(0)
	buffer_load_dword v64, off, s[0:3], 0 offset:96
	buffer_load_dword v65, off, s[0:3], 0 offset:100
	;; [unrolled: 1-line block ×16, first 2 shown]
	ds_read2_b64 v[70:73], v68 offset0:45 offset1:46
	v_cmp_lt_u32_e32 vcc, 11, v0
	s_waitcnt vmcnt(12) lgkmcnt(0)
	v_fma_f64 v[66:67], v[66:67], v[70:71], 0
	s_waitcnt vmcnt(10)
	v_fmac_f64_e32 v[66:67], v[74:75], v[72:73]
	ds_read2_b64 v[70:73], v68 offset0:47 offset1:48
	s_waitcnt vmcnt(8) lgkmcnt(0)
	v_fmac_f64_e32 v[66:67], v[76:77], v[70:71]
	s_waitcnt vmcnt(6)
	v_fmac_f64_e32 v[66:67], v[78:79], v[72:73]
	ds_read2_b64 v[70:73], v68 offset0:49 offset1:50
	s_waitcnt vmcnt(4) lgkmcnt(0)
	v_fmac_f64_e32 v[66:67], v[80:81], v[70:71]
	;; [unrolled: 5-line block ×3, first 2 shown]
	buffer_load_dword v71, off, s[0:3], 0 offset:164
	buffer_load_dword v70, off, s[0:3], 0 offset:160
	buffer_load_dword v75, off, s[0:3], 0 offset:172
	buffer_load_dword v74, off, s[0:3], 0 offset:168
	s_waitcnt vmcnt(2)
	v_fmac_f64_e32 v[66:67], v[70:71], v[72:73]
	ds_read2_b64 v[70:73], v68 offset0:53 offset1:54
	s_waitcnt vmcnt(0) lgkmcnt(0)
	v_fmac_f64_e32 v[66:67], v[74:75], v[70:71]
	buffer_load_dword v71, off, s[0:3], 0 offset:180
	buffer_load_dword v70, off, s[0:3], 0 offset:176
	buffer_load_dword v75, off, s[0:3], 0 offset:188
	buffer_load_dword v74, off, s[0:3], 0 offset:184
	s_waitcnt vmcnt(2)
	v_fmac_f64_e32 v[66:67], v[70:71], v[72:73]
	ds_read2_b64 v[70:73], v68 offset0:55 offset1:56
	s_waitcnt vmcnt(0) lgkmcnt(0)
	v_fmac_f64_e32 v[66:67], v[74:75], v[70:71]
	;; [unrolled: 9-line block ×4, first 2 shown]
	buffer_load_dword v71, off, s[0:3], 0 offset:228
	buffer_load_dword v70, off, s[0:3], 0 offset:224
	s_waitcnt vmcnt(0)
	v_fmac_f64_e32 v[66:67], v[70:71], v[72:73]
	buffer_load_dword v73, off, s[0:3], 0 offset:236
	buffer_load_dword v72, off, s[0:3], 0 offset:232
	ds_read2_b64 v[68:71], v68 offset0:61 offset1:62
	s_waitcnt vmcnt(0) lgkmcnt(0)
	v_fmac_f64_e32 v[66:67], v[72:73], v[68:69]
	buffer_load_dword v69, off, s[0:3], 0 offset:244
	buffer_load_dword v68, off, s[0:3], 0 offset:240
	s_waitcnt vmcnt(0)
	v_fmac_f64_e32 v[66:67], v[68:69], v[70:71]
	v_add_f64 v[64:65], v[64:65], -v[66:67]
	buffer_store_dword v65, off, s[0:3], 0 offset:100
	buffer_store_dword v64, off, s[0:3], 0 offset:96
	s_and_saveexec_b64 s[4:5], vcc
	s_cbranch_execz .LBB30_171
; %bb.170:
	buffer_load_dword v64, off, s[0:3], 0 offset:88
	buffer_load_dword v65, off, s[0:3], 0 offset:92
	v_mov_b32_e32 v66, 0
	buffer_store_dword v66, off, s[0:3], 0 offset:88
	buffer_store_dword v66, off, s[0:3], 0 offset:92
	s_waitcnt vmcnt(2)
	ds_write_b64 v1, v[64:65]
.LBB30_171:
	s_or_b64 exec, exec, s[4:5]
	s_waitcnt lgkmcnt(0)
	; wave barrier
	s_waitcnt lgkmcnt(0)
	buffer_load_dword v64, off, s[0:3], 0 offset:88
	buffer_load_dword v65, off, s[0:3], 0 offset:92
	;; [unrolled: 1-line block ×16, first 2 shown]
	v_mov_b32_e32 v68, 0
	ds_read_b128 v[70:73], v68 offset:352
	ds_read_b128 v[74:77], v68 offset:368
	;; [unrolled: 1-line block ×4, first 2 shown]
	v_cmp_lt_u32_e32 vcc, 10, v0
	s_waitcnt vmcnt(12) lgkmcnt(3)
	v_fma_f64 v[66:67], v[66:67], v[70:71], 0
	buffer_load_dword v71, off, s[0:3], 0 offset:156
	buffer_load_dword v70, off, s[0:3], 0 offset:152
	s_waitcnt vmcnt(12)
	v_fmac_f64_e32 v[66:67], v[86:87], v[72:73]
	s_waitcnt vmcnt(10) lgkmcnt(2)
	v_fmac_f64_e32 v[66:67], v[88:89], v[74:75]
	buffer_load_dword v75, off, s[0:3], 0 offset:164
	buffer_load_dword v74, off, s[0:3], 0 offset:160
	s_waitcnt vmcnt(10)
	v_fmac_f64_e32 v[66:67], v[90:91], v[76:77]
	s_waitcnt vmcnt(8) lgkmcnt(1)
	v_fmac_f64_e32 v[66:67], v[92:93], v[78:79]
	s_waitcnt vmcnt(6)
	v_fmac_f64_e32 v[66:67], v[94:95], v[80:81]
	s_waitcnt vmcnt(4) lgkmcnt(0)
	v_fmac_f64_e32 v[66:67], v[96:97], v[82:83]
	s_waitcnt vmcnt(2)
	v_fmac_f64_e32 v[66:67], v[70:71], v[84:85]
	ds_read_b128 v[70:73], v68 offset:416
	s_waitcnt vmcnt(0) lgkmcnt(0)
	v_fmac_f64_e32 v[66:67], v[74:75], v[70:71]
	buffer_load_dword v71, off, s[0:3], 0 offset:172
	buffer_load_dword v70, off, s[0:3], 0 offset:168
	buffer_load_dword v75, off, s[0:3], 0 offset:180
	buffer_load_dword v74, off, s[0:3], 0 offset:176
	s_waitcnt vmcnt(2)
	v_fmac_f64_e32 v[66:67], v[70:71], v[72:73]
	ds_read_b128 v[70:73], v68 offset:432
	s_waitcnt vmcnt(0) lgkmcnt(0)
	v_fmac_f64_e32 v[66:67], v[74:75], v[70:71]
	buffer_load_dword v71, off, s[0:3], 0 offset:188
	buffer_load_dword v70, off, s[0:3], 0 offset:184
	buffer_load_dword v75, off, s[0:3], 0 offset:196
	buffer_load_dword v74, off, s[0:3], 0 offset:192
	;; [unrolled: 9-line block ×4, first 2 shown]
	s_waitcnt vmcnt(2)
	v_fmac_f64_e32 v[66:67], v[70:71], v[72:73]
	ds_read_b128 v[70:73], v68 offset:480
	s_waitcnt vmcnt(0) lgkmcnt(0)
	v_fmac_f64_e32 v[66:67], v[74:75], v[70:71]
	buffer_load_dword v71, off, s[0:3], 0 offset:236
	buffer_load_dword v70, off, s[0:3], 0 offset:232
	s_waitcnt vmcnt(0)
	v_fmac_f64_e32 v[66:67], v[70:71], v[72:73]
	buffer_load_dword v71, off, s[0:3], 0 offset:244
	buffer_load_dword v70, off, s[0:3], 0 offset:240
	ds_read_b64 v[72:73], v68 offset:496
	s_waitcnt vmcnt(0) lgkmcnt(0)
	v_fmac_f64_e32 v[66:67], v[70:71], v[72:73]
	v_add_f64 v[64:65], v[64:65], -v[66:67]
	buffer_store_dword v65, off, s[0:3], 0 offset:92
	buffer_store_dword v64, off, s[0:3], 0 offset:88
	s_and_saveexec_b64 s[4:5], vcc
	s_cbranch_execz .LBB30_173
; %bb.172:
	buffer_load_dword v64, off, s[0:3], 0 offset:80
	buffer_load_dword v65, off, s[0:3], 0 offset:84
	s_waitcnt vmcnt(0)
	ds_write_b64 v1, v[64:65]
	buffer_store_dword v68, off, s[0:3], 0 offset:80
	buffer_store_dword v68, off, s[0:3], 0 offset:84
.LBB30_173:
	s_or_b64 exec, exec, s[4:5]
	s_waitcnt lgkmcnt(0)
	; wave barrier
	s_waitcnt lgkmcnt(0)
	buffer_load_dword v64, off, s[0:3], 0 offset:80
	buffer_load_dword v65, off, s[0:3], 0 offset:84
	;; [unrolled: 1-line block ×16, first 2 shown]
	ds_read2_b64 v[70:73], v68 offset0:43 offset1:44
	v_cmp_lt_u32_e32 vcc, 9, v0
	s_waitcnt vmcnt(12) lgkmcnt(0)
	v_fma_f64 v[66:67], v[66:67], v[70:71], 0
	s_waitcnt vmcnt(10)
	v_fmac_f64_e32 v[66:67], v[74:75], v[72:73]
	ds_read2_b64 v[70:73], v68 offset0:45 offset1:46
	s_waitcnt vmcnt(8) lgkmcnt(0)
	v_fmac_f64_e32 v[66:67], v[76:77], v[70:71]
	s_waitcnt vmcnt(6)
	v_fmac_f64_e32 v[66:67], v[78:79], v[72:73]
	ds_read2_b64 v[70:73], v68 offset0:47 offset1:48
	s_waitcnt vmcnt(4) lgkmcnt(0)
	v_fmac_f64_e32 v[66:67], v[80:81], v[70:71]
	;; [unrolled: 5-line block ×3, first 2 shown]
	buffer_load_dword v71, off, s[0:3], 0 offset:148
	buffer_load_dword v70, off, s[0:3], 0 offset:144
	buffer_load_dword v75, off, s[0:3], 0 offset:156
	buffer_load_dword v74, off, s[0:3], 0 offset:152
	s_waitcnt vmcnt(2)
	v_fmac_f64_e32 v[66:67], v[70:71], v[72:73]
	ds_read2_b64 v[70:73], v68 offset0:51 offset1:52
	s_waitcnt vmcnt(0) lgkmcnt(0)
	v_fmac_f64_e32 v[66:67], v[74:75], v[70:71]
	buffer_load_dword v71, off, s[0:3], 0 offset:164
	buffer_load_dword v70, off, s[0:3], 0 offset:160
	buffer_load_dword v75, off, s[0:3], 0 offset:172
	buffer_load_dword v74, off, s[0:3], 0 offset:168
	s_waitcnt vmcnt(2)
	v_fmac_f64_e32 v[66:67], v[70:71], v[72:73]
	ds_read2_b64 v[70:73], v68 offset0:53 offset1:54
	s_waitcnt vmcnt(0) lgkmcnt(0)
	v_fmac_f64_e32 v[66:67], v[74:75], v[70:71]
	;; [unrolled: 9-line block ×5, first 2 shown]
	buffer_load_dword v71, off, s[0:3], 0 offset:228
	buffer_load_dword v70, off, s[0:3], 0 offset:224
	s_waitcnt vmcnt(0)
	v_fmac_f64_e32 v[66:67], v[70:71], v[72:73]
	buffer_load_dword v73, off, s[0:3], 0 offset:236
	buffer_load_dword v72, off, s[0:3], 0 offset:232
	ds_read2_b64 v[68:71], v68 offset0:61 offset1:62
	s_waitcnt vmcnt(0) lgkmcnt(0)
	v_fmac_f64_e32 v[66:67], v[72:73], v[68:69]
	buffer_load_dword v69, off, s[0:3], 0 offset:244
	buffer_load_dword v68, off, s[0:3], 0 offset:240
	s_waitcnt vmcnt(0)
	v_fmac_f64_e32 v[66:67], v[68:69], v[70:71]
	v_add_f64 v[64:65], v[64:65], -v[66:67]
	buffer_store_dword v65, off, s[0:3], 0 offset:84
	buffer_store_dword v64, off, s[0:3], 0 offset:80
	s_and_saveexec_b64 s[4:5], vcc
	s_cbranch_execz .LBB30_175
; %bb.174:
	buffer_load_dword v64, off, s[0:3], 0 offset:72
	buffer_load_dword v65, off, s[0:3], 0 offset:76
	v_mov_b32_e32 v66, 0
	buffer_store_dword v66, off, s[0:3], 0 offset:72
	buffer_store_dword v66, off, s[0:3], 0 offset:76
	s_waitcnt vmcnt(2)
	ds_write_b64 v1, v[64:65]
.LBB30_175:
	s_or_b64 exec, exec, s[4:5]
	s_waitcnt lgkmcnt(0)
	; wave barrier
	s_waitcnt lgkmcnt(0)
	buffer_load_dword v64, off, s[0:3], 0 offset:72
	buffer_load_dword v65, off, s[0:3], 0 offset:76
	;; [unrolled: 1-line block ×16, first 2 shown]
	v_mov_b32_e32 v68, 0
	ds_read_b128 v[70:73], v68 offset:336
	ds_read_b128 v[74:77], v68 offset:352
	;; [unrolled: 1-line block ×4, first 2 shown]
	v_cmp_lt_u32_e32 vcc, 8, v0
	s_waitcnt vmcnt(12) lgkmcnt(3)
	v_fma_f64 v[66:67], v[66:67], v[70:71], 0
	buffer_load_dword v71, off, s[0:3], 0 offset:140
	buffer_load_dword v70, off, s[0:3], 0 offset:136
	s_waitcnt vmcnt(12)
	v_fmac_f64_e32 v[66:67], v[86:87], v[72:73]
	s_waitcnt vmcnt(10) lgkmcnt(2)
	v_fmac_f64_e32 v[66:67], v[88:89], v[74:75]
	buffer_load_dword v75, off, s[0:3], 0 offset:148
	buffer_load_dword v74, off, s[0:3], 0 offset:144
	s_waitcnt vmcnt(10)
	v_fmac_f64_e32 v[66:67], v[90:91], v[76:77]
	s_waitcnt vmcnt(8) lgkmcnt(1)
	v_fmac_f64_e32 v[66:67], v[92:93], v[78:79]
	s_waitcnt vmcnt(6)
	v_fmac_f64_e32 v[66:67], v[94:95], v[80:81]
	s_waitcnt vmcnt(4) lgkmcnt(0)
	v_fmac_f64_e32 v[66:67], v[96:97], v[82:83]
	s_waitcnt vmcnt(2)
	v_fmac_f64_e32 v[66:67], v[70:71], v[84:85]
	ds_read_b128 v[70:73], v68 offset:400
	s_waitcnt vmcnt(0) lgkmcnt(0)
	v_fmac_f64_e32 v[66:67], v[74:75], v[70:71]
	buffer_load_dword v71, off, s[0:3], 0 offset:156
	buffer_load_dword v70, off, s[0:3], 0 offset:152
	buffer_load_dword v75, off, s[0:3], 0 offset:164
	buffer_load_dword v74, off, s[0:3], 0 offset:160
	s_waitcnt vmcnt(2)
	v_fmac_f64_e32 v[66:67], v[70:71], v[72:73]
	ds_read_b128 v[70:73], v68 offset:416
	s_waitcnt vmcnt(0) lgkmcnt(0)
	v_fmac_f64_e32 v[66:67], v[74:75], v[70:71]
	buffer_load_dword v71, off, s[0:3], 0 offset:172
	buffer_load_dword v70, off, s[0:3], 0 offset:168
	buffer_load_dword v75, off, s[0:3], 0 offset:180
	buffer_load_dword v74, off, s[0:3], 0 offset:176
	;; [unrolled: 9-line block ×5, first 2 shown]
	s_waitcnt vmcnt(2)
	v_fmac_f64_e32 v[66:67], v[70:71], v[72:73]
	ds_read_b128 v[70:73], v68 offset:480
	s_waitcnt vmcnt(0) lgkmcnt(0)
	v_fmac_f64_e32 v[66:67], v[74:75], v[70:71]
	buffer_load_dword v71, off, s[0:3], 0 offset:236
	buffer_load_dword v70, off, s[0:3], 0 offset:232
	s_waitcnt vmcnt(0)
	v_fmac_f64_e32 v[66:67], v[70:71], v[72:73]
	buffer_load_dword v71, off, s[0:3], 0 offset:244
	buffer_load_dword v70, off, s[0:3], 0 offset:240
	ds_read_b64 v[72:73], v68 offset:496
	s_waitcnt vmcnt(0) lgkmcnt(0)
	v_fmac_f64_e32 v[66:67], v[70:71], v[72:73]
	v_add_f64 v[64:65], v[64:65], -v[66:67]
	buffer_store_dword v65, off, s[0:3], 0 offset:76
	buffer_store_dword v64, off, s[0:3], 0 offset:72
	s_and_saveexec_b64 s[4:5], vcc
	s_cbranch_execz .LBB30_177
; %bb.176:
	buffer_load_dword v64, off, s[0:3], 0 offset:64
	buffer_load_dword v65, off, s[0:3], 0 offset:68
	s_waitcnt vmcnt(0)
	ds_write_b64 v1, v[64:65]
	buffer_store_dword v68, off, s[0:3], 0 offset:64
	buffer_store_dword v68, off, s[0:3], 0 offset:68
.LBB30_177:
	s_or_b64 exec, exec, s[4:5]
	s_waitcnt lgkmcnt(0)
	; wave barrier
	s_waitcnt lgkmcnt(0)
	buffer_load_dword v64, off, s[0:3], 0 offset:64
	buffer_load_dword v65, off, s[0:3], 0 offset:68
	buffer_load_dword v66, off, s[0:3], 0 offset:72
	buffer_load_dword v67, off, s[0:3], 0 offset:76
	buffer_load_dword v74, off, s[0:3], 0 offset:80
	buffer_load_dword v75, off, s[0:3], 0 offset:84
	buffer_load_dword v76, off, s[0:3], 0 offset:88
	buffer_load_dword v77, off, s[0:3], 0 offset:92
	buffer_load_dword v78, off, s[0:3], 0 offset:96
	buffer_load_dword v79, off, s[0:3], 0 offset:100
	buffer_load_dword v80, off, s[0:3], 0 offset:104
	buffer_load_dword v81, off, s[0:3], 0 offset:108
	buffer_load_dword v82, off, s[0:3], 0 offset:112
	buffer_load_dword v83, off, s[0:3], 0 offset:116
	buffer_load_dword v84, off, s[0:3], 0 offset:120
	buffer_load_dword v85, off, s[0:3], 0 offset:124
	ds_read2_b64 v[70:73], v68 offset0:41 offset1:42
	v_cmp_lt_u32_e32 vcc, 7, v0
	s_waitcnt vmcnt(12) lgkmcnt(0)
	v_fma_f64 v[66:67], v[66:67], v[70:71], 0
	s_waitcnt vmcnt(10)
	v_fmac_f64_e32 v[66:67], v[74:75], v[72:73]
	ds_read2_b64 v[70:73], v68 offset0:43 offset1:44
	s_waitcnt vmcnt(8) lgkmcnt(0)
	v_fmac_f64_e32 v[66:67], v[76:77], v[70:71]
	s_waitcnt vmcnt(6)
	v_fmac_f64_e32 v[66:67], v[78:79], v[72:73]
	ds_read2_b64 v[70:73], v68 offset0:45 offset1:46
	s_waitcnt vmcnt(4) lgkmcnt(0)
	v_fmac_f64_e32 v[66:67], v[80:81], v[70:71]
	s_waitcnt vmcnt(2)
	v_fmac_f64_e32 v[66:67], v[82:83], v[72:73]
	ds_read2_b64 v[70:73], v68 offset0:47 offset1:48
	s_waitcnt vmcnt(0) lgkmcnt(0)
	v_fmac_f64_e32 v[66:67], v[84:85], v[70:71]
	buffer_load_dword v71, off, s[0:3], 0 offset:132
	buffer_load_dword v70, off, s[0:3], 0 offset:128
	buffer_load_dword v75, off, s[0:3], 0 offset:140
	buffer_load_dword v74, off, s[0:3], 0 offset:136
	s_waitcnt vmcnt(2)
	v_fmac_f64_e32 v[66:67], v[70:71], v[72:73]
	ds_read2_b64 v[70:73], v68 offset0:49 offset1:50
	s_waitcnt vmcnt(0) lgkmcnt(0)
	v_fmac_f64_e32 v[66:67], v[74:75], v[70:71]
	buffer_load_dword v71, off, s[0:3], 0 offset:148
	buffer_load_dword v70, off, s[0:3], 0 offset:144
	buffer_load_dword v75, off, s[0:3], 0 offset:156
	buffer_load_dword v74, off, s[0:3], 0 offset:152
	s_waitcnt vmcnt(2)
	v_fmac_f64_e32 v[66:67], v[70:71], v[72:73]
	ds_read2_b64 v[70:73], v68 offset0:51 offset1:52
	s_waitcnt vmcnt(0) lgkmcnt(0)
	v_fmac_f64_e32 v[66:67], v[74:75], v[70:71]
	;; [unrolled: 9-line block ×6, first 2 shown]
	buffer_load_dword v71, off, s[0:3], 0 offset:228
	buffer_load_dword v70, off, s[0:3], 0 offset:224
	s_waitcnt vmcnt(0)
	v_fmac_f64_e32 v[66:67], v[70:71], v[72:73]
	buffer_load_dword v73, off, s[0:3], 0 offset:236
	buffer_load_dword v72, off, s[0:3], 0 offset:232
	ds_read2_b64 v[68:71], v68 offset0:61 offset1:62
	s_waitcnt vmcnt(0) lgkmcnt(0)
	v_fmac_f64_e32 v[66:67], v[72:73], v[68:69]
	buffer_load_dword v69, off, s[0:3], 0 offset:244
	buffer_load_dword v68, off, s[0:3], 0 offset:240
	s_waitcnt vmcnt(0)
	v_fmac_f64_e32 v[66:67], v[68:69], v[70:71]
	v_add_f64 v[64:65], v[64:65], -v[66:67]
	buffer_store_dword v65, off, s[0:3], 0 offset:68
	buffer_store_dword v64, off, s[0:3], 0 offset:64
	s_and_saveexec_b64 s[4:5], vcc
	s_cbranch_execz .LBB30_179
; %bb.178:
	buffer_load_dword v64, off, s[0:3], 0 offset:56
	buffer_load_dword v65, off, s[0:3], 0 offset:60
	v_mov_b32_e32 v66, 0
	buffer_store_dword v66, off, s[0:3], 0 offset:56
	buffer_store_dword v66, off, s[0:3], 0 offset:60
	s_waitcnt vmcnt(2)
	ds_write_b64 v1, v[64:65]
.LBB30_179:
	s_or_b64 exec, exec, s[4:5]
	s_waitcnt lgkmcnt(0)
	; wave barrier
	s_waitcnt lgkmcnt(0)
	buffer_load_dword v64, off, s[0:3], 0 offset:56
	buffer_load_dword v65, off, s[0:3], 0 offset:60
	;; [unrolled: 1-line block ×16, first 2 shown]
	v_mov_b32_e32 v68, 0
	ds_read_b128 v[70:73], v68 offset:320
	ds_read_b128 v[74:77], v68 offset:336
	;; [unrolled: 1-line block ×4, first 2 shown]
	v_cmp_lt_u32_e32 vcc, 6, v0
	s_waitcnt vmcnt(12) lgkmcnt(3)
	v_fma_f64 v[66:67], v[66:67], v[70:71], 0
	buffer_load_dword v71, off, s[0:3], 0 offset:124
	buffer_load_dword v70, off, s[0:3], 0 offset:120
	s_waitcnt vmcnt(12)
	v_fmac_f64_e32 v[66:67], v[86:87], v[72:73]
	s_waitcnt vmcnt(10) lgkmcnt(2)
	v_fmac_f64_e32 v[66:67], v[88:89], v[74:75]
	buffer_load_dword v75, off, s[0:3], 0 offset:132
	buffer_load_dword v74, off, s[0:3], 0 offset:128
	s_waitcnt vmcnt(10)
	v_fmac_f64_e32 v[66:67], v[90:91], v[76:77]
	s_waitcnt vmcnt(8) lgkmcnt(1)
	v_fmac_f64_e32 v[66:67], v[92:93], v[78:79]
	s_waitcnt vmcnt(6)
	v_fmac_f64_e32 v[66:67], v[94:95], v[80:81]
	s_waitcnt vmcnt(4) lgkmcnt(0)
	v_fmac_f64_e32 v[66:67], v[96:97], v[82:83]
	s_waitcnt vmcnt(2)
	v_fmac_f64_e32 v[66:67], v[70:71], v[84:85]
	ds_read_b128 v[70:73], v68 offset:384
	s_waitcnt vmcnt(0) lgkmcnt(0)
	v_fmac_f64_e32 v[66:67], v[74:75], v[70:71]
	buffer_load_dword v71, off, s[0:3], 0 offset:140
	buffer_load_dword v70, off, s[0:3], 0 offset:136
	buffer_load_dword v75, off, s[0:3], 0 offset:148
	buffer_load_dword v74, off, s[0:3], 0 offset:144
	s_waitcnt vmcnt(2)
	v_fmac_f64_e32 v[66:67], v[70:71], v[72:73]
	ds_read_b128 v[70:73], v68 offset:400
	s_waitcnt vmcnt(0) lgkmcnt(0)
	v_fmac_f64_e32 v[66:67], v[74:75], v[70:71]
	buffer_load_dword v71, off, s[0:3], 0 offset:156
	buffer_load_dword v70, off, s[0:3], 0 offset:152
	buffer_load_dword v75, off, s[0:3], 0 offset:164
	buffer_load_dword v74, off, s[0:3], 0 offset:160
	;; [unrolled: 9-line block ×6, first 2 shown]
	s_waitcnt vmcnt(2)
	v_fmac_f64_e32 v[66:67], v[70:71], v[72:73]
	ds_read_b128 v[70:73], v68 offset:480
	s_waitcnt vmcnt(0) lgkmcnt(0)
	v_fmac_f64_e32 v[66:67], v[74:75], v[70:71]
	buffer_load_dword v71, off, s[0:3], 0 offset:236
	buffer_load_dword v70, off, s[0:3], 0 offset:232
	s_waitcnt vmcnt(0)
	v_fmac_f64_e32 v[66:67], v[70:71], v[72:73]
	buffer_load_dword v71, off, s[0:3], 0 offset:244
	buffer_load_dword v70, off, s[0:3], 0 offset:240
	ds_read_b64 v[72:73], v68 offset:496
	s_waitcnt vmcnt(0) lgkmcnt(0)
	v_fmac_f64_e32 v[66:67], v[70:71], v[72:73]
	v_add_f64 v[64:65], v[64:65], -v[66:67]
	buffer_store_dword v65, off, s[0:3], 0 offset:60
	buffer_store_dword v64, off, s[0:3], 0 offset:56
	s_and_saveexec_b64 s[4:5], vcc
	s_cbranch_execz .LBB30_181
; %bb.180:
	buffer_load_dword v64, off, s[0:3], 0 offset:48
	buffer_load_dword v65, off, s[0:3], 0 offset:52
	s_waitcnt vmcnt(0)
	ds_write_b64 v1, v[64:65]
	buffer_store_dword v68, off, s[0:3], 0 offset:48
	buffer_store_dword v68, off, s[0:3], 0 offset:52
.LBB30_181:
	s_or_b64 exec, exec, s[4:5]
	s_waitcnt lgkmcnt(0)
	; wave barrier
	s_waitcnt lgkmcnt(0)
	buffer_load_dword v64, off, s[0:3], 0 offset:48
	buffer_load_dword v65, off, s[0:3], 0 offset:52
	;; [unrolled: 1-line block ×16, first 2 shown]
	ds_read2_b64 v[70:73], v68 offset0:39 offset1:40
	v_cmp_lt_u32_e32 vcc, 5, v0
	s_waitcnt vmcnt(12) lgkmcnt(0)
	v_fma_f64 v[66:67], v[66:67], v[70:71], 0
	s_waitcnt vmcnt(10)
	v_fmac_f64_e32 v[66:67], v[74:75], v[72:73]
	ds_read2_b64 v[70:73], v68 offset0:41 offset1:42
	s_waitcnt vmcnt(8) lgkmcnt(0)
	v_fmac_f64_e32 v[66:67], v[76:77], v[70:71]
	s_waitcnt vmcnt(6)
	v_fmac_f64_e32 v[66:67], v[78:79], v[72:73]
	ds_read2_b64 v[70:73], v68 offset0:43 offset1:44
	s_waitcnt vmcnt(4) lgkmcnt(0)
	v_fmac_f64_e32 v[66:67], v[80:81], v[70:71]
	;; [unrolled: 5-line block ×3, first 2 shown]
	buffer_load_dword v71, off, s[0:3], 0 offset:116
	buffer_load_dword v70, off, s[0:3], 0 offset:112
	buffer_load_dword v75, off, s[0:3], 0 offset:124
	buffer_load_dword v74, off, s[0:3], 0 offset:120
	s_waitcnt vmcnt(2)
	v_fmac_f64_e32 v[66:67], v[70:71], v[72:73]
	ds_read2_b64 v[70:73], v68 offset0:47 offset1:48
	s_waitcnt vmcnt(0) lgkmcnt(0)
	v_fmac_f64_e32 v[66:67], v[74:75], v[70:71]
	buffer_load_dword v71, off, s[0:3], 0 offset:132
	buffer_load_dword v70, off, s[0:3], 0 offset:128
	buffer_load_dword v75, off, s[0:3], 0 offset:140
	buffer_load_dword v74, off, s[0:3], 0 offset:136
	s_waitcnt vmcnt(2)
	v_fmac_f64_e32 v[66:67], v[70:71], v[72:73]
	ds_read2_b64 v[70:73], v68 offset0:49 offset1:50
	s_waitcnt vmcnt(0) lgkmcnt(0)
	v_fmac_f64_e32 v[66:67], v[74:75], v[70:71]
	;; [unrolled: 9-line block ×7, first 2 shown]
	buffer_load_dword v71, off, s[0:3], 0 offset:228
	buffer_load_dword v70, off, s[0:3], 0 offset:224
	s_waitcnt vmcnt(0)
	v_fmac_f64_e32 v[66:67], v[70:71], v[72:73]
	buffer_load_dword v73, off, s[0:3], 0 offset:236
	buffer_load_dword v72, off, s[0:3], 0 offset:232
	ds_read2_b64 v[68:71], v68 offset0:61 offset1:62
	s_waitcnt vmcnt(0) lgkmcnt(0)
	v_fmac_f64_e32 v[66:67], v[72:73], v[68:69]
	buffer_load_dword v69, off, s[0:3], 0 offset:244
	buffer_load_dword v68, off, s[0:3], 0 offset:240
	s_waitcnt vmcnt(0)
	v_fmac_f64_e32 v[66:67], v[68:69], v[70:71]
	v_add_f64 v[64:65], v[64:65], -v[66:67]
	buffer_store_dword v65, off, s[0:3], 0 offset:52
	buffer_store_dword v64, off, s[0:3], 0 offset:48
	s_and_saveexec_b64 s[4:5], vcc
	s_cbranch_execz .LBB30_183
; %bb.182:
	buffer_load_dword v64, off, s[0:3], 0 offset:40
	buffer_load_dword v65, off, s[0:3], 0 offset:44
	v_mov_b32_e32 v66, 0
	buffer_store_dword v66, off, s[0:3], 0 offset:40
	buffer_store_dword v66, off, s[0:3], 0 offset:44
	s_waitcnt vmcnt(2)
	ds_write_b64 v1, v[64:65]
.LBB30_183:
	s_or_b64 exec, exec, s[4:5]
	s_waitcnt lgkmcnt(0)
	; wave barrier
	s_waitcnt lgkmcnt(0)
	buffer_load_dword v64, off, s[0:3], 0 offset:40
	buffer_load_dword v65, off, s[0:3], 0 offset:44
	buffer_load_dword v66, off, s[0:3], 0 offset:48
	buffer_load_dword v67, off, s[0:3], 0 offset:52
	buffer_load_dword v86, off, s[0:3], 0 offset:56
	buffer_load_dword v87, off, s[0:3], 0 offset:60
	buffer_load_dword v88, off, s[0:3], 0 offset:64
	buffer_load_dword v89, off, s[0:3], 0 offset:68
	buffer_load_dword v90, off, s[0:3], 0 offset:72
	buffer_load_dword v91, off, s[0:3], 0 offset:76
	buffer_load_dword v92, off, s[0:3], 0 offset:80
	buffer_load_dword v93, off, s[0:3], 0 offset:84
	buffer_load_dword v94, off, s[0:3], 0 offset:88
	buffer_load_dword v95, off, s[0:3], 0 offset:92
	buffer_load_dword v96, off, s[0:3], 0 offset:96
	buffer_load_dword v97, off, s[0:3], 0 offset:100
	v_mov_b32_e32 v68, 0
	ds_read_b128 v[70:73], v68 offset:304
	ds_read_b128 v[74:77], v68 offset:320
	;; [unrolled: 1-line block ×4, first 2 shown]
	v_cmp_lt_u32_e32 vcc, 4, v0
	s_waitcnt vmcnt(12) lgkmcnt(3)
	v_fma_f64 v[66:67], v[66:67], v[70:71], 0
	buffer_load_dword v71, off, s[0:3], 0 offset:108
	buffer_load_dword v70, off, s[0:3], 0 offset:104
	s_waitcnt vmcnt(12)
	v_fmac_f64_e32 v[66:67], v[86:87], v[72:73]
	s_waitcnt vmcnt(10) lgkmcnt(2)
	v_fmac_f64_e32 v[66:67], v[88:89], v[74:75]
	buffer_load_dword v75, off, s[0:3], 0 offset:116
	buffer_load_dword v74, off, s[0:3], 0 offset:112
	s_waitcnt vmcnt(10)
	v_fmac_f64_e32 v[66:67], v[90:91], v[76:77]
	s_waitcnt vmcnt(8) lgkmcnt(1)
	v_fmac_f64_e32 v[66:67], v[92:93], v[78:79]
	s_waitcnt vmcnt(6)
	v_fmac_f64_e32 v[66:67], v[94:95], v[80:81]
	s_waitcnt vmcnt(4) lgkmcnt(0)
	v_fmac_f64_e32 v[66:67], v[96:97], v[82:83]
	s_waitcnt vmcnt(2)
	v_fmac_f64_e32 v[66:67], v[70:71], v[84:85]
	ds_read_b128 v[70:73], v68 offset:368
	s_waitcnt vmcnt(0) lgkmcnt(0)
	v_fmac_f64_e32 v[66:67], v[74:75], v[70:71]
	buffer_load_dword v71, off, s[0:3], 0 offset:124
	buffer_load_dword v70, off, s[0:3], 0 offset:120
	buffer_load_dword v75, off, s[0:3], 0 offset:132
	buffer_load_dword v74, off, s[0:3], 0 offset:128
	s_waitcnt vmcnt(2)
	v_fmac_f64_e32 v[66:67], v[70:71], v[72:73]
	ds_read_b128 v[70:73], v68 offset:384
	s_waitcnt vmcnt(0) lgkmcnt(0)
	v_fmac_f64_e32 v[66:67], v[74:75], v[70:71]
	buffer_load_dword v71, off, s[0:3], 0 offset:140
	buffer_load_dword v70, off, s[0:3], 0 offset:136
	buffer_load_dword v75, off, s[0:3], 0 offset:148
	buffer_load_dword v74, off, s[0:3], 0 offset:144
	;; [unrolled: 9-line block ×7, first 2 shown]
	s_waitcnt vmcnt(2)
	v_fmac_f64_e32 v[66:67], v[70:71], v[72:73]
	ds_read_b128 v[70:73], v68 offset:480
	s_waitcnt vmcnt(0) lgkmcnt(0)
	v_fmac_f64_e32 v[66:67], v[74:75], v[70:71]
	buffer_load_dword v71, off, s[0:3], 0 offset:236
	buffer_load_dword v70, off, s[0:3], 0 offset:232
	s_waitcnt vmcnt(0)
	v_fmac_f64_e32 v[66:67], v[70:71], v[72:73]
	buffer_load_dword v71, off, s[0:3], 0 offset:244
	buffer_load_dword v70, off, s[0:3], 0 offset:240
	ds_read_b64 v[72:73], v68 offset:496
	s_waitcnt vmcnt(0) lgkmcnt(0)
	v_fmac_f64_e32 v[66:67], v[70:71], v[72:73]
	v_add_f64 v[64:65], v[64:65], -v[66:67]
	buffer_store_dword v65, off, s[0:3], 0 offset:44
	buffer_store_dword v64, off, s[0:3], 0 offset:40
	s_and_saveexec_b64 s[4:5], vcc
	s_cbranch_execz .LBB30_185
; %bb.184:
	buffer_load_dword v64, off, s[0:3], 0 offset:32
	buffer_load_dword v65, off, s[0:3], 0 offset:36
	s_waitcnt vmcnt(0)
	ds_write_b64 v1, v[64:65]
	buffer_store_dword v68, off, s[0:3], 0 offset:32
	buffer_store_dword v68, off, s[0:3], 0 offset:36
.LBB30_185:
	s_or_b64 exec, exec, s[4:5]
	s_waitcnt lgkmcnt(0)
	; wave barrier
	s_waitcnt lgkmcnt(0)
	buffer_load_dword v64, off, s[0:3], 0 offset:32
	buffer_load_dword v65, off, s[0:3], 0 offset:36
	;; [unrolled: 1-line block ×16, first 2 shown]
	ds_read2_b64 v[70:73], v68 offset0:37 offset1:38
	v_cmp_lt_u32_e32 vcc, 3, v0
	s_waitcnt vmcnt(12) lgkmcnt(0)
	v_fma_f64 v[66:67], v[66:67], v[70:71], 0
	s_waitcnt vmcnt(10)
	v_fmac_f64_e32 v[66:67], v[74:75], v[72:73]
	ds_read2_b64 v[70:73], v68 offset0:39 offset1:40
	s_waitcnt vmcnt(8) lgkmcnt(0)
	v_fmac_f64_e32 v[66:67], v[76:77], v[70:71]
	s_waitcnt vmcnt(6)
	v_fmac_f64_e32 v[66:67], v[78:79], v[72:73]
	ds_read2_b64 v[70:73], v68 offset0:41 offset1:42
	s_waitcnt vmcnt(4) lgkmcnt(0)
	v_fmac_f64_e32 v[66:67], v[80:81], v[70:71]
	;; [unrolled: 5-line block ×3, first 2 shown]
	buffer_load_dword v71, off, s[0:3], 0 offset:100
	buffer_load_dword v70, off, s[0:3], 0 offset:96
	buffer_load_dword v75, off, s[0:3], 0 offset:108
	buffer_load_dword v74, off, s[0:3], 0 offset:104
	s_waitcnt vmcnt(2)
	v_fmac_f64_e32 v[66:67], v[70:71], v[72:73]
	ds_read2_b64 v[70:73], v68 offset0:45 offset1:46
	s_waitcnt vmcnt(0) lgkmcnt(0)
	v_fmac_f64_e32 v[66:67], v[74:75], v[70:71]
	buffer_load_dword v71, off, s[0:3], 0 offset:116
	buffer_load_dword v70, off, s[0:3], 0 offset:112
	buffer_load_dword v75, off, s[0:3], 0 offset:124
	buffer_load_dword v74, off, s[0:3], 0 offset:120
	s_waitcnt vmcnt(2)
	v_fmac_f64_e32 v[66:67], v[70:71], v[72:73]
	ds_read2_b64 v[70:73], v68 offset0:47 offset1:48
	s_waitcnt vmcnt(0) lgkmcnt(0)
	v_fmac_f64_e32 v[66:67], v[74:75], v[70:71]
	;; [unrolled: 9-line block ×8, first 2 shown]
	buffer_load_dword v71, off, s[0:3], 0 offset:228
	buffer_load_dword v70, off, s[0:3], 0 offset:224
	s_waitcnt vmcnt(0)
	v_fmac_f64_e32 v[66:67], v[70:71], v[72:73]
	buffer_load_dword v73, off, s[0:3], 0 offset:236
	buffer_load_dword v72, off, s[0:3], 0 offset:232
	ds_read2_b64 v[68:71], v68 offset0:61 offset1:62
	s_waitcnt vmcnt(0) lgkmcnt(0)
	v_fmac_f64_e32 v[66:67], v[72:73], v[68:69]
	buffer_load_dword v69, off, s[0:3], 0 offset:244
	buffer_load_dword v68, off, s[0:3], 0 offset:240
	s_waitcnt vmcnt(0)
	v_fmac_f64_e32 v[66:67], v[68:69], v[70:71]
	v_add_f64 v[64:65], v[64:65], -v[66:67]
	buffer_store_dword v65, off, s[0:3], 0 offset:36
	buffer_store_dword v64, off, s[0:3], 0 offset:32
	s_and_saveexec_b64 s[4:5], vcc
	s_cbranch_execz .LBB30_187
; %bb.186:
	buffer_load_dword v64, off, s[0:3], 0 offset:24
	buffer_load_dword v65, off, s[0:3], 0 offset:28
	v_mov_b32_e32 v66, 0
	buffer_store_dword v66, off, s[0:3], 0 offset:24
	buffer_store_dword v66, off, s[0:3], 0 offset:28
	s_waitcnt vmcnt(2)
	ds_write_b64 v1, v[64:65]
.LBB30_187:
	s_or_b64 exec, exec, s[4:5]
	s_waitcnt lgkmcnt(0)
	; wave barrier
	s_waitcnt lgkmcnt(0)
	buffer_load_dword v64, off, s[0:3], 0 offset:24
	buffer_load_dword v65, off, s[0:3], 0 offset:28
	;; [unrolled: 1-line block ×16, first 2 shown]
	v_mov_b32_e32 v68, 0
	ds_read_b128 v[70:73], v68 offset:288
	ds_read_b128 v[74:77], v68 offset:304
	;; [unrolled: 1-line block ×4, first 2 shown]
	v_cmp_lt_u32_e32 vcc, 2, v0
	s_waitcnt vmcnt(12) lgkmcnt(3)
	v_fma_f64 v[66:67], v[66:67], v[70:71], 0
	buffer_load_dword v71, off, s[0:3], 0 offset:92
	buffer_load_dword v70, off, s[0:3], 0 offset:88
	s_waitcnt vmcnt(12)
	v_fmac_f64_e32 v[66:67], v[86:87], v[72:73]
	s_waitcnt vmcnt(10) lgkmcnt(2)
	v_fmac_f64_e32 v[66:67], v[88:89], v[74:75]
	buffer_load_dword v75, off, s[0:3], 0 offset:100
	buffer_load_dword v74, off, s[0:3], 0 offset:96
	s_waitcnt vmcnt(10)
	v_fmac_f64_e32 v[66:67], v[90:91], v[76:77]
	s_waitcnt vmcnt(8) lgkmcnt(1)
	v_fmac_f64_e32 v[66:67], v[92:93], v[78:79]
	s_waitcnt vmcnt(6)
	v_fmac_f64_e32 v[66:67], v[94:95], v[80:81]
	s_waitcnt vmcnt(4) lgkmcnt(0)
	v_fmac_f64_e32 v[66:67], v[96:97], v[82:83]
	s_waitcnt vmcnt(2)
	v_fmac_f64_e32 v[66:67], v[70:71], v[84:85]
	ds_read_b128 v[70:73], v68 offset:352
	s_waitcnt vmcnt(0) lgkmcnt(0)
	v_fmac_f64_e32 v[66:67], v[74:75], v[70:71]
	buffer_load_dword v71, off, s[0:3], 0 offset:108
	buffer_load_dword v70, off, s[0:3], 0 offset:104
	buffer_load_dword v75, off, s[0:3], 0 offset:116
	buffer_load_dword v74, off, s[0:3], 0 offset:112
	s_waitcnt vmcnt(2)
	v_fmac_f64_e32 v[66:67], v[70:71], v[72:73]
	ds_read_b128 v[70:73], v68 offset:368
	s_waitcnt vmcnt(0) lgkmcnt(0)
	v_fmac_f64_e32 v[66:67], v[74:75], v[70:71]
	buffer_load_dword v71, off, s[0:3], 0 offset:124
	buffer_load_dword v70, off, s[0:3], 0 offset:120
	buffer_load_dword v75, off, s[0:3], 0 offset:132
	buffer_load_dword v74, off, s[0:3], 0 offset:128
	;; [unrolled: 9-line block ×8, first 2 shown]
	s_waitcnt vmcnt(2)
	v_fmac_f64_e32 v[66:67], v[70:71], v[72:73]
	ds_read_b128 v[70:73], v68 offset:480
	s_waitcnt vmcnt(0) lgkmcnt(0)
	v_fmac_f64_e32 v[66:67], v[74:75], v[70:71]
	buffer_load_dword v71, off, s[0:3], 0 offset:236
	buffer_load_dword v70, off, s[0:3], 0 offset:232
	s_waitcnt vmcnt(0)
	v_fmac_f64_e32 v[66:67], v[70:71], v[72:73]
	buffer_load_dword v71, off, s[0:3], 0 offset:244
	buffer_load_dword v70, off, s[0:3], 0 offset:240
	ds_read_b64 v[72:73], v68 offset:496
	s_waitcnt vmcnt(0) lgkmcnt(0)
	v_fmac_f64_e32 v[66:67], v[70:71], v[72:73]
	v_add_f64 v[64:65], v[64:65], -v[66:67]
	buffer_store_dword v65, off, s[0:3], 0 offset:28
	buffer_store_dword v64, off, s[0:3], 0 offset:24
	s_and_saveexec_b64 s[4:5], vcc
	s_cbranch_execz .LBB30_189
; %bb.188:
	buffer_load_dword v64, off, s[0:3], 0 offset:16
	buffer_load_dword v65, off, s[0:3], 0 offset:20
	s_waitcnt vmcnt(0)
	ds_write_b64 v1, v[64:65]
	buffer_store_dword v68, off, s[0:3], 0 offset:16
	buffer_store_dword v68, off, s[0:3], 0 offset:20
.LBB30_189:
	s_or_b64 exec, exec, s[4:5]
	s_waitcnt lgkmcnt(0)
	; wave barrier
	s_waitcnt lgkmcnt(0)
	buffer_load_dword v64, off, s[0:3], 0 offset:16
	buffer_load_dword v65, off, s[0:3], 0 offset:20
	buffer_load_dword v66, off, s[0:3], 0 offset:24
	buffer_load_dword v67, off, s[0:3], 0 offset:28
	buffer_load_dword v74, off, s[0:3], 0 offset:32
	buffer_load_dword v75, off, s[0:3], 0 offset:36
	buffer_load_dword v76, off, s[0:3], 0 offset:40
	buffer_load_dword v77, off, s[0:3], 0 offset:44
	buffer_load_dword v78, off, s[0:3], 0 offset:48
	buffer_load_dword v79, off, s[0:3], 0 offset:52
	buffer_load_dword v80, off, s[0:3], 0 offset:56
	buffer_load_dword v81, off, s[0:3], 0 offset:60
	buffer_load_dword v82, off, s[0:3], 0 offset:64
	buffer_load_dword v83, off, s[0:3], 0 offset:68
	buffer_load_dword v84, off, s[0:3], 0 offset:72
	buffer_load_dword v85, off, s[0:3], 0 offset:76
	ds_read2_b64 v[70:73], v68 offset0:35 offset1:36
	v_cmp_lt_u32_e32 vcc, 1, v0
	s_waitcnt vmcnt(12) lgkmcnt(0)
	v_fma_f64 v[66:67], v[66:67], v[70:71], 0
	s_waitcnt vmcnt(10)
	v_fmac_f64_e32 v[66:67], v[74:75], v[72:73]
	ds_read2_b64 v[70:73], v68 offset0:37 offset1:38
	s_waitcnt vmcnt(8) lgkmcnt(0)
	v_fmac_f64_e32 v[66:67], v[76:77], v[70:71]
	s_waitcnt vmcnt(6)
	v_fmac_f64_e32 v[66:67], v[78:79], v[72:73]
	ds_read2_b64 v[70:73], v68 offset0:39 offset1:40
	s_waitcnt vmcnt(4) lgkmcnt(0)
	v_fmac_f64_e32 v[66:67], v[80:81], v[70:71]
	;; [unrolled: 5-line block ×3, first 2 shown]
	buffer_load_dword v71, off, s[0:3], 0 offset:84
	buffer_load_dword v70, off, s[0:3], 0 offset:80
	buffer_load_dword v75, off, s[0:3], 0 offset:92
	buffer_load_dword v74, off, s[0:3], 0 offset:88
	s_waitcnt vmcnt(2)
	v_fmac_f64_e32 v[66:67], v[70:71], v[72:73]
	ds_read2_b64 v[70:73], v68 offset0:43 offset1:44
	s_waitcnt vmcnt(0) lgkmcnt(0)
	v_fmac_f64_e32 v[66:67], v[74:75], v[70:71]
	buffer_load_dword v71, off, s[0:3], 0 offset:100
	buffer_load_dword v70, off, s[0:3], 0 offset:96
	buffer_load_dword v75, off, s[0:3], 0 offset:108
	buffer_load_dword v74, off, s[0:3], 0 offset:104
	s_waitcnt vmcnt(2)
	v_fmac_f64_e32 v[66:67], v[70:71], v[72:73]
	ds_read2_b64 v[70:73], v68 offset0:45 offset1:46
	s_waitcnt vmcnt(0) lgkmcnt(0)
	v_fmac_f64_e32 v[66:67], v[74:75], v[70:71]
	;; [unrolled: 9-line block ×9, first 2 shown]
	buffer_load_dword v71, off, s[0:3], 0 offset:228
	buffer_load_dword v70, off, s[0:3], 0 offset:224
	s_waitcnt vmcnt(0)
	v_fmac_f64_e32 v[66:67], v[70:71], v[72:73]
	buffer_load_dword v73, off, s[0:3], 0 offset:236
	buffer_load_dword v72, off, s[0:3], 0 offset:232
	ds_read2_b64 v[68:71], v68 offset0:61 offset1:62
	s_waitcnt vmcnt(0) lgkmcnt(0)
	v_fmac_f64_e32 v[66:67], v[72:73], v[68:69]
	buffer_load_dword v69, off, s[0:3], 0 offset:244
	buffer_load_dword v68, off, s[0:3], 0 offset:240
	s_waitcnt vmcnt(0)
	v_fmac_f64_e32 v[66:67], v[68:69], v[70:71]
	v_add_f64 v[64:65], v[64:65], -v[66:67]
	buffer_store_dword v65, off, s[0:3], 0 offset:20
	buffer_store_dword v64, off, s[0:3], 0 offset:16
	s_and_saveexec_b64 s[4:5], vcc
	s_cbranch_execz .LBB30_191
; %bb.190:
	buffer_load_dword v64, off, s[0:3], 0 offset:8
	buffer_load_dword v65, off, s[0:3], 0 offset:12
	v_mov_b32_e32 v66, 0
	buffer_store_dword v66, off, s[0:3], 0 offset:8
	buffer_store_dword v66, off, s[0:3], 0 offset:12
	s_waitcnt vmcnt(2)
	ds_write_b64 v1, v[64:65]
.LBB30_191:
	s_or_b64 exec, exec, s[4:5]
	s_waitcnt lgkmcnt(0)
	; wave barrier
	s_waitcnt lgkmcnt(0)
	buffer_load_dword v64, off, s[0:3], 0 offset:8
	buffer_load_dword v65, off, s[0:3], 0 offset:12
	;; [unrolled: 1-line block ×16, first 2 shown]
	v_mov_b32_e32 v68, 0
	ds_read_b128 v[70:73], v68 offset:272
	ds_read_b128 v[74:77], v68 offset:288
	;; [unrolled: 1-line block ×4, first 2 shown]
	v_cmp_ne_u32_e32 vcc, 0, v0
	s_waitcnt vmcnt(12) lgkmcnt(3)
	v_fma_f64 v[66:67], v[66:67], v[70:71], 0
	buffer_load_dword v71, off, s[0:3], 0 offset:76
	buffer_load_dword v70, off, s[0:3], 0 offset:72
	s_waitcnt vmcnt(12)
	v_fmac_f64_e32 v[66:67], v[86:87], v[72:73]
	s_waitcnt vmcnt(10) lgkmcnt(2)
	v_fmac_f64_e32 v[66:67], v[88:89], v[74:75]
	buffer_load_dword v75, off, s[0:3], 0 offset:84
	buffer_load_dword v74, off, s[0:3], 0 offset:80
	s_waitcnt vmcnt(10)
	v_fmac_f64_e32 v[66:67], v[90:91], v[76:77]
	s_waitcnt vmcnt(8) lgkmcnt(1)
	v_fmac_f64_e32 v[66:67], v[92:93], v[78:79]
	s_waitcnt vmcnt(6)
	v_fmac_f64_e32 v[66:67], v[94:95], v[80:81]
	s_waitcnt vmcnt(4) lgkmcnt(0)
	v_fmac_f64_e32 v[66:67], v[96:97], v[82:83]
	s_waitcnt vmcnt(2)
	v_fmac_f64_e32 v[66:67], v[70:71], v[84:85]
	ds_read_b128 v[70:73], v68 offset:336
	s_waitcnt vmcnt(0) lgkmcnt(0)
	v_fmac_f64_e32 v[66:67], v[74:75], v[70:71]
	buffer_load_dword v71, off, s[0:3], 0 offset:92
	buffer_load_dword v70, off, s[0:3], 0 offset:88
	buffer_load_dword v75, off, s[0:3], 0 offset:100
	buffer_load_dword v74, off, s[0:3], 0 offset:96
	s_waitcnt vmcnt(2)
	v_fmac_f64_e32 v[66:67], v[70:71], v[72:73]
	ds_read_b128 v[70:73], v68 offset:352
	s_waitcnt vmcnt(0) lgkmcnt(0)
	v_fmac_f64_e32 v[66:67], v[74:75], v[70:71]
	buffer_load_dword v71, off, s[0:3], 0 offset:108
	buffer_load_dword v70, off, s[0:3], 0 offset:104
	buffer_load_dword v75, off, s[0:3], 0 offset:116
	buffer_load_dword v74, off, s[0:3], 0 offset:112
	;; [unrolled: 9-line block ×9, first 2 shown]
	s_waitcnt vmcnt(2)
	v_fmac_f64_e32 v[66:67], v[70:71], v[72:73]
	ds_read_b128 v[70:73], v68 offset:480
	s_waitcnt vmcnt(0) lgkmcnt(0)
	v_fmac_f64_e32 v[66:67], v[74:75], v[70:71]
	buffer_load_dword v71, off, s[0:3], 0 offset:236
	buffer_load_dword v70, off, s[0:3], 0 offset:232
	s_waitcnt vmcnt(0)
	v_fmac_f64_e32 v[66:67], v[70:71], v[72:73]
	buffer_load_dword v71, off, s[0:3], 0 offset:244
	buffer_load_dword v70, off, s[0:3], 0 offset:240
	ds_read_b64 v[72:73], v68 offset:496
	s_waitcnt vmcnt(0) lgkmcnt(0)
	v_fmac_f64_e32 v[66:67], v[70:71], v[72:73]
	v_add_f64 v[64:65], v[64:65], -v[66:67]
	buffer_store_dword v65, off, s[0:3], 0 offset:12
	buffer_store_dword v64, off, s[0:3], 0 offset:8
	s_and_saveexec_b64 s[4:5], vcc
	s_cbranch_execz .LBB30_193
; %bb.192:
	buffer_load_dword v64, off, s[0:3], 0
	buffer_load_dword v65, off, s[0:3], 0 offset:4
	s_waitcnt vmcnt(0)
	ds_write_b64 v1, v[64:65]
	buffer_store_dword v68, off, s[0:3], 0
	buffer_store_dword v68, off, s[0:3], 0 offset:4
.LBB30_193:
	s_or_b64 exec, exec, s[4:5]
	s_waitcnt lgkmcnt(0)
	; wave barrier
	s_waitcnt lgkmcnt(0)
	buffer_load_dword v0, off, s[0:3], 0
	buffer_load_dword v1, off, s[0:3], 0 offset:4
	buffer_load_dword v70, off, s[0:3], 0 offset:8
	;; [unrolled: 1-line block ×15, first 2 shown]
	ds_read2_b64 v[64:67], v68 offset0:33 offset1:34
	s_and_b64 vcc, exec, s[20:21]
	s_waitcnt vmcnt(12) lgkmcnt(0)
	v_fma_f64 v[64:65], v[70:71], v[64:65], 0
	s_waitcnt vmcnt(10)
	v_fmac_f64_e32 v[64:65], v[72:73], v[66:67]
	ds_read2_b64 v[70:73], v68 offset0:35 offset1:36
	s_waitcnt vmcnt(8) lgkmcnt(0)
	v_fmac_f64_e32 v[64:65], v[74:75], v[70:71]
	s_waitcnt vmcnt(6)
	v_fmac_f64_e32 v[64:65], v[76:77], v[72:73]
	ds_read2_b64 v[70:73], v68 offset0:37 offset1:38
	s_waitcnt vmcnt(4) lgkmcnt(0)
	v_fmac_f64_e32 v[64:65], v[78:79], v[70:71]
	s_waitcnt vmcnt(2)
	v_fmac_f64_e32 v[64:65], v[80:81], v[72:73]
	ds_read2_b64 v[70:73], v68 offset0:39 offset1:40
	buffer_load_dword v67, off, s[0:3], 0 offset:68
	buffer_load_dword v66, off, s[0:3], 0 offset:64
	s_waitcnt vmcnt(2) lgkmcnt(0)
	v_fmac_f64_e32 v[64:65], v[82:83], v[70:71]
	s_waitcnt vmcnt(0)
	v_fmac_f64_e32 v[64:65], v[66:67], v[72:73]
	buffer_load_dword v67, off, s[0:3], 0 offset:76
	buffer_load_dword v66, off, s[0:3], 0 offset:72
	ds_read2_b64 v[70:73], v68 offset0:41 offset1:42
	s_waitcnt vmcnt(0) lgkmcnt(0)
	v_fmac_f64_e32 v[64:65], v[66:67], v[70:71]
	buffer_load_dword v67, off, s[0:3], 0 offset:84
	buffer_load_dword v66, off, s[0:3], 0 offset:80
	s_waitcnt vmcnt(0)
	v_fmac_f64_e32 v[64:65], v[66:67], v[72:73]
	buffer_load_dword v67, off, s[0:3], 0 offset:92
	buffer_load_dword v66, off, s[0:3], 0 offset:88
	ds_read2_b64 v[70:73], v68 offset0:43 offset1:44
	s_waitcnt vmcnt(0) lgkmcnt(0)
	v_fmac_f64_e32 v[64:65], v[66:67], v[70:71]
	buffer_load_dword v67, off, s[0:3], 0 offset:100
	buffer_load_dword v66, off, s[0:3], 0 offset:96
	;; [unrolled: 9-line block ×11, first 2 shown]
	s_waitcnt vmcnt(0)
	v_fmac_f64_e32 v[64:65], v[68:69], v[70:71]
	v_add_f64 v[0:1], v[0:1], -v[64:65]
	buffer_store_dword v1, off, s[0:3], 0 offset:4
	buffer_store_dword v0, off, s[0:3], 0
	s_cbranch_vccz .LBB30_255
; %bb.194:
	v_pk_mov_b32 v[0:1], s[10:11], s[10:11] op_sel:[0,1]
	flat_load_dword v0, v[0:1] offset:116
	s_waitcnt vmcnt(0) lgkmcnt(0)
	v_add_u32_e32 v0, -1, v0
	v_cmp_ne_u32_e32 vcc, 29, v0
	s_and_saveexec_b64 s[4:5], vcc
	s_cbranch_execz .LBB30_196
; %bb.195:
	v_mov_b32_e32 v1, 0
	v_lshl_add_u32 v0, v0, 3, v1
	buffer_load_dword v1, v0, s[0:3], 0 offen
	buffer_load_dword v64, v0, s[0:3], 0 offen offset:4
	s_waitcnt vmcnt(1)
	buffer_store_dword v1, off, s[0:3], 0 offset:232
	s_waitcnt vmcnt(1)
	buffer_store_dword v64, off, s[0:3], 0 offset:236
	buffer_store_dword v66, v0, s[0:3], 0 offen
	buffer_store_dword v67, v0, s[0:3], 0 offen offset:4
.LBB30_196:
	s_or_b64 exec, exec, s[4:5]
	v_pk_mov_b32 v[0:1], s[10:11], s[10:11] op_sel:[0,1]
	flat_load_dword v0, v[0:1] offset:112
	s_waitcnt vmcnt(0) lgkmcnt(0)
	v_add_u32_e32 v0, -1, v0
	v_cmp_ne_u32_e32 vcc, 28, v0
	s_and_saveexec_b64 s[4:5], vcc
	s_cbranch_execz .LBB30_198
; %bb.197:
	v_mov_b32_e32 v1, 0
	v_lshl_add_u32 v0, v0, 3, v1
	buffer_load_dword v1, v0, s[0:3], 0 offen
	buffer_load_dword v64, v0, s[0:3], 0 offen offset:4
	buffer_load_dword v65, off, s[0:3], 0 offset:228
	buffer_load_dword v66, off, s[0:3], 0 offset:224
	s_waitcnt vmcnt(3)
	buffer_store_dword v1, off, s[0:3], 0 offset:224
	s_waitcnt vmcnt(3)
	buffer_store_dword v64, off, s[0:3], 0 offset:228
	s_waitcnt vmcnt(3)
	buffer_store_dword v65, v0, s[0:3], 0 offen offset:4
	s_waitcnt vmcnt(3)
	buffer_store_dword v66, v0, s[0:3], 0 offen
.LBB30_198:
	s_or_b64 exec, exec, s[4:5]
	v_pk_mov_b32 v[0:1], s[10:11], s[10:11] op_sel:[0,1]
	flat_load_dword v0, v[0:1] offset:108
	s_waitcnt vmcnt(0) lgkmcnt(0)
	v_add_u32_e32 v0, -1, v0
	v_cmp_ne_u32_e32 vcc, 27, v0
	s_and_saveexec_b64 s[4:5], vcc
	s_cbranch_execz .LBB30_200
; %bb.199:
	v_mov_b32_e32 v1, 0
	v_lshl_add_u32 v0, v0, 3, v1
	buffer_load_dword v1, v0, s[0:3], 0 offen
	buffer_load_dword v64, v0, s[0:3], 0 offen offset:4
	buffer_load_dword v65, off, s[0:3], 0 offset:216
	buffer_load_dword v66, off, s[0:3], 0 offset:220
	s_waitcnt vmcnt(3)
	buffer_store_dword v1, off, s[0:3], 0 offset:216
	s_waitcnt vmcnt(3)
	buffer_store_dword v64, off, s[0:3], 0 offset:220
	s_waitcnt vmcnt(3)
	buffer_store_dword v65, v0, s[0:3], 0 offen
	s_waitcnt vmcnt(3)
	buffer_store_dword v66, v0, s[0:3], 0 offen offset:4
.LBB30_200:
	s_or_b64 exec, exec, s[4:5]
	v_pk_mov_b32 v[0:1], s[10:11], s[10:11] op_sel:[0,1]
	flat_load_dword v0, v[0:1] offset:104
	s_waitcnt vmcnt(0) lgkmcnt(0)
	v_add_u32_e32 v0, -1, v0
	v_cmp_ne_u32_e32 vcc, 26, v0
	s_and_saveexec_b64 s[4:5], vcc
	s_cbranch_execz .LBB30_202
; %bb.201:
	v_mov_b32_e32 v1, 0
	v_lshl_add_u32 v0, v0, 3, v1
	buffer_load_dword v1, v0, s[0:3], 0 offen
	buffer_load_dword v64, v0, s[0:3], 0 offen offset:4
	buffer_load_dword v65, off, s[0:3], 0 offset:212
	buffer_load_dword v66, off, s[0:3], 0 offset:208
	s_waitcnt vmcnt(3)
	buffer_store_dword v1, off, s[0:3], 0 offset:208
	s_waitcnt vmcnt(3)
	buffer_store_dword v64, off, s[0:3], 0 offset:212
	s_waitcnt vmcnt(3)
	buffer_store_dword v65, v0, s[0:3], 0 offen offset:4
	s_waitcnt vmcnt(3)
	buffer_store_dword v66, v0, s[0:3], 0 offen
.LBB30_202:
	s_or_b64 exec, exec, s[4:5]
	v_pk_mov_b32 v[0:1], s[10:11], s[10:11] op_sel:[0,1]
	flat_load_dword v0, v[0:1] offset:100
	s_waitcnt vmcnt(0) lgkmcnt(0)
	v_add_u32_e32 v0, -1, v0
	v_cmp_ne_u32_e32 vcc, 25, v0
	s_and_saveexec_b64 s[4:5], vcc
	s_cbranch_execz .LBB30_204
; %bb.203:
	v_mov_b32_e32 v1, 0
	v_lshl_add_u32 v0, v0, 3, v1
	buffer_load_dword v1, v0, s[0:3], 0 offen
	buffer_load_dword v64, v0, s[0:3], 0 offen offset:4
	buffer_load_dword v65, off, s[0:3], 0 offset:200
	buffer_load_dword v66, off, s[0:3], 0 offset:204
	s_waitcnt vmcnt(3)
	buffer_store_dword v1, off, s[0:3], 0 offset:200
	s_waitcnt vmcnt(3)
	buffer_store_dword v64, off, s[0:3], 0 offset:204
	s_waitcnt vmcnt(3)
	buffer_store_dword v65, v0, s[0:3], 0 offen
	s_waitcnt vmcnt(3)
	buffer_store_dword v66, v0, s[0:3], 0 offen offset:4
.LBB30_204:
	;; [unrolled: 48-line block ×14, first 2 shown]
	s_or_b64 exec, exec, s[4:5]
	v_pk_mov_b32 v[0:1], s[10:11], s[10:11] op_sel:[0,1]
	flat_load_dword v64, v[0:1]
	s_nop 0
	buffer_load_dword v0, off, s[0:3], 0
	buffer_load_dword v1, off, s[0:3], 0 offset:4
	s_waitcnt vmcnt(0) lgkmcnt(0)
	v_add_u32_e32 v64, -1, v64
	v_cmp_ne_u32_e32 vcc, 0, v64
	s_and_saveexec_b64 s[4:5], vcc
	s_cbranch_execz .LBB30_254
; %bb.253:
	v_mov_b32_e32 v65, 0
	v_lshl_add_u32 v64, v64, 3, v65
	buffer_load_dword v65, v64, s[0:3], 0 offen offset:4
	buffer_load_dword v66, v64, s[0:3], 0 offen
	s_waitcnt vmcnt(1)
	buffer_store_dword v65, off, s[0:3], 0 offset:4
	s_waitcnt vmcnt(1)
	buffer_store_dword v66, off, s[0:3], 0
	buffer_store_dword v1, v64, s[0:3], 0 offen offset:4
	buffer_store_dword v0, v64, s[0:3], 0 offen
	buffer_load_dword v0, off, s[0:3], 0
	s_nop 0
	buffer_load_dword v1, off, s[0:3], 0 offset:4
.LBB30_254:
	s_or_b64 exec, exec, s[4:5]
.LBB30_255:
	buffer_load_dword v64, off, s[0:3], 0 offset:8
	buffer_load_dword v65, off, s[0:3], 0 offset:12
	;; [unrolled: 1-line block ×60, first 2 shown]
	s_waitcnt vmcnt(60)
	global_store_dwordx2 v[54:55], v[0:1], off
	s_waitcnt vmcnt(59)
	global_store_dwordx2 v[56:57], v[64:65], off
	s_waitcnt vmcnt(58)
	global_store_dwordx2 v[2:3], v[66:67], off
	s_waitcnt vmcnt(57)
	global_store_dwordx2 v[4:5], v[68:69], off
	s_waitcnt vmcnt(56)
	global_store_dwordx2 v[6:7], v[70:71], off
	s_waitcnt vmcnt(55)
	global_store_dwordx2 v[8:9], v[72:73], off
	s_waitcnt vmcnt(54)
	global_store_dwordx2 v[10:11], v[74:75], off
	s_waitcnt vmcnt(53)
	global_store_dwordx2 v[12:13], v[76:77], off
	s_waitcnt vmcnt(52)
	global_store_dwordx2 v[14:15], v[78:79], off
	s_waitcnt vmcnt(51)
	global_store_dwordx2 v[16:17], v[80:81], off
	s_waitcnt vmcnt(50)
	global_store_dwordx2 v[18:19], v[82:83], off
	s_waitcnt vmcnt(49)
	global_store_dwordx2 v[20:21], v[84:85], off
	s_waitcnt vmcnt(48)
	global_store_dwordx2 v[22:23], v[86:87], off
	s_waitcnt vmcnt(47)
	global_store_dwordx2 v[24:25], v[88:89], off
	s_waitcnt vmcnt(46)
	global_store_dwordx2 v[26:27], v[90:91], off
	s_waitcnt vmcnt(45)
	global_store_dwordx2 v[28:29], v[92:93], off
	s_waitcnt vmcnt(44)
	global_store_dwordx2 v[30:31], v[94:95], off
	s_waitcnt vmcnt(43)
	global_store_dwordx2 v[32:33], v[96:97], off
	s_waitcnt vmcnt(42)
	global_store_dwordx2 v[34:35], v[98:99], off
	s_waitcnt vmcnt(41)
	global_store_dwordx2 v[36:37], v[100:101], off
	s_waitcnt vmcnt(40)
	global_store_dwordx2 v[38:39], v[102:103], off
	s_waitcnt vmcnt(39)
	global_store_dwordx2 v[40:41], v[104:105], off
	s_waitcnt vmcnt(38)
	global_store_dwordx2 v[42:43], v[106:107], off
	s_waitcnt vmcnt(37)
	global_store_dwordx2 v[44:45], v[108:109], off
	s_waitcnt vmcnt(36)
	global_store_dwordx2 v[46:47], v[110:111], off
	s_waitcnt vmcnt(35)
	global_store_dwordx2 v[48:49], v[112:113], off
	s_waitcnt vmcnt(34)
	global_store_dwordx2 v[50:51], v[114:115], off
	s_waitcnt vmcnt(33)
	global_store_dwordx2 v[52:53], v[116:117], off
	s_waitcnt vmcnt(32)
	global_store_dwordx2 v[58:59], v[118:119], off
	s_waitcnt vmcnt(31)
	global_store_dwordx2 v[60:61], v[120:121], off
	s_waitcnt vmcnt(30)
	global_store_dwordx2 v[62:63], v[122:123], off
	s_endpgm
	.section	.rodata,"a",@progbits
	.p2align	6, 0x0
	.amdhsa_kernel _ZN9rocsolver6v33100L18getri_kernel_smallILi31EdPdEEvT1_iilPiilS4_bb
		.amdhsa_group_segment_fixed_size 504
		.amdhsa_private_segment_fixed_size 256
		.amdhsa_kernarg_size 60
		.amdhsa_user_sgpr_count 8
		.amdhsa_user_sgpr_private_segment_buffer 1
		.amdhsa_user_sgpr_dispatch_ptr 0
		.amdhsa_user_sgpr_queue_ptr 0
		.amdhsa_user_sgpr_kernarg_segment_ptr 1
		.amdhsa_user_sgpr_dispatch_id 0
		.amdhsa_user_sgpr_flat_scratch_init 1
		.amdhsa_user_sgpr_kernarg_preload_length 0
		.amdhsa_user_sgpr_kernarg_preload_offset 0
		.amdhsa_user_sgpr_private_segment_size 0
		.amdhsa_uses_dynamic_stack 0
		.amdhsa_system_sgpr_private_segment_wavefront_offset 1
		.amdhsa_system_sgpr_workgroup_id_x 1
		.amdhsa_system_sgpr_workgroup_id_y 0
		.amdhsa_system_sgpr_workgroup_id_z 0
		.amdhsa_system_sgpr_workgroup_info 0
		.amdhsa_system_vgpr_workitem_id 0
		.amdhsa_next_free_vgpr 124
		.amdhsa_next_free_sgpr 23
		.amdhsa_accum_offset 124
		.amdhsa_reserve_vcc 1
		.amdhsa_reserve_flat_scratch 1
		.amdhsa_float_round_mode_32 0
		.amdhsa_float_round_mode_16_64 0
		.amdhsa_float_denorm_mode_32 3
		.amdhsa_float_denorm_mode_16_64 3
		.amdhsa_dx10_clamp 1
		.amdhsa_ieee_mode 1
		.amdhsa_fp16_overflow 0
		.amdhsa_tg_split 0
		.amdhsa_exception_fp_ieee_invalid_op 0
		.amdhsa_exception_fp_denorm_src 0
		.amdhsa_exception_fp_ieee_div_zero 0
		.amdhsa_exception_fp_ieee_overflow 0
		.amdhsa_exception_fp_ieee_underflow 0
		.amdhsa_exception_fp_ieee_inexact 0
		.amdhsa_exception_int_div_zero 0
	.end_amdhsa_kernel
	.section	.text._ZN9rocsolver6v33100L18getri_kernel_smallILi31EdPdEEvT1_iilPiilS4_bb,"axG",@progbits,_ZN9rocsolver6v33100L18getri_kernel_smallILi31EdPdEEvT1_iilPiilS4_bb,comdat
.Lfunc_end30:
	.size	_ZN9rocsolver6v33100L18getri_kernel_smallILi31EdPdEEvT1_iilPiilS4_bb, .Lfunc_end30-_ZN9rocsolver6v33100L18getri_kernel_smallILi31EdPdEEvT1_iilPiilS4_bb
                                        ; -- End function
	.section	.AMDGPU.csdata,"",@progbits
; Kernel info:
; codeLenInByte = 29288
; NumSgprs: 29
; NumVgprs: 124
; NumAgprs: 0
; TotalNumVgprs: 124
; ScratchSize: 256
; MemoryBound: 0
; FloatMode: 240
; IeeeMode: 1
; LDSByteSize: 504 bytes/workgroup (compile time only)
; SGPRBlocks: 3
; VGPRBlocks: 15
; NumSGPRsForWavesPerEU: 29
; NumVGPRsForWavesPerEU: 124
; AccumOffset: 124
; Occupancy: 4
; WaveLimiterHint : 1
; COMPUTE_PGM_RSRC2:SCRATCH_EN: 1
; COMPUTE_PGM_RSRC2:USER_SGPR: 8
; COMPUTE_PGM_RSRC2:TRAP_HANDLER: 0
; COMPUTE_PGM_RSRC2:TGID_X_EN: 1
; COMPUTE_PGM_RSRC2:TGID_Y_EN: 0
; COMPUTE_PGM_RSRC2:TGID_Z_EN: 0
; COMPUTE_PGM_RSRC2:TIDIG_COMP_CNT: 0
; COMPUTE_PGM_RSRC3_GFX90A:ACCUM_OFFSET: 30
; COMPUTE_PGM_RSRC3_GFX90A:TG_SPLIT: 0
	.section	.text._ZN9rocsolver6v33100L18getri_kernel_smallILi32EdPdEEvT1_iilPiilS4_bb,"axG",@progbits,_ZN9rocsolver6v33100L18getri_kernel_smallILi32EdPdEEvT1_iilPiilS4_bb,comdat
	.globl	_ZN9rocsolver6v33100L18getri_kernel_smallILi32EdPdEEvT1_iilPiilS4_bb ; -- Begin function _ZN9rocsolver6v33100L18getri_kernel_smallILi32EdPdEEvT1_iilPiilS4_bb
	.p2align	8
	.type	_ZN9rocsolver6v33100L18getri_kernel_smallILi32EdPdEEvT1_iilPiilS4_bb,@function
_ZN9rocsolver6v33100L18getri_kernel_smallILi32EdPdEEvT1_iilPiilS4_bb: ; @_ZN9rocsolver6v33100L18getri_kernel_smallILi32EdPdEEvT1_iilPiilS4_bb
; %bb.0:
	s_add_u32 flat_scratch_lo, s6, s9
	s_addc_u32 flat_scratch_hi, s7, 0
	s_add_u32 s0, s0, s9
	s_addc_u32 s1, s1, 0
	v_cmp_gt_u32_e32 vcc, 32, v0
	s_and_saveexec_b64 s[6:7], vcc
	s_cbranch_execz .LBB31_136
; %bb.1:
	s_load_dword s22, s[4:5], 0x38
	s_load_dwordx4 s[16:19], s[4:5], 0x10
	s_load_dwordx4 s[12:15], s[4:5], 0x28
                                        ; implicit-def: $sgpr10_sgpr11
	s_waitcnt lgkmcnt(0)
	s_bitcmp1_b32 s22, 8
	s_cselect_b64 s[20:21], -1, 0
	s_ashr_i32 s9, s8, 31
	s_bfe_u32 s6, s22, 0x10008
	s_cmp_eq_u32 s6, 0
	s_cbranch_scc1 .LBB31_3
; %bb.2:
	s_load_dword s6, s[4:5], 0x20
	s_mul_i32 s7, s8, s13
	s_mul_hi_u32 s10, s8, s12
	s_mul_i32 s11, s9, s12
	s_add_i32 s10, s10, s7
	s_add_i32 s11, s10, s11
	s_mul_i32 s10, s8, s12
	s_waitcnt lgkmcnt(0)
	s_ashr_i32 s7, s6, 31
	s_lshl_b64 s[10:11], s[10:11], 2
	s_add_u32 s10, s18, s10
	s_addc_u32 s11, s19, s11
	s_lshl_b64 s[6:7], s[6:7], 2
	s_add_u32 s10, s10, s6
	s_addc_u32 s11, s11, s7
.LBB31_3:
	s_load_dwordx4 s[4:7], s[4:5], 0x0
	s_mul_i32 s12, s8, s17
	s_mul_hi_u32 s13, s8, s16
	s_add_i32 s17, s13, s12
	s_waitcnt lgkmcnt(0)
	s_ashr_i32 s13, s6, 31
	s_mov_b32 s12, s6
	s_mul_i32 s6, s9, s16
	s_add_i32 s17, s17, s6
	s_mul_i32 s16, s8, s16
	s_lshl_b64 s[16:17], s[16:17], 3
	s_add_u32 s6, s4, s16
	s_addc_u32 s16, s5, s17
	s_lshl_b64 s[4:5], s[12:13], 3
	s_add_u32 s4, s6, s4
	s_addc_u32 s5, s16, s5
	s_add_i32 s6, s7, s7
	v_add_u32_e32 v4, s6, v0
	v_ashrrev_i32_e32 v5, 31, v4
	v_lshlrev_b64 v[2:3], 3, v[4:5]
	v_add_u32_e32 v6, s7, v4
	v_mov_b32_e32 v1, s5
	v_add_co_u32_e32 v2, vcc, s4, v2
	v_ashrrev_i32_e32 v7, 31, v6
	v_addc_co_u32_e32 v3, vcc, v1, v3, vcc
	v_lshlrev_b64 v[4:5], 3, v[6:7]
	v_add_u32_e32 v8, s7, v6
	v_add_co_u32_e32 v4, vcc, s4, v4
	v_ashrrev_i32_e32 v9, 31, v8
	v_addc_co_u32_e32 v5, vcc, v1, v5, vcc
	v_lshlrev_b64 v[6:7], 3, v[8:9]
	v_add_u32_e32 v10, s7, v8
	;; [unrolled: 5-line block ×21, first 2 shown]
	v_add_co_u32_e32 v44, vcc, s4, v44
	v_ashrrev_i32_e32 v49, 31, v48
	v_addc_co_u32_e32 v45, vcc, v1, v45, vcc
	v_lshlrev_b64 v[46:47], 3, v[48:49]
	v_add_co_u32_e32 v46, vcc, s4, v46
	v_addc_co_u32_e32 v47, vcc, v1, v47, vcc
	v_lshlrev_b32_e32 v1, 3, v0
	global_load_dwordx2 v[66:67], v1, s[4:5]
	global_load_dwordx2 v[70:71], v[2:3], off
	v_mov_b32_e32 v52, s5
	v_add_co_u32_e32 v54, vcc, s4, v1
	s_ashr_i32 s13, s7, 31
	s_mov_b32 s12, s7
	v_addc_co_u32_e32 v55, vcc, 0, v52, vcc
	s_lshl_b64 s[12:13], s[12:13], 3
	v_mov_b32_e32 v52, s13
	v_add_co_u32_e32 v58, vcc, s12, v54
	v_addc_co_u32_e32 v59, vcc, v55, v52, vcc
	global_load_dwordx2 v[68:69], v[58:59], off
	v_add_u32_e32 v50, s7, v48
	v_ashrrev_i32_e32 v51, 31, v50
	v_lshlrev_b64 v[48:49], 3, v[50:51]
	v_add_u32_e32 v52, s7, v50
	v_mov_b32_e32 v51, s5
	v_add_co_u32_e32 v48, vcc, s4, v48
	v_ashrrev_i32_e32 v53, 31, v52
	v_addc_co_u32_e32 v49, vcc, v51, v49, vcc
	v_lshlrev_b64 v[50:51], 3, v[52:53]
	v_add_u32_e32 v56, s7, v52
	v_mov_b32_e32 v53, s5
	v_add_co_u32_e32 v50, vcc, s4, v50
	v_ashrrev_i32_e32 v57, 31, v56
	v_addc_co_u32_e32 v51, vcc, v53, v51, vcc
	;; [unrolled: 6-line block ×6, first 2 shown]
	v_lshlrev_b64 v[64:65], 3, v[64:65]
	v_mov_b32_e32 v112, s5
	v_add_co_u32_e32 v64, vcc, s4, v64
	global_load_dwordx2 v[72:73], v[4:5], off
	global_load_dwordx2 v[74:75], v[6:7], off
	global_load_dwordx2 v[76:77], v[8:9], off
	global_load_dwordx2 v[78:79], v[10:11], off
	global_load_dwordx2 v[80:81], v[12:13], off
	global_load_dwordx2 v[82:83], v[14:15], off
	global_load_dwordx2 v[84:85], v[16:17], off
	global_load_dwordx2 v[86:87], v[18:19], off
	global_load_dwordx2 v[88:89], v[20:21], off
	global_load_dwordx2 v[90:91], v[22:23], off
	global_load_dwordx2 v[92:93], v[24:25], off
	global_load_dwordx2 v[94:95], v[26:27], off
	global_load_dwordx2 v[96:97], v[28:29], off
	global_load_dwordx2 v[98:99], v[30:31], off
	global_load_dwordx2 v[100:101], v[32:33], off
	global_load_dwordx2 v[102:103], v[34:35], off
	global_load_dwordx2 v[104:105], v[36:37], off
	global_load_dwordx2 v[106:107], v[38:39], off
	global_load_dwordx2 v[108:109], v[40:41], off
	global_load_dwordx2 v[110:111], v[42:43], off
	v_addc_co_u32_e32 v65, vcc, v112, v65, vcc
	global_load_dwordx2 v[112:113], v[44:45], off
	global_load_dwordx2 v[114:115], v[64:65], off
	;; [unrolled: 1-line block ×6, first 2 shown]
	s_bitcmp0_b32 s22, 0
	s_waitcnt vmcnt(28)
	buffer_store_dword v67, off, s[0:3], 0 offset:4
	buffer_store_dword v66, off, s[0:3], 0
	global_load_dwordx2 v[66:67], v[50:51], off
	s_mov_b64 s[6:7], -1
	s_waitcnt vmcnt(30)
	buffer_store_dword v71, off, s[0:3], 0 offset:20
	buffer_store_dword v70, off, s[0:3], 0 offset:16
	global_load_dwordx2 v[70:71], v[62:63], off
	s_waitcnt vmcnt(32)
	buffer_store_dword v69, off, s[0:3], 0 offset:12
	buffer_store_dword v68, off, s[0:3], 0 offset:8
	global_load_dwordx2 v[68:69], v[56:57], off
	s_waitcnt vmcnt(34)
	buffer_store_dword v73, off, s[0:3], 0 offset:28
	buffer_store_dword v72, off, s[0:3], 0 offset:24
	s_waitcnt vmcnt(35)
	buffer_store_dword v75, off, s[0:3], 0 offset:36
	buffer_store_dword v74, off, s[0:3], 0 offset:32
	;; [unrolled: 3-line block ×24, first 2 shown]
	buffer_store_dword v120, off, s[0:3], 0 offset:216
	buffer_store_dword v121, off, s[0:3], 0 offset:220
	s_waitcnt vmcnt(50)
	buffer_store_dword v68, off, s[0:3], 0 offset:224
	buffer_store_dword v69, off, s[0:3], 0 offset:228
	;; [unrolled: 1-line block ×8, first 2 shown]
	s_cbranch_scc1 .LBB31_134
; %bb.4:
	v_cmp_eq_u32_e64 s[4:5], 0, v0
	s_and_saveexec_b64 s[6:7], s[4:5]
	s_cbranch_execz .LBB31_6
; %bb.5:
	v_mov_b32_e32 v66, 0
	ds_write_b32 v66, v66 offset:512
.LBB31_6:
	s_or_b64 exec, exec, s[6:7]
	v_mov_b32_e32 v66, 0
	v_lshl_add_u32 v66, v0, 3, v66
	s_waitcnt lgkmcnt(0)
	; wave barrier
	s_waitcnt lgkmcnt(0)
	buffer_load_dword v68, v66, s[0:3], 0 offen
	buffer_load_dword v69, v66, s[0:3], 0 offen offset:4
	s_waitcnt vmcnt(0)
	v_cmp_eq_f64_e32 vcc, 0, v[68:69]
	s_and_saveexec_b64 s[12:13], vcc
	s_cbranch_execz .LBB31_10
; %bb.7:
	v_mov_b32_e32 v67, 0
	ds_read_b32 v69, v67 offset:512
	v_add_u32_e32 v68, 1, v0
	s_waitcnt lgkmcnt(0)
	v_readfirstlane_b32 s6, v69
	s_cmp_eq_u32 s6, 0
	s_cselect_b64 s[16:17], -1, 0
	v_cmp_gt_i32_e32 vcc, s6, v68
	s_or_b64 s[16:17], s[16:17], vcc
	s_and_b64 exec, exec, s[16:17]
	s_cbranch_execz .LBB31_10
; %bb.8:
	s_mov_b64 s[16:17], 0
	v_mov_b32_e32 v69, s6
.LBB31_9:                               ; =>This Inner Loop Header: Depth=1
	ds_cmpst_rtn_b32 v69, v67, v69, v68 offset:512
	s_waitcnt lgkmcnt(0)
	v_cmp_ne_u32_e32 vcc, 0, v69
	v_cmp_le_i32_e64 s[6:7], v69, v68
	s_and_b64 s[6:7], vcc, s[6:7]
	s_and_b64 s[6:7], exec, s[6:7]
	s_or_b64 s[16:17], s[6:7], s[16:17]
	s_andn2_b64 exec, exec, s[16:17]
	s_cbranch_execnz .LBB31_9
.LBB31_10:
	s_or_b64 exec, exec, s[12:13]
	v_mov_b32_e32 v68, 0
	s_waitcnt lgkmcnt(0)
	; wave barrier
	ds_read_b32 v67, v68 offset:512
	s_and_saveexec_b64 s[6:7], s[4:5]
	s_cbranch_execz .LBB31_12
; %bb.11:
	s_lshl_b64 s[12:13], s[8:9], 2
	s_add_u32 s12, s14, s12
	s_addc_u32 s13, s15, s13
	s_waitcnt lgkmcnt(0)
	global_store_dword v68, v67, s[12:13]
.LBB31_12:
	s_or_b64 exec, exec, s[6:7]
	s_waitcnt lgkmcnt(0)
	v_cmp_ne_u32_e32 vcc, 0, v67
	s_mov_b64 s[6:7], 0
	s_cbranch_vccnz .LBB31_134
; %bb.13:
	buffer_load_dword v68, v66, s[0:3], 0 offen
	buffer_load_dword v69, v66, s[0:3], 0 offen offset:4
	s_waitcnt vmcnt(0)
	v_div_scale_f64 v[70:71], s[6:7], v[68:69], v[68:69], 1.0
	v_rcp_f64_e32 v[72:73], v[70:71]
	v_div_scale_f64 v[74:75], vcc, 1.0, v[68:69], 1.0
	v_fma_f64 v[76:77], -v[70:71], v[72:73], 1.0
	v_fmac_f64_e32 v[72:73], v[72:73], v[76:77]
	v_fma_f64 v[76:77], -v[70:71], v[72:73], 1.0
	v_fmac_f64_e32 v[72:73], v[72:73], v[76:77]
	v_mul_f64 v[76:77], v[74:75], v[72:73]
	v_fma_f64 v[70:71], -v[70:71], v[76:77], v[74:75]
	v_div_fmas_f64 v[70:71], v[70:71], v[72:73], v[76:77]
	v_div_fixup_f64 v[70:71], v[70:71], v[68:69], 1.0
	buffer_store_dword v71, v66, s[0:3], 0 offen offset:4
	buffer_store_dword v70, v66, s[0:3], 0 offen
	buffer_load_dword v73, off, s[0:3], 0 offset:12
	buffer_load_dword v72, off, s[0:3], 0 offset:8
	v_add_u32_e32 v68, 0x100, v1
	v_xor_b32_e32 v71, 0x80000000, v71
	s_waitcnt vmcnt(0)
	ds_write2_b64 v1, v[70:71], v[72:73] offset1:32
	s_waitcnt lgkmcnt(0)
	; wave barrier
	s_waitcnt lgkmcnt(0)
	s_and_saveexec_b64 s[6:7], s[4:5]
	s_cbranch_execz .LBB31_15
; %bb.14:
	buffer_load_dword v70, v66, s[0:3], 0 offen
	buffer_load_dword v71, v66, s[0:3], 0 offen offset:4
	v_mov_b32_e32 v67, 0
	ds_read_b64 v[72:73], v68
	ds_read_b64 v[74:75], v67 offset:8
	s_waitcnt vmcnt(0) lgkmcnt(1)
	v_fma_f64 v[70:71], v[70:71], v[72:73], 0
	s_waitcnt lgkmcnt(0)
	v_mul_f64 v[70:71], v[70:71], v[74:75]
	buffer_store_dword v70, off, s[0:3], 0 offset:8
	buffer_store_dword v71, off, s[0:3], 0 offset:12
.LBB31_15:
	s_or_b64 exec, exec, s[6:7]
	s_waitcnt lgkmcnt(0)
	; wave barrier
	buffer_load_dword v70, off, s[0:3], 0 offset:16
	buffer_load_dword v71, off, s[0:3], 0 offset:20
	v_cmp_gt_u32_e32 vcc, 2, v0
	s_waitcnt vmcnt(0)
	ds_write_b64 v68, v[70:71]
	s_waitcnt lgkmcnt(0)
	; wave barrier
	s_waitcnt lgkmcnt(0)
	s_and_saveexec_b64 s[6:7], vcc
	s_cbranch_execz .LBB31_17
; %bb.16:
	buffer_load_dword v67, v66, s[0:3], 0 offen offset:4
	buffer_load_dword v74, off, s[0:3], 0 offset:8
	s_nop 0
	buffer_load_dword v66, v66, s[0:3], 0 offen
	s_nop 0
	buffer_load_dword v75, off, s[0:3], 0 offset:12
	ds_read_b64 v[76:77], v68
	v_mov_b32_e32 v69, 0
	ds_read2_b64 v[70:73], v69 offset0:2 offset1:33
	s_waitcnt vmcnt(1) lgkmcnt(1)
	v_fma_f64 v[66:67], v[66:67], v[76:77], 0
	s_waitcnt vmcnt(0) lgkmcnt(0)
	v_fma_f64 v[72:73], v[74:75], v[72:73], v[66:67]
	v_cndmask_b32_e64 v67, v67, v73, s[4:5]
	v_cndmask_b32_e64 v66, v66, v72, s[4:5]
	v_mul_f64 v[66:67], v[66:67], v[70:71]
	buffer_store_dword v67, off, s[0:3], 0 offset:20
	buffer_store_dword v66, off, s[0:3], 0 offset:16
.LBB31_17:
	s_or_b64 exec, exec, s[6:7]
	s_waitcnt lgkmcnt(0)
	; wave barrier
	buffer_load_dword v66, off, s[0:3], 0 offset:24
	buffer_load_dword v67, off, s[0:3], 0 offset:28
	v_cmp_gt_u32_e32 vcc, 3, v0
	v_add_u32_e32 v69, -1, v0
	s_waitcnt vmcnt(0)
	ds_write_b64 v68, v[66:67]
	s_waitcnt lgkmcnt(0)
	; wave barrier
	s_waitcnt lgkmcnt(0)
	s_and_saveexec_b64 s[4:5], vcc
	s_cbranch_execz .LBB31_21
; %bb.18:
	v_add_u32_e32 v70, -1, v0
	v_add_u32_e32 v71, 0x100, v1
	v_add_u32_e32 v72, 0, v1
	s_mov_b64 s[6:7], 0
	v_pk_mov_b32 v[66:67], 0, 0
.LBB31_19:                              ; =>This Inner Loop Header: Depth=1
	buffer_load_dword v74, v72, s[0:3], 0 offen
	buffer_load_dword v75, v72, s[0:3], 0 offen offset:4
	ds_read_b64 v[76:77], v71
	v_add_u32_e32 v70, 1, v70
	v_cmp_lt_u32_e32 vcc, 1, v70
	v_add_u32_e32 v71, 8, v71
	v_add_u32_e32 v72, 8, v72
	s_or_b64 s[6:7], vcc, s[6:7]
	s_waitcnt vmcnt(0) lgkmcnt(0)
	v_fmac_f64_e32 v[66:67], v[74:75], v[76:77]
	s_andn2_b64 exec, exec, s[6:7]
	s_cbranch_execnz .LBB31_19
; %bb.20:
	s_or_b64 exec, exec, s[6:7]
	v_mov_b32_e32 v70, 0
	ds_read_b64 v[70:71], v70 offset:24
	s_waitcnt lgkmcnt(0)
	v_mul_f64 v[66:67], v[66:67], v[70:71]
	buffer_store_dword v67, off, s[0:3], 0 offset:28
	buffer_store_dword v66, off, s[0:3], 0 offset:24
.LBB31_21:
	s_or_b64 exec, exec, s[4:5]
	s_waitcnt lgkmcnt(0)
	; wave barrier
	buffer_load_dword v66, off, s[0:3], 0 offset:32
	buffer_load_dword v67, off, s[0:3], 0 offset:36
	v_cmp_gt_u32_e32 vcc, 4, v0
	s_waitcnt vmcnt(0)
	ds_write_b64 v68, v[66:67]
	s_waitcnt lgkmcnt(0)
	; wave barrier
	s_waitcnt lgkmcnt(0)
	s_and_saveexec_b64 s[4:5], vcc
	s_cbranch_execz .LBB31_25
; %bb.22:
	v_add_u32_e32 v70, -1, v0
	v_add_u32_e32 v71, 0x100, v1
	v_add_u32_e32 v72, 0, v1
	s_mov_b64 s[6:7], 0
	v_pk_mov_b32 v[66:67], 0, 0
.LBB31_23:                              ; =>This Inner Loop Header: Depth=1
	buffer_load_dword v74, v72, s[0:3], 0 offen
	buffer_load_dword v75, v72, s[0:3], 0 offen offset:4
	ds_read_b64 v[76:77], v71
	v_add_u32_e32 v70, 1, v70
	v_cmp_lt_u32_e32 vcc, 2, v70
	v_add_u32_e32 v71, 8, v71
	v_add_u32_e32 v72, 8, v72
	s_or_b64 s[6:7], vcc, s[6:7]
	s_waitcnt vmcnt(0) lgkmcnt(0)
	v_fmac_f64_e32 v[66:67], v[74:75], v[76:77]
	s_andn2_b64 exec, exec, s[6:7]
	s_cbranch_execnz .LBB31_23
; %bb.24:
	s_or_b64 exec, exec, s[6:7]
	v_mov_b32_e32 v70, 0
	ds_read_b64 v[70:71], v70 offset:32
	s_waitcnt lgkmcnt(0)
	v_mul_f64 v[66:67], v[66:67], v[70:71]
	buffer_store_dword v67, off, s[0:3], 0 offset:36
	buffer_store_dword v66, off, s[0:3], 0 offset:32
.LBB31_25:
	s_or_b64 exec, exec, s[4:5]
	s_waitcnt lgkmcnt(0)
	; wave barrier
	buffer_load_dword v66, off, s[0:3], 0 offset:40
	buffer_load_dword v67, off, s[0:3], 0 offset:44
	v_cmp_gt_u32_e32 vcc, 5, v0
	;; [unrolled: 41-line block ×21, first 2 shown]
	s_waitcnt vmcnt(0)
	ds_write_b64 v68, v[66:67]
	s_waitcnt lgkmcnt(0)
	; wave barrier
	s_waitcnt lgkmcnt(0)
	s_and_saveexec_b64 s[4:5], vcc
	s_cbranch_execz .LBB31_105
; %bb.102:
	v_add_u32_e32 v70, -1, v0
	v_add_u32_e32 v71, 0x100, v1
	v_add_u32_e32 v72, 0, v1
	s_mov_b64 s[6:7], 0
	v_pk_mov_b32 v[66:67], 0, 0
.LBB31_103:                             ; =>This Inner Loop Header: Depth=1
	buffer_load_dword v74, v72, s[0:3], 0 offen
	buffer_load_dword v75, v72, s[0:3], 0 offen offset:4
	ds_read_b64 v[76:77], v71
	v_add_u32_e32 v70, 1, v70
	v_cmp_lt_u32_e32 vcc, 22, v70
	v_add_u32_e32 v71, 8, v71
	v_add_u32_e32 v72, 8, v72
	s_or_b64 s[6:7], vcc, s[6:7]
	s_waitcnt vmcnt(0) lgkmcnt(0)
	v_fmac_f64_e32 v[66:67], v[74:75], v[76:77]
	s_andn2_b64 exec, exec, s[6:7]
	s_cbranch_execnz .LBB31_103
; %bb.104:
	s_or_b64 exec, exec, s[6:7]
	v_mov_b32_e32 v70, 0
	ds_read_b64 v[70:71], v70 offset:192
	s_waitcnt lgkmcnt(0)
	v_mul_f64 v[66:67], v[66:67], v[70:71]
	buffer_store_dword v67, off, s[0:3], 0 offset:196
	buffer_store_dword v66, off, s[0:3], 0 offset:192
.LBB31_105:
	s_or_b64 exec, exec, s[4:5]
	s_waitcnt lgkmcnt(0)
	; wave barrier
	buffer_load_dword v66, off, s[0:3], 0 offset:200
	buffer_load_dword v67, off, s[0:3], 0 offset:204
	v_cmp_gt_u32_e32 vcc, 25, v0
	s_waitcnt vmcnt(0)
	ds_write_b64 v68, v[66:67]
	s_waitcnt lgkmcnt(0)
	; wave barrier
	s_waitcnt lgkmcnt(0)
	s_and_saveexec_b64 s[4:5], vcc
	s_cbranch_execz .LBB31_109
; %bb.106:
	v_add_u32_e32 v70, -1, v0
	v_add_u32_e32 v71, 0x100, v1
	v_add_u32_e32 v72, 0, v1
	s_mov_b64 s[6:7], 0
	v_pk_mov_b32 v[66:67], 0, 0
.LBB31_107:                             ; =>This Inner Loop Header: Depth=1
	buffer_load_dword v74, v72, s[0:3], 0 offen
	buffer_load_dword v75, v72, s[0:3], 0 offen offset:4
	ds_read_b64 v[76:77], v71
	v_add_u32_e32 v70, 1, v70
	v_cmp_lt_u32_e32 vcc, 23, v70
	v_add_u32_e32 v71, 8, v71
	v_add_u32_e32 v72, 8, v72
	s_or_b64 s[6:7], vcc, s[6:7]
	s_waitcnt vmcnt(0) lgkmcnt(0)
	v_fmac_f64_e32 v[66:67], v[74:75], v[76:77]
	s_andn2_b64 exec, exec, s[6:7]
	s_cbranch_execnz .LBB31_107
; %bb.108:
	s_or_b64 exec, exec, s[6:7]
	v_mov_b32_e32 v70, 0
	ds_read_b64 v[70:71], v70 offset:200
	s_waitcnt lgkmcnt(0)
	v_mul_f64 v[66:67], v[66:67], v[70:71]
	buffer_store_dword v67, off, s[0:3], 0 offset:204
	buffer_store_dword v66, off, s[0:3], 0 offset:200
.LBB31_109:
	s_or_b64 exec, exec, s[4:5]
	s_waitcnt lgkmcnt(0)
	; wave barrier
	buffer_load_dword v66, off, s[0:3], 0 offset:208
	buffer_load_dword v67, off, s[0:3], 0 offset:212
	v_cmp_gt_u32_e32 vcc, 26, v0
	s_waitcnt vmcnt(0)
	ds_write_b64 v68, v[66:67]
	s_waitcnt lgkmcnt(0)
	; wave barrier
	s_waitcnt lgkmcnt(0)
	s_and_saveexec_b64 s[4:5], vcc
	s_cbranch_execz .LBB31_113
; %bb.110:
	v_add_u32_e32 v70, -1, v0
	v_add_u32_e32 v71, 0x100, v1
	v_add_u32_e32 v72, 0, v1
	s_mov_b64 s[6:7], 0
	v_pk_mov_b32 v[66:67], 0, 0
.LBB31_111:                             ; =>This Inner Loop Header: Depth=1
	buffer_load_dword v74, v72, s[0:3], 0 offen
	buffer_load_dword v75, v72, s[0:3], 0 offen offset:4
	ds_read_b64 v[76:77], v71
	v_add_u32_e32 v70, 1, v70
	v_cmp_lt_u32_e32 vcc, 24, v70
	v_add_u32_e32 v71, 8, v71
	v_add_u32_e32 v72, 8, v72
	s_or_b64 s[6:7], vcc, s[6:7]
	s_waitcnt vmcnt(0) lgkmcnt(0)
	v_fmac_f64_e32 v[66:67], v[74:75], v[76:77]
	s_andn2_b64 exec, exec, s[6:7]
	s_cbranch_execnz .LBB31_111
; %bb.112:
	s_or_b64 exec, exec, s[6:7]
	v_mov_b32_e32 v70, 0
	ds_read_b64 v[70:71], v70 offset:208
	s_waitcnt lgkmcnt(0)
	v_mul_f64 v[66:67], v[66:67], v[70:71]
	buffer_store_dword v67, off, s[0:3], 0 offset:212
	buffer_store_dword v66, off, s[0:3], 0 offset:208
.LBB31_113:
	s_or_b64 exec, exec, s[4:5]
	s_waitcnt lgkmcnt(0)
	; wave barrier
	buffer_load_dword v66, off, s[0:3], 0 offset:216
	buffer_load_dword v67, off, s[0:3], 0 offset:220
	v_cmp_gt_u32_e32 vcc, 27, v0
	s_waitcnt vmcnt(0)
	ds_write_b64 v68, v[66:67]
	s_waitcnt lgkmcnt(0)
	; wave barrier
	s_waitcnt lgkmcnt(0)
	s_and_saveexec_b64 s[4:5], vcc
	s_cbranch_execz .LBB31_117
; %bb.114:
	v_add_u32_e32 v70, -1, v0
	v_add_u32_e32 v71, 0x100, v1
	v_add_u32_e32 v72, 0, v1
	s_mov_b64 s[6:7], 0
	v_pk_mov_b32 v[66:67], 0, 0
.LBB31_115:                             ; =>This Inner Loop Header: Depth=1
	buffer_load_dword v74, v72, s[0:3], 0 offen
	buffer_load_dword v75, v72, s[0:3], 0 offen offset:4
	ds_read_b64 v[76:77], v71
	v_add_u32_e32 v70, 1, v70
	v_cmp_lt_u32_e32 vcc, 25, v70
	v_add_u32_e32 v71, 8, v71
	v_add_u32_e32 v72, 8, v72
	s_or_b64 s[6:7], vcc, s[6:7]
	s_waitcnt vmcnt(0) lgkmcnt(0)
	v_fmac_f64_e32 v[66:67], v[74:75], v[76:77]
	s_andn2_b64 exec, exec, s[6:7]
	s_cbranch_execnz .LBB31_115
; %bb.116:
	s_or_b64 exec, exec, s[6:7]
	v_mov_b32_e32 v70, 0
	ds_read_b64 v[70:71], v70 offset:216
	s_waitcnt lgkmcnt(0)
	v_mul_f64 v[66:67], v[66:67], v[70:71]
	buffer_store_dword v67, off, s[0:3], 0 offset:220
	buffer_store_dword v66, off, s[0:3], 0 offset:216
.LBB31_117:
	s_or_b64 exec, exec, s[4:5]
	s_waitcnt lgkmcnt(0)
	; wave barrier
	buffer_load_dword v66, off, s[0:3], 0 offset:224
	buffer_load_dword v67, off, s[0:3], 0 offset:228
	v_cmp_gt_u32_e32 vcc, 28, v0
	s_waitcnt vmcnt(0)
	ds_write_b64 v68, v[66:67]
	s_waitcnt lgkmcnt(0)
	; wave barrier
	s_waitcnt lgkmcnt(0)
	s_and_saveexec_b64 s[4:5], vcc
	s_cbranch_execz .LBB31_121
; %bb.118:
	v_add_u32_e32 v70, -1, v0
	v_add_u32_e32 v71, 0x100, v1
	v_add_u32_e32 v72, 0, v1
	s_mov_b64 s[6:7], 0
	v_pk_mov_b32 v[66:67], 0, 0
.LBB31_119:                             ; =>This Inner Loop Header: Depth=1
	buffer_load_dword v74, v72, s[0:3], 0 offen
	buffer_load_dword v75, v72, s[0:3], 0 offen offset:4
	ds_read_b64 v[76:77], v71
	v_add_u32_e32 v70, 1, v70
	v_cmp_lt_u32_e32 vcc, 26, v70
	v_add_u32_e32 v71, 8, v71
	v_add_u32_e32 v72, 8, v72
	s_or_b64 s[6:7], vcc, s[6:7]
	s_waitcnt vmcnt(0) lgkmcnt(0)
	v_fmac_f64_e32 v[66:67], v[74:75], v[76:77]
	s_andn2_b64 exec, exec, s[6:7]
	s_cbranch_execnz .LBB31_119
; %bb.120:
	s_or_b64 exec, exec, s[6:7]
	v_mov_b32_e32 v70, 0
	ds_read_b64 v[70:71], v70 offset:224
	s_waitcnt lgkmcnt(0)
	v_mul_f64 v[66:67], v[66:67], v[70:71]
	buffer_store_dword v67, off, s[0:3], 0 offset:228
	buffer_store_dword v66, off, s[0:3], 0 offset:224
.LBB31_121:
	s_or_b64 exec, exec, s[4:5]
	s_waitcnt lgkmcnt(0)
	; wave barrier
	buffer_load_dword v66, off, s[0:3], 0 offset:232
	buffer_load_dword v67, off, s[0:3], 0 offset:236
	v_cmp_gt_u32_e32 vcc, 29, v0
	s_waitcnt vmcnt(0)
	ds_write_b64 v68, v[66:67]
	s_waitcnt lgkmcnt(0)
	; wave barrier
	s_waitcnt lgkmcnt(0)
	s_and_saveexec_b64 s[4:5], vcc
	s_cbranch_execz .LBB31_125
; %bb.122:
	v_add_u32_e32 v70, -1, v0
	v_add_u32_e32 v71, 0x100, v1
	v_add_u32_e32 v72, 0, v1
	s_mov_b64 s[6:7], 0
	v_pk_mov_b32 v[66:67], 0, 0
.LBB31_123:                             ; =>This Inner Loop Header: Depth=1
	buffer_load_dword v74, v72, s[0:3], 0 offen
	buffer_load_dword v75, v72, s[0:3], 0 offen offset:4
	ds_read_b64 v[76:77], v71
	v_add_u32_e32 v70, 1, v70
	v_cmp_lt_u32_e32 vcc, 27, v70
	v_add_u32_e32 v71, 8, v71
	v_add_u32_e32 v72, 8, v72
	s_or_b64 s[6:7], vcc, s[6:7]
	s_waitcnt vmcnt(0) lgkmcnt(0)
	v_fmac_f64_e32 v[66:67], v[74:75], v[76:77]
	s_andn2_b64 exec, exec, s[6:7]
	s_cbranch_execnz .LBB31_123
; %bb.124:
	s_or_b64 exec, exec, s[6:7]
	v_mov_b32_e32 v70, 0
	ds_read_b64 v[70:71], v70 offset:232
	s_waitcnt lgkmcnt(0)
	v_mul_f64 v[66:67], v[66:67], v[70:71]
	buffer_store_dword v67, off, s[0:3], 0 offset:236
	buffer_store_dword v66, off, s[0:3], 0 offset:232
.LBB31_125:
	s_or_b64 exec, exec, s[4:5]
	s_waitcnt lgkmcnt(0)
	; wave barrier
	buffer_load_dword v66, off, s[0:3], 0 offset:240
	buffer_load_dword v67, off, s[0:3], 0 offset:244
	v_cmp_gt_u32_e32 vcc, 30, v0
	s_waitcnt vmcnt(0)
	ds_write_b64 v68, v[66:67]
	s_waitcnt lgkmcnt(0)
	; wave barrier
	s_waitcnt lgkmcnt(0)
	s_and_saveexec_b64 s[4:5], vcc
	s_cbranch_execz .LBB31_129
; %bb.126:
	v_add_u32_e32 v70, -1, v0
	v_add_u32_e32 v71, 0x100, v1
	v_add_u32_e32 v72, 0, v1
	s_mov_b64 s[6:7], 0
	v_pk_mov_b32 v[66:67], 0, 0
.LBB31_127:                             ; =>This Inner Loop Header: Depth=1
	buffer_load_dword v74, v72, s[0:3], 0 offen
	buffer_load_dword v75, v72, s[0:3], 0 offen offset:4
	ds_read_b64 v[76:77], v71
	v_add_u32_e32 v70, 1, v70
	v_cmp_lt_u32_e32 vcc, 28, v70
	v_add_u32_e32 v71, 8, v71
	v_add_u32_e32 v72, 8, v72
	s_or_b64 s[6:7], vcc, s[6:7]
	s_waitcnt vmcnt(0) lgkmcnt(0)
	v_fmac_f64_e32 v[66:67], v[74:75], v[76:77]
	s_andn2_b64 exec, exec, s[6:7]
	s_cbranch_execnz .LBB31_127
; %bb.128:
	s_or_b64 exec, exec, s[6:7]
	v_mov_b32_e32 v70, 0
	ds_read_b64 v[70:71], v70 offset:240
	s_waitcnt lgkmcnt(0)
	v_mul_f64 v[66:67], v[66:67], v[70:71]
	buffer_store_dword v67, off, s[0:3], 0 offset:244
	buffer_store_dword v66, off, s[0:3], 0 offset:240
.LBB31_129:
	s_or_b64 exec, exec, s[4:5]
	s_waitcnt lgkmcnt(0)
	; wave barrier
	buffer_load_dword v66, off, s[0:3], 0 offset:248
	buffer_load_dword v67, off, s[0:3], 0 offset:252
	v_cmp_ne_u32_e32 vcc, 31, v0
	s_waitcnt vmcnt(0)
	ds_write_b64 v68, v[66:67]
	s_waitcnt lgkmcnt(0)
	; wave barrier
	s_waitcnt lgkmcnt(0)
	s_and_saveexec_b64 s[4:5], vcc
	s_cbranch_execz .LBB31_133
; %bb.130:
	v_add_u32_e32 v68, 0x100, v1
	v_add_u32_e32 v1, 0, v1
	s_mov_b64 s[6:7], 0
	v_pk_mov_b32 v[66:67], 0, 0
.LBB31_131:                             ; =>This Inner Loop Header: Depth=1
	buffer_load_dword v70, v1, s[0:3], 0 offen
	buffer_load_dword v71, v1, s[0:3], 0 offen offset:4
	ds_read_b64 v[72:73], v68
	v_add_u32_e32 v69, 1, v69
	v_cmp_lt_u32_e32 vcc, 29, v69
	v_add_u32_e32 v68, 8, v68
	v_add_u32_e32 v1, 8, v1
	s_or_b64 s[6:7], vcc, s[6:7]
	s_waitcnt vmcnt(0) lgkmcnt(0)
	v_fmac_f64_e32 v[66:67], v[70:71], v[72:73]
	s_andn2_b64 exec, exec, s[6:7]
	s_cbranch_execnz .LBB31_131
; %bb.132:
	s_or_b64 exec, exec, s[6:7]
	v_mov_b32_e32 v1, 0
	ds_read_b64 v[68:69], v1 offset:248
	s_waitcnt lgkmcnt(0)
	v_mul_f64 v[66:67], v[66:67], v[68:69]
	buffer_store_dword v67, off, s[0:3], 0 offset:252
	buffer_store_dword v66, off, s[0:3], 0 offset:248
.LBB31_133:
	s_or_b64 exec, exec, s[4:5]
	s_mov_b64 s[6:7], -1
	s_waitcnt lgkmcnt(0)
	; wave barrier
.LBB31_134:
	s_and_b64 vcc, exec, s[6:7]
	s_cbranch_vccz .LBB31_136
; %bb.135:
	s_lshl_b64 s[4:5], s[8:9], 2
	s_add_u32 s4, s14, s4
	s_addc_u32 s5, s15, s5
	v_mov_b32_e32 v1, 0
	global_load_dword v1, v1, s[4:5]
	s_waitcnt vmcnt(0)
	v_cmp_ne_u32_e32 vcc, 0, v1
	s_cbranch_vccz .LBB31_137
.LBB31_136:
	s_endpgm
.LBB31_137:
	v_mov_b32_e32 v1, 0x100
	v_lshl_add_u32 v1, v0, 3, v1
	v_cmp_eq_u32_e32 vcc, 31, v0
	s_and_saveexec_b64 s[4:5], vcc
	s_cbranch_execz .LBB31_139
; %bb.138:
	buffer_load_dword v66, off, s[0:3], 0 offset:240
	buffer_load_dword v67, off, s[0:3], 0 offset:244
	v_mov_b32_e32 v68, 0
	buffer_store_dword v68, off, s[0:3], 0 offset:240
	buffer_store_dword v68, off, s[0:3], 0 offset:244
	s_waitcnt vmcnt(2)
	ds_write_b64 v1, v[66:67]
.LBB31_139:
	s_or_b64 exec, exec, s[4:5]
	s_waitcnt lgkmcnt(0)
	; wave barrier
	s_waitcnt lgkmcnt(0)
	buffer_load_dword v68, off, s[0:3], 0 offset:248
	buffer_load_dword v69, off, s[0:3], 0 offset:252
	;; [unrolled: 1-line block ×4, first 2 shown]
	v_mov_b32_e32 v66, 0
	ds_read_b64 v[72:73], v66 offset:504
	v_cmp_lt_u32_e32 vcc, 29, v0
	s_waitcnt vmcnt(2) lgkmcnt(0)
	v_fma_f64 v[68:69], v[68:69], v[72:73], 0
	s_waitcnt vmcnt(0)
	v_add_f64 v[68:69], v[70:71], -v[68:69]
	buffer_store_dword v68, off, s[0:3], 0 offset:240
	buffer_store_dword v69, off, s[0:3], 0 offset:244
	s_and_saveexec_b64 s[4:5], vcc
	s_cbranch_execz .LBB31_141
; %bb.140:
	buffer_load_dword v68, off, s[0:3], 0 offset:232
	buffer_load_dword v69, off, s[0:3], 0 offset:236
	s_waitcnt vmcnt(0)
	ds_write_b64 v1, v[68:69]
	buffer_store_dword v66, off, s[0:3], 0 offset:232
	buffer_store_dword v66, off, s[0:3], 0 offset:236
.LBB31_141:
	s_or_b64 exec, exec, s[4:5]
	s_waitcnt lgkmcnt(0)
	; wave barrier
	s_waitcnt lgkmcnt(0)
	buffer_load_dword v70, off, s[0:3], 0 offset:240
	buffer_load_dword v71, off, s[0:3], 0 offset:244
	;; [unrolled: 1-line block ×6, first 2 shown]
	ds_read_b128 v[66:69], v66 offset:496
	v_cmp_lt_u32_e32 vcc, 28, v0
	s_waitcnt vmcnt(4) lgkmcnt(0)
	v_fma_f64 v[66:67], v[70:71], v[66:67], 0
	s_waitcnt vmcnt(2)
	v_fmac_f64_e32 v[66:67], v[72:73], v[68:69]
	s_waitcnt vmcnt(0)
	v_add_f64 v[66:67], v[74:75], -v[66:67]
	buffer_store_dword v66, off, s[0:3], 0 offset:232
	buffer_store_dword v67, off, s[0:3], 0 offset:236
	s_and_saveexec_b64 s[4:5], vcc
	s_cbranch_execz .LBB31_143
; %bb.142:
	buffer_load_dword v66, off, s[0:3], 0 offset:224
	buffer_load_dword v67, off, s[0:3], 0 offset:228
	v_mov_b32_e32 v68, 0
	buffer_store_dword v68, off, s[0:3], 0 offset:224
	buffer_store_dword v68, off, s[0:3], 0 offset:228
	s_waitcnt vmcnt(2)
	ds_write_b64 v1, v[66:67]
.LBB31_143:
	s_or_b64 exec, exec, s[4:5]
	s_waitcnt lgkmcnt(0)
	; wave barrier
	s_waitcnt lgkmcnt(0)
	buffer_load_dword v72, off, s[0:3], 0 offset:232
	buffer_load_dword v73, off, s[0:3], 0 offset:236
	;; [unrolled: 1-line block ×8, first 2 shown]
	v_mov_b32_e32 v66, 0
	ds_read2_b64 v[68:71], v66 offset0:61 offset1:62
	ds_read_b64 v[80:81], v66 offset:504
	v_cmp_lt_u32_e32 vcc, 27, v0
	s_waitcnt vmcnt(6) lgkmcnt(1)
	v_fma_f64 v[68:69], v[72:73], v[68:69], 0
	s_waitcnt vmcnt(4)
	v_fmac_f64_e32 v[68:69], v[74:75], v[70:71]
	s_waitcnt vmcnt(2) lgkmcnt(0)
	v_fmac_f64_e32 v[68:69], v[76:77], v[80:81]
	s_waitcnt vmcnt(0)
	v_add_f64 v[68:69], v[78:79], -v[68:69]
	buffer_store_dword v68, off, s[0:3], 0 offset:224
	buffer_store_dword v69, off, s[0:3], 0 offset:228
	s_and_saveexec_b64 s[4:5], vcc
	s_cbranch_execz .LBB31_145
; %bb.144:
	buffer_load_dword v68, off, s[0:3], 0 offset:216
	buffer_load_dword v69, off, s[0:3], 0 offset:220
	s_waitcnt vmcnt(0)
	ds_write_b64 v1, v[68:69]
	buffer_store_dword v66, off, s[0:3], 0 offset:216
	buffer_store_dword v66, off, s[0:3], 0 offset:220
.LBB31_145:
	s_or_b64 exec, exec, s[4:5]
	s_waitcnt lgkmcnt(0)
	; wave barrier
	s_waitcnt lgkmcnt(0)
	buffer_load_dword v76, off, s[0:3], 0 offset:224
	buffer_load_dword v77, off, s[0:3], 0 offset:228
	;; [unrolled: 1-line block ×10, first 2 shown]
	ds_read_b128 v[68:71], v66 offset:480
	ds_read_b128 v[72:75], v66 offset:496
	v_cmp_lt_u32_e32 vcc, 26, v0
	s_waitcnt vmcnt(8) lgkmcnt(1)
	v_fma_f64 v[66:67], v[76:77], v[68:69], 0
	s_waitcnt vmcnt(6)
	v_fmac_f64_e32 v[66:67], v[78:79], v[70:71]
	s_waitcnt vmcnt(4) lgkmcnt(0)
	v_fmac_f64_e32 v[66:67], v[80:81], v[72:73]
	s_waitcnt vmcnt(2)
	v_fmac_f64_e32 v[66:67], v[82:83], v[74:75]
	s_waitcnt vmcnt(0)
	v_add_f64 v[66:67], v[84:85], -v[66:67]
	buffer_store_dword v66, off, s[0:3], 0 offset:216
	buffer_store_dword v67, off, s[0:3], 0 offset:220
	s_and_saveexec_b64 s[4:5], vcc
	s_cbranch_execz .LBB31_147
; %bb.146:
	buffer_load_dword v66, off, s[0:3], 0 offset:208
	buffer_load_dword v67, off, s[0:3], 0 offset:212
	v_mov_b32_e32 v68, 0
	buffer_store_dword v68, off, s[0:3], 0 offset:208
	buffer_store_dword v68, off, s[0:3], 0 offset:212
	s_waitcnt vmcnt(2)
	ds_write_b64 v1, v[66:67]
.LBB31_147:
	s_or_b64 exec, exec, s[4:5]
	s_waitcnt lgkmcnt(0)
	; wave barrier
	s_waitcnt lgkmcnt(0)
	buffer_load_dword v76, off, s[0:3], 0 offset:216
	buffer_load_dword v77, off, s[0:3], 0 offset:220
	;; [unrolled: 1-line block ×12, first 2 shown]
	v_mov_b32_e32 v66, 0
	ds_read2_b64 v[68:71], v66 offset0:59 offset1:60
	ds_read2_b64 v[72:75], v66 offset0:61 offset1:62
	ds_read_b64 v[88:89], v66 offset:504
	v_cmp_lt_u32_e32 vcc, 25, v0
	s_waitcnt vmcnt(10) lgkmcnt(2)
	v_fma_f64 v[68:69], v[76:77], v[68:69], 0
	s_waitcnt vmcnt(8)
	v_fmac_f64_e32 v[68:69], v[78:79], v[70:71]
	s_waitcnt vmcnt(6) lgkmcnt(1)
	v_fmac_f64_e32 v[68:69], v[80:81], v[72:73]
	s_waitcnt vmcnt(4)
	v_fmac_f64_e32 v[68:69], v[82:83], v[74:75]
	s_waitcnt vmcnt(2) lgkmcnt(0)
	v_fmac_f64_e32 v[68:69], v[84:85], v[88:89]
	s_waitcnt vmcnt(0)
	v_add_f64 v[68:69], v[86:87], -v[68:69]
	buffer_store_dword v68, off, s[0:3], 0 offset:208
	buffer_store_dword v69, off, s[0:3], 0 offset:212
	s_and_saveexec_b64 s[4:5], vcc
	s_cbranch_execz .LBB31_149
; %bb.148:
	buffer_load_dword v68, off, s[0:3], 0 offset:200
	buffer_load_dword v69, off, s[0:3], 0 offset:204
	s_waitcnt vmcnt(0)
	ds_write_b64 v1, v[68:69]
	buffer_store_dword v66, off, s[0:3], 0 offset:200
	buffer_store_dword v66, off, s[0:3], 0 offset:204
.LBB31_149:
	s_or_b64 exec, exec, s[4:5]
	s_waitcnt lgkmcnt(0)
	; wave barrier
	s_waitcnt lgkmcnt(0)
	buffer_load_dword v80, off, s[0:3], 0 offset:208
	buffer_load_dword v81, off, s[0:3], 0 offset:212
	buffer_load_dword v82, off, s[0:3], 0 offset:216
	buffer_load_dword v83, off, s[0:3], 0 offset:220
	buffer_load_dword v84, off, s[0:3], 0 offset:224
	buffer_load_dword v85, off, s[0:3], 0 offset:228
	buffer_load_dword v86, off, s[0:3], 0 offset:232
	buffer_load_dword v87, off, s[0:3], 0 offset:236
	buffer_load_dword v88, off, s[0:3], 0 offset:240
	buffer_load_dword v89, off, s[0:3], 0 offset:244
	buffer_load_dword v90, off, s[0:3], 0 offset:248
	buffer_load_dword v91, off, s[0:3], 0 offset:252
	buffer_load_dword v92, off, s[0:3], 0 offset:200
	buffer_load_dword v93, off, s[0:3], 0 offset:204
	ds_read_b128 v[68:71], v66 offset:464
	ds_read_b128 v[72:75], v66 offset:480
	;; [unrolled: 1-line block ×3, first 2 shown]
	v_cmp_lt_u32_e32 vcc, 24, v0
	s_waitcnt vmcnt(12) lgkmcnt(2)
	v_fma_f64 v[66:67], v[80:81], v[68:69], 0
	s_waitcnt vmcnt(10)
	v_fmac_f64_e32 v[66:67], v[82:83], v[70:71]
	s_waitcnt vmcnt(8) lgkmcnt(1)
	v_fmac_f64_e32 v[66:67], v[84:85], v[72:73]
	s_waitcnt vmcnt(6)
	v_fmac_f64_e32 v[66:67], v[86:87], v[74:75]
	s_waitcnt vmcnt(4) lgkmcnt(0)
	v_fmac_f64_e32 v[66:67], v[88:89], v[76:77]
	s_waitcnt vmcnt(2)
	v_fmac_f64_e32 v[66:67], v[90:91], v[78:79]
	s_waitcnt vmcnt(0)
	v_add_f64 v[66:67], v[92:93], -v[66:67]
	buffer_store_dword v66, off, s[0:3], 0 offset:200
	buffer_store_dword v67, off, s[0:3], 0 offset:204
	s_and_saveexec_b64 s[4:5], vcc
	s_cbranch_execz .LBB31_151
; %bb.150:
	buffer_load_dword v66, off, s[0:3], 0 offset:192
	buffer_load_dword v67, off, s[0:3], 0 offset:196
	v_mov_b32_e32 v68, 0
	buffer_store_dword v68, off, s[0:3], 0 offset:192
	buffer_store_dword v68, off, s[0:3], 0 offset:196
	s_waitcnt vmcnt(2)
	ds_write_b64 v1, v[66:67]
.LBB31_151:
	s_or_b64 exec, exec, s[4:5]
	s_waitcnt lgkmcnt(0)
	; wave barrier
	s_waitcnt lgkmcnt(0)
	buffer_load_dword v80, off, s[0:3], 0 offset:200
	buffer_load_dword v81, off, s[0:3], 0 offset:204
	;; [unrolled: 1-line block ×16, first 2 shown]
	v_mov_b32_e32 v66, 0
	ds_read2_b64 v[68:71], v66 offset0:57 offset1:58
	ds_read2_b64 v[72:75], v66 offset0:59 offset1:60
	;; [unrolled: 1-line block ×3, first 2 shown]
	ds_read_b64 v[96:97], v66 offset:504
	v_cmp_lt_u32_e32 vcc, 23, v0
	s_waitcnt vmcnt(14) lgkmcnt(3)
	v_fma_f64 v[68:69], v[80:81], v[68:69], 0
	s_waitcnt vmcnt(12)
	v_fmac_f64_e32 v[68:69], v[82:83], v[70:71]
	s_waitcnt vmcnt(10) lgkmcnt(2)
	v_fmac_f64_e32 v[68:69], v[84:85], v[72:73]
	s_waitcnt vmcnt(8)
	v_fmac_f64_e32 v[68:69], v[86:87], v[74:75]
	s_waitcnt vmcnt(6) lgkmcnt(1)
	v_fmac_f64_e32 v[68:69], v[88:89], v[76:77]
	;; [unrolled: 4-line block ×3, first 2 shown]
	s_waitcnt vmcnt(0)
	v_add_f64 v[68:69], v[94:95], -v[68:69]
	buffer_store_dword v68, off, s[0:3], 0 offset:192
	buffer_store_dword v69, off, s[0:3], 0 offset:196
	s_and_saveexec_b64 s[4:5], vcc
	s_cbranch_execz .LBB31_153
; %bb.152:
	buffer_load_dword v68, off, s[0:3], 0 offset:184
	buffer_load_dword v69, off, s[0:3], 0 offset:188
	s_waitcnt vmcnt(0)
	ds_write_b64 v1, v[68:69]
	buffer_store_dword v66, off, s[0:3], 0 offset:184
	buffer_store_dword v66, off, s[0:3], 0 offset:188
.LBB31_153:
	s_or_b64 exec, exec, s[4:5]
	s_waitcnt lgkmcnt(0)
	; wave barrier
	s_waitcnt lgkmcnt(0)
	buffer_load_dword v84, off, s[0:3], 0 offset:192
	buffer_load_dword v85, off, s[0:3], 0 offset:196
	;; [unrolled: 1-line block ×18, first 2 shown]
	ds_read_b128 v[68:71], v66 offset:448
	ds_read_b128 v[72:75], v66 offset:464
	;; [unrolled: 1-line block ×4, first 2 shown]
	v_cmp_lt_u32_e32 vcc, 22, v0
	s_waitcnt vmcnt(16) lgkmcnt(3)
	v_fma_f64 v[66:67], v[84:85], v[68:69], 0
	s_waitcnt vmcnt(14)
	v_fmac_f64_e32 v[66:67], v[86:87], v[70:71]
	s_waitcnt vmcnt(12) lgkmcnt(2)
	v_fmac_f64_e32 v[66:67], v[88:89], v[72:73]
	s_waitcnt vmcnt(10)
	v_fmac_f64_e32 v[66:67], v[90:91], v[74:75]
	s_waitcnt vmcnt(8) lgkmcnt(1)
	v_fmac_f64_e32 v[66:67], v[92:93], v[76:77]
	;; [unrolled: 4-line block ×3, first 2 shown]
	s_waitcnt vmcnt(2)
	v_fmac_f64_e32 v[66:67], v[98:99], v[82:83]
	s_waitcnt vmcnt(0)
	v_add_f64 v[66:67], v[100:101], -v[66:67]
	buffer_store_dword v66, off, s[0:3], 0 offset:184
	buffer_store_dword v67, off, s[0:3], 0 offset:188
	s_and_saveexec_b64 s[4:5], vcc
	s_cbranch_execz .LBB31_155
; %bb.154:
	buffer_load_dword v66, off, s[0:3], 0 offset:176
	buffer_load_dword v67, off, s[0:3], 0 offset:180
	v_mov_b32_e32 v68, 0
	buffer_store_dword v68, off, s[0:3], 0 offset:176
	buffer_store_dword v68, off, s[0:3], 0 offset:180
	s_waitcnt vmcnt(2)
	ds_write_b64 v1, v[66:67]
.LBB31_155:
	s_or_b64 exec, exec, s[4:5]
	s_waitcnt lgkmcnt(0)
	; wave barrier
	s_waitcnt lgkmcnt(0)
	buffer_load_dword v84, off, s[0:3], 0 offset:184
	buffer_load_dword v85, off, s[0:3], 0 offset:188
	;; [unrolled: 1-line block ×20, first 2 shown]
	v_mov_b32_e32 v66, 0
	ds_read2_b64 v[68:71], v66 offset0:55 offset1:56
	ds_read2_b64 v[72:75], v66 offset0:57 offset1:58
	ds_read2_b64 v[76:79], v66 offset0:59 offset1:60
	ds_read2_b64 v[80:83], v66 offset0:61 offset1:62
	ds_read_b64 v[104:105], v66 offset:504
	v_cmp_lt_u32_e32 vcc, 21, v0
	s_waitcnt vmcnt(18) lgkmcnt(4)
	v_fma_f64 v[68:69], v[84:85], v[68:69], 0
	s_waitcnt vmcnt(16)
	v_fmac_f64_e32 v[68:69], v[86:87], v[70:71]
	s_waitcnt vmcnt(14) lgkmcnt(3)
	v_fmac_f64_e32 v[68:69], v[88:89], v[72:73]
	s_waitcnt vmcnt(12)
	v_fmac_f64_e32 v[68:69], v[90:91], v[74:75]
	s_waitcnt vmcnt(10) lgkmcnt(2)
	v_fmac_f64_e32 v[68:69], v[92:93], v[76:77]
	;; [unrolled: 4-line block ×3, first 2 shown]
	s_waitcnt vmcnt(2)
	v_fmac_f64_e32 v[68:69], v[100:101], v[82:83]
	s_waitcnt lgkmcnt(0)
	v_fmac_f64_e32 v[68:69], v[98:99], v[104:105]
	s_waitcnt vmcnt(0)
	v_add_f64 v[68:69], v[102:103], -v[68:69]
	buffer_store_dword v68, off, s[0:3], 0 offset:176
	buffer_store_dword v69, off, s[0:3], 0 offset:180
	s_and_saveexec_b64 s[4:5], vcc
	s_cbranch_execz .LBB31_157
; %bb.156:
	buffer_load_dword v68, off, s[0:3], 0 offset:168
	buffer_load_dword v69, off, s[0:3], 0 offset:172
	s_waitcnt vmcnt(0)
	ds_write_b64 v1, v[68:69]
	buffer_store_dword v66, off, s[0:3], 0 offset:168
	buffer_store_dword v66, off, s[0:3], 0 offset:172
.LBB31_157:
	s_or_b64 exec, exec, s[4:5]
	s_waitcnt lgkmcnt(0)
	; wave barrier
	s_waitcnt lgkmcnt(0)
	buffer_load_dword v88, off, s[0:3], 0 offset:176
	buffer_load_dword v89, off, s[0:3], 0 offset:180
	;; [unrolled: 1-line block ×22, first 2 shown]
	ds_read_b128 v[68:71], v66 offset:432
	ds_read_b128 v[72:75], v66 offset:448
	;; [unrolled: 1-line block ×5, first 2 shown]
	v_cmp_lt_u32_e32 vcc, 20, v0
	s_waitcnt vmcnt(20) lgkmcnt(4)
	v_fma_f64 v[66:67], v[88:89], v[68:69], 0
	s_waitcnt vmcnt(18)
	v_fmac_f64_e32 v[66:67], v[90:91], v[70:71]
	s_waitcnt vmcnt(16) lgkmcnt(3)
	v_fmac_f64_e32 v[66:67], v[92:93], v[72:73]
	s_waitcnt vmcnt(14)
	v_fmac_f64_e32 v[66:67], v[94:95], v[74:75]
	s_waitcnt vmcnt(12) lgkmcnt(2)
	v_fmac_f64_e32 v[66:67], v[96:97], v[76:77]
	;; [unrolled: 4-line block ×3, first 2 shown]
	s_waitcnt vmcnt(3)
	v_fmac_f64_e32 v[66:67], v[106:107], v[82:83]
	s_waitcnt lgkmcnt(0)
	v_fmac_f64_e32 v[66:67], v[104:105], v[84:85]
	s_waitcnt vmcnt(2)
	v_fmac_f64_e32 v[66:67], v[102:103], v[86:87]
	s_waitcnt vmcnt(0)
	v_add_f64 v[66:67], v[108:109], -v[66:67]
	buffer_store_dword v66, off, s[0:3], 0 offset:168
	buffer_store_dword v67, off, s[0:3], 0 offset:172
	s_and_saveexec_b64 s[4:5], vcc
	s_cbranch_execz .LBB31_159
; %bb.158:
	buffer_load_dword v66, off, s[0:3], 0 offset:160
	buffer_load_dword v67, off, s[0:3], 0 offset:164
	v_mov_b32_e32 v68, 0
	buffer_store_dword v68, off, s[0:3], 0 offset:160
	buffer_store_dword v68, off, s[0:3], 0 offset:164
	s_waitcnt vmcnt(2)
	ds_write_b64 v1, v[66:67]
.LBB31_159:
	s_or_b64 exec, exec, s[4:5]
	s_waitcnt lgkmcnt(0)
	; wave barrier
	s_waitcnt lgkmcnt(0)
	buffer_load_dword v88, off, s[0:3], 0 offset:168
	buffer_load_dword v89, off, s[0:3], 0 offset:172
	;; [unrolled: 1-line block ×24, first 2 shown]
	v_mov_b32_e32 v66, 0
	ds_read2_b64 v[68:71], v66 offset0:53 offset1:54
	ds_read2_b64 v[72:75], v66 offset0:55 offset1:56
	;; [unrolled: 1-line block ×5, first 2 shown]
	ds_read_b64 v[112:113], v66 offset:504
	v_cmp_lt_u32_e32 vcc, 19, v0
	s_waitcnt vmcnt(22) lgkmcnt(5)
	v_fma_f64 v[68:69], v[88:89], v[68:69], 0
	s_waitcnt vmcnt(20)
	v_fmac_f64_e32 v[68:69], v[90:91], v[70:71]
	s_waitcnt vmcnt(18) lgkmcnt(4)
	v_fmac_f64_e32 v[68:69], v[92:93], v[72:73]
	s_waitcnt vmcnt(16)
	v_fmac_f64_e32 v[68:69], v[94:95], v[74:75]
	s_waitcnt vmcnt(14) lgkmcnt(3)
	v_fmac_f64_e32 v[68:69], v[96:97], v[76:77]
	;; [unrolled: 4-line block ×3, first 2 shown]
	s_waitcnt vmcnt(4)
	v_fmac_f64_e32 v[68:69], v[108:109], v[82:83]
	s_waitcnt lgkmcnt(1)
	v_fmac_f64_e32 v[68:69], v[106:107], v[84:85]
	s_waitcnt vmcnt(3)
	v_fmac_f64_e32 v[68:69], v[104:105], v[86:87]
	s_waitcnt vmcnt(2) lgkmcnt(0)
	v_fmac_f64_e32 v[68:69], v[102:103], v[112:113]
	s_waitcnt vmcnt(0)
	v_add_f64 v[68:69], v[110:111], -v[68:69]
	buffer_store_dword v69, off, s[0:3], 0 offset:164
	buffer_store_dword v68, off, s[0:3], 0 offset:160
	s_and_saveexec_b64 s[4:5], vcc
	s_cbranch_execz .LBB31_161
; %bb.160:
	buffer_load_dword v68, off, s[0:3], 0 offset:152
	buffer_load_dword v69, off, s[0:3], 0 offset:156
	s_waitcnt vmcnt(0)
	ds_write_b64 v1, v[68:69]
	buffer_store_dword v66, off, s[0:3], 0 offset:152
	buffer_store_dword v66, off, s[0:3], 0 offset:156
.LBB31_161:
	s_or_b64 exec, exec, s[4:5]
	s_waitcnt lgkmcnt(0)
	; wave barrier
	s_waitcnt lgkmcnt(0)
	buffer_load_dword v92, off, s[0:3], 0 offset:160
	buffer_load_dword v93, off, s[0:3], 0 offset:164
	;; [unrolled: 1-line block ×26, first 2 shown]
	ds_read_b128 v[68:71], v66 offset:416
	ds_read_b128 v[72:75], v66 offset:432
	;; [unrolled: 1-line block ×6, first 2 shown]
	v_cmp_lt_u32_e32 vcc, 18, v0
	s_waitcnt vmcnt(24) lgkmcnt(5)
	v_fma_f64 v[66:67], v[92:93], v[68:69], 0
	s_waitcnt vmcnt(22)
	v_fmac_f64_e32 v[66:67], v[94:95], v[70:71]
	s_waitcnt vmcnt(20) lgkmcnt(4)
	v_fmac_f64_e32 v[66:67], v[96:97], v[72:73]
	s_waitcnt vmcnt(18)
	v_fmac_f64_e32 v[66:67], v[98:99], v[74:75]
	s_waitcnt vmcnt(16) lgkmcnt(3)
	v_fmac_f64_e32 v[66:67], v[100:101], v[76:77]
	s_waitcnt vmcnt(14)
	v_fmac_f64_e32 v[66:67], v[102:103], v[78:79]
	s_waitcnt vmcnt(12) lgkmcnt(2)
	v_fmac_f64_e32 v[66:67], v[104:105], v[80:81]
	s_waitcnt vmcnt(5)
	v_fmac_f64_e32 v[66:67], v[112:113], v[82:83]
	s_waitcnt lgkmcnt(1)
	v_fmac_f64_e32 v[66:67], v[110:111], v[84:85]
	v_fmac_f64_e32 v[66:67], v[108:109], v[86:87]
	s_waitcnt vmcnt(4) lgkmcnt(0)
	v_fmac_f64_e32 v[66:67], v[106:107], v[88:89]
	s_waitcnt vmcnt(2)
	v_fmac_f64_e32 v[66:67], v[114:115], v[90:91]
	s_waitcnt vmcnt(0)
	v_add_f64 v[66:67], v[116:117], -v[66:67]
	buffer_store_dword v67, off, s[0:3], 0 offset:156
	buffer_store_dword v66, off, s[0:3], 0 offset:152
	s_and_saveexec_b64 s[4:5], vcc
	s_cbranch_execz .LBB31_163
; %bb.162:
	buffer_load_dword v66, off, s[0:3], 0 offset:144
	buffer_load_dword v67, off, s[0:3], 0 offset:148
	v_mov_b32_e32 v68, 0
	buffer_store_dword v68, off, s[0:3], 0 offset:144
	buffer_store_dword v68, off, s[0:3], 0 offset:148
	s_waitcnt vmcnt(2)
	ds_write_b64 v1, v[66:67]
.LBB31_163:
	s_or_b64 exec, exec, s[4:5]
	s_waitcnt lgkmcnt(0)
	; wave barrier
	s_waitcnt lgkmcnt(0)
	buffer_load_dword v92, off, s[0:3], 0 offset:152
	buffer_load_dword v93, off, s[0:3], 0 offset:156
	;; [unrolled: 1-line block ×28, first 2 shown]
	v_mov_b32_e32 v66, 0
	ds_read2_b64 v[68:71], v66 offset0:51 offset1:52
	ds_read2_b64 v[72:75], v66 offset0:53 offset1:54
	;; [unrolled: 1-line block ×6, first 2 shown]
	ds_read_b64 v[120:121], v66 offset:504
	v_cmp_lt_u32_e32 vcc, 17, v0
	s_waitcnt vmcnt(26) lgkmcnt(6)
	v_fma_f64 v[68:69], v[92:93], v[68:69], 0
	s_waitcnt vmcnt(24)
	v_fmac_f64_e32 v[68:69], v[94:95], v[70:71]
	s_waitcnt vmcnt(22) lgkmcnt(5)
	v_fmac_f64_e32 v[68:69], v[96:97], v[72:73]
	s_waitcnt vmcnt(20)
	v_fmac_f64_e32 v[68:69], v[98:99], v[74:75]
	s_waitcnt vmcnt(18) lgkmcnt(4)
	v_fmac_f64_e32 v[68:69], v[100:101], v[76:77]
	;; [unrolled: 4-line block ×3, first 2 shown]
	s_waitcnt vmcnt(6)
	v_fmac_f64_e32 v[68:69], v[112:113], v[82:83]
	s_waitcnt lgkmcnt(2)
	v_fmac_f64_e32 v[68:69], v[110:111], v[84:85]
	v_fmac_f64_e32 v[68:69], v[108:109], v[86:87]
	s_waitcnt lgkmcnt(1)
	v_fmac_f64_e32 v[68:69], v[106:107], v[88:89]
	s_waitcnt vmcnt(2)
	v_fmac_f64_e32 v[68:69], v[116:117], v[90:91]
	s_waitcnt lgkmcnt(0)
	v_fmac_f64_e32 v[68:69], v[114:115], v[120:121]
	s_waitcnt vmcnt(0)
	v_add_f64 v[68:69], v[118:119], -v[68:69]
	buffer_store_dword v69, off, s[0:3], 0 offset:148
	buffer_store_dword v68, off, s[0:3], 0 offset:144
	s_and_saveexec_b64 s[4:5], vcc
	s_cbranch_execz .LBB31_165
; %bb.164:
	buffer_load_dword v68, off, s[0:3], 0 offset:136
	buffer_load_dword v69, off, s[0:3], 0 offset:140
	s_waitcnt vmcnt(0)
	ds_write_b64 v1, v[68:69]
	buffer_store_dword v66, off, s[0:3], 0 offset:136
	buffer_store_dword v66, off, s[0:3], 0 offset:140
.LBB31_165:
	s_or_b64 exec, exec, s[4:5]
	s_waitcnt lgkmcnt(0)
	; wave barrier
	s_waitcnt lgkmcnt(0)
	buffer_load_dword v96, off, s[0:3], 0 offset:144
	buffer_load_dword v97, off, s[0:3], 0 offset:148
	;; [unrolled: 1-line block ×30, first 2 shown]
	ds_read_b128 v[68:71], v66 offset:400
	ds_read_b128 v[72:75], v66 offset:416
	;; [unrolled: 1-line block ×7, first 2 shown]
	v_cmp_lt_u32_e32 vcc, 16, v0
	s_waitcnt vmcnt(28) lgkmcnt(6)
	v_fma_f64 v[66:67], v[96:97], v[68:69], 0
	s_waitcnt vmcnt(26)
	v_fmac_f64_e32 v[66:67], v[98:99], v[70:71]
	s_waitcnt vmcnt(24) lgkmcnt(5)
	v_fmac_f64_e32 v[66:67], v[100:101], v[72:73]
	s_waitcnt vmcnt(22)
	v_fmac_f64_e32 v[66:67], v[102:103], v[74:75]
	s_waitcnt vmcnt(20) lgkmcnt(4)
	v_fmac_f64_e32 v[66:67], v[104:105], v[76:77]
	;; [unrolled: 4-line block ×3, first 2 shown]
	s_waitcnt vmcnt(8)
	v_fmac_f64_e32 v[66:67], v[116:117], v[82:83]
	s_waitcnt lgkmcnt(2)
	v_fmac_f64_e32 v[66:67], v[114:115], v[84:85]
	v_fmac_f64_e32 v[66:67], v[112:113], v[86:87]
	s_waitcnt lgkmcnt(1)
	v_fmac_f64_e32 v[66:67], v[110:111], v[88:89]
	s_waitcnt vmcnt(3)
	v_fmac_f64_e32 v[66:67], v[122:123], v[90:91]
	s_waitcnt lgkmcnt(0)
	v_fmac_f64_e32 v[66:67], v[120:121], v[92:93]
	s_waitcnt vmcnt(2)
	v_fmac_f64_e32 v[66:67], v[118:119], v[94:95]
	s_waitcnt vmcnt(0)
	v_add_f64 v[66:67], v[124:125], -v[66:67]
	buffer_store_dword v67, off, s[0:3], 0 offset:140
	buffer_store_dword v66, off, s[0:3], 0 offset:136
	s_and_saveexec_b64 s[4:5], vcc
	s_cbranch_execz .LBB31_167
; %bb.166:
	buffer_load_dword v66, off, s[0:3], 0 offset:128
	buffer_load_dword v67, off, s[0:3], 0 offset:132
	v_mov_b32_e32 v68, 0
	buffer_store_dword v68, off, s[0:3], 0 offset:128
	buffer_store_dword v68, off, s[0:3], 0 offset:132
	s_waitcnt vmcnt(2)
	ds_write_b64 v1, v[66:67]
.LBB31_167:
	s_or_b64 exec, exec, s[4:5]
	s_waitcnt lgkmcnt(0)
	; wave barrier
	s_waitcnt lgkmcnt(0)
	buffer_load_dword v72, off, s[0:3], 0 offset:128
	buffer_load_dword v73, off, s[0:3], 0 offset:132
	;; [unrolled: 1-line block ×16, first 2 shown]
	v_mov_b32_e32 v66, 0
	ds_read2_b64 v[68:71], v66 offset0:49 offset1:50
	v_cmp_lt_u32_e32 vcc, 15, v0
	s_waitcnt vmcnt(12) lgkmcnt(0)
	v_fma_f64 v[74:75], v[74:75], v[68:69], 0
	s_waitcnt vmcnt(10)
	v_fmac_f64_e32 v[74:75], v[76:77], v[70:71]
	ds_read2_b64 v[68:71], v66 offset0:51 offset1:52
	s_waitcnt vmcnt(8) lgkmcnt(0)
	v_fmac_f64_e32 v[74:75], v[78:79], v[68:69]
	s_waitcnt vmcnt(6)
	v_fmac_f64_e32 v[74:75], v[80:81], v[70:71]
	ds_read2_b64 v[68:71], v66 offset0:53 offset1:54
	s_waitcnt vmcnt(4) lgkmcnt(0)
	v_fmac_f64_e32 v[74:75], v[82:83], v[68:69]
	;; [unrolled: 5-line block ×3, first 2 shown]
	buffer_load_dword v69, off, s[0:3], 0 offset:196
	buffer_load_dword v68, off, s[0:3], 0 offset:192
	buffer_load_dword v77, off, s[0:3], 0 offset:204
	buffer_load_dword v76, off, s[0:3], 0 offset:200
	s_waitcnt vmcnt(2)
	v_fmac_f64_e32 v[74:75], v[68:69], v[70:71]
	ds_read2_b64 v[68:71], v66 offset0:57 offset1:58
	s_waitcnt vmcnt(0) lgkmcnt(0)
	v_fmac_f64_e32 v[74:75], v[76:77], v[68:69]
	buffer_load_dword v69, off, s[0:3], 0 offset:212
	buffer_load_dword v68, off, s[0:3], 0 offset:208
	buffer_load_dword v77, off, s[0:3], 0 offset:220
	buffer_load_dword v76, off, s[0:3], 0 offset:216
	s_waitcnt vmcnt(2)
	v_fmac_f64_e32 v[74:75], v[68:69], v[70:71]
	ds_read2_b64 v[68:71], v66 offset0:59 offset1:60
	s_waitcnt vmcnt(0) lgkmcnt(0)
	v_fmac_f64_e32 v[74:75], v[76:77], v[68:69]
	;; [unrolled: 9-line block ×3, first 2 shown]
	buffer_load_dword v69, off, s[0:3], 0 offset:244
	buffer_load_dword v68, off, s[0:3], 0 offset:240
	s_waitcnt vmcnt(0)
	v_fmac_f64_e32 v[74:75], v[68:69], v[70:71]
	buffer_load_dword v69, off, s[0:3], 0 offset:252
	buffer_load_dword v68, off, s[0:3], 0 offset:248
	ds_read_b64 v[70:71], v66 offset:504
	s_waitcnt vmcnt(0) lgkmcnt(0)
	v_fmac_f64_e32 v[74:75], v[68:69], v[70:71]
	v_add_f64 v[68:69], v[72:73], -v[74:75]
	buffer_store_dword v69, off, s[0:3], 0 offset:132
	buffer_store_dword v68, off, s[0:3], 0 offset:128
	s_and_saveexec_b64 s[4:5], vcc
	s_cbranch_execz .LBB31_169
; %bb.168:
	buffer_load_dword v68, off, s[0:3], 0 offset:120
	buffer_load_dword v69, off, s[0:3], 0 offset:124
	s_waitcnt vmcnt(0)
	ds_write_b64 v1, v[68:69]
	buffer_store_dword v66, off, s[0:3], 0 offset:120
	buffer_store_dword v66, off, s[0:3], 0 offset:124
.LBB31_169:
	s_or_b64 exec, exec, s[4:5]
	s_waitcnt lgkmcnt(0)
	; wave barrier
	s_waitcnt lgkmcnt(0)
	buffer_load_dword v84, off, s[0:3], 0 offset:120
	buffer_load_dword v85, off, s[0:3], 0 offset:124
	buffer_load_dword v86, off, s[0:3], 0 offset:128
	buffer_load_dword v87, off, s[0:3], 0 offset:132
	buffer_load_dword v88, off, s[0:3], 0 offset:136
	buffer_load_dword v89, off, s[0:3], 0 offset:140
	buffer_load_dword v90, off, s[0:3], 0 offset:144
	buffer_load_dword v91, off, s[0:3], 0 offset:148
	buffer_load_dword v92, off, s[0:3], 0 offset:152
	buffer_load_dword v93, off, s[0:3], 0 offset:156
	buffer_load_dword v94, off, s[0:3], 0 offset:160
	buffer_load_dword v95, off, s[0:3], 0 offset:164
	buffer_load_dword v96, off, s[0:3], 0 offset:168
	buffer_load_dword v97, off, s[0:3], 0 offset:172
	buffer_load_dword v98, off, s[0:3], 0 offset:176
	buffer_load_dword v99, off, s[0:3], 0 offset:180
	ds_read_b128 v[68:71], v66 offset:384
	ds_read_b128 v[72:75], v66 offset:400
	;; [unrolled: 1-line block ×4, first 2 shown]
	v_cmp_lt_u32_e32 vcc, 14, v0
	s_waitcnt vmcnt(12) lgkmcnt(3)
	v_fma_f64 v[86:87], v[86:87], v[68:69], 0
	buffer_load_dword v69, off, s[0:3], 0 offset:188
	buffer_load_dword v68, off, s[0:3], 0 offset:184
	s_waitcnt vmcnt(12)
	v_fmac_f64_e32 v[86:87], v[88:89], v[70:71]
	s_waitcnt vmcnt(10) lgkmcnt(2)
	v_fmac_f64_e32 v[86:87], v[90:91], v[72:73]
	buffer_load_dword v73, off, s[0:3], 0 offset:196
	buffer_load_dword v72, off, s[0:3], 0 offset:192
	s_waitcnt vmcnt(10)
	v_fmac_f64_e32 v[86:87], v[92:93], v[74:75]
	s_waitcnt vmcnt(8) lgkmcnt(1)
	v_fmac_f64_e32 v[86:87], v[94:95], v[76:77]
	s_waitcnt vmcnt(6)
	v_fmac_f64_e32 v[86:87], v[96:97], v[78:79]
	s_waitcnt vmcnt(4) lgkmcnt(0)
	v_fmac_f64_e32 v[86:87], v[98:99], v[80:81]
	s_waitcnt vmcnt(2)
	v_fmac_f64_e32 v[86:87], v[68:69], v[82:83]
	ds_read_b128 v[68:71], v66 offset:448
	s_waitcnt vmcnt(0) lgkmcnt(0)
	v_fmac_f64_e32 v[86:87], v[72:73], v[68:69]
	buffer_load_dword v69, off, s[0:3], 0 offset:204
	buffer_load_dword v68, off, s[0:3], 0 offset:200
	;; [unrolled: 1-line block ×4, first 2 shown]
	s_waitcnt vmcnt(2)
	v_fmac_f64_e32 v[86:87], v[68:69], v[70:71]
	ds_read_b128 v[68:71], v66 offset:464
	s_waitcnt vmcnt(0) lgkmcnt(0)
	v_fmac_f64_e32 v[86:87], v[72:73], v[68:69]
	buffer_load_dword v69, off, s[0:3], 0 offset:220
	buffer_load_dword v68, off, s[0:3], 0 offset:216
	;; [unrolled: 1-line block ×4, first 2 shown]
	s_waitcnt vmcnt(2)
	v_fmac_f64_e32 v[86:87], v[68:69], v[70:71]
	ds_read_b128 v[68:71], v66 offset:480
	s_waitcnt vmcnt(0) lgkmcnt(0)
	v_fmac_f64_e32 v[86:87], v[72:73], v[68:69]
	buffer_load_dword v69, off, s[0:3], 0 offset:236
	buffer_load_dword v68, off, s[0:3], 0 offset:232
	s_waitcnt vmcnt(0)
	v_fmac_f64_e32 v[86:87], v[68:69], v[70:71]
	buffer_load_dword v71, off, s[0:3], 0 offset:244
	buffer_load_dword v70, off, s[0:3], 0 offset:240
	ds_read_b128 v[66:69], v66 offset:496
	s_waitcnt vmcnt(0) lgkmcnt(0)
	v_fmac_f64_e32 v[86:87], v[70:71], v[66:67]
	buffer_load_dword v67, off, s[0:3], 0 offset:252
	buffer_load_dword v66, off, s[0:3], 0 offset:248
	s_waitcnt vmcnt(0)
	v_fmac_f64_e32 v[86:87], v[66:67], v[68:69]
	v_add_f64 v[66:67], v[84:85], -v[86:87]
	buffer_store_dword v67, off, s[0:3], 0 offset:124
	buffer_store_dword v66, off, s[0:3], 0 offset:120
	s_and_saveexec_b64 s[4:5], vcc
	s_cbranch_execz .LBB31_171
; %bb.170:
	buffer_load_dword v66, off, s[0:3], 0 offset:112
	buffer_load_dword v67, off, s[0:3], 0 offset:116
	v_mov_b32_e32 v68, 0
	buffer_store_dword v68, off, s[0:3], 0 offset:112
	buffer_store_dword v68, off, s[0:3], 0 offset:116
	s_waitcnt vmcnt(2)
	ds_write_b64 v1, v[66:67]
.LBB31_171:
	s_or_b64 exec, exec, s[4:5]
	s_waitcnt lgkmcnt(0)
	; wave barrier
	s_waitcnt lgkmcnt(0)
	buffer_load_dword v66, off, s[0:3], 0 offset:112
	buffer_load_dword v67, off, s[0:3], 0 offset:116
	;; [unrolled: 1-line block ×16, first 2 shown]
	v_mov_b32_e32 v70, 0
	ds_read2_b64 v[72:75], v70 offset0:47 offset1:48
	v_cmp_lt_u32_e32 vcc, 13, v0
	s_waitcnt vmcnt(12) lgkmcnt(0)
	v_fma_f64 v[68:69], v[68:69], v[72:73], 0
	s_waitcnt vmcnt(10)
	v_fmac_f64_e32 v[68:69], v[76:77], v[74:75]
	ds_read2_b64 v[72:75], v70 offset0:49 offset1:50
	s_waitcnt vmcnt(8) lgkmcnt(0)
	v_fmac_f64_e32 v[68:69], v[78:79], v[72:73]
	s_waitcnt vmcnt(6)
	v_fmac_f64_e32 v[68:69], v[80:81], v[74:75]
	ds_read2_b64 v[72:75], v70 offset0:51 offset1:52
	s_waitcnt vmcnt(4) lgkmcnt(0)
	v_fmac_f64_e32 v[68:69], v[82:83], v[72:73]
	;; [unrolled: 5-line block ×3, first 2 shown]
	buffer_load_dword v73, off, s[0:3], 0 offset:180
	buffer_load_dword v72, off, s[0:3], 0 offset:176
	buffer_load_dword v77, off, s[0:3], 0 offset:188
	buffer_load_dword v76, off, s[0:3], 0 offset:184
	s_waitcnt vmcnt(2)
	v_fmac_f64_e32 v[68:69], v[72:73], v[74:75]
	ds_read2_b64 v[72:75], v70 offset0:55 offset1:56
	s_waitcnt vmcnt(0) lgkmcnt(0)
	v_fmac_f64_e32 v[68:69], v[76:77], v[72:73]
	buffer_load_dword v73, off, s[0:3], 0 offset:196
	buffer_load_dword v72, off, s[0:3], 0 offset:192
	buffer_load_dword v77, off, s[0:3], 0 offset:204
	buffer_load_dword v76, off, s[0:3], 0 offset:200
	s_waitcnt vmcnt(2)
	v_fmac_f64_e32 v[68:69], v[72:73], v[74:75]
	ds_read2_b64 v[72:75], v70 offset0:57 offset1:58
	s_waitcnt vmcnt(0) lgkmcnt(0)
	v_fmac_f64_e32 v[68:69], v[76:77], v[72:73]
	;; [unrolled: 9-line block ×4, first 2 shown]
	buffer_load_dword v73, off, s[0:3], 0 offset:244
	buffer_load_dword v72, off, s[0:3], 0 offset:240
	s_waitcnt vmcnt(0)
	v_fmac_f64_e32 v[68:69], v[72:73], v[74:75]
	buffer_load_dword v73, off, s[0:3], 0 offset:252
	buffer_load_dword v72, off, s[0:3], 0 offset:248
	ds_read_b64 v[74:75], v70 offset:504
	s_waitcnt vmcnt(0) lgkmcnt(0)
	v_fmac_f64_e32 v[68:69], v[72:73], v[74:75]
	v_add_f64 v[66:67], v[66:67], -v[68:69]
	buffer_store_dword v67, off, s[0:3], 0 offset:116
	buffer_store_dword v66, off, s[0:3], 0 offset:112
	s_and_saveexec_b64 s[4:5], vcc
	s_cbranch_execz .LBB31_173
; %bb.172:
	buffer_load_dword v66, off, s[0:3], 0 offset:104
	buffer_load_dword v67, off, s[0:3], 0 offset:108
	s_waitcnt vmcnt(0)
	ds_write_b64 v1, v[66:67]
	buffer_store_dword v70, off, s[0:3], 0 offset:104
	buffer_store_dword v70, off, s[0:3], 0 offset:108
.LBB31_173:
	s_or_b64 exec, exec, s[4:5]
	s_waitcnt lgkmcnt(0)
	; wave barrier
	s_waitcnt lgkmcnt(0)
	buffer_load_dword v66, off, s[0:3], 0 offset:104
	buffer_load_dword v67, off, s[0:3], 0 offset:108
	buffer_load_dword v68, off, s[0:3], 0 offset:112
	buffer_load_dword v69, off, s[0:3], 0 offset:116
	buffer_load_dword v88, off, s[0:3], 0 offset:120
	buffer_load_dword v89, off, s[0:3], 0 offset:124
	buffer_load_dword v90, off, s[0:3], 0 offset:128
	buffer_load_dword v91, off, s[0:3], 0 offset:132
	buffer_load_dword v92, off, s[0:3], 0 offset:136
	buffer_load_dword v93, off, s[0:3], 0 offset:140
	buffer_load_dword v94, off, s[0:3], 0 offset:144
	buffer_load_dword v95, off, s[0:3], 0 offset:148
	buffer_load_dword v96, off, s[0:3], 0 offset:152
	buffer_load_dword v97, off, s[0:3], 0 offset:156
	buffer_load_dword v98, off, s[0:3], 0 offset:160
	buffer_load_dword v99, off, s[0:3], 0 offset:164
	ds_read_b128 v[72:75], v70 offset:368
	ds_read_b128 v[76:79], v70 offset:384
	;; [unrolled: 1-line block ×4, first 2 shown]
	v_cmp_lt_u32_e32 vcc, 12, v0
	s_waitcnt vmcnt(12) lgkmcnt(3)
	v_fma_f64 v[68:69], v[68:69], v[72:73], 0
	buffer_load_dword v73, off, s[0:3], 0 offset:172
	buffer_load_dword v72, off, s[0:3], 0 offset:168
	s_waitcnt vmcnt(12)
	v_fmac_f64_e32 v[68:69], v[88:89], v[74:75]
	s_waitcnt vmcnt(10) lgkmcnt(2)
	v_fmac_f64_e32 v[68:69], v[90:91], v[76:77]
	buffer_load_dword v77, off, s[0:3], 0 offset:180
	buffer_load_dword v76, off, s[0:3], 0 offset:176
	s_waitcnt vmcnt(10)
	v_fmac_f64_e32 v[68:69], v[92:93], v[78:79]
	s_waitcnt vmcnt(8) lgkmcnt(1)
	v_fmac_f64_e32 v[68:69], v[94:95], v[80:81]
	s_waitcnt vmcnt(6)
	v_fmac_f64_e32 v[68:69], v[96:97], v[82:83]
	s_waitcnt vmcnt(4) lgkmcnt(0)
	v_fmac_f64_e32 v[68:69], v[98:99], v[84:85]
	s_waitcnt vmcnt(2)
	v_fmac_f64_e32 v[68:69], v[72:73], v[86:87]
	ds_read_b128 v[72:75], v70 offset:432
	s_waitcnt vmcnt(0) lgkmcnt(0)
	v_fmac_f64_e32 v[68:69], v[76:77], v[72:73]
	buffer_load_dword v73, off, s[0:3], 0 offset:188
	buffer_load_dword v72, off, s[0:3], 0 offset:184
	buffer_load_dword v77, off, s[0:3], 0 offset:196
	buffer_load_dword v76, off, s[0:3], 0 offset:192
	s_waitcnt vmcnt(2)
	v_fmac_f64_e32 v[68:69], v[72:73], v[74:75]
	ds_read_b128 v[72:75], v70 offset:448
	s_waitcnt vmcnt(0) lgkmcnt(0)
	v_fmac_f64_e32 v[68:69], v[76:77], v[72:73]
	buffer_load_dword v73, off, s[0:3], 0 offset:204
	buffer_load_dword v72, off, s[0:3], 0 offset:200
	buffer_load_dword v77, off, s[0:3], 0 offset:212
	buffer_load_dword v76, off, s[0:3], 0 offset:208
	s_waitcnt vmcnt(2)
	v_fmac_f64_e32 v[68:69], v[72:73], v[74:75]
	ds_read_b128 v[72:75], v70 offset:464
	s_waitcnt vmcnt(0) lgkmcnt(0)
	v_fmac_f64_e32 v[68:69], v[76:77], v[72:73]
	buffer_load_dword v73, off, s[0:3], 0 offset:220
	buffer_load_dword v72, off, s[0:3], 0 offset:216
	buffer_load_dword v77, off, s[0:3], 0 offset:228
	buffer_load_dword v76, off, s[0:3], 0 offset:224
	s_waitcnt vmcnt(2)
	v_fmac_f64_e32 v[68:69], v[72:73], v[74:75]
	ds_read_b128 v[72:75], v70 offset:480
	s_waitcnt vmcnt(0) lgkmcnt(0)
	v_fmac_f64_e32 v[68:69], v[76:77], v[72:73]
	buffer_load_dword v73, off, s[0:3], 0 offset:236
	buffer_load_dword v72, off, s[0:3], 0 offset:232
	s_waitcnt vmcnt(0)
	v_fmac_f64_e32 v[68:69], v[72:73], v[74:75]
	buffer_load_dword v75, off, s[0:3], 0 offset:244
	buffer_load_dword v74, off, s[0:3], 0 offset:240
	ds_read_b128 v[70:73], v70 offset:496
	s_waitcnt vmcnt(0) lgkmcnt(0)
	v_fmac_f64_e32 v[68:69], v[74:75], v[70:71]
	buffer_load_dword v71, off, s[0:3], 0 offset:252
	buffer_load_dword v70, off, s[0:3], 0 offset:248
	s_waitcnt vmcnt(0)
	v_fmac_f64_e32 v[68:69], v[70:71], v[72:73]
	v_add_f64 v[66:67], v[66:67], -v[68:69]
	buffer_store_dword v67, off, s[0:3], 0 offset:108
	buffer_store_dword v66, off, s[0:3], 0 offset:104
	s_and_saveexec_b64 s[4:5], vcc
	s_cbranch_execz .LBB31_175
; %bb.174:
	buffer_load_dword v66, off, s[0:3], 0 offset:96
	buffer_load_dword v67, off, s[0:3], 0 offset:100
	v_mov_b32_e32 v68, 0
	buffer_store_dword v68, off, s[0:3], 0 offset:96
	buffer_store_dword v68, off, s[0:3], 0 offset:100
	s_waitcnt vmcnt(2)
	ds_write_b64 v1, v[66:67]
.LBB31_175:
	s_or_b64 exec, exec, s[4:5]
	s_waitcnt lgkmcnt(0)
	; wave barrier
	s_waitcnt lgkmcnt(0)
	buffer_load_dword v66, off, s[0:3], 0 offset:96
	buffer_load_dword v67, off, s[0:3], 0 offset:100
	;; [unrolled: 1-line block ×16, first 2 shown]
	v_mov_b32_e32 v70, 0
	ds_read2_b64 v[72:75], v70 offset0:45 offset1:46
	v_cmp_lt_u32_e32 vcc, 11, v0
	s_waitcnt vmcnt(12) lgkmcnt(0)
	v_fma_f64 v[68:69], v[68:69], v[72:73], 0
	s_waitcnt vmcnt(10)
	v_fmac_f64_e32 v[68:69], v[76:77], v[74:75]
	ds_read2_b64 v[72:75], v70 offset0:47 offset1:48
	s_waitcnt vmcnt(8) lgkmcnt(0)
	v_fmac_f64_e32 v[68:69], v[78:79], v[72:73]
	s_waitcnt vmcnt(6)
	v_fmac_f64_e32 v[68:69], v[80:81], v[74:75]
	ds_read2_b64 v[72:75], v70 offset0:49 offset1:50
	s_waitcnt vmcnt(4) lgkmcnt(0)
	v_fmac_f64_e32 v[68:69], v[82:83], v[72:73]
	;; [unrolled: 5-line block ×3, first 2 shown]
	buffer_load_dword v73, off, s[0:3], 0 offset:164
	buffer_load_dword v72, off, s[0:3], 0 offset:160
	buffer_load_dword v77, off, s[0:3], 0 offset:172
	buffer_load_dword v76, off, s[0:3], 0 offset:168
	s_waitcnt vmcnt(2)
	v_fmac_f64_e32 v[68:69], v[72:73], v[74:75]
	ds_read2_b64 v[72:75], v70 offset0:53 offset1:54
	s_waitcnt vmcnt(0) lgkmcnt(0)
	v_fmac_f64_e32 v[68:69], v[76:77], v[72:73]
	buffer_load_dword v73, off, s[0:3], 0 offset:180
	buffer_load_dword v72, off, s[0:3], 0 offset:176
	buffer_load_dword v77, off, s[0:3], 0 offset:188
	buffer_load_dword v76, off, s[0:3], 0 offset:184
	s_waitcnt vmcnt(2)
	v_fmac_f64_e32 v[68:69], v[72:73], v[74:75]
	ds_read2_b64 v[72:75], v70 offset0:55 offset1:56
	s_waitcnt vmcnt(0) lgkmcnt(0)
	v_fmac_f64_e32 v[68:69], v[76:77], v[72:73]
	;; [unrolled: 9-line block ×5, first 2 shown]
	buffer_load_dword v73, off, s[0:3], 0 offset:244
	buffer_load_dword v72, off, s[0:3], 0 offset:240
	s_waitcnt vmcnt(0)
	v_fmac_f64_e32 v[68:69], v[72:73], v[74:75]
	buffer_load_dword v73, off, s[0:3], 0 offset:252
	buffer_load_dword v72, off, s[0:3], 0 offset:248
	ds_read_b64 v[74:75], v70 offset:504
	s_waitcnt vmcnt(0) lgkmcnt(0)
	v_fmac_f64_e32 v[68:69], v[72:73], v[74:75]
	v_add_f64 v[66:67], v[66:67], -v[68:69]
	buffer_store_dword v67, off, s[0:3], 0 offset:100
	buffer_store_dword v66, off, s[0:3], 0 offset:96
	s_and_saveexec_b64 s[4:5], vcc
	s_cbranch_execz .LBB31_177
; %bb.176:
	buffer_load_dword v66, off, s[0:3], 0 offset:88
	buffer_load_dword v67, off, s[0:3], 0 offset:92
	s_waitcnt vmcnt(0)
	ds_write_b64 v1, v[66:67]
	buffer_store_dword v70, off, s[0:3], 0 offset:88
	buffer_store_dword v70, off, s[0:3], 0 offset:92
.LBB31_177:
	s_or_b64 exec, exec, s[4:5]
	s_waitcnt lgkmcnt(0)
	; wave barrier
	s_waitcnt lgkmcnt(0)
	buffer_load_dword v66, off, s[0:3], 0 offset:88
	buffer_load_dword v67, off, s[0:3], 0 offset:92
	;; [unrolled: 1-line block ×16, first 2 shown]
	ds_read_b128 v[72:75], v70 offset:352
	ds_read_b128 v[76:79], v70 offset:368
	;; [unrolled: 1-line block ×4, first 2 shown]
	v_cmp_lt_u32_e32 vcc, 10, v0
	s_waitcnt vmcnt(12) lgkmcnt(3)
	v_fma_f64 v[68:69], v[68:69], v[72:73], 0
	buffer_load_dword v73, off, s[0:3], 0 offset:156
	buffer_load_dword v72, off, s[0:3], 0 offset:152
	s_waitcnt vmcnt(12)
	v_fmac_f64_e32 v[68:69], v[88:89], v[74:75]
	s_waitcnt vmcnt(10) lgkmcnt(2)
	v_fmac_f64_e32 v[68:69], v[90:91], v[76:77]
	buffer_load_dword v77, off, s[0:3], 0 offset:164
	buffer_load_dword v76, off, s[0:3], 0 offset:160
	s_waitcnt vmcnt(10)
	v_fmac_f64_e32 v[68:69], v[92:93], v[78:79]
	s_waitcnt vmcnt(8) lgkmcnt(1)
	v_fmac_f64_e32 v[68:69], v[94:95], v[80:81]
	s_waitcnt vmcnt(6)
	v_fmac_f64_e32 v[68:69], v[96:97], v[82:83]
	s_waitcnt vmcnt(4) lgkmcnt(0)
	v_fmac_f64_e32 v[68:69], v[98:99], v[84:85]
	s_waitcnt vmcnt(2)
	v_fmac_f64_e32 v[68:69], v[72:73], v[86:87]
	ds_read_b128 v[72:75], v70 offset:416
	s_waitcnt vmcnt(0) lgkmcnt(0)
	v_fmac_f64_e32 v[68:69], v[76:77], v[72:73]
	buffer_load_dword v73, off, s[0:3], 0 offset:172
	buffer_load_dword v72, off, s[0:3], 0 offset:168
	buffer_load_dword v77, off, s[0:3], 0 offset:180
	buffer_load_dword v76, off, s[0:3], 0 offset:176
	s_waitcnt vmcnt(2)
	v_fmac_f64_e32 v[68:69], v[72:73], v[74:75]
	ds_read_b128 v[72:75], v70 offset:432
	s_waitcnt vmcnt(0) lgkmcnt(0)
	v_fmac_f64_e32 v[68:69], v[76:77], v[72:73]
	buffer_load_dword v73, off, s[0:3], 0 offset:188
	buffer_load_dword v72, off, s[0:3], 0 offset:184
	buffer_load_dword v77, off, s[0:3], 0 offset:196
	buffer_load_dword v76, off, s[0:3], 0 offset:192
	;; [unrolled: 9-line block ×4, first 2 shown]
	s_waitcnt vmcnt(2)
	v_fmac_f64_e32 v[68:69], v[72:73], v[74:75]
	ds_read_b128 v[72:75], v70 offset:480
	s_waitcnt vmcnt(0) lgkmcnt(0)
	v_fmac_f64_e32 v[68:69], v[76:77], v[72:73]
	buffer_load_dword v73, off, s[0:3], 0 offset:236
	buffer_load_dword v72, off, s[0:3], 0 offset:232
	s_waitcnt vmcnt(0)
	v_fmac_f64_e32 v[68:69], v[72:73], v[74:75]
	buffer_load_dword v75, off, s[0:3], 0 offset:244
	buffer_load_dword v74, off, s[0:3], 0 offset:240
	ds_read_b128 v[70:73], v70 offset:496
	s_waitcnt vmcnt(0) lgkmcnt(0)
	v_fmac_f64_e32 v[68:69], v[74:75], v[70:71]
	buffer_load_dword v71, off, s[0:3], 0 offset:252
	buffer_load_dword v70, off, s[0:3], 0 offset:248
	s_waitcnt vmcnt(0)
	v_fmac_f64_e32 v[68:69], v[70:71], v[72:73]
	v_add_f64 v[66:67], v[66:67], -v[68:69]
	buffer_store_dword v67, off, s[0:3], 0 offset:92
	buffer_store_dword v66, off, s[0:3], 0 offset:88
	s_and_saveexec_b64 s[4:5], vcc
	s_cbranch_execz .LBB31_179
; %bb.178:
	buffer_load_dword v66, off, s[0:3], 0 offset:80
	buffer_load_dword v67, off, s[0:3], 0 offset:84
	v_mov_b32_e32 v68, 0
	buffer_store_dword v68, off, s[0:3], 0 offset:80
	buffer_store_dword v68, off, s[0:3], 0 offset:84
	s_waitcnt vmcnt(2)
	ds_write_b64 v1, v[66:67]
.LBB31_179:
	s_or_b64 exec, exec, s[4:5]
	s_waitcnt lgkmcnt(0)
	; wave barrier
	s_waitcnt lgkmcnt(0)
	buffer_load_dword v66, off, s[0:3], 0 offset:80
	buffer_load_dword v67, off, s[0:3], 0 offset:84
	;; [unrolled: 1-line block ×16, first 2 shown]
	v_mov_b32_e32 v70, 0
	ds_read2_b64 v[72:75], v70 offset0:43 offset1:44
	v_cmp_lt_u32_e32 vcc, 9, v0
	s_waitcnt vmcnt(12) lgkmcnt(0)
	v_fma_f64 v[68:69], v[68:69], v[72:73], 0
	s_waitcnt vmcnt(10)
	v_fmac_f64_e32 v[68:69], v[76:77], v[74:75]
	ds_read2_b64 v[72:75], v70 offset0:45 offset1:46
	s_waitcnt vmcnt(8) lgkmcnt(0)
	v_fmac_f64_e32 v[68:69], v[78:79], v[72:73]
	s_waitcnt vmcnt(6)
	v_fmac_f64_e32 v[68:69], v[80:81], v[74:75]
	ds_read2_b64 v[72:75], v70 offset0:47 offset1:48
	s_waitcnt vmcnt(4) lgkmcnt(0)
	v_fmac_f64_e32 v[68:69], v[82:83], v[72:73]
	;; [unrolled: 5-line block ×3, first 2 shown]
	buffer_load_dword v73, off, s[0:3], 0 offset:148
	buffer_load_dword v72, off, s[0:3], 0 offset:144
	buffer_load_dword v77, off, s[0:3], 0 offset:156
	buffer_load_dword v76, off, s[0:3], 0 offset:152
	s_waitcnt vmcnt(2)
	v_fmac_f64_e32 v[68:69], v[72:73], v[74:75]
	ds_read2_b64 v[72:75], v70 offset0:51 offset1:52
	s_waitcnt vmcnt(0) lgkmcnt(0)
	v_fmac_f64_e32 v[68:69], v[76:77], v[72:73]
	buffer_load_dword v73, off, s[0:3], 0 offset:164
	buffer_load_dword v72, off, s[0:3], 0 offset:160
	buffer_load_dword v77, off, s[0:3], 0 offset:172
	buffer_load_dword v76, off, s[0:3], 0 offset:168
	s_waitcnt vmcnt(2)
	v_fmac_f64_e32 v[68:69], v[72:73], v[74:75]
	ds_read2_b64 v[72:75], v70 offset0:53 offset1:54
	s_waitcnt vmcnt(0) lgkmcnt(0)
	v_fmac_f64_e32 v[68:69], v[76:77], v[72:73]
	;; [unrolled: 9-line block ×6, first 2 shown]
	buffer_load_dword v73, off, s[0:3], 0 offset:244
	buffer_load_dword v72, off, s[0:3], 0 offset:240
	s_waitcnt vmcnt(0)
	v_fmac_f64_e32 v[68:69], v[72:73], v[74:75]
	buffer_load_dword v73, off, s[0:3], 0 offset:252
	buffer_load_dword v72, off, s[0:3], 0 offset:248
	ds_read_b64 v[74:75], v70 offset:504
	s_waitcnt vmcnt(0) lgkmcnt(0)
	v_fmac_f64_e32 v[68:69], v[72:73], v[74:75]
	v_add_f64 v[66:67], v[66:67], -v[68:69]
	buffer_store_dword v67, off, s[0:3], 0 offset:84
	buffer_store_dword v66, off, s[0:3], 0 offset:80
	s_and_saveexec_b64 s[4:5], vcc
	s_cbranch_execz .LBB31_181
; %bb.180:
	buffer_load_dword v66, off, s[0:3], 0 offset:72
	buffer_load_dword v67, off, s[0:3], 0 offset:76
	s_waitcnt vmcnt(0)
	ds_write_b64 v1, v[66:67]
	buffer_store_dword v70, off, s[0:3], 0 offset:72
	buffer_store_dword v70, off, s[0:3], 0 offset:76
.LBB31_181:
	s_or_b64 exec, exec, s[4:5]
	s_waitcnt lgkmcnt(0)
	; wave barrier
	s_waitcnt lgkmcnt(0)
	buffer_load_dword v66, off, s[0:3], 0 offset:72
	buffer_load_dword v67, off, s[0:3], 0 offset:76
	;; [unrolled: 1-line block ×16, first 2 shown]
	ds_read_b128 v[72:75], v70 offset:336
	ds_read_b128 v[76:79], v70 offset:352
	;; [unrolled: 1-line block ×4, first 2 shown]
	v_cmp_lt_u32_e32 vcc, 8, v0
	s_waitcnt vmcnt(12) lgkmcnt(3)
	v_fma_f64 v[68:69], v[68:69], v[72:73], 0
	buffer_load_dword v73, off, s[0:3], 0 offset:140
	buffer_load_dword v72, off, s[0:3], 0 offset:136
	s_waitcnt vmcnt(12)
	v_fmac_f64_e32 v[68:69], v[88:89], v[74:75]
	s_waitcnt vmcnt(10) lgkmcnt(2)
	v_fmac_f64_e32 v[68:69], v[90:91], v[76:77]
	buffer_load_dword v77, off, s[0:3], 0 offset:148
	buffer_load_dword v76, off, s[0:3], 0 offset:144
	s_waitcnt vmcnt(10)
	v_fmac_f64_e32 v[68:69], v[92:93], v[78:79]
	s_waitcnt vmcnt(8) lgkmcnt(1)
	v_fmac_f64_e32 v[68:69], v[94:95], v[80:81]
	s_waitcnt vmcnt(6)
	v_fmac_f64_e32 v[68:69], v[96:97], v[82:83]
	s_waitcnt vmcnt(4) lgkmcnt(0)
	v_fmac_f64_e32 v[68:69], v[98:99], v[84:85]
	s_waitcnt vmcnt(2)
	v_fmac_f64_e32 v[68:69], v[72:73], v[86:87]
	ds_read_b128 v[72:75], v70 offset:400
	s_waitcnt vmcnt(0) lgkmcnt(0)
	v_fmac_f64_e32 v[68:69], v[76:77], v[72:73]
	buffer_load_dword v73, off, s[0:3], 0 offset:156
	buffer_load_dword v72, off, s[0:3], 0 offset:152
	buffer_load_dword v77, off, s[0:3], 0 offset:164
	buffer_load_dword v76, off, s[0:3], 0 offset:160
	s_waitcnt vmcnt(2)
	v_fmac_f64_e32 v[68:69], v[72:73], v[74:75]
	ds_read_b128 v[72:75], v70 offset:416
	s_waitcnt vmcnt(0) lgkmcnt(0)
	v_fmac_f64_e32 v[68:69], v[76:77], v[72:73]
	buffer_load_dword v73, off, s[0:3], 0 offset:172
	buffer_load_dword v72, off, s[0:3], 0 offset:168
	buffer_load_dword v77, off, s[0:3], 0 offset:180
	buffer_load_dword v76, off, s[0:3], 0 offset:176
	s_waitcnt vmcnt(2)
	v_fmac_f64_e32 v[68:69], v[72:73], v[74:75]
	ds_read_b128 v[72:75], v70 offset:432
	s_waitcnt vmcnt(0) lgkmcnt(0)
	v_fmac_f64_e32 v[68:69], v[76:77], v[72:73]
	buffer_load_dword v73, off, s[0:3], 0 offset:188
	buffer_load_dword v72, off, s[0:3], 0 offset:184
	buffer_load_dword v77, off, s[0:3], 0 offset:196
	buffer_load_dword v76, off, s[0:3], 0 offset:192
	s_waitcnt vmcnt(2)
	v_fmac_f64_e32 v[68:69], v[72:73], v[74:75]
	ds_read_b128 v[72:75], v70 offset:448
	s_waitcnt vmcnt(0) lgkmcnt(0)
	v_fmac_f64_e32 v[68:69], v[76:77], v[72:73]
	buffer_load_dword v73, off, s[0:3], 0 offset:204
	buffer_load_dword v72, off, s[0:3], 0 offset:200
	buffer_load_dword v77, off, s[0:3], 0 offset:212
	buffer_load_dword v76, off, s[0:3], 0 offset:208
	s_waitcnt vmcnt(2)
	v_fmac_f64_e32 v[68:69], v[72:73], v[74:75]
	ds_read_b128 v[72:75], v70 offset:464
	s_waitcnt vmcnt(0) lgkmcnt(0)
	v_fmac_f64_e32 v[68:69], v[76:77], v[72:73]
	buffer_load_dword v73, off, s[0:3], 0 offset:220
	buffer_load_dword v72, off, s[0:3], 0 offset:216
	buffer_load_dword v77, off, s[0:3], 0 offset:228
	buffer_load_dword v76, off, s[0:3], 0 offset:224
	s_waitcnt vmcnt(2)
	v_fmac_f64_e32 v[68:69], v[72:73], v[74:75]
	ds_read_b128 v[72:75], v70 offset:480
	s_waitcnt vmcnt(0) lgkmcnt(0)
	v_fmac_f64_e32 v[68:69], v[76:77], v[72:73]
	buffer_load_dword v73, off, s[0:3], 0 offset:236
	buffer_load_dword v72, off, s[0:3], 0 offset:232
	s_waitcnt vmcnt(0)
	v_fmac_f64_e32 v[68:69], v[72:73], v[74:75]
	buffer_load_dword v75, off, s[0:3], 0 offset:244
	buffer_load_dword v74, off, s[0:3], 0 offset:240
	ds_read_b128 v[70:73], v70 offset:496
	s_waitcnt vmcnt(0) lgkmcnt(0)
	v_fmac_f64_e32 v[68:69], v[74:75], v[70:71]
	buffer_load_dword v71, off, s[0:3], 0 offset:252
	buffer_load_dword v70, off, s[0:3], 0 offset:248
	s_waitcnt vmcnt(0)
	v_fmac_f64_e32 v[68:69], v[70:71], v[72:73]
	v_add_f64 v[66:67], v[66:67], -v[68:69]
	buffer_store_dword v67, off, s[0:3], 0 offset:76
	buffer_store_dword v66, off, s[0:3], 0 offset:72
	s_and_saveexec_b64 s[4:5], vcc
	s_cbranch_execz .LBB31_183
; %bb.182:
	buffer_load_dword v66, off, s[0:3], 0 offset:64
	buffer_load_dword v67, off, s[0:3], 0 offset:68
	v_mov_b32_e32 v68, 0
	buffer_store_dword v68, off, s[0:3], 0 offset:64
	buffer_store_dword v68, off, s[0:3], 0 offset:68
	s_waitcnt vmcnt(2)
	ds_write_b64 v1, v[66:67]
.LBB31_183:
	s_or_b64 exec, exec, s[4:5]
	s_waitcnt lgkmcnt(0)
	; wave barrier
	s_waitcnt lgkmcnt(0)
	buffer_load_dword v66, off, s[0:3], 0 offset:64
	buffer_load_dword v67, off, s[0:3], 0 offset:68
	;; [unrolled: 1-line block ×16, first 2 shown]
	v_mov_b32_e32 v70, 0
	ds_read2_b64 v[72:75], v70 offset0:41 offset1:42
	v_cmp_lt_u32_e32 vcc, 7, v0
	s_waitcnt vmcnt(12) lgkmcnt(0)
	v_fma_f64 v[68:69], v[68:69], v[72:73], 0
	s_waitcnt vmcnt(10)
	v_fmac_f64_e32 v[68:69], v[76:77], v[74:75]
	ds_read2_b64 v[72:75], v70 offset0:43 offset1:44
	s_waitcnt vmcnt(8) lgkmcnt(0)
	v_fmac_f64_e32 v[68:69], v[78:79], v[72:73]
	s_waitcnt vmcnt(6)
	v_fmac_f64_e32 v[68:69], v[80:81], v[74:75]
	ds_read2_b64 v[72:75], v70 offset0:45 offset1:46
	s_waitcnt vmcnt(4) lgkmcnt(0)
	v_fmac_f64_e32 v[68:69], v[82:83], v[72:73]
	s_waitcnt vmcnt(2)
	v_fmac_f64_e32 v[68:69], v[84:85], v[74:75]
	ds_read2_b64 v[72:75], v70 offset0:47 offset1:48
	s_waitcnt vmcnt(0) lgkmcnt(0)
	v_fmac_f64_e32 v[68:69], v[86:87], v[72:73]
	buffer_load_dword v73, off, s[0:3], 0 offset:132
	buffer_load_dword v72, off, s[0:3], 0 offset:128
	buffer_load_dword v77, off, s[0:3], 0 offset:140
	buffer_load_dword v76, off, s[0:3], 0 offset:136
	s_waitcnt vmcnt(2)
	v_fmac_f64_e32 v[68:69], v[72:73], v[74:75]
	ds_read2_b64 v[72:75], v70 offset0:49 offset1:50
	s_waitcnt vmcnt(0) lgkmcnt(0)
	v_fmac_f64_e32 v[68:69], v[76:77], v[72:73]
	buffer_load_dword v73, off, s[0:3], 0 offset:148
	buffer_load_dword v72, off, s[0:3], 0 offset:144
	buffer_load_dword v77, off, s[0:3], 0 offset:156
	buffer_load_dword v76, off, s[0:3], 0 offset:152
	s_waitcnt vmcnt(2)
	v_fmac_f64_e32 v[68:69], v[72:73], v[74:75]
	ds_read2_b64 v[72:75], v70 offset0:51 offset1:52
	s_waitcnt vmcnt(0) lgkmcnt(0)
	v_fmac_f64_e32 v[68:69], v[76:77], v[72:73]
	;; [unrolled: 9-line block ×7, first 2 shown]
	buffer_load_dword v73, off, s[0:3], 0 offset:244
	buffer_load_dword v72, off, s[0:3], 0 offset:240
	s_waitcnt vmcnt(0)
	v_fmac_f64_e32 v[68:69], v[72:73], v[74:75]
	buffer_load_dword v73, off, s[0:3], 0 offset:252
	buffer_load_dword v72, off, s[0:3], 0 offset:248
	ds_read_b64 v[74:75], v70 offset:504
	s_waitcnt vmcnt(0) lgkmcnt(0)
	v_fmac_f64_e32 v[68:69], v[72:73], v[74:75]
	v_add_f64 v[66:67], v[66:67], -v[68:69]
	buffer_store_dword v67, off, s[0:3], 0 offset:68
	buffer_store_dword v66, off, s[0:3], 0 offset:64
	s_and_saveexec_b64 s[4:5], vcc
	s_cbranch_execz .LBB31_185
; %bb.184:
	buffer_load_dword v66, off, s[0:3], 0 offset:56
	buffer_load_dword v67, off, s[0:3], 0 offset:60
	s_waitcnt vmcnt(0)
	ds_write_b64 v1, v[66:67]
	buffer_store_dword v70, off, s[0:3], 0 offset:56
	buffer_store_dword v70, off, s[0:3], 0 offset:60
.LBB31_185:
	s_or_b64 exec, exec, s[4:5]
	s_waitcnt lgkmcnt(0)
	; wave barrier
	s_waitcnt lgkmcnt(0)
	buffer_load_dword v66, off, s[0:3], 0 offset:56
	buffer_load_dword v67, off, s[0:3], 0 offset:60
	;; [unrolled: 1-line block ×16, first 2 shown]
	ds_read_b128 v[72:75], v70 offset:320
	ds_read_b128 v[76:79], v70 offset:336
	;; [unrolled: 1-line block ×4, first 2 shown]
	v_cmp_lt_u32_e32 vcc, 6, v0
	s_waitcnt vmcnt(12) lgkmcnt(3)
	v_fma_f64 v[68:69], v[68:69], v[72:73], 0
	buffer_load_dword v73, off, s[0:3], 0 offset:124
	buffer_load_dword v72, off, s[0:3], 0 offset:120
	s_waitcnt vmcnt(12)
	v_fmac_f64_e32 v[68:69], v[88:89], v[74:75]
	s_waitcnt vmcnt(10) lgkmcnt(2)
	v_fmac_f64_e32 v[68:69], v[90:91], v[76:77]
	buffer_load_dword v77, off, s[0:3], 0 offset:132
	buffer_load_dword v76, off, s[0:3], 0 offset:128
	s_waitcnt vmcnt(10)
	v_fmac_f64_e32 v[68:69], v[92:93], v[78:79]
	s_waitcnt vmcnt(8) lgkmcnt(1)
	v_fmac_f64_e32 v[68:69], v[94:95], v[80:81]
	s_waitcnt vmcnt(6)
	v_fmac_f64_e32 v[68:69], v[96:97], v[82:83]
	s_waitcnt vmcnt(4) lgkmcnt(0)
	v_fmac_f64_e32 v[68:69], v[98:99], v[84:85]
	s_waitcnt vmcnt(2)
	v_fmac_f64_e32 v[68:69], v[72:73], v[86:87]
	ds_read_b128 v[72:75], v70 offset:384
	s_waitcnt vmcnt(0) lgkmcnt(0)
	v_fmac_f64_e32 v[68:69], v[76:77], v[72:73]
	buffer_load_dword v73, off, s[0:3], 0 offset:140
	buffer_load_dword v72, off, s[0:3], 0 offset:136
	buffer_load_dword v77, off, s[0:3], 0 offset:148
	buffer_load_dword v76, off, s[0:3], 0 offset:144
	s_waitcnt vmcnt(2)
	v_fmac_f64_e32 v[68:69], v[72:73], v[74:75]
	ds_read_b128 v[72:75], v70 offset:400
	s_waitcnt vmcnt(0) lgkmcnt(0)
	v_fmac_f64_e32 v[68:69], v[76:77], v[72:73]
	buffer_load_dword v73, off, s[0:3], 0 offset:156
	buffer_load_dword v72, off, s[0:3], 0 offset:152
	buffer_load_dword v77, off, s[0:3], 0 offset:164
	buffer_load_dword v76, off, s[0:3], 0 offset:160
	;; [unrolled: 9-line block ×6, first 2 shown]
	s_waitcnt vmcnt(2)
	v_fmac_f64_e32 v[68:69], v[72:73], v[74:75]
	ds_read_b128 v[72:75], v70 offset:480
	s_waitcnt vmcnt(0) lgkmcnt(0)
	v_fmac_f64_e32 v[68:69], v[76:77], v[72:73]
	buffer_load_dword v73, off, s[0:3], 0 offset:236
	buffer_load_dword v72, off, s[0:3], 0 offset:232
	s_waitcnt vmcnt(0)
	v_fmac_f64_e32 v[68:69], v[72:73], v[74:75]
	buffer_load_dword v75, off, s[0:3], 0 offset:244
	buffer_load_dword v74, off, s[0:3], 0 offset:240
	ds_read_b128 v[70:73], v70 offset:496
	s_waitcnt vmcnt(0) lgkmcnt(0)
	v_fmac_f64_e32 v[68:69], v[74:75], v[70:71]
	buffer_load_dword v71, off, s[0:3], 0 offset:252
	buffer_load_dword v70, off, s[0:3], 0 offset:248
	s_waitcnt vmcnt(0)
	v_fmac_f64_e32 v[68:69], v[70:71], v[72:73]
	v_add_f64 v[66:67], v[66:67], -v[68:69]
	buffer_store_dword v67, off, s[0:3], 0 offset:60
	buffer_store_dword v66, off, s[0:3], 0 offset:56
	s_and_saveexec_b64 s[4:5], vcc
	s_cbranch_execz .LBB31_187
; %bb.186:
	buffer_load_dword v66, off, s[0:3], 0 offset:48
	buffer_load_dword v67, off, s[0:3], 0 offset:52
	v_mov_b32_e32 v68, 0
	buffer_store_dword v68, off, s[0:3], 0 offset:48
	buffer_store_dword v68, off, s[0:3], 0 offset:52
	s_waitcnt vmcnt(2)
	ds_write_b64 v1, v[66:67]
.LBB31_187:
	s_or_b64 exec, exec, s[4:5]
	s_waitcnt lgkmcnt(0)
	; wave barrier
	s_waitcnt lgkmcnt(0)
	buffer_load_dword v66, off, s[0:3], 0 offset:48
	buffer_load_dword v67, off, s[0:3], 0 offset:52
	;; [unrolled: 1-line block ×16, first 2 shown]
	v_mov_b32_e32 v70, 0
	ds_read2_b64 v[72:75], v70 offset0:39 offset1:40
	v_cmp_lt_u32_e32 vcc, 5, v0
	s_waitcnt vmcnt(12) lgkmcnt(0)
	v_fma_f64 v[68:69], v[68:69], v[72:73], 0
	s_waitcnt vmcnt(10)
	v_fmac_f64_e32 v[68:69], v[76:77], v[74:75]
	ds_read2_b64 v[72:75], v70 offset0:41 offset1:42
	s_waitcnt vmcnt(8) lgkmcnt(0)
	v_fmac_f64_e32 v[68:69], v[78:79], v[72:73]
	s_waitcnt vmcnt(6)
	v_fmac_f64_e32 v[68:69], v[80:81], v[74:75]
	ds_read2_b64 v[72:75], v70 offset0:43 offset1:44
	s_waitcnt vmcnt(4) lgkmcnt(0)
	v_fmac_f64_e32 v[68:69], v[82:83], v[72:73]
	;; [unrolled: 5-line block ×3, first 2 shown]
	buffer_load_dword v73, off, s[0:3], 0 offset:116
	buffer_load_dword v72, off, s[0:3], 0 offset:112
	buffer_load_dword v77, off, s[0:3], 0 offset:124
	buffer_load_dword v76, off, s[0:3], 0 offset:120
	s_waitcnt vmcnt(2)
	v_fmac_f64_e32 v[68:69], v[72:73], v[74:75]
	ds_read2_b64 v[72:75], v70 offset0:47 offset1:48
	s_waitcnt vmcnt(0) lgkmcnt(0)
	v_fmac_f64_e32 v[68:69], v[76:77], v[72:73]
	buffer_load_dword v73, off, s[0:3], 0 offset:132
	buffer_load_dword v72, off, s[0:3], 0 offset:128
	buffer_load_dword v77, off, s[0:3], 0 offset:140
	buffer_load_dword v76, off, s[0:3], 0 offset:136
	s_waitcnt vmcnt(2)
	v_fmac_f64_e32 v[68:69], v[72:73], v[74:75]
	ds_read2_b64 v[72:75], v70 offset0:49 offset1:50
	s_waitcnt vmcnt(0) lgkmcnt(0)
	v_fmac_f64_e32 v[68:69], v[76:77], v[72:73]
	;; [unrolled: 9-line block ×8, first 2 shown]
	buffer_load_dword v73, off, s[0:3], 0 offset:244
	buffer_load_dword v72, off, s[0:3], 0 offset:240
	s_waitcnt vmcnt(0)
	v_fmac_f64_e32 v[68:69], v[72:73], v[74:75]
	buffer_load_dword v73, off, s[0:3], 0 offset:252
	buffer_load_dword v72, off, s[0:3], 0 offset:248
	ds_read_b64 v[74:75], v70 offset:504
	s_waitcnt vmcnt(0) lgkmcnt(0)
	v_fmac_f64_e32 v[68:69], v[72:73], v[74:75]
	v_add_f64 v[66:67], v[66:67], -v[68:69]
	buffer_store_dword v67, off, s[0:3], 0 offset:52
	buffer_store_dword v66, off, s[0:3], 0 offset:48
	s_and_saveexec_b64 s[4:5], vcc
	s_cbranch_execz .LBB31_189
; %bb.188:
	buffer_load_dword v66, off, s[0:3], 0 offset:40
	buffer_load_dword v67, off, s[0:3], 0 offset:44
	s_waitcnt vmcnt(0)
	ds_write_b64 v1, v[66:67]
	buffer_store_dword v70, off, s[0:3], 0 offset:40
	buffer_store_dword v70, off, s[0:3], 0 offset:44
.LBB31_189:
	s_or_b64 exec, exec, s[4:5]
	s_waitcnt lgkmcnt(0)
	; wave barrier
	s_waitcnt lgkmcnt(0)
	buffer_load_dword v66, off, s[0:3], 0 offset:40
	buffer_load_dword v67, off, s[0:3], 0 offset:44
	;; [unrolled: 1-line block ×16, first 2 shown]
	ds_read_b128 v[72:75], v70 offset:304
	ds_read_b128 v[76:79], v70 offset:320
	;; [unrolled: 1-line block ×4, first 2 shown]
	v_cmp_lt_u32_e32 vcc, 4, v0
	s_waitcnt vmcnt(12) lgkmcnt(3)
	v_fma_f64 v[68:69], v[68:69], v[72:73], 0
	buffer_load_dword v73, off, s[0:3], 0 offset:108
	buffer_load_dword v72, off, s[0:3], 0 offset:104
	s_waitcnt vmcnt(12)
	v_fmac_f64_e32 v[68:69], v[88:89], v[74:75]
	s_waitcnt vmcnt(10) lgkmcnt(2)
	v_fmac_f64_e32 v[68:69], v[90:91], v[76:77]
	buffer_load_dword v77, off, s[0:3], 0 offset:116
	buffer_load_dword v76, off, s[0:3], 0 offset:112
	s_waitcnt vmcnt(10)
	v_fmac_f64_e32 v[68:69], v[92:93], v[78:79]
	s_waitcnt vmcnt(8) lgkmcnt(1)
	v_fmac_f64_e32 v[68:69], v[94:95], v[80:81]
	s_waitcnt vmcnt(6)
	v_fmac_f64_e32 v[68:69], v[96:97], v[82:83]
	s_waitcnt vmcnt(4) lgkmcnt(0)
	v_fmac_f64_e32 v[68:69], v[98:99], v[84:85]
	s_waitcnt vmcnt(2)
	v_fmac_f64_e32 v[68:69], v[72:73], v[86:87]
	ds_read_b128 v[72:75], v70 offset:368
	s_waitcnt vmcnt(0) lgkmcnt(0)
	v_fmac_f64_e32 v[68:69], v[76:77], v[72:73]
	buffer_load_dword v73, off, s[0:3], 0 offset:124
	buffer_load_dword v72, off, s[0:3], 0 offset:120
	buffer_load_dword v77, off, s[0:3], 0 offset:132
	buffer_load_dword v76, off, s[0:3], 0 offset:128
	s_waitcnt vmcnt(2)
	v_fmac_f64_e32 v[68:69], v[72:73], v[74:75]
	ds_read_b128 v[72:75], v70 offset:384
	s_waitcnt vmcnt(0) lgkmcnt(0)
	v_fmac_f64_e32 v[68:69], v[76:77], v[72:73]
	buffer_load_dword v73, off, s[0:3], 0 offset:140
	buffer_load_dword v72, off, s[0:3], 0 offset:136
	buffer_load_dword v77, off, s[0:3], 0 offset:148
	buffer_load_dword v76, off, s[0:3], 0 offset:144
	;; [unrolled: 9-line block ×7, first 2 shown]
	s_waitcnt vmcnt(2)
	v_fmac_f64_e32 v[68:69], v[72:73], v[74:75]
	ds_read_b128 v[72:75], v70 offset:480
	s_waitcnt vmcnt(0) lgkmcnt(0)
	v_fmac_f64_e32 v[68:69], v[76:77], v[72:73]
	buffer_load_dword v73, off, s[0:3], 0 offset:236
	buffer_load_dword v72, off, s[0:3], 0 offset:232
	s_waitcnt vmcnt(0)
	v_fmac_f64_e32 v[68:69], v[72:73], v[74:75]
	buffer_load_dword v75, off, s[0:3], 0 offset:244
	buffer_load_dword v74, off, s[0:3], 0 offset:240
	ds_read_b128 v[70:73], v70 offset:496
	s_waitcnt vmcnt(0) lgkmcnt(0)
	v_fmac_f64_e32 v[68:69], v[74:75], v[70:71]
	buffer_load_dword v71, off, s[0:3], 0 offset:252
	buffer_load_dword v70, off, s[0:3], 0 offset:248
	s_waitcnt vmcnt(0)
	v_fmac_f64_e32 v[68:69], v[70:71], v[72:73]
	v_add_f64 v[66:67], v[66:67], -v[68:69]
	buffer_store_dword v67, off, s[0:3], 0 offset:44
	buffer_store_dword v66, off, s[0:3], 0 offset:40
	s_and_saveexec_b64 s[4:5], vcc
	s_cbranch_execz .LBB31_191
; %bb.190:
	buffer_load_dword v66, off, s[0:3], 0 offset:32
	buffer_load_dword v67, off, s[0:3], 0 offset:36
	v_mov_b32_e32 v68, 0
	buffer_store_dword v68, off, s[0:3], 0 offset:32
	buffer_store_dword v68, off, s[0:3], 0 offset:36
	s_waitcnt vmcnt(2)
	ds_write_b64 v1, v[66:67]
.LBB31_191:
	s_or_b64 exec, exec, s[4:5]
	s_waitcnt lgkmcnt(0)
	; wave barrier
	s_waitcnt lgkmcnt(0)
	buffer_load_dword v66, off, s[0:3], 0 offset:32
	buffer_load_dword v67, off, s[0:3], 0 offset:36
	;; [unrolled: 1-line block ×16, first 2 shown]
	v_mov_b32_e32 v70, 0
	ds_read2_b64 v[72:75], v70 offset0:37 offset1:38
	v_cmp_lt_u32_e32 vcc, 3, v0
	s_waitcnt vmcnt(12) lgkmcnt(0)
	v_fma_f64 v[68:69], v[68:69], v[72:73], 0
	s_waitcnt vmcnt(10)
	v_fmac_f64_e32 v[68:69], v[76:77], v[74:75]
	ds_read2_b64 v[72:75], v70 offset0:39 offset1:40
	s_waitcnt vmcnt(8) lgkmcnt(0)
	v_fmac_f64_e32 v[68:69], v[78:79], v[72:73]
	s_waitcnt vmcnt(6)
	v_fmac_f64_e32 v[68:69], v[80:81], v[74:75]
	ds_read2_b64 v[72:75], v70 offset0:41 offset1:42
	s_waitcnt vmcnt(4) lgkmcnt(0)
	v_fmac_f64_e32 v[68:69], v[82:83], v[72:73]
	;; [unrolled: 5-line block ×3, first 2 shown]
	buffer_load_dword v73, off, s[0:3], 0 offset:100
	buffer_load_dword v72, off, s[0:3], 0 offset:96
	buffer_load_dword v77, off, s[0:3], 0 offset:108
	buffer_load_dword v76, off, s[0:3], 0 offset:104
	s_waitcnt vmcnt(2)
	v_fmac_f64_e32 v[68:69], v[72:73], v[74:75]
	ds_read2_b64 v[72:75], v70 offset0:45 offset1:46
	s_waitcnt vmcnt(0) lgkmcnt(0)
	v_fmac_f64_e32 v[68:69], v[76:77], v[72:73]
	buffer_load_dword v73, off, s[0:3], 0 offset:116
	buffer_load_dword v72, off, s[0:3], 0 offset:112
	buffer_load_dword v77, off, s[0:3], 0 offset:124
	buffer_load_dword v76, off, s[0:3], 0 offset:120
	s_waitcnt vmcnt(2)
	v_fmac_f64_e32 v[68:69], v[72:73], v[74:75]
	ds_read2_b64 v[72:75], v70 offset0:47 offset1:48
	s_waitcnt vmcnt(0) lgkmcnt(0)
	v_fmac_f64_e32 v[68:69], v[76:77], v[72:73]
	;; [unrolled: 9-line block ×9, first 2 shown]
	buffer_load_dword v73, off, s[0:3], 0 offset:244
	buffer_load_dword v72, off, s[0:3], 0 offset:240
	s_waitcnt vmcnt(0)
	v_fmac_f64_e32 v[68:69], v[72:73], v[74:75]
	buffer_load_dword v73, off, s[0:3], 0 offset:252
	buffer_load_dword v72, off, s[0:3], 0 offset:248
	ds_read_b64 v[74:75], v70 offset:504
	s_waitcnt vmcnt(0) lgkmcnt(0)
	v_fmac_f64_e32 v[68:69], v[72:73], v[74:75]
	v_add_f64 v[66:67], v[66:67], -v[68:69]
	buffer_store_dword v67, off, s[0:3], 0 offset:36
	buffer_store_dword v66, off, s[0:3], 0 offset:32
	s_and_saveexec_b64 s[4:5], vcc
	s_cbranch_execz .LBB31_193
; %bb.192:
	buffer_load_dword v66, off, s[0:3], 0 offset:24
	buffer_load_dword v67, off, s[0:3], 0 offset:28
	s_waitcnt vmcnt(0)
	ds_write_b64 v1, v[66:67]
	buffer_store_dword v70, off, s[0:3], 0 offset:24
	buffer_store_dword v70, off, s[0:3], 0 offset:28
.LBB31_193:
	s_or_b64 exec, exec, s[4:5]
	s_waitcnt lgkmcnt(0)
	; wave barrier
	s_waitcnt lgkmcnt(0)
	buffer_load_dword v66, off, s[0:3], 0 offset:24
	buffer_load_dword v67, off, s[0:3], 0 offset:28
	buffer_load_dword v68, off, s[0:3], 0 offset:32
	buffer_load_dword v69, off, s[0:3], 0 offset:36
	buffer_load_dword v88, off, s[0:3], 0 offset:40
	buffer_load_dword v89, off, s[0:3], 0 offset:44
	buffer_load_dword v90, off, s[0:3], 0 offset:48
	buffer_load_dword v91, off, s[0:3], 0 offset:52
	buffer_load_dword v92, off, s[0:3], 0 offset:56
	buffer_load_dword v93, off, s[0:3], 0 offset:60
	buffer_load_dword v94, off, s[0:3], 0 offset:64
	buffer_load_dword v95, off, s[0:3], 0 offset:68
	buffer_load_dword v96, off, s[0:3], 0 offset:72
	buffer_load_dword v97, off, s[0:3], 0 offset:76
	buffer_load_dword v98, off, s[0:3], 0 offset:80
	buffer_load_dword v99, off, s[0:3], 0 offset:84
	ds_read_b128 v[72:75], v70 offset:288
	ds_read_b128 v[76:79], v70 offset:304
	;; [unrolled: 1-line block ×4, first 2 shown]
	v_cmp_lt_u32_e32 vcc, 2, v0
	s_waitcnt vmcnt(12) lgkmcnt(3)
	v_fma_f64 v[68:69], v[68:69], v[72:73], 0
	buffer_load_dword v73, off, s[0:3], 0 offset:92
	buffer_load_dword v72, off, s[0:3], 0 offset:88
	s_waitcnt vmcnt(12)
	v_fmac_f64_e32 v[68:69], v[88:89], v[74:75]
	s_waitcnt vmcnt(10) lgkmcnt(2)
	v_fmac_f64_e32 v[68:69], v[90:91], v[76:77]
	buffer_load_dword v77, off, s[0:3], 0 offset:100
	buffer_load_dword v76, off, s[0:3], 0 offset:96
	s_waitcnt vmcnt(10)
	v_fmac_f64_e32 v[68:69], v[92:93], v[78:79]
	s_waitcnt vmcnt(8) lgkmcnt(1)
	v_fmac_f64_e32 v[68:69], v[94:95], v[80:81]
	s_waitcnt vmcnt(6)
	v_fmac_f64_e32 v[68:69], v[96:97], v[82:83]
	s_waitcnt vmcnt(4) lgkmcnt(0)
	v_fmac_f64_e32 v[68:69], v[98:99], v[84:85]
	s_waitcnt vmcnt(2)
	v_fmac_f64_e32 v[68:69], v[72:73], v[86:87]
	ds_read_b128 v[72:75], v70 offset:352
	s_waitcnt vmcnt(0) lgkmcnt(0)
	v_fmac_f64_e32 v[68:69], v[76:77], v[72:73]
	buffer_load_dword v73, off, s[0:3], 0 offset:108
	buffer_load_dword v72, off, s[0:3], 0 offset:104
	buffer_load_dword v77, off, s[0:3], 0 offset:116
	buffer_load_dword v76, off, s[0:3], 0 offset:112
	s_waitcnt vmcnt(2)
	v_fmac_f64_e32 v[68:69], v[72:73], v[74:75]
	ds_read_b128 v[72:75], v70 offset:368
	s_waitcnt vmcnt(0) lgkmcnt(0)
	v_fmac_f64_e32 v[68:69], v[76:77], v[72:73]
	buffer_load_dword v73, off, s[0:3], 0 offset:124
	buffer_load_dword v72, off, s[0:3], 0 offset:120
	buffer_load_dword v77, off, s[0:3], 0 offset:132
	buffer_load_dword v76, off, s[0:3], 0 offset:128
	;; [unrolled: 9-line block ×8, first 2 shown]
	s_waitcnt vmcnt(2)
	v_fmac_f64_e32 v[68:69], v[72:73], v[74:75]
	ds_read_b128 v[72:75], v70 offset:480
	s_waitcnt vmcnt(0) lgkmcnt(0)
	v_fmac_f64_e32 v[68:69], v[76:77], v[72:73]
	buffer_load_dword v73, off, s[0:3], 0 offset:236
	buffer_load_dword v72, off, s[0:3], 0 offset:232
	s_waitcnt vmcnt(0)
	v_fmac_f64_e32 v[68:69], v[72:73], v[74:75]
	buffer_load_dword v75, off, s[0:3], 0 offset:244
	buffer_load_dword v74, off, s[0:3], 0 offset:240
	ds_read_b128 v[70:73], v70 offset:496
	s_waitcnt vmcnt(0) lgkmcnt(0)
	v_fmac_f64_e32 v[68:69], v[74:75], v[70:71]
	buffer_load_dword v71, off, s[0:3], 0 offset:252
	buffer_load_dword v70, off, s[0:3], 0 offset:248
	s_waitcnt vmcnt(0)
	v_fmac_f64_e32 v[68:69], v[70:71], v[72:73]
	v_add_f64 v[66:67], v[66:67], -v[68:69]
	buffer_store_dword v67, off, s[0:3], 0 offset:28
	buffer_store_dword v66, off, s[0:3], 0 offset:24
	s_and_saveexec_b64 s[4:5], vcc
	s_cbranch_execz .LBB31_195
; %bb.194:
	buffer_load_dword v66, off, s[0:3], 0 offset:16
	buffer_load_dword v67, off, s[0:3], 0 offset:20
	v_mov_b32_e32 v68, 0
	buffer_store_dword v68, off, s[0:3], 0 offset:16
	buffer_store_dword v68, off, s[0:3], 0 offset:20
	s_waitcnt vmcnt(2)
	ds_write_b64 v1, v[66:67]
.LBB31_195:
	s_or_b64 exec, exec, s[4:5]
	s_waitcnt lgkmcnt(0)
	; wave barrier
	s_waitcnt lgkmcnt(0)
	buffer_load_dword v66, off, s[0:3], 0 offset:16
	buffer_load_dword v67, off, s[0:3], 0 offset:20
	;; [unrolled: 1-line block ×16, first 2 shown]
	v_mov_b32_e32 v70, 0
	ds_read2_b64 v[72:75], v70 offset0:35 offset1:36
	v_cmp_lt_u32_e32 vcc, 1, v0
	s_waitcnt vmcnt(12) lgkmcnt(0)
	v_fma_f64 v[68:69], v[68:69], v[72:73], 0
	s_waitcnt vmcnt(10)
	v_fmac_f64_e32 v[68:69], v[76:77], v[74:75]
	ds_read2_b64 v[72:75], v70 offset0:37 offset1:38
	s_waitcnt vmcnt(8) lgkmcnt(0)
	v_fmac_f64_e32 v[68:69], v[78:79], v[72:73]
	s_waitcnt vmcnt(6)
	v_fmac_f64_e32 v[68:69], v[80:81], v[74:75]
	ds_read2_b64 v[72:75], v70 offset0:39 offset1:40
	s_waitcnt vmcnt(4) lgkmcnt(0)
	v_fmac_f64_e32 v[68:69], v[82:83], v[72:73]
	;; [unrolled: 5-line block ×3, first 2 shown]
	buffer_load_dword v73, off, s[0:3], 0 offset:84
	buffer_load_dword v72, off, s[0:3], 0 offset:80
	buffer_load_dword v77, off, s[0:3], 0 offset:92
	buffer_load_dword v76, off, s[0:3], 0 offset:88
	s_waitcnt vmcnt(2)
	v_fmac_f64_e32 v[68:69], v[72:73], v[74:75]
	ds_read2_b64 v[72:75], v70 offset0:43 offset1:44
	s_waitcnt vmcnt(0) lgkmcnt(0)
	v_fmac_f64_e32 v[68:69], v[76:77], v[72:73]
	buffer_load_dword v73, off, s[0:3], 0 offset:100
	buffer_load_dword v72, off, s[0:3], 0 offset:96
	buffer_load_dword v77, off, s[0:3], 0 offset:108
	buffer_load_dword v76, off, s[0:3], 0 offset:104
	s_waitcnt vmcnt(2)
	v_fmac_f64_e32 v[68:69], v[72:73], v[74:75]
	ds_read2_b64 v[72:75], v70 offset0:45 offset1:46
	s_waitcnt vmcnt(0) lgkmcnt(0)
	v_fmac_f64_e32 v[68:69], v[76:77], v[72:73]
	;; [unrolled: 9-line block ×10, first 2 shown]
	buffer_load_dword v73, off, s[0:3], 0 offset:244
	buffer_load_dword v72, off, s[0:3], 0 offset:240
	s_waitcnt vmcnt(0)
	v_fmac_f64_e32 v[68:69], v[72:73], v[74:75]
	buffer_load_dword v73, off, s[0:3], 0 offset:252
	buffer_load_dword v72, off, s[0:3], 0 offset:248
	ds_read_b64 v[74:75], v70 offset:504
	s_waitcnt vmcnt(0) lgkmcnt(0)
	v_fmac_f64_e32 v[68:69], v[72:73], v[74:75]
	v_add_f64 v[66:67], v[66:67], -v[68:69]
	buffer_store_dword v67, off, s[0:3], 0 offset:20
	buffer_store_dword v66, off, s[0:3], 0 offset:16
	s_and_saveexec_b64 s[4:5], vcc
	s_cbranch_execz .LBB31_197
; %bb.196:
	buffer_load_dword v66, off, s[0:3], 0 offset:8
	buffer_load_dword v67, off, s[0:3], 0 offset:12
	s_waitcnt vmcnt(0)
	ds_write_b64 v1, v[66:67]
	buffer_store_dword v70, off, s[0:3], 0 offset:8
	buffer_store_dword v70, off, s[0:3], 0 offset:12
.LBB31_197:
	s_or_b64 exec, exec, s[4:5]
	s_waitcnt lgkmcnt(0)
	; wave barrier
	s_waitcnt lgkmcnt(0)
	buffer_load_dword v66, off, s[0:3], 0 offset:8
	buffer_load_dword v67, off, s[0:3], 0 offset:12
	;; [unrolled: 1-line block ×16, first 2 shown]
	ds_read_b128 v[72:75], v70 offset:272
	ds_read_b128 v[76:79], v70 offset:288
	;; [unrolled: 1-line block ×4, first 2 shown]
	v_cmp_ne_u32_e32 vcc, 0, v0
	s_waitcnt vmcnt(12) lgkmcnt(3)
	v_fma_f64 v[68:69], v[68:69], v[72:73], 0
	buffer_load_dword v73, off, s[0:3], 0 offset:76
	buffer_load_dword v72, off, s[0:3], 0 offset:72
	s_waitcnt vmcnt(12)
	v_fmac_f64_e32 v[68:69], v[88:89], v[74:75]
	s_waitcnt vmcnt(10) lgkmcnt(2)
	v_fmac_f64_e32 v[68:69], v[90:91], v[76:77]
	buffer_load_dword v77, off, s[0:3], 0 offset:84
	buffer_load_dword v76, off, s[0:3], 0 offset:80
	s_waitcnt vmcnt(10)
	v_fmac_f64_e32 v[68:69], v[92:93], v[78:79]
	s_waitcnt vmcnt(8) lgkmcnt(1)
	v_fmac_f64_e32 v[68:69], v[94:95], v[80:81]
	s_waitcnt vmcnt(6)
	v_fmac_f64_e32 v[68:69], v[96:97], v[82:83]
	s_waitcnt vmcnt(4) lgkmcnt(0)
	v_fmac_f64_e32 v[68:69], v[98:99], v[84:85]
	s_waitcnt vmcnt(2)
	v_fmac_f64_e32 v[68:69], v[72:73], v[86:87]
	ds_read_b128 v[72:75], v70 offset:336
	s_waitcnt vmcnt(0) lgkmcnt(0)
	v_fmac_f64_e32 v[68:69], v[76:77], v[72:73]
	buffer_load_dword v73, off, s[0:3], 0 offset:92
	buffer_load_dword v72, off, s[0:3], 0 offset:88
	buffer_load_dword v77, off, s[0:3], 0 offset:100
	buffer_load_dword v76, off, s[0:3], 0 offset:96
	s_waitcnt vmcnt(2)
	v_fmac_f64_e32 v[68:69], v[72:73], v[74:75]
	ds_read_b128 v[72:75], v70 offset:352
	s_waitcnt vmcnt(0) lgkmcnt(0)
	v_fmac_f64_e32 v[68:69], v[76:77], v[72:73]
	buffer_load_dword v73, off, s[0:3], 0 offset:108
	buffer_load_dword v72, off, s[0:3], 0 offset:104
	buffer_load_dword v77, off, s[0:3], 0 offset:116
	buffer_load_dword v76, off, s[0:3], 0 offset:112
	;; [unrolled: 9-line block ×9, first 2 shown]
	s_waitcnt vmcnt(2)
	v_fmac_f64_e32 v[68:69], v[72:73], v[74:75]
	ds_read_b128 v[72:75], v70 offset:480
	s_waitcnt vmcnt(0) lgkmcnt(0)
	v_fmac_f64_e32 v[68:69], v[76:77], v[72:73]
	buffer_load_dword v73, off, s[0:3], 0 offset:236
	buffer_load_dword v72, off, s[0:3], 0 offset:232
	s_waitcnt vmcnt(0)
	v_fmac_f64_e32 v[68:69], v[72:73], v[74:75]
	buffer_load_dword v75, off, s[0:3], 0 offset:244
	buffer_load_dword v74, off, s[0:3], 0 offset:240
	ds_read_b128 v[70:73], v70 offset:496
	s_waitcnt vmcnt(0) lgkmcnt(0)
	v_fmac_f64_e32 v[68:69], v[74:75], v[70:71]
	buffer_load_dword v71, off, s[0:3], 0 offset:252
	buffer_load_dword v70, off, s[0:3], 0 offset:248
	s_waitcnt vmcnt(0)
	v_fmac_f64_e32 v[68:69], v[70:71], v[72:73]
	v_add_f64 v[66:67], v[66:67], -v[68:69]
	buffer_store_dword v67, off, s[0:3], 0 offset:12
	buffer_store_dword v66, off, s[0:3], 0 offset:8
	s_and_saveexec_b64 s[4:5], vcc
	s_cbranch_execz .LBB31_199
; %bb.198:
	buffer_load_dword v66, off, s[0:3], 0
	buffer_load_dword v67, off, s[0:3], 0 offset:4
	v_mov_b32_e32 v0, 0
	buffer_store_dword v0, off, s[0:3], 0
	buffer_store_dword v0, off, s[0:3], 0 offset:4
	s_waitcnt vmcnt(2)
	ds_write_b64 v1, v[66:67]
.LBB31_199:
	s_or_b64 exec, exec, s[4:5]
	s_waitcnt lgkmcnt(0)
	; wave barrier
	s_waitcnt lgkmcnt(0)
	buffer_load_dword v0, off, s[0:3], 0
	buffer_load_dword v1, off, s[0:3], 0 offset:4
	buffer_load_dword v70, off, s[0:3], 0 offset:8
	buffer_load_dword v71, off, s[0:3], 0 offset:12
	buffer_load_dword v72, off, s[0:3], 0 offset:16
	buffer_load_dword v73, off, s[0:3], 0 offset:20
	buffer_load_dword v74, off, s[0:3], 0 offset:24
	buffer_load_dword v75, off, s[0:3], 0 offset:28
	buffer_load_dword v76, off, s[0:3], 0 offset:32
	buffer_load_dword v77, off, s[0:3], 0 offset:36
	buffer_load_dword v78, off, s[0:3], 0 offset:40
	buffer_load_dword v79, off, s[0:3], 0 offset:44
	buffer_load_dword v80, off, s[0:3], 0 offset:48
	buffer_load_dword v81, off, s[0:3], 0 offset:52
	buffer_load_dword v82, off, s[0:3], 0 offset:56
	buffer_load_dword v83, off, s[0:3], 0 offset:60
	v_mov_b32_e32 v84, 0
	ds_read2_b64 v[66:69], v84 offset0:33 offset1:34
	s_and_b64 vcc, exec, s[20:21]
	s_waitcnt vmcnt(12) lgkmcnt(0)
	v_fma_f64 v[66:67], v[70:71], v[66:67], 0
	s_waitcnt vmcnt(10)
	v_fmac_f64_e32 v[66:67], v[72:73], v[68:69]
	ds_read2_b64 v[68:71], v84 offset0:35 offset1:36
	s_waitcnt vmcnt(8) lgkmcnt(0)
	v_fmac_f64_e32 v[66:67], v[74:75], v[68:69]
	s_waitcnt vmcnt(6)
	v_fmac_f64_e32 v[66:67], v[76:77], v[70:71]
	ds_read2_b64 v[68:71], v84 offset0:37 offset1:38
	s_waitcnt vmcnt(4) lgkmcnt(0)
	v_fmac_f64_e32 v[66:67], v[78:79], v[68:69]
	;; [unrolled: 5-line block ×3, first 2 shown]
	buffer_load_dword v69, off, s[0:3], 0 offset:68
	buffer_load_dword v68, off, s[0:3], 0 offset:64
	buffer_load_dword v73, off, s[0:3], 0 offset:76
	buffer_load_dword v72, off, s[0:3], 0 offset:72
	s_waitcnt vmcnt(2)
	v_fmac_f64_e32 v[66:67], v[68:69], v[70:71]
	ds_read2_b64 v[68:71], v84 offset0:41 offset1:42
	s_waitcnt vmcnt(0) lgkmcnt(0)
	v_fmac_f64_e32 v[66:67], v[72:73], v[68:69]
	buffer_load_dword v69, off, s[0:3], 0 offset:84
	buffer_load_dword v68, off, s[0:3], 0 offset:80
	buffer_load_dword v73, off, s[0:3], 0 offset:92
	buffer_load_dword v72, off, s[0:3], 0 offset:88
	s_waitcnt vmcnt(2)
	v_fmac_f64_e32 v[66:67], v[68:69], v[70:71]
	ds_read2_b64 v[68:71], v84 offset0:43 offset1:44
	s_waitcnt vmcnt(0) lgkmcnt(0)
	v_fmac_f64_e32 v[66:67], v[72:73], v[68:69]
	;; [unrolled: 9-line block ×11, first 2 shown]
	buffer_load_dword v69, off, s[0:3], 0 offset:244
	buffer_load_dword v68, off, s[0:3], 0 offset:240
	s_waitcnt vmcnt(0)
	v_fmac_f64_e32 v[66:67], v[68:69], v[70:71]
	buffer_load_dword v71, off, s[0:3], 0 offset:252
	buffer_load_dword v70, off, s[0:3], 0 offset:248
	ds_read_b64 v[72:73], v84 offset:504
	s_waitcnt vmcnt(0) lgkmcnt(0)
	v_fmac_f64_e32 v[66:67], v[70:71], v[72:73]
	v_add_f64 v[0:1], v[0:1], -v[66:67]
	buffer_store_dword v1, off, s[0:3], 0 offset:4
	buffer_store_dword v0, off, s[0:3], 0
	s_cbranch_vccz .LBB31_263
; %bb.200:
	v_pk_mov_b32 v[0:1], s[10:11], s[10:11] op_sel:[0,1]
	flat_load_dword v0, v[0:1] offset:120
	s_waitcnt vmcnt(0) lgkmcnt(0)
	v_add_u32_e32 v0, -1, v0
	v_cmp_ne_u32_e32 vcc, 30, v0
	s_and_saveexec_b64 s[4:5], vcc
	s_cbranch_execz .LBB31_202
; %bb.201:
	v_mov_b32_e32 v1, 0
	v_lshl_add_u32 v0, v0, 3, v1
	buffer_load_dword v1, v0, s[0:3], 0 offen offset:4
	buffer_load_dword v66, v0, s[0:3], 0 offen
	s_waitcnt vmcnt(1)
	buffer_store_dword v1, off, s[0:3], 0 offset:244
	s_waitcnt vmcnt(1)
	buffer_store_dword v66, off, s[0:3], 0 offset:240
	buffer_store_dword v69, v0, s[0:3], 0 offen offset:4
	buffer_store_dword v68, v0, s[0:3], 0 offen
.LBB31_202:
	s_or_b64 exec, exec, s[4:5]
	v_pk_mov_b32 v[0:1], s[10:11], s[10:11] op_sel:[0,1]
	flat_load_dword v0, v[0:1] offset:116
	s_waitcnt vmcnt(0) lgkmcnt(0)
	v_add_u32_e32 v0, -1, v0
	v_cmp_ne_u32_e32 vcc, 29, v0
	s_and_saveexec_b64 s[4:5], vcc
	s_cbranch_execz .LBB31_204
; %bb.203:
	v_mov_b32_e32 v1, 0
	v_lshl_add_u32 v0, v0, 3, v1
	buffer_load_dword v1, v0, s[0:3], 0 offen
	buffer_load_dword v66, v0, s[0:3], 0 offen offset:4
	buffer_load_dword v67, off, s[0:3], 0 offset:232
	buffer_load_dword v68, off, s[0:3], 0 offset:236
	s_waitcnt vmcnt(3)
	buffer_store_dword v1, off, s[0:3], 0 offset:232
	s_waitcnt vmcnt(3)
	buffer_store_dword v66, off, s[0:3], 0 offset:236
	s_waitcnt vmcnt(3)
	buffer_store_dword v67, v0, s[0:3], 0 offen
	s_waitcnt vmcnt(3)
	buffer_store_dword v68, v0, s[0:3], 0 offen offset:4
.LBB31_204:
	s_or_b64 exec, exec, s[4:5]
	v_pk_mov_b32 v[0:1], s[10:11], s[10:11] op_sel:[0,1]
	flat_load_dword v0, v[0:1] offset:112
	s_waitcnt vmcnt(0) lgkmcnt(0)
	v_add_u32_e32 v0, -1, v0
	v_cmp_ne_u32_e32 vcc, 28, v0
	s_and_saveexec_b64 s[4:5], vcc
	s_cbranch_execz .LBB31_206
; %bb.205:
	v_mov_b32_e32 v1, 0
	v_lshl_add_u32 v0, v0, 3, v1
	buffer_load_dword v1, v0, s[0:3], 0 offen
	buffer_load_dword v66, v0, s[0:3], 0 offen offset:4
	buffer_load_dword v67, off, s[0:3], 0 offset:228
	buffer_load_dword v68, off, s[0:3], 0 offset:224
	s_waitcnt vmcnt(3)
	buffer_store_dword v1, off, s[0:3], 0 offset:224
	s_waitcnt vmcnt(3)
	buffer_store_dword v66, off, s[0:3], 0 offset:228
	s_waitcnt vmcnt(3)
	buffer_store_dword v67, v0, s[0:3], 0 offen offset:4
	s_waitcnt vmcnt(3)
	buffer_store_dword v68, v0, s[0:3], 0 offen
.LBB31_206:
	s_or_b64 exec, exec, s[4:5]
	v_pk_mov_b32 v[0:1], s[10:11], s[10:11] op_sel:[0,1]
	flat_load_dword v0, v[0:1] offset:108
	s_waitcnt vmcnt(0) lgkmcnt(0)
	v_add_u32_e32 v0, -1, v0
	v_cmp_ne_u32_e32 vcc, 27, v0
	s_and_saveexec_b64 s[4:5], vcc
	s_cbranch_execz .LBB31_208
; %bb.207:
	v_mov_b32_e32 v1, 0
	v_lshl_add_u32 v0, v0, 3, v1
	buffer_load_dword v1, v0, s[0:3], 0 offen
	buffer_load_dword v66, v0, s[0:3], 0 offen offset:4
	buffer_load_dword v67, off, s[0:3], 0 offset:216
	buffer_load_dword v68, off, s[0:3], 0 offset:220
	s_waitcnt vmcnt(3)
	buffer_store_dword v1, off, s[0:3], 0 offset:216
	s_waitcnt vmcnt(3)
	buffer_store_dword v66, off, s[0:3], 0 offset:220
	s_waitcnt vmcnt(3)
	buffer_store_dword v67, v0, s[0:3], 0 offen
	s_waitcnt vmcnt(3)
	buffer_store_dword v68, v0, s[0:3], 0 offen offset:4
.LBB31_208:
	s_or_b64 exec, exec, s[4:5]
	v_pk_mov_b32 v[0:1], s[10:11], s[10:11] op_sel:[0,1]
	flat_load_dword v0, v[0:1] offset:104
	s_waitcnt vmcnt(0) lgkmcnt(0)
	v_add_u32_e32 v0, -1, v0
	v_cmp_ne_u32_e32 vcc, 26, v0
	s_and_saveexec_b64 s[4:5], vcc
	s_cbranch_execz .LBB31_210
; %bb.209:
	v_mov_b32_e32 v1, 0
	v_lshl_add_u32 v0, v0, 3, v1
	buffer_load_dword v1, v0, s[0:3], 0 offen
	buffer_load_dword v66, v0, s[0:3], 0 offen offset:4
	buffer_load_dword v67, off, s[0:3], 0 offset:212
	buffer_load_dword v68, off, s[0:3], 0 offset:208
	s_waitcnt vmcnt(3)
	buffer_store_dword v1, off, s[0:3], 0 offset:208
	s_waitcnt vmcnt(3)
	buffer_store_dword v66, off, s[0:3], 0 offset:212
	s_waitcnt vmcnt(3)
	buffer_store_dword v67, v0, s[0:3], 0 offen offset:4
	s_waitcnt vmcnt(3)
	buffer_store_dword v68, v0, s[0:3], 0 offen
.LBB31_210:
	;; [unrolled: 48-line block ×14, first 2 shown]
	s_or_b64 exec, exec, s[4:5]
	v_pk_mov_b32 v[0:1], s[10:11], s[10:11] op_sel:[0,1]
	flat_load_dword v0, v[0:1] offset:4
	s_waitcnt vmcnt(0) lgkmcnt(0)
	v_add_u32_e32 v0, -1, v0
	v_cmp_ne_u32_e32 vcc, 1, v0
	s_and_saveexec_b64 s[4:5], vcc
	s_cbranch_execz .LBB31_260
; %bb.259:
	v_mov_b32_e32 v1, 0
	v_lshl_add_u32 v0, v0, 3, v1
	buffer_load_dword v1, v0, s[0:3], 0 offen
	buffer_load_dword v66, v0, s[0:3], 0 offen offset:4
	buffer_load_dword v67, off, s[0:3], 0 offset:8
	buffer_load_dword v68, off, s[0:3], 0 offset:12
	s_waitcnt vmcnt(3)
	buffer_store_dword v1, off, s[0:3], 0 offset:8
	s_waitcnt vmcnt(3)
	buffer_store_dword v66, off, s[0:3], 0 offset:12
	s_waitcnt vmcnt(3)
	buffer_store_dword v67, v0, s[0:3], 0 offen
	s_waitcnt vmcnt(3)
	buffer_store_dword v68, v0, s[0:3], 0 offen offset:4
.LBB31_260:
	s_or_b64 exec, exec, s[4:5]
	v_pk_mov_b32 v[0:1], s[10:11], s[10:11] op_sel:[0,1]
	flat_load_dword v66, v[0:1]
	s_nop 0
	buffer_load_dword v0, off, s[0:3], 0
	buffer_load_dword v1, off, s[0:3], 0 offset:4
	s_waitcnt vmcnt(0) lgkmcnt(0)
	v_add_u32_e32 v66, -1, v66
	v_cmp_ne_u32_e32 vcc, 0, v66
	s_and_saveexec_b64 s[4:5], vcc
	s_cbranch_execz .LBB31_262
; %bb.261:
	v_mov_b32_e32 v67, 0
	v_lshl_add_u32 v66, v66, 3, v67
	buffer_load_dword v67, v66, s[0:3], 0 offen offset:4
	buffer_load_dword v68, v66, s[0:3], 0 offen
	s_waitcnt vmcnt(1)
	buffer_store_dword v67, off, s[0:3], 0 offset:4
	s_waitcnt vmcnt(1)
	buffer_store_dword v68, off, s[0:3], 0
	buffer_store_dword v1, v66, s[0:3], 0 offen offset:4
	buffer_store_dword v0, v66, s[0:3], 0 offen
	buffer_load_dword v0, off, s[0:3], 0
	s_nop 0
	buffer_load_dword v1, off, s[0:3], 0 offset:4
.LBB31_262:
	s_or_b64 exec, exec, s[4:5]
.LBB31_263:
	buffer_load_dword v66, off, s[0:3], 0 offset:8
	buffer_load_dword v67, off, s[0:3], 0 offset:12
	;; [unrolled: 1-line block ×62, first 2 shown]
	s_waitcnt vmcnt(62)
	global_store_dwordx2 v[54:55], v[0:1], off
	s_waitcnt vmcnt(61)
	global_store_dwordx2 v[58:59], v[66:67], off
	;; [unrolled: 2-line block ×32, first 2 shown]
	s_endpgm
	.section	.rodata,"a",@progbits
	.p2align	6, 0x0
	.amdhsa_kernel _ZN9rocsolver6v33100L18getri_kernel_smallILi32EdPdEEvT1_iilPiilS4_bb
		.amdhsa_group_segment_fixed_size 520
		.amdhsa_private_segment_fixed_size 272
		.amdhsa_kernarg_size 60
		.amdhsa_user_sgpr_count 8
		.amdhsa_user_sgpr_private_segment_buffer 1
		.amdhsa_user_sgpr_dispatch_ptr 0
		.amdhsa_user_sgpr_queue_ptr 0
		.amdhsa_user_sgpr_kernarg_segment_ptr 1
		.amdhsa_user_sgpr_dispatch_id 0
		.amdhsa_user_sgpr_flat_scratch_init 1
		.amdhsa_user_sgpr_kernarg_preload_length 0
		.amdhsa_user_sgpr_kernarg_preload_offset 0
		.amdhsa_user_sgpr_private_segment_size 0
		.amdhsa_uses_dynamic_stack 0
		.amdhsa_system_sgpr_private_segment_wavefront_offset 1
		.amdhsa_system_sgpr_workgroup_id_x 1
		.amdhsa_system_sgpr_workgroup_id_y 0
		.amdhsa_system_sgpr_workgroup_id_z 0
		.amdhsa_system_sgpr_workgroup_info 0
		.amdhsa_system_vgpr_workitem_id 0
		.amdhsa_next_free_vgpr 128
		.amdhsa_next_free_sgpr 23
		.amdhsa_accum_offset 128
		.amdhsa_reserve_vcc 1
		.amdhsa_reserve_flat_scratch 1
		.amdhsa_float_round_mode_32 0
		.amdhsa_float_round_mode_16_64 0
		.amdhsa_float_denorm_mode_32 3
		.amdhsa_float_denorm_mode_16_64 3
		.amdhsa_dx10_clamp 1
		.amdhsa_ieee_mode 1
		.amdhsa_fp16_overflow 0
		.amdhsa_tg_split 0
		.amdhsa_exception_fp_ieee_invalid_op 0
		.amdhsa_exception_fp_denorm_src 0
		.amdhsa_exception_fp_ieee_div_zero 0
		.amdhsa_exception_fp_ieee_overflow 0
		.amdhsa_exception_fp_ieee_underflow 0
		.amdhsa_exception_fp_ieee_inexact 0
		.amdhsa_exception_int_div_zero 0
	.end_amdhsa_kernel
	.section	.text._ZN9rocsolver6v33100L18getri_kernel_smallILi32EdPdEEvT1_iilPiilS4_bb,"axG",@progbits,_ZN9rocsolver6v33100L18getri_kernel_smallILi32EdPdEEvT1_iilPiilS4_bb,comdat
.Lfunc_end31:
	.size	_ZN9rocsolver6v33100L18getri_kernel_smallILi32EdPdEEvT1_iilPiilS4_bb, .Lfunc_end31-_ZN9rocsolver6v33100L18getri_kernel_smallILi32EdPdEEvT1_iilPiilS4_bb
                                        ; -- End function
	.section	.AMDGPU.csdata,"",@progbits
; Kernel info:
; codeLenInByte = 30688
; NumSgprs: 29
; NumVgprs: 128
; NumAgprs: 0
; TotalNumVgprs: 128
; ScratchSize: 272
; MemoryBound: 0
; FloatMode: 240
; IeeeMode: 1
; LDSByteSize: 520 bytes/workgroup (compile time only)
; SGPRBlocks: 3
; VGPRBlocks: 15
; NumSGPRsForWavesPerEU: 29
; NumVGPRsForWavesPerEU: 128
; AccumOffset: 128
; Occupancy: 4
; WaveLimiterHint : 1
; COMPUTE_PGM_RSRC2:SCRATCH_EN: 1
; COMPUTE_PGM_RSRC2:USER_SGPR: 8
; COMPUTE_PGM_RSRC2:TRAP_HANDLER: 0
; COMPUTE_PGM_RSRC2:TGID_X_EN: 1
; COMPUTE_PGM_RSRC2:TGID_Y_EN: 0
; COMPUTE_PGM_RSRC2:TGID_Z_EN: 0
; COMPUTE_PGM_RSRC2:TIDIG_COMP_CNT: 0
; COMPUTE_PGM_RSRC3_GFX90A:ACCUM_OFFSET: 31
; COMPUTE_PGM_RSRC3_GFX90A:TG_SPLIT: 0
	.section	.text._ZN9rocsolver6v33100L18getri_kernel_smallILi33EdPdEEvT1_iilPiilS4_bb,"axG",@progbits,_ZN9rocsolver6v33100L18getri_kernel_smallILi33EdPdEEvT1_iilPiilS4_bb,comdat
	.globl	_ZN9rocsolver6v33100L18getri_kernel_smallILi33EdPdEEvT1_iilPiilS4_bb ; -- Begin function _ZN9rocsolver6v33100L18getri_kernel_smallILi33EdPdEEvT1_iilPiilS4_bb
	.p2align	8
	.type	_ZN9rocsolver6v33100L18getri_kernel_smallILi33EdPdEEvT1_iilPiilS4_bb,@function
_ZN9rocsolver6v33100L18getri_kernel_smallILi33EdPdEEvT1_iilPiilS4_bb: ; @_ZN9rocsolver6v33100L18getri_kernel_smallILi33EdPdEEvT1_iilPiilS4_bb
; %bb.0:
	s_add_u32 flat_scratch_lo, s6, s9
	s_addc_u32 flat_scratch_hi, s7, 0
	s_add_u32 s0, s0, s9
	s_addc_u32 s1, s1, 0
	v_cmp_gt_u32_e32 vcc, 33, v0
	s_and_saveexec_b64 s[6:7], vcc
	s_cbranch_execz .LBB32_140
; %bb.1:
	s_load_dword s22, s[4:5], 0x38
	s_load_dwordx4 s[16:19], s[4:5], 0x10
	s_load_dwordx4 s[12:15], s[4:5], 0x28
                                        ; implicit-def: $sgpr10_sgpr11
	s_waitcnt lgkmcnt(0)
	s_bitcmp1_b32 s22, 8
	s_cselect_b64 s[20:21], -1, 0
	s_ashr_i32 s9, s8, 31
	s_bfe_u32 s6, s22, 0x10008
	s_cmp_eq_u32 s6, 0
	s_cbranch_scc1 .LBB32_3
; %bb.2:
	s_load_dword s6, s[4:5], 0x20
	s_mul_i32 s7, s8, s13
	s_mul_hi_u32 s10, s8, s12
	s_mul_i32 s11, s9, s12
	s_add_i32 s10, s10, s7
	s_add_i32 s11, s10, s11
	s_mul_i32 s10, s8, s12
	s_waitcnt lgkmcnt(0)
	s_ashr_i32 s7, s6, 31
	s_lshl_b64 s[10:11], s[10:11], 2
	s_add_u32 s10, s18, s10
	s_addc_u32 s11, s19, s11
	s_lshl_b64 s[6:7], s[6:7], 2
	s_add_u32 s10, s10, s6
	s_addc_u32 s11, s11, s7
.LBB32_3:
	s_load_dwordx4 s[4:7], s[4:5], 0x0
	s_mul_i32 s12, s8, s17
	s_mul_hi_u32 s13, s8, s16
	s_add_i32 s17, s13, s12
	s_waitcnt lgkmcnt(0)
	s_ashr_i32 s13, s6, 31
	s_mov_b32 s12, s6
	s_mul_i32 s6, s9, s16
	s_add_i32 s17, s17, s6
	s_mul_i32 s16, s8, s16
	s_lshl_b64 s[16:17], s[16:17], 3
	s_add_u32 s6, s4, s16
	s_addc_u32 s16, s5, s17
	s_lshl_b64 s[4:5], s[12:13], 3
	s_add_u32 s4, s6, s4
	s_addc_u32 s5, s16, s5
	s_add_i32 s6, s7, s7
	v_add_u32_e32 v4, s6, v0
	v_ashrrev_i32_e32 v5, 31, v4
	v_lshlrev_b64 v[2:3], 3, v[4:5]
	v_add_u32_e32 v6, s7, v4
	v_mov_b32_e32 v1, s5
	v_add_co_u32_e32 v2, vcc, s4, v2
	v_ashrrev_i32_e32 v7, 31, v6
	v_addc_co_u32_e32 v3, vcc, v1, v3, vcc
	v_lshlrev_b64 v[4:5], 3, v[6:7]
	v_add_u32_e32 v8, s7, v6
	v_add_co_u32_e32 v4, vcc, s4, v4
	v_ashrrev_i32_e32 v9, 31, v8
	v_addc_co_u32_e32 v5, vcc, v1, v5, vcc
	v_lshlrev_b64 v[6:7], 3, v[8:9]
	v_add_u32_e32 v10, s7, v8
	;; [unrolled: 5-line block ×5, first 2 shown]
	v_add_co_u32_e32 v12, vcc, s4, v12
	v_ashrrev_i32_e32 v15, 31, v14
	v_addc_co_u32_e32 v13, vcc, v1, v13, vcc
	v_lshlrev_b64 v[16:17], 3, v[14:15]
	v_add_co_u32_e32 v18, vcc, s4, v16
	v_add_u32_e32 v16, s7, v14
	v_addc_co_u32_e32 v19, vcc, v1, v17, vcc
	v_ashrrev_i32_e32 v17, 31, v16
	v_lshlrev_b64 v[14:15], 3, v[16:17]
	v_add_u32_e32 v20, s7, v16
	v_add_co_u32_e32 v14, vcc, s4, v14
	v_ashrrev_i32_e32 v21, 31, v20
	v_addc_co_u32_e32 v15, vcc, v1, v15, vcc
	v_lshlrev_b64 v[16:17], 3, v[20:21]
	v_add_u32_e32 v22, s7, v20
	v_add_co_u32_e32 v16, vcc, s4, v16
	v_ashrrev_i32_e32 v23, 31, v22
	v_addc_co_u32_e32 v17, vcc, v1, v17, vcc
	;; [unrolled: 5-line block ×16, first 2 shown]
	v_lshlrev_b64 v[48:49], 3, v[50:51]
	v_add_co_u32_e32 v48, vcc, s4, v48
	v_addc_co_u32_e32 v49, vcc, v1, v49, vcc
	v_lshlrev_b32_e32 v1, 3, v0
	v_add_u32_e32 v52, s7, v50
	global_load_dwordx2 v[68:69], v1, s[4:5]
	global_load_dwordx2 v[72:73], v[2:3], off
	global_load_dwordx2 v[74:75], v[4:5], off
	;; [unrolled: 1-line block ×3, first 2 shown]
	v_mov_b32_e32 v50, s5
	v_add_co_u32_e32 v66, vcc, s4, v1
	s_ashr_i32 s13, s7, 31
	s_mov_b32 s12, s7
	v_addc_co_u32_e32 v67, vcc, 0, v50, vcc
	s_lshl_b64 s[12:13], s[12:13], 3
	v_mov_b32_e32 v50, s13
	v_add_co_u32_e32 v64, vcc, s12, v66
	v_addc_co_u32_e32 v65, vcc, v67, v50, vcc
	global_load_dwordx2 v[70:71], v[64:65], off
	global_load_dwordx2 v[84:85], v[18:19], off
	v_ashrrev_i32_e32 v53, 31, v52
	v_lshlrev_b64 v[50:51], 3, v[52:53]
	v_add_u32_e32 v54, s7, v52
	v_mov_b32_e32 v53, s5
	v_add_co_u32_e32 v50, vcc, s4, v50
	v_ashrrev_i32_e32 v55, 31, v54
	v_addc_co_u32_e32 v51, vcc, v53, v51, vcc
	v_lshlrev_b64 v[52:53], 3, v[54:55]
	v_add_u32_e32 v56, s7, v54
	v_mov_b32_e32 v55, s5
	v_add_co_u32_e32 v52, vcc, s4, v52
	v_ashrrev_i32_e32 v57, 31, v56
	v_addc_co_u32_e32 v53, vcc, v55, v53, vcc
	;; [unrolled: 6-line block ×5, first 2 shown]
	v_lshlrev_b64 v[62:63], 3, v[60:61]
	v_mov_b32_e32 v96, s5
	v_add_co_u32_e32 v62, vcc, s4, v62
	global_load_dwordx2 v[78:79], v[8:9], off
	global_load_dwordx2 v[80:81], v[10:11], off
	;; [unrolled: 1-line block ×8, first 2 shown]
	v_addc_co_u32_e32 v63, vcc, v96, v63, vcc
	global_load_dwordx2 v[96:97], v[26:27], off
	global_load_dwordx2 v[98:99], v[28:29], off
	;; [unrolled: 1-line block ×8, first 2 shown]
	v_add_u32_e32 v60, s7, v60
	v_ashrrev_i32_e32 v61, 31, v60
	v_lshlrev_b64 v[60:61], 3, v[60:61]
	v_mov_b32_e32 v112, s5
	v_add_co_u32_e32 v60, vcc, s4, v60
	v_addc_co_u32_e32 v61, vcc, v112, v61, vcc
	global_load_dwordx2 v[112:113], v[42:43], off
	global_load_dwordx2 v[114:115], v[44:45], off
	global_load_dwordx2 v[116:117], v[48:49], off
	global_load_dwordx2 v[118:119], v[52:53], off
	global_load_dwordx2 v[120:121], v[56:57], off
	global_load_dwordx2 v[122:123], v[62:63], off
	s_bitcmp0_b32 s22, 0
	s_waitcnt vmcnt(27)
	buffer_store_dword v69, off, s[0:3], 0 offset:4
	buffer_store_dword v68, off, s[0:3], 0
	global_load_dwordx2 v[68:69], v[46:47], off
	s_mov_b64 s[6:7], -1
	s_waitcnt vmcnt(29)
	buffer_store_dword v73, off, s[0:3], 0 offset:20
	buffer_store_dword v72, off, s[0:3], 0 offset:16
	s_waitcnt vmcnt(28)
	buffer_store_dword v71, off, s[0:3], 0 offset:12
	buffer_store_dword v70, off, s[0:3], 0 offset:8
	global_load_dwordx2 v[70:71], v[50:51], off
	s_nop 0
	global_load_dwordx2 v[72:73], v[54:55], off
	s_nop 0
	buffer_store_dword v75, off, s[0:3], 0 offset:28
	buffer_store_dword v74, off, s[0:3], 0 offset:24
	global_load_dwordx2 v[74:75], v[58:59], off
	s_nop 0
	buffer_store_dword v77, off, s[0:3], 0 offset:36
	buffer_store_dword v76, off, s[0:3], 0 offset:32
	global_load_dwordx2 v[76:77], v[60:61], off
	s_waitcnt vmcnt(36)
	buffer_store_dword v79, off, s[0:3], 0 offset:44
	buffer_store_dword v78, off, s[0:3], 0 offset:40
	s_waitcnt vmcnt(37)
	buffer_store_dword v81, off, s[0:3], 0 offset:52
	buffer_store_dword v80, off, s[0:3], 0 offset:48
	;; [unrolled: 3-line block ×3, first 2 shown]
	buffer_store_dword v85, off, s[0:3], 0 offset:68
	buffer_store_dword v84, off, s[0:3], 0 offset:64
	s_waitcnt vmcnt(41)
	buffer_store_dword v86, off, s[0:3], 0 offset:72
	buffer_store_dword v87, off, s[0:3], 0 offset:76
	s_waitcnt vmcnt(42)
	;; [unrolled: 3-line block ×16, first 2 shown]
	buffer_store_dword v68, off, s[0:3], 0 offset:192
	buffer_store_dword v69, off, s[0:3], 0 offset:196
	buffer_store_dword v117, off, s[0:3], 0 offset:204
	buffer_store_dword v116, off, s[0:3], 0 offset:200
	s_waitcnt vmcnt(49)
	buffer_store_dword v71, off, s[0:3], 0 offset:212
	buffer_store_dword v70, off, s[0:3], 0 offset:208
	buffer_store_dword v118, off, s[0:3], 0 offset:216
	buffer_store_dword v119, off, s[0:3], 0 offset:220
	s_waitcnt vmcnt(52)
	;; [unrolled: 5-line block ×4, first 2 shown]
	buffer_store_dword v77, off, s[0:3], 0 offset:260
	buffer_store_dword v76, off, s[0:3], 0 offset:256
	s_cbranch_scc1 .LBB32_138
; %bb.4:
	v_cmp_eq_u32_e64 s[4:5], 0, v0
	s_and_saveexec_b64 s[6:7], s[4:5]
	s_cbranch_execz .LBB32_6
; %bb.5:
	v_mov_b32_e32 v68, 0
	ds_write_b32 v68, v68 offset:264
.LBB32_6:
	s_or_b64 exec, exec, s[6:7]
	v_mov_b32_e32 v68, 0
	v_lshl_add_u32 v68, v0, 3, v68
	s_waitcnt lgkmcnt(0)
	; wave barrier
	s_waitcnt lgkmcnt(0)
	buffer_load_dword v70, v68, s[0:3], 0 offen
	buffer_load_dword v71, v68, s[0:3], 0 offen offset:4
	s_waitcnt vmcnt(0)
	v_cmp_eq_f64_e32 vcc, 0, v[70:71]
	s_and_saveexec_b64 s[12:13], vcc
	s_cbranch_execz .LBB32_10
; %bb.7:
	v_mov_b32_e32 v69, 0
	ds_read_b32 v71, v69 offset:264
	v_add_u32_e32 v70, 1, v0
	s_waitcnt lgkmcnt(0)
	v_readfirstlane_b32 s6, v71
	s_cmp_eq_u32 s6, 0
	s_cselect_b64 s[16:17], -1, 0
	v_cmp_gt_i32_e32 vcc, s6, v70
	s_or_b64 s[16:17], s[16:17], vcc
	s_and_b64 exec, exec, s[16:17]
	s_cbranch_execz .LBB32_10
; %bb.8:
	s_mov_b64 s[16:17], 0
	v_mov_b32_e32 v71, s6
.LBB32_9:                               ; =>This Inner Loop Header: Depth=1
	ds_cmpst_rtn_b32 v71, v69, v71, v70 offset:264
	s_waitcnt lgkmcnt(0)
	v_cmp_ne_u32_e32 vcc, 0, v71
	v_cmp_le_i32_e64 s[6:7], v71, v70
	s_and_b64 s[6:7], vcc, s[6:7]
	s_and_b64 s[6:7], exec, s[6:7]
	s_or_b64 s[16:17], s[6:7], s[16:17]
	s_andn2_b64 exec, exec, s[16:17]
	s_cbranch_execnz .LBB32_9
.LBB32_10:
	s_or_b64 exec, exec, s[12:13]
	v_mov_b32_e32 v70, 0
	s_waitcnt lgkmcnt(0)
	; wave barrier
	ds_read_b32 v69, v70 offset:264
	s_and_saveexec_b64 s[6:7], s[4:5]
	s_cbranch_execz .LBB32_12
; %bb.11:
	s_lshl_b64 s[12:13], s[8:9], 2
	s_add_u32 s12, s14, s12
	s_addc_u32 s13, s15, s13
	s_waitcnt lgkmcnt(0)
	global_store_dword v70, v69, s[12:13]
.LBB32_12:
	s_or_b64 exec, exec, s[6:7]
	s_waitcnt lgkmcnt(0)
	v_cmp_ne_u32_e32 vcc, 0, v69
	s_mov_b64 s[6:7], 0
	s_cbranch_vccnz .LBB32_138
; %bb.13:
	buffer_load_dword v70, v68, s[0:3], 0 offen
	buffer_load_dword v71, v68, s[0:3], 0 offen offset:4
	s_waitcnt vmcnt(0)
	v_div_scale_f64 v[72:73], s[6:7], v[70:71], v[70:71], 1.0
	v_rcp_f64_e32 v[74:75], v[72:73]
	v_div_scale_f64 v[76:77], vcc, 1.0, v[70:71], 1.0
	v_fma_f64 v[78:79], -v[72:73], v[74:75], 1.0
	v_fmac_f64_e32 v[74:75], v[74:75], v[78:79]
	v_fma_f64 v[78:79], -v[72:73], v[74:75], 1.0
	v_fmac_f64_e32 v[74:75], v[74:75], v[78:79]
	v_mul_f64 v[78:79], v[76:77], v[74:75]
	v_fma_f64 v[72:73], -v[72:73], v[78:79], v[76:77]
	v_div_fmas_f64 v[72:73], v[72:73], v[74:75], v[78:79]
	v_div_fixup_f64 v[72:73], v[72:73], v[70:71], 1.0
	buffer_store_dword v73, v68, s[0:3], 0 offen offset:4
	buffer_store_dword v72, v68, s[0:3], 0 offen
	buffer_load_dword v75, off, s[0:3], 0 offset:12
	buffer_load_dword v74, off, s[0:3], 0 offset:8
	v_add_u32_e32 v70, 0x110, v1
	v_xor_b32_e32 v73, 0x80000000, v73
	s_waitcnt vmcnt(0)
	ds_write2_b64 v1, v[72:73], v[74:75] offset1:34
	s_waitcnt lgkmcnt(0)
	; wave barrier
	s_waitcnt lgkmcnt(0)
	s_and_saveexec_b64 s[6:7], s[4:5]
	s_cbranch_execz .LBB32_15
; %bb.14:
	buffer_load_dword v72, v68, s[0:3], 0 offen
	buffer_load_dword v73, v68, s[0:3], 0 offen offset:4
	v_mov_b32_e32 v69, 0
	ds_read_b64 v[74:75], v70
	ds_read_b64 v[76:77], v69 offset:8
	s_waitcnt vmcnt(0) lgkmcnt(1)
	v_fma_f64 v[72:73], v[72:73], v[74:75], 0
	s_waitcnt lgkmcnt(0)
	v_mul_f64 v[72:73], v[72:73], v[76:77]
	buffer_store_dword v72, off, s[0:3], 0 offset:8
	buffer_store_dword v73, off, s[0:3], 0 offset:12
.LBB32_15:
	s_or_b64 exec, exec, s[6:7]
	s_waitcnt lgkmcnt(0)
	; wave barrier
	buffer_load_dword v72, off, s[0:3], 0 offset:16
	buffer_load_dword v73, off, s[0:3], 0 offset:20
	v_cmp_gt_u32_e32 vcc, 2, v0
	s_waitcnt vmcnt(0)
	ds_write_b64 v70, v[72:73]
	s_waitcnt lgkmcnt(0)
	; wave barrier
	s_waitcnt lgkmcnt(0)
	s_and_saveexec_b64 s[6:7], vcc
	s_cbranch_execz .LBB32_17
; %bb.16:
	buffer_load_dword v69, v68, s[0:3], 0 offen offset:4
	buffer_load_dword v76, off, s[0:3], 0 offset:8
	s_nop 0
	buffer_load_dword v68, v68, s[0:3], 0 offen
	s_nop 0
	buffer_load_dword v77, off, s[0:3], 0 offset:12
	ds_read_b64 v[78:79], v70
	v_mov_b32_e32 v71, 0
	ds_read2_b64 v[72:75], v71 offset0:2 offset1:35
	s_waitcnt vmcnt(1) lgkmcnt(1)
	v_fma_f64 v[68:69], v[68:69], v[78:79], 0
	s_waitcnt vmcnt(0) lgkmcnt(0)
	v_fma_f64 v[74:75], v[76:77], v[74:75], v[68:69]
	v_cndmask_b32_e64 v69, v69, v75, s[4:5]
	v_cndmask_b32_e64 v68, v68, v74, s[4:5]
	v_mul_f64 v[68:69], v[68:69], v[72:73]
	buffer_store_dword v69, off, s[0:3], 0 offset:20
	buffer_store_dword v68, off, s[0:3], 0 offset:16
.LBB32_17:
	s_or_b64 exec, exec, s[6:7]
	s_waitcnt lgkmcnt(0)
	; wave barrier
	buffer_load_dword v68, off, s[0:3], 0 offset:24
	buffer_load_dword v69, off, s[0:3], 0 offset:28
	v_cmp_gt_u32_e32 vcc, 3, v0
	v_add_u32_e32 v71, -1, v0
	s_waitcnt vmcnt(0)
	ds_write_b64 v70, v[68:69]
	s_waitcnt lgkmcnt(0)
	; wave barrier
	s_waitcnt lgkmcnt(0)
	s_and_saveexec_b64 s[4:5], vcc
	s_cbranch_execz .LBB32_21
; %bb.18:
	v_add_u32_e32 v72, -1, v0
	v_add_u32_e32 v73, 0x110, v1
	v_add_u32_e32 v74, 0, v1
	s_mov_b64 s[6:7], 0
	v_pk_mov_b32 v[68:69], 0, 0
.LBB32_19:                              ; =>This Inner Loop Header: Depth=1
	buffer_load_dword v76, v74, s[0:3], 0 offen
	buffer_load_dword v77, v74, s[0:3], 0 offen offset:4
	ds_read_b64 v[78:79], v73
	v_add_u32_e32 v72, 1, v72
	v_cmp_lt_u32_e32 vcc, 1, v72
	v_add_u32_e32 v73, 8, v73
	v_add_u32_e32 v74, 8, v74
	s_or_b64 s[6:7], vcc, s[6:7]
	s_waitcnt vmcnt(0) lgkmcnt(0)
	v_fmac_f64_e32 v[68:69], v[76:77], v[78:79]
	s_andn2_b64 exec, exec, s[6:7]
	s_cbranch_execnz .LBB32_19
; %bb.20:
	s_or_b64 exec, exec, s[6:7]
	v_mov_b32_e32 v72, 0
	ds_read_b64 v[72:73], v72 offset:24
	s_waitcnt lgkmcnt(0)
	v_mul_f64 v[68:69], v[68:69], v[72:73]
	buffer_store_dword v69, off, s[0:3], 0 offset:28
	buffer_store_dword v68, off, s[0:3], 0 offset:24
.LBB32_21:
	s_or_b64 exec, exec, s[4:5]
	s_waitcnt lgkmcnt(0)
	; wave barrier
	buffer_load_dword v68, off, s[0:3], 0 offset:32
	buffer_load_dword v69, off, s[0:3], 0 offset:36
	v_cmp_gt_u32_e32 vcc, 4, v0
	s_waitcnt vmcnt(0)
	ds_write_b64 v70, v[68:69]
	s_waitcnt lgkmcnt(0)
	; wave barrier
	s_waitcnt lgkmcnt(0)
	s_and_saveexec_b64 s[4:5], vcc
	s_cbranch_execz .LBB32_25
; %bb.22:
	v_add_u32_e32 v72, -1, v0
	v_add_u32_e32 v73, 0x110, v1
	v_add_u32_e32 v74, 0, v1
	s_mov_b64 s[6:7], 0
	v_pk_mov_b32 v[68:69], 0, 0
.LBB32_23:                              ; =>This Inner Loop Header: Depth=1
	buffer_load_dword v76, v74, s[0:3], 0 offen
	buffer_load_dword v77, v74, s[0:3], 0 offen offset:4
	ds_read_b64 v[78:79], v73
	v_add_u32_e32 v72, 1, v72
	v_cmp_lt_u32_e32 vcc, 2, v72
	v_add_u32_e32 v73, 8, v73
	v_add_u32_e32 v74, 8, v74
	s_or_b64 s[6:7], vcc, s[6:7]
	s_waitcnt vmcnt(0) lgkmcnt(0)
	v_fmac_f64_e32 v[68:69], v[76:77], v[78:79]
	s_andn2_b64 exec, exec, s[6:7]
	s_cbranch_execnz .LBB32_23
; %bb.24:
	s_or_b64 exec, exec, s[6:7]
	v_mov_b32_e32 v72, 0
	ds_read_b64 v[72:73], v72 offset:32
	s_waitcnt lgkmcnt(0)
	v_mul_f64 v[68:69], v[68:69], v[72:73]
	buffer_store_dword v69, off, s[0:3], 0 offset:36
	buffer_store_dword v68, off, s[0:3], 0 offset:32
.LBB32_25:
	s_or_b64 exec, exec, s[4:5]
	s_waitcnt lgkmcnt(0)
	; wave barrier
	buffer_load_dword v68, off, s[0:3], 0 offset:40
	buffer_load_dword v69, off, s[0:3], 0 offset:44
	v_cmp_gt_u32_e32 vcc, 5, v0
	;; [unrolled: 41-line block ×21, first 2 shown]
	s_waitcnt vmcnt(0)
	ds_write_b64 v70, v[68:69]
	s_waitcnt lgkmcnt(0)
	; wave barrier
	s_waitcnt lgkmcnt(0)
	s_and_saveexec_b64 s[4:5], vcc
	s_cbranch_execz .LBB32_105
; %bb.102:
	v_add_u32_e32 v72, -1, v0
	v_add_u32_e32 v73, 0x110, v1
	v_add_u32_e32 v74, 0, v1
	s_mov_b64 s[6:7], 0
	v_pk_mov_b32 v[68:69], 0, 0
.LBB32_103:                             ; =>This Inner Loop Header: Depth=1
	buffer_load_dword v76, v74, s[0:3], 0 offen
	buffer_load_dword v77, v74, s[0:3], 0 offen offset:4
	ds_read_b64 v[78:79], v73
	v_add_u32_e32 v72, 1, v72
	v_cmp_lt_u32_e32 vcc, 22, v72
	v_add_u32_e32 v73, 8, v73
	v_add_u32_e32 v74, 8, v74
	s_or_b64 s[6:7], vcc, s[6:7]
	s_waitcnt vmcnt(0) lgkmcnt(0)
	v_fmac_f64_e32 v[68:69], v[76:77], v[78:79]
	s_andn2_b64 exec, exec, s[6:7]
	s_cbranch_execnz .LBB32_103
; %bb.104:
	s_or_b64 exec, exec, s[6:7]
	v_mov_b32_e32 v72, 0
	ds_read_b64 v[72:73], v72 offset:192
	s_waitcnt lgkmcnt(0)
	v_mul_f64 v[68:69], v[68:69], v[72:73]
	buffer_store_dword v69, off, s[0:3], 0 offset:196
	buffer_store_dword v68, off, s[0:3], 0 offset:192
.LBB32_105:
	s_or_b64 exec, exec, s[4:5]
	s_waitcnt lgkmcnt(0)
	; wave barrier
	buffer_load_dword v68, off, s[0:3], 0 offset:200
	buffer_load_dword v69, off, s[0:3], 0 offset:204
	v_cmp_gt_u32_e32 vcc, 25, v0
	s_waitcnt vmcnt(0)
	ds_write_b64 v70, v[68:69]
	s_waitcnt lgkmcnt(0)
	; wave barrier
	s_waitcnt lgkmcnt(0)
	s_and_saveexec_b64 s[4:5], vcc
	s_cbranch_execz .LBB32_109
; %bb.106:
	v_add_u32_e32 v72, -1, v0
	v_add_u32_e32 v73, 0x110, v1
	v_add_u32_e32 v74, 0, v1
	s_mov_b64 s[6:7], 0
	v_pk_mov_b32 v[68:69], 0, 0
.LBB32_107:                             ; =>This Inner Loop Header: Depth=1
	buffer_load_dword v76, v74, s[0:3], 0 offen
	buffer_load_dword v77, v74, s[0:3], 0 offen offset:4
	ds_read_b64 v[78:79], v73
	v_add_u32_e32 v72, 1, v72
	v_cmp_lt_u32_e32 vcc, 23, v72
	v_add_u32_e32 v73, 8, v73
	v_add_u32_e32 v74, 8, v74
	s_or_b64 s[6:7], vcc, s[6:7]
	s_waitcnt vmcnt(0) lgkmcnt(0)
	v_fmac_f64_e32 v[68:69], v[76:77], v[78:79]
	s_andn2_b64 exec, exec, s[6:7]
	s_cbranch_execnz .LBB32_107
; %bb.108:
	s_or_b64 exec, exec, s[6:7]
	v_mov_b32_e32 v72, 0
	ds_read_b64 v[72:73], v72 offset:200
	s_waitcnt lgkmcnt(0)
	v_mul_f64 v[68:69], v[68:69], v[72:73]
	buffer_store_dword v69, off, s[0:3], 0 offset:204
	buffer_store_dword v68, off, s[0:3], 0 offset:200
.LBB32_109:
	s_or_b64 exec, exec, s[4:5]
	s_waitcnt lgkmcnt(0)
	; wave barrier
	buffer_load_dword v68, off, s[0:3], 0 offset:208
	buffer_load_dword v69, off, s[0:3], 0 offset:212
	v_cmp_gt_u32_e32 vcc, 26, v0
	;; [unrolled: 41-line block ×7, first 2 shown]
	s_waitcnt vmcnt(0)
	ds_write_b64 v70, v[68:69]
	s_waitcnt lgkmcnt(0)
	; wave barrier
	s_waitcnt lgkmcnt(0)
	s_and_saveexec_b64 s[4:5], vcc
	s_cbranch_execz .LBB32_133
; %bb.130:
	v_add_u32_e32 v72, -1, v0
	v_add_u32_e32 v73, 0x110, v1
	v_add_u32_e32 v74, 0, v1
	s_mov_b64 s[6:7], 0
	v_pk_mov_b32 v[68:69], 0, 0
.LBB32_131:                             ; =>This Inner Loop Header: Depth=1
	buffer_load_dword v76, v74, s[0:3], 0 offen
	buffer_load_dword v77, v74, s[0:3], 0 offen offset:4
	ds_read_b64 v[78:79], v73
	v_add_u32_e32 v72, 1, v72
	v_cmp_lt_u32_e32 vcc, 29, v72
	v_add_u32_e32 v73, 8, v73
	v_add_u32_e32 v74, 8, v74
	s_or_b64 s[6:7], vcc, s[6:7]
	s_waitcnt vmcnt(0) lgkmcnt(0)
	v_fmac_f64_e32 v[68:69], v[76:77], v[78:79]
	s_andn2_b64 exec, exec, s[6:7]
	s_cbranch_execnz .LBB32_131
; %bb.132:
	s_or_b64 exec, exec, s[6:7]
	v_mov_b32_e32 v72, 0
	ds_read_b64 v[72:73], v72 offset:248
	s_waitcnt lgkmcnt(0)
	v_mul_f64 v[68:69], v[68:69], v[72:73]
	buffer_store_dword v69, off, s[0:3], 0 offset:252
	buffer_store_dword v68, off, s[0:3], 0 offset:248
.LBB32_133:
	s_or_b64 exec, exec, s[4:5]
	s_waitcnt lgkmcnt(0)
	; wave barrier
	buffer_load_dword v68, off, s[0:3], 0 offset:256
	buffer_load_dword v69, off, s[0:3], 0 offset:260
	v_cmp_ne_u32_e32 vcc, 32, v0
	s_waitcnt vmcnt(0)
	ds_write_b64 v70, v[68:69]
	s_waitcnt lgkmcnt(0)
	; wave barrier
	s_waitcnt lgkmcnt(0)
	s_and_saveexec_b64 s[4:5], vcc
	s_cbranch_execz .LBB32_137
; %bb.134:
	v_add_u32_e32 v70, 0x110, v1
	v_add_u32_e32 v1, 0, v1
	s_mov_b64 s[6:7], 0
	v_pk_mov_b32 v[68:69], 0, 0
.LBB32_135:                             ; =>This Inner Loop Header: Depth=1
	buffer_load_dword v72, v1, s[0:3], 0 offen
	buffer_load_dword v73, v1, s[0:3], 0 offen offset:4
	ds_read_b64 v[74:75], v70
	v_add_u32_e32 v71, 1, v71
	v_cmp_lt_u32_e32 vcc, 30, v71
	v_add_u32_e32 v70, 8, v70
	v_add_u32_e32 v1, 8, v1
	s_or_b64 s[6:7], vcc, s[6:7]
	s_waitcnt vmcnt(0) lgkmcnt(0)
	v_fmac_f64_e32 v[68:69], v[72:73], v[74:75]
	s_andn2_b64 exec, exec, s[6:7]
	s_cbranch_execnz .LBB32_135
; %bb.136:
	s_or_b64 exec, exec, s[6:7]
	v_mov_b32_e32 v1, 0
	ds_read_b64 v[70:71], v1 offset:256
	s_waitcnt lgkmcnt(0)
	v_mul_f64 v[68:69], v[68:69], v[70:71]
	buffer_store_dword v69, off, s[0:3], 0 offset:260
	buffer_store_dword v68, off, s[0:3], 0 offset:256
.LBB32_137:
	s_or_b64 exec, exec, s[4:5]
	s_mov_b64 s[6:7], -1
	s_waitcnt lgkmcnt(0)
	; wave barrier
.LBB32_138:
	s_and_b64 vcc, exec, s[6:7]
	s_cbranch_vccz .LBB32_140
; %bb.139:
	s_lshl_b64 s[4:5], s[8:9], 2
	s_add_u32 s4, s14, s4
	s_addc_u32 s5, s15, s5
	v_mov_b32_e32 v1, 0
	global_load_dword v1, v1, s[4:5]
	s_waitcnt vmcnt(0)
	v_cmp_ne_u32_e32 vcc, 0, v1
	s_cbranch_vccz .LBB32_141
.LBB32_140:
	s_endpgm
.LBB32_141:
	v_mov_b32_e32 v1, 0x110
	v_lshl_add_u32 v1, v0, 3, v1
	v_cmp_eq_u32_e32 vcc, 32, v0
	s_and_saveexec_b64 s[4:5], vcc
	s_cbranch_execz .LBB32_143
; %bb.142:
	buffer_load_dword v68, off, s[0:3], 0 offset:248
	buffer_load_dword v69, off, s[0:3], 0 offset:252
	v_mov_b32_e32 v70, 0
	buffer_store_dword v70, off, s[0:3], 0 offset:248
	buffer_store_dword v70, off, s[0:3], 0 offset:252
	s_waitcnt vmcnt(2)
	ds_write_b64 v1, v[68:69]
.LBB32_143:
	s_or_b64 exec, exec, s[4:5]
	s_waitcnt lgkmcnt(0)
	; wave barrier
	s_waitcnt lgkmcnt(0)
	buffer_load_dword v70, off, s[0:3], 0 offset:256
	buffer_load_dword v71, off, s[0:3], 0 offset:260
	buffer_load_dword v72, off, s[0:3], 0 offset:248
	buffer_load_dword v73, off, s[0:3], 0 offset:252
	v_mov_b32_e32 v68, 0
	ds_read_b64 v[74:75], v68 offset:528
	v_cmp_lt_u32_e32 vcc, 30, v0
	s_waitcnt vmcnt(2) lgkmcnt(0)
	v_fma_f64 v[70:71], v[70:71], v[74:75], 0
	s_waitcnt vmcnt(0)
	v_add_f64 v[70:71], v[72:73], -v[70:71]
	buffer_store_dword v70, off, s[0:3], 0 offset:248
	buffer_store_dword v71, off, s[0:3], 0 offset:252
	s_and_saveexec_b64 s[4:5], vcc
	s_cbranch_execz .LBB32_145
; %bb.144:
	buffer_load_dword v70, off, s[0:3], 0 offset:240
	buffer_load_dword v71, off, s[0:3], 0 offset:244
	s_waitcnt vmcnt(0)
	ds_write_b64 v1, v[70:71]
	buffer_store_dword v68, off, s[0:3], 0 offset:240
	buffer_store_dword v68, off, s[0:3], 0 offset:244
.LBB32_145:
	s_or_b64 exec, exec, s[4:5]
	s_waitcnt lgkmcnt(0)
	; wave barrier
	s_waitcnt lgkmcnt(0)
	buffer_load_dword v72, off, s[0:3], 0 offset:248
	buffer_load_dword v73, off, s[0:3], 0 offset:252
	;; [unrolled: 1-line block ×6, first 2 shown]
	ds_read2_b64 v[68:71], v68 offset0:65 offset1:66
	v_cmp_lt_u32_e32 vcc, 29, v0
	s_waitcnt vmcnt(4) lgkmcnt(0)
	v_fma_f64 v[68:69], v[72:73], v[68:69], 0
	s_waitcnt vmcnt(2)
	v_fmac_f64_e32 v[68:69], v[74:75], v[70:71]
	s_waitcnt vmcnt(0)
	v_add_f64 v[68:69], v[76:77], -v[68:69]
	buffer_store_dword v68, off, s[0:3], 0 offset:240
	buffer_store_dword v69, off, s[0:3], 0 offset:244
	s_and_saveexec_b64 s[4:5], vcc
	s_cbranch_execz .LBB32_147
; %bb.146:
	buffer_load_dword v68, off, s[0:3], 0 offset:232
	buffer_load_dword v69, off, s[0:3], 0 offset:236
	v_mov_b32_e32 v70, 0
	buffer_store_dword v70, off, s[0:3], 0 offset:232
	buffer_store_dword v70, off, s[0:3], 0 offset:236
	s_waitcnt vmcnt(2)
	ds_write_b64 v1, v[68:69]
.LBB32_147:
	s_or_b64 exec, exec, s[4:5]
	s_waitcnt lgkmcnt(0)
	; wave barrier
	s_waitcnt lgkmcnt(0)
	buffer_load_dword v74, off, s[0:3], 0 offset:240
	buffer_load_dword v75, off, s[0:3], 0 offset:244
	;; [unrolled: 1-line block ×8, first 2 shown]
	v_mov_b32_e32 v68, 0
	ds_read_b128 v[70:73], v68 offset:512
	ds_read_b64 v[82:83], v68 offset:528
	v_cmp_lt_u32_e32 vcc, 28, v0
	s_waitcnt vmcnt(6) lgkmcnt(1)
	v_fma_f64 v[70:71], v[74:75], v[70:71], 0
	s_waitcnt vmcnt(4)
	v_fmac_f64_e32 v[70:71], v[76:77], v[72:73]
	s_waitcnt vmcnt(2) lgkmcnt(0)
	v_fmac_f64_e32 v[70:71], v[78:79], v[82:83]
	s_waitcnt vmcnt(0)
	v_add_f64 v[70:71], v[80:81], -v[70:71]
	buffer_store_dword v70, off, s[0:3], 0 offset:232
	buffer_store_dword v71, off, s[0:3], 0 offset:236
	s_and_saveexec_b64 s[4:5], vcc
	s_cbranch_execz .LBB32_149
; %bb.148:
	buffer_load_dword v70, off, s[0:3], 0 offset:224
	buffer_load_dword v71, off, s[0:3], 0 offset:228
	s_waitcnt vmcnt(0)
	ds_write_b64 v1, v[70:71]
	buffer_store_dword v68, off, s[0:3], 0 offset:224
	buffer_store_dword v68, off, s[0:3], 0 offset:228
.LBB32_149:
	s_or_b64 exec, exec, s[4:5]
	s_waitcnt lgkmcnt(0)
	; wave barrier
	s_waitcnt lgkmcnt(0)
	buffer_load_dword v78, off, s[0:3], 0 offset:232
	buffer_load_dword v79, off, s[0:3], 0 offset:236
	;; [unrolled: 1-line block ×10, first 2 shown]
	ds_read2_b64 v[70:73], v68 offset0:63 offset1:64
	ds_read2_b64 v[74:77], v68 offset0:65 offset1:66
	v_cmp_lt_u32_e32 vcc, 27, v0
	s_waitcnt vmcnt(8) lgkmcnt(1)
	v_fma_f64 v[68:69], v[78:79], v[70:71], 0
	s_waitcnt vmcnt(6)
	v_fmac_f64_e32 v[68:69], v[80:81], v[72:73]
	s_waitcnt vmcnt(4) lgkmcnt(0)
	v_fmac_f64_e32 v[68:69], v[82:83], v[74:75]
	s_waitcnt vmcnt(2)
	v_fmac_f64_e32 v[68:69], v[84:85], v[76:77]
	s_waitcnt vmcnt(0)
	v_add_f64 v[68:69], v[86:87], -v[68:69]
	buffer_store_dword v68, off, s[0:3], 0 offset:224
	buffer_store_dword v69, off, s[0:3], 0 offset:228
	s_and_saveexec_b64 s[4:5], vcc
	s_cbranch_execz .LBB32_151
; %bb.150:
	buffer_load_dword v68, off, s[0:3], 0 offset:216
	buffer_load_dword v69, off, s[0:3], 0 offset:220
	v_mov_b32_e32 v70, 0
	buffer_store_dword v70, off, s[0:3], 0 offset:216
	buffer_store_dword v70, off, s[0:3], 0 offset:220
	s_waitcnt vmcnt(2)
	ds_write_b64 v1, v[68:69]
.LBB32_151:
	s_or_b64 exec, exec, s[4:5]
	s_waitcnt lgkmcnt(0)
	; wave barrier
	s_waitcnt lgkmcnt(0)
	buffer_load_dword v78, off, s[0:3], 0 offset:224
	buffer_load_dword v79, off, s[0:3], 0 offset:228
	;; [unrolled: 1-line block ×12, first 2 shown]
	v_mov_b32_e32 v68, 0
	ds_read_b128 v[70:73], v68 offset:496
	ds_read_b128 v[74:77], v68 offset:512
	ds_read_b64 v[90:91], v68 offset:528
	v_cmp_lt_u32_e32 vcc, 26, v0
	s_waitcnt vmcnt(10) lgkmcnt(2)
	v_fma_f64 v[70:71], v[78:79], v[70:71], 0
	s_waitcnt vmcnt(8)
	v_fmac_f64_e32 v[70:71], v[80:81], v[72:73]
	s_waitcnt vmcnt(6) lgkmcnt(1)
	v_fmac_f64_e32 v[70:71], v[82:83], v[74:75]
	s_waitcnt vmcnt(4)
	v_fmac_f64_e32 v[70:71], v[84:85], v[76:77]
	s_waitcnt vmcnt(2) lgkmcnt(0)
	v_fmac_f64_e32 v[70:71], v[86:87], v[90:91]
	s_waitcnt vmcnt(0)
	v_add_f64 v[70:71], v[88:89], -v[70:71]
	buffer_store_dword v70, off, s[0:3], 0 offset:216
	buffer_store_dword v71, off, s[0:3], 0 offset:220
	s_and_saveexec_b64 s[4:5], vcc
	s_cbranch_execz .LBB32_153
; %bb.152:
	buffer_load_dword v70, off, s[0:3], 0 offset:208
	buffer_load_dword v71, off, s[0:3], 0 offset:212
	s_waitcnt vmcnt(0)
	ds_write_b64 v1, v[70:71]
	buffer_store_dword v68, off, s[0:3], 0 offset:208
	buffer_store_dword v68, off, s[0:3], 0 offset:212
.LBB32_153:
	s_or_b64 exec, exec, s[4:5]
	s_waitcnt lgkmcnt(0)
	; wave barrier
	s_waitcnt lgkmcnt(0)
	buffer_load_dword v82, off, s[0:3], 0 offset:216
	buffer_load_dword v83, off, s[0:3], 0 offset:220
	;; [unrolled: 1-line block ×14, first 2 shown]
	ds_read2_b64 v[70:73], v68 offset0:61 offset1:62
	ds_read2_b64 v[74:77], v68 offset0:63 offset1:64
	;; [unrolled: 1-line block ×3, first 2 shown]
	v_cmp_lt_u32_e32 vcc, 25, v0
	s_waitcnt vmcnt(12) lgkmcnt(2)
	v_fma_f64 v[68:69], v[82:83], v[70:71], 0
	s_waitcnt vmcnt(10)
	v_fmac_f64_e32 v[68:69], v[84:85], v[72:73]
	s_waitcnt vmcnt(8) lgkmcnt(1)
	v_fmac_f64_e32 v[68:69], v[86:87], v[74:75]
	s_waitcnt vmcnt(6)
	v_fmac_f64_e32 v[68:69], v[88:89], v[76:77]
	s_waitcnt vmcnt(4) lgkmcnt(0)
	v_fmac_f64_e32 v[68:69], v[90:91], v[78:79]
	s_waitcnt vmcnt(2)
	v_fmac_f64_e32 v[68:69], v[92:93], v[80:81]
	s_waitcnt vmcnt(0)
	v_add_f64 v[68:69], v[94:95], -v[68:69]
	buffer_store_dword v68, off, s[0:3], 0 offset:208
	buffer_store_dword v69, off, s[0:3], 0 offset:212
	s_and_saveexec_b64 s[4:5], vcc
	s_cbranch_execz .LBB32_155
; %bb.154:
	buffer_load_dword v68, off, s[0:3], 0 offset:200
	buffer_load_dword v69, off, s[0:3], 0 offset:204
	v_mov_b32_e32 v70, 0
	buffer_store_dword v70, off, s[0:3], 0 offset:200
	buffer_store_dword v70, off, s[0:3], 0 offset:204
	s_waitcnt vmcnt(2)
	ds_write_b64 v1, v[68:69]
.LBB32_155:
	s_or_b64 exec, exec, s[4:5]
	s_waitcnt lgkmcnt(0)
	; wave barrier
	s_waitcnt lgkmcnt(0)
	buffer_load_dword v82, off, s[0:3], 0 offset:208
	buffer_load_dword v83, off, s[0:3], 0 offset:212
	;; [unrolled: 1-line block ×16, first 2 shown]
	v_mov_b32_e32 v68, 0
	ds_read_b128 v[70:73], v68 offset:480
	ds_read_b128 v[74:77], v68 offset:496
	;; [unrolled: 1-line block ×3, first 2 shown]
	ds_read_b64 v[98:99], v68 offset:528
	v_cmp_lt_u32_e32 vcc, 24, v0
	s_waitcnt vmcnt(14) lgkmcnt(3)
	v_fma_f64 v[70:71], v[82:83], v[70:71], 0
	s_waitcnt vmcnt(12)
	v_fmac_f64_e32 v[70:71], v[84:85], v[72:73]
	s_waitcnt vmcnt(10) lgkmcnt(2)
	v_fmac_f64_e32 v[70:71], v[86:87], v[74:75]
	s_waitcnt vmcnt(8)
	v_fmac_f64_e32 v[70:71], v[88:89], v[76:77]
	s_waitcnt vmcnt(6) lgkmcnt(1)
	v_fmac_f64_e32 v[70:71], v[90:91], v[78:79]
	;; [unrolled: 4-line block ×3, first 2 shown]
	s_waitcnt vmcnt(0)
	v_add_f64 v[70:71], v[96:97], -v[70:71]
	buffer_store_dword v70, off, s[0:3], 0 offset:200
	buffer_store_dword v71, off, s[0:3], 0 offset:204
	s_and_saveexec_b64 s[4:5], vcc
	s_cbranch_execz .LBB32_157
; %bb.156:
	buffer_load_dword v70, off, s[0:3], 0 offset:192
	buffer_load_dword v71, off, s[0:3], 0 offset:196
	s_waitcnt vmcnt(0)
	ds_write_b64 v1, v[70:71]
	buffer_store_dword v68, off, s[0:3], 0 offset:192
	buffer_store_dword v68, off, s[0:3], 0 offset:196
.LBB32_157:
	s_or_b64 exec, exec, s[4:5]
	s_waitcnt lgkmcnt(0)
	; wave barrier
	s_waitcnt lgkmcnt(0)
	buffer_load_dword v86, off, s[0:3], 0 offset:200
	buffer_load_dword v87, off, s[0:3], 0 offset:204
	;; [unrolled: 1-line block ×18, first 2 shown]
	ds_read2_b64 v[70:73], v68 offset0:59 offset1:60
	ds_read2_b64 v[74:77], v68 offset0:61 offset1:62
	;; [unrolled: 1-line block ×4, first 2 shown]
	v_cmp_lt_u32_e32 vcc, 23, v0
	s_waitcnt vmcnt(16) lgkmcnt(3)
	v_fma_f64 v[68:69], v[86:87], v[70:71], 0
	s_waitcnt vmcnt(14)
	v_fmac_f64_e32 v[68:69], v[88:89], v[72:73]
	s_waitcnt vmcnt(12) lgkmcnt(2)
	v_fmac_f64_e32 v[68:69], v[90:91], v[74:75]
	s_waitcnt vmcnt(10)
	v_fmac_f64_e32 v[68:69], v[92:93], v[76:77]
	s_waitcnt vmcnt(8) lgkmcnt(1)
	v_fmac_f64_e32 v[68:69], v[94:95], v[78:79]
	;; [unrolled: 4-line block ×3, first 2 shown]
	s_waitcnt vmcnt(2)
	v_fmac_f64_e32 v[68:69], v[100:101], v[84:85]
	s_waitcnt vmcnt(0)
	v_add_f64 v[68:69], v[102:103], -v[68:69]
	buffer_store_dword v68, off, s[0:3], 0 offset:192
	buffer_store_dword v69, off, s[0:3], 0 offset:196
	s_and_saveexec_b64 s[4:5], vcc
	s_cbranch_execz .LBB32_159
; %bb.158:
	buffer_load_dword v68, off, s[0:3], 0 offset:184
	buffer_load_dword v69, off, s[0:3], 0 offset:188
	v_mov_b32_e32 v70, 0
	buffer_store_dword v70, off, s[0:3], 0 offset:184
	buffer_store_dword v70, off, s[0:3], 0 offset:188
	s_waitcnt vmcnt(2)
	ds_write_b64 v1, v[68:69]
.LBB32_159:
	s_or_b64 exec, exec, s[4:5]
	s_waitcnt lgkmcnt(0)
	; wave barrier
	s_waitcnt lgkmcnt(0)
	buffer_load_dword v86, off, s[0:3], 0 offset:192
	buffer_load_dword v87, off, s[0:3], 0 offset:196
	buffer_load_dword v88, off, s[0:3], 0 offset:200
	buffer_load_dword v89, off, s[0:3], 0 offset:204
	buffer_load_dword v90, off, s[0:3], 0 offset:208
	buffer_load_dword v91, off, s[0:3], 0 offset:212
	buffer_load_dword v92, off, s[0:3], 0 offset:216
	buffer_load_dword v93, off, s[0:3], 0 offset:220
	buffer_load_dword v94, off, s[0:3], 0 offset:224
	buffer_load_dword v95, off, s[0:3], 0 offset:228
	buffer_load_dword v96, off, s[0:3], 0 offset:232
	buffer_load_dword v97, off, s[0:3], 0 offset:236
	buffer_load_dword v98, off, s[0:3], 0 offset:240
	buffer_load_dword v99, off, s[0:3], 0 offset:244
	buffer_load_dword v101, off, s[0:3], 0 offset:260
	buffer_load_dword v100, off, s[0:3], 0 offset:256
	buffer_load_dword v103, off, s[0:3], 0 offset:252
	buffer_load_dword v102, off, s[0:3], 0 offset:248
	buffer_load_dword v104, off, s[0:3], 0 offset:184
	buffer_load_dword v105, off, s[0:3], 0 offset:188
	v_mov_b32_e32 v68, 0
	ds_read_b128 v[70:73], v68 offset:464
	ds_read_b128 v[74:77], v68 offset:480
	;; [unrolled: 1-line block ×4, first 2 shown]
	ds_read_b64 v[106:107], v68 offset:528
	v_cmp_lt_u32_e32 vcc, 22, v0
	s_waitcnt vmcnt(18) lgkmcnt(4)
	v_fma_f64 v[70:71], v[86:87], v[70:71], 0
	s_waitcnt vmcnt(16)
	v_fmac_f64_e32 v[70:71], v[88:89], v[72:73]
	s_waitcnt vmcnt(14) lgkmcnt(3)
	v_fmac_f64_e32 v[70:71], v[90:91], v[74:75]
	s_waitcnt vmcnt(12)
	v_fmac_f64_e32 v[70:71], v[92:93], v[76:77]
	s_waitcnt vmcnt(10) lgkmcnt(2)
	v_fmac_f64_e32 v[70:71], v[94:95], v[78:79]
	;; [unrolled: 4-line block ×3, first 2 shown]
	s_waitcnt vmcnt(2)
	v_fmac_f64_e32 v[70:71], v[102:103], v[84:85]
	s_waitcnt lgkmcnt(0)
	v_fmac_f64_e32 v[70:71], v[100:101], v[106:107]
	s_waitcnt vmcnt(0)
	v_add_f64 v[70:71], v[104:105], -v[70:71]
	buffer_store_dword v70, off, s[0:3], 0 offset:184
	buffer_store_dword v71, off, s[0:3], 0 offset:188
	s_and_saveexec_b64 s[4:5], vcc
	s_cbranch_execz .LBB32_161
; %bb.160:
	buffer_load_dword v70, off, s[0:3], 0 offset:176
	buffer_load_dword v71, off, s[0:3], 0 offset:180
	s_waitcnt vmcnt(0)
	ds_write_b64 v1, v[70:71]
	buffer_store_dword v68, off, s[0:3], 0 offset:176
	buffer_store_dword v68, off, s[0:3], 0 offset:180
.LBB32_161:
	s_or_b64 exec, exec, s[4:5]
	s_waitcnt lgkmcnt(0)
	; wave barrier
	s_waitcnt lgkmcnt(0)
	buffer_load_dword v90, off, s[0:3], 0 offset:184
	buffer_load_dword v91, off, s[0:3], 0 offset:188
	;; [unrolled: 1-line block ×22, first 2 shown]
	ds_read2_b64 v[70:73], v68 offset0:57 offset1:58
	ds_read2_b64 v[74:77], v68 offset0:59 offset1:60
	;; [unrolled: 1-line block ×5, first 2 shown]
	v_cmp_lt_u32_e32 vcc, 21, v0
	s_waitcnt vmcnt(20) lgkmcnt(4)
	v_fma_f64 v[68:69], v[90:91], v[70:71], 0
	s_waitcnt vmcnt(18)
	v_fmac_f64_e32 v[68:69], v[92:93], v[72:73]
	s_waitcnt vmcnt(16) lgkmcnt(3)
	v_fmac_f64_e32 v[68:69], v[94:95], v[74:75]
	s_waitcnt vmcnt(14)
	v_fmac_f64_e32 v[68:69], v[96:97], v[76:77]
	s_waitcnt vmcnt(12) lgkmcnt(2)
	v_fmac_f64_e32 v[68:69], v[98:99], v[78:79]
	s_waitcnt vmcnt(10)
	v_fmac_f64_e32 v[68:69], v[100:101], v[80:81]
	s_waitcnt vmcnt(8) lgkmcnt(1)
	v_fmac_f64_e32 v[68:69], v[102:103], v[82:83]
	s_waitcnt vmcnt(3)
	v_fmac_f64_e32 v[68:69], v[108:109], v[84:85]
	s_waitcnt lgkmcnt(0)
	v_fmac_f64_e32 v[68:69], v[106:107], v[86:87]
	s_waitcnt vmcnt(2)
	v_fmac_f64_e32 v[68:69], v[104:105], v[88:89]
	s_waitcnt vmcnt(0)
	v_add_f64 v[68:69], v[110:111], -v[68:69]
	buffer_store_dword v68, off, s[0:3], 0 offset:176
	buffer_store_dword v69, off, s[0:3], 0 offset:180
	s_and_saveexec_b64 s[4:5], vcc
	s_cbranch_execz .LBB32_163
; %bb.162:
	buffer_load_dword v68, off, s[0:3], 0 offset:168
	buffer_load_dword v69, off, s[0:3], 0 offset:172
	v_mov_b32_e32 v70, 0
	buffer_store_dword v70, off, s[0:3], 0 offset:168
	buffer_store_dword v70, off, s[0:3], 0 offset:172
	s_waitcnt vmcnt(2)
	ds_write_b64 v1, v[68:69]
.LBB32_163:
	s_or_b64 exec, exec, s[4:5]
	s_waitcnt lgkmcnt(0)
	; wave barrier
	s_waitcnt lgkmcnt(0)
	buffer_load_dword v90, off, s[0:3], 0 offset:176
	buffer_load_dword v91, off, s[0:3], 0 offset:180
	;; [unrolled: 1-line block ×24, first 2 shown]
	v_mov_b32_e32 v68, 0
	ds_read_b128 v[70:73], v68 offset:448
	ds_read_b128 v[74:77], v68 offset:464
	;; [unrolled: 1-line block ×5, first 2 shown]
	ds_read_b64 v[114:115], v68 offset:528
	v_cmp_lt_u32_e32 vcc, 20, v0
	s_waitcnt vmcnt(22) lgkmcnt(5)
	v_fma_f64 v[70:71], v[90:91], v[70:71], 0
	s_waitcnt vmcnt(20)
	v_fmac_f64_e32 v[70:71], v[92:93], v[72:73]
	s_waitcnt vmcnt(18) lgkmcnt(4)
	v_fmac_f64_e32 v[70:71], v[94:95], v[74:75]
	s_waitcnt vmcnt(16)
	v_fmac_f64_e32 v[70:71], v[96:97], v[76:77]
	s_waitcnt vmcnt(14) lgkmcnt(3)
	v_fmac_f64_e32 v[70:71], v[98:99], v[78:79]
	;; [unrolled: 4-line block ×3, first 2 shown]
	s_waitcnt vmcnt(4)
	v_fmac_f64_e32 v[70:71], v[110:111], v[84:85]
	s_waitcnt lgkmcnt(1)
	v_fmac_f64_e32 v[70:71], v[108:109], v[86:87]
	s_waitcnt vmcnt(3)
	v_fmac_f64_e32 v[70:71], v[106:107], v[88:89]
	s_waitcnt vmcnt(2) lgkmcnt(0)
	v_fmac_f64_e32 v[70:71], v[104:105], v[114:115]
	s_waitcnt vmcnt(0)
	v_add_f64 v[70:71], v[112:113], -v[70:71]
	buffer_store_dword v71, off, s[0:3], 0 offset:172
	buffer_store_dword v70, off, s[0:3], 0 offset:168
	s_and_saveexec_b64 s[4:5], vcc
	s_cbranch_execz .LBB32_165
; %bb.164:
	buffer_load_dword v70, off, s[0:3], 0 offset:160
	buffer_load_dword v71, off, s[0:3], 0 offset:164
	s_waitcnt vmcnt(0)
	ds_write_b64 v1, v[70:71]
	buffer_store_dword v68, off, s[0:3], 0 offset:160
	buffer_store_dword v68, off, s[0:3], 0 offset:164
.LBB32_165:
	s_or_b64 exec, exec, s[4:5]
	s_waitcnt lgkmcnt(0)
	; wave barrier
	s_waitcnt lgkmcnt(0)
	buffer_load_dword v94, off, s[0:3], 0 offset:168
	buffer_load_dword v95, off, s[0:3], 0 offset:172
	;; [unrolled: 1-line block ×26, first 2 shown]
	ds_read2_b64 v[70:73], v68 offset0:55 offset1:56
	ds_read2_b64 v[74:77], v68 offset0:57 offset1:58
	;; [unrolled: 1-line block ×6, first 2 shown]
	v_cmp_lt_u32_e32 vcc, 19, v0
	s_waitcnt vmcnt(24) lgkmcnt(5)
	v_fma_f64 v[68:69], v[94:95], v[70:71], 0
	s_waitcnt vmcnt(22)
	v_fmac_f64_e32 v[68:69], v[96:97], v[72:73]
	s_waitcnt vmcnt(20) lgkmcnt(4)
	v_fmac_f64_e32 v[68:69], v[98:99], v[74:75]
	s_waitcnt vmcnt(18)
	v_fmac_f64_e32 v[68:69], v[100:101], v[76:77]
	s_waitcnt vmcnt(16) lgkmcnt(3)
	v_fmac_f64_e32 v[68:69], v[102:103], v[78:79]
	;; [unrolled: 4-line block ×3, first 2 shown]
	s_waitcnt vmcnt(5)
	v_fmac_f64_e32 v[68:69], v[114:115], v[84:85]
	s_waitcnt lgkmcnt(1)
	v_fmac_f64_e32 v[68:69], v[112:113], v[86:87]
	v_fmac_f64_e32 v[68:69], v[110:111], v[88:89]
	s_waitcnt vmcnt(4) lgkmcnt(0)
	v_fmac_f64_e32 v[68:69], v[108:109], v[90:91]
	s_waitcnt vmcnt(2)
	v_fmac_f64_e32 v[68:69], v[116:117], v[92:93]
	s_waitcnt vmcnt(0)
	v_add_f64 v[68:69], v[118:119], -v[68:69]
	buffer_store_dword v69, off, s[0:3], 0 offset:164
	buffer_store_dword v68, off, s[0:3], 0 offset:160
	s_and_saveexec_b64 s[4:5], vcc
	s_cbranch_execz .LBB32_167
; %bb.166:
	buffer_load_dword v68, off, s[0:3], 0 offset:152
	buffer_load_dword v69, off, s[0:3], 0 offset:156
	v_mov_b32_e32 v70, 0
	buffer_store_dword v70, off, s[0:3], 0 offset:152
	buffer_store_dword v70, off, s[0:3], 0 offset:156
	s_waitcnt vmcnt(2)
	ds_write_b64 v1, v[68:69]
.LBB32_167:
	s_or_b64 exec, exec, s[4:5]
	s_waitcnt lgkmcnt(0)
	; wave barrier
	s_waitcnt lgkmcnt(0)
	buffer_load_dword v94, off, s[0:3], 0 offset:160
	buffer_load_dword v95, off, s[0:3], 0 offset:164
	;; [unrolled: 1-line block ×28, first 2 shown]
	v_mov_b32_e32 v68, 0
	ds_read_b128 v[70:73], v68 offset:432
	ds_read_b128 v[74:77], v68 offset:448
	;; [unrolled: 1-line block ×6, first 2 shown]
	ds_read_b64 v[122:123], v68 offset:528
	v_cmp_lt_u32_e32 vcc, 18, v0
	s_waitcnt vmcnt(26) lgkmcnt(6)
	v_fma_f64 v[70:71], v[94:95], v[70:71], 0
	s_waitcnt vmcnt(24)
	v_fmac_f64_e32 v[70:71], v[96:97], v[72:73]
	s_waitcnt vmcnt(22) lgkmcnt(5)
	v_fmac_f64_e32 v[70:71], v[98:99], v[74:75]
	s_waitcnt vmcnt(20)
	v_fmac_f64_e32 v[70:71], v[100:101], v[76:77]
	s_waitcnt vmcnt(18) lgkmcnt(4)
	v_fmac_f64_e32 v[70:71], v[102:103], v[78:79]
	;; [unrolled: 4-line block ×3, first 2 shown]
	s_waitcnt vmcnt(6)
	v_fmac_f64_e32 v[70:71], v[114:115], v[84:85]
	s_waitcnt lgkmcnt(2)
	v_fmac_f64_e32 v[70:71], v[112:113], v[86:87]
	v_fmac_f64_e32 v[70:71], v[110:111], v[88:89]
	s_waitcnt lgkmcnt(1)
	v_fmac_f64_e32 v[70:71], v[108:109], v[90:91]
	s_waitcnt vmcnt(2)
	v_fmac_f64_e32 v[70:71], v[118:119], v[92:93]
	s_waitcnt lgkmcnt(0)
	v_fmac_f64_e32 v[70:71], v[116:117], v[122:123]
	s_waitcnt vmcnt(0)
	v_add_f64 v[70:71], v[120:121], -v[70:71]
	buffer_store_dword v71, off, s[0:3], 0 offset:156
	buffer_store_dword v70, off, s[0:3], 0 offset:152
	s_and_saveexec_b64 s[4:5], vcc
	s_cbranch_execz .LBB32_169
; %bb.168:
	buffer_load_dword v70, off, s[0:3], 0 offset:144
	buffer_load_dword v71, off, s[0:3], 0 offset:148
	s_waitcnt vmcnt(0)
	ds_write_b64 v1, v[70:71]
	buffer_store_dword v68, off, s[0:3], 0 offset:144
	buffer_store_dword v68, off, s[0:3], 0 offset:148
.LBB32_169:
	s_or_b64 exec, exec, s[4:5]
	s_waitcnt lgkmcnt(0)
	; wave barrier
	s_waitcnt lgkmcnt(0)
	buffer_load_dword v98, off, s[0:3], 0 offset:152
	buffer_load_dword v99, off, s[0:3], 0 offset:156
	;; [unrolled: 1-line block ×30, first 2 shown]
	ds_read2_b64 v[70:73], v68 offset0:53 offset1:54
	ds_read2_b64 v[74:77], v68 offset0:55 offset1:56
	;; [unrolled: 1-line block ×7, first 2 shown]
	v_cmp_lt_u32_e32 vcc, 17, v0
	s_waitcnt vmcnt(28) lgkmcnt(6)
	v_fma_f64 v[68:69], v[98:99], v[70:71], 0
	s_waitcnt vmcnt(26)
	v_fmac_f64_e32 v[68:69], v[100:101], v[72:73]
	s_waitcnt vmcnt(24) lgkmcnt(5)
	v_fmac_f64_e32 v[68:69], v[102:103], v[74:75]
	s_waitcnt vmcnt(22)
	v_fmac_f64_e32 v[68:69], v[104:105], v[76:77]
	s_waitcnt vmcnt(20) lgkmcnt(4)
	v_fmac_f64_e32 v[68:69], v[106:107], v[78:79]
	;; [unrolled: 4-line block ×3, first 2 shown]
	s_waitcnt vmcnt(8)
	v_fmac_f64_e32 v[68:69], v[118:119], v[84:85]
	s_waitcnt lgkmcnt(2)
	v_fmac_f64_e32 v[68:69], v[116:117], v[86:87]
	v_fmac_f64_e32 v[68:69], v[114:115], v[88:89]
	s_waitcnt lgkmcnt(1)
	v_fmac_f64_e32 v[68:69], v[112:113], v[90:91]
	s_waitcnt vmcnt(3)
	v_fmac_f64_e32 v[68:69], v[124:125], v[92:93]
	s_waitcnt lgkmcnt(0)
	v_fmac_f64_e32 v[68:69], v[122:123], v[94:95]
	s_waitcnt vmcnt(2)
	v_fmac_f64_e32 v[68:69], v[120:121], v[96:97]
	s_waitcnt vmcnt(0)
	v_add_f64 v[68:69], v[126:127], -v[68:69]
	buffer_store_dword v69, off, s[0:3], 0 offset:148
	buffer_store_dword v68, off, s[0:3], 0 offset:144
	s_and_saveexec_b64 s[4:5], vcc
	s_cbranch_execz .LBB32_171
; %bb.170:
	buffer_load_dword v68, off, s[0:3], 0 offset:136
	buffer_load_dword v69, off, s[0:3], 0 offset:140
	v_mov_b32_e32 v70, 0
	buffer_store_dword v70, off, s[0:3], 0 offset:136
	buffer_store_dword v70, off, s[0:3], 0 offset:140
	s_waitcnt vmcnt(2)
	ds_write_b64 v1, v[68:69]
.LBB32_171:
	s_or_b64 exec, exec, s[4:5]
	s_waitcnt lgkmcnt(0)
	; wave barrier
	s_waitcnt lgkmcnt(0)
	buffer_load_dword v86, off, s[0:3], 0 offset:136
	buffer_load_dword v87, off, s[0:3], 0 offset:140
	buffer_load_dword v88, off, s[0:3], 0 offset:144
	buffer_load_dword v89, off, s[0:3], 0 offset:148
	buffer_load_dword v90, off, s[0:3], 0 offset:152
	buffer_load_dword v91, off, s[0:3], 0 offset:156
	buffer_load_dword v92, off, s[0:3], 0 offset:160
	buffer_load_dword v93, off, s[0:3], 0 offset:164
	buffer_load_dword v94, off, s[0:3], 0 offset:168
	buffer_load_dword v95, off, s[0:3], 0 offset:172
	buffer_load_dword v96, off, s[0:3], 0 offset:176
	buffer_load_dword v97, off, s[0:3], 0 offset:180
	buffer_load_dword v98, off, s[0:3], 0 offset:184
	buffer_load_dword v99, off, s[0:3], 0 offset:188
	buffer_load_dword v100, off, s[0:3], 0 offset:192
	buffer_load_dword v101, off, s[0:3], 0 offset:196
	v_mov_b32_e32 v68, 0
	ds_read_b128 v[70:73], v68 offset:416
	ds_read_b128 v[74:77], v68 offset:432
	ds_read_b128 v[78:81], v68 offset:448
	ds_read_b128 v[82:85], v68 offset:464
	v_cmp_lt_u32_e32 vcc, 16, v0
	s_waitcnt vmcnt(12) lgkmcnt(3)
	v_fma_f64 v[88:89], v[88:89], v[70:71], 0
	buffer_load_dword v71, off, s[0:3], 0 offset:204
	buffer_load_dword v70, off, s[0:3], 0 offset:200
	s_waitcnt vmcnt(12)
	v_fmac_f64_e32 v[88:89], v[90:91], v[72:73]
	s_waitcnt vmcnt(10) lgkmcnt(2)
	v_fmac_f64_e32 v[88:89], v[92:93], v[74:75]
	buffer_load_dword v75, off, s[0:3], 0 offset:212
	buffer_load_dword v74, off, s[0:3], 0 offset:208
	s_waitcnt vmcnt(10)
	v_fmac_f64_e32 v[88:89], v[94:95], v[76:77]
	s_waitcnt vmcnt(8) lgkmcnt(1)
	v_fmac_f64_e32 v[88:89], v[96:97], v[78:79]
	s_waitcnt vmcnt(6)
	v_fmac_f64_e32 v[88:89], v[98:99], v[80:81]
	s_waitcnt vmcnt(4) lgkmcnt(0)
	v_fmac_f64_e32 v[88:89], v[100:101], v[82:83]
	s_waitcnt vmcnt(2)
	v_fmac_f64_e32 v[88:89], v[70:71], v[84:85]
	ds_read_b128 v[70:73], v68 offset:480
	s_waitcnt vmcnt(0) lgkmcnt(0)
	v_fmac_f64_e32 v[88:89], v[74:75], v[70:71]
	buffer_load_dword v71, off, s[0:3], 0 offset:220
	buffer_load_dword v70, off, s[0:3], 0 offset:216
	;; [unrolled: 1-line block ×4, first 2 shown]
	s_waitcnt vmcnt(2)
	v_fmac_f64_e32 v[88:89], v[70:71], v[72:73]
	ds_read_b128 v[70:73], v68 offset:496
	s_waitcnt vmcnt(0) lgkmcnt(0)
	v_fmac_f64_e32 v[88:89], v[74:75], v[70:71]
	buffer_load_dword v71, off, s[0:3], 0 offset:236
	buffer_load_dword v70, off, s[0:3], 0 offset:232
	;; [unrolled: 1-line block ×4, first 2 shown]
	s_waitcnt vmcnt(2)
	v_fmac_f64_e32 v[88:89], v[70:71], v[72:73]
	ds_read_b128 v[70:73], v68 offset:512
	s_waitcnt vmcnt(0) lgkmcnt(0)
	v_fmac_f64_e32 v[88:89], v[74:75], v[70:71]
	buffer_load_dword v71, off, s[0:3], 0 offset:252
	buffer_load_dword v70, off, s[0:3], 0 offset:248
	s_waitcnt vmcnt(0)
	v_fmac_f64_e32 v[88:89], v[70:71], v[72:73]
	buffer_load_dword v71, off, s[0:3], 0 offset:260
	buffer_load_dword v70, off, s[0:3], 0 offset:256
	ds_read_b64 v[72:73], v68 offset:528
	s_waitcnt vmcnt(0) lgkmcnt(0)
	v_fmac_f64_e32 v[88:89], v[70:71], v[72:73]
	v_add_f64 v[70:71], v[86:87], -v[88:89]
	buffer_store_dword v71, off, s[0:3], 0 offset:140
	buffer_store_dword v70, off, s[0:3], 0 offset:136
	s_and_saveexec_b64 s[4:5], vcc
	s_cbranch_execz .LBB32_173
; %bb.172:
	buffer_load_dword v70, off, s[0:3], 0 offset:128
	buffer_load_dword v71, off, s[0:3], 0 offset:132
	s_waitcnt vmcnt(0)
	ds_write_b64 v1, v[70:71]
	buffer_store_dword v68, off, s[0:3], 0 offset:128
	buffer_store_dword v68, off, s[0:3], 0 offset:132
.LBB32_173:
	s_or_b64 exec, exec, s[4:5]
	s_waitcnt lgkmcnt(0)
	; wave barrier
	s_waitcnt lgkmcnt(0)
	buffer_load_dword v74, off, s[0:3], 0 offset:128
	buffer_load_dword v75, off, s[0:3], 0 offset:132
	buffer_load_dword v76, off, s[0:3], 0 offset:136
	buffer_load_dword v77, off, s[0:3], 0 offset:140
	buffer_load_dword v78, off, s[0:3], 0 offset:144
	buffer_load_dword v79, off, s[0:3], 0 offset:148
	buffer_load_dword v80, off, s[0:3], 0 offset:152
	buffer_load_dword v81, off, s[0:3], 0 offset:156
	buffer_load_dword v82, off, s[0:3], 0 offset:160
	buffer_load_dword v83, off, s[0:3], 0 offset:164
	buffer_load_dword v84, off, s[0:3], 0 offset:168
	buffer_load_dword v85, off, s[0:3], 0 offset:172
	buffer_load_dword v86, off, s[0:3], 0 offset:176
	buffer_load_dword v87, off, s[0:3], 0 offset:180
	buffer_load_dword v88, off, s[0:3], 0 offset:184
	buffer_load_dword v89, off, s[0:3], 0 offset:188
	ds_read2_b64 v[70:73], v68 offset0:51 offset1:52
	v_cmp_lt_u32_e32 vcc, 15, v0
	s_waitcnt vmcnt(12) lgkmcnt(0)
	v_fma_f64 v[76:77], v[76:77], v[70:71], 0
	s_waitcnt vmcnt(10)
	v_fmac_f64_e32 v[76:77], v[78:79], v[72:73]
	ds_read2_b64 v[70:73], v68 offset0:53 offset1:54
	s_waitcnt vmcnt(8) lgkmcnt(0)
	v_fmac_f64_e32 v[76:77], v[80:81], v[70:71]
	s_waitcnt vmcnt(6)
	v_fmac_f64_e32 v[76:77], v[82:83], v[72:73]
	ds_read2_b64 v[70:73], v68 offset0:55 offset1:56
	s_waitcnt vmcnt(4) lgkmcnt(0)
	v_fmac_f64_e32 v[76:77], v[84:85], v[70:71]
	;; [unrolled: 5-line block ×3, first 2 shown]
	buffer_load_dword v71, off, s[0:3], 0 offset:196
	buffer_load_dword v70, off, s[0:3], 0 offset:192
	buffer_load_dword v79, off, s[0:3], 0 offset:204
	buffer_load_dword v78, off, s[0:3], 0 offset:200
	s_waitcnt vmcnt(2)
	v_fmac_f64_e32 v[76:77], v[70:71], v[72:73]
	ds_read2_b64 v[70:73], v68 offset0:59 offset1:60
	s_waitcnt vmcnt(0) lgkmcnt(0)
	v_fmac_f64_e32 v[76:77], v[78:79], v[70:71]
	buffer_load_dword v71, off, s[0:3], 0 offset:212
	buffer_load_dword v70, off, s[0:3], 0 offset:208
	buffer_load_dword v79, off, s[0:3], 0 offset:220
	buffer_load_dword v78, off, s[0:3], 0 offset:216
	s_waitcnt vmcnt(2)
	v_fmac_f64_e32 v[76:77], v[70:71], v[72:73]
	ds_read2_b64 v[70:73], v68 offset0:61 offset1:62
	s_waitcnt vmcnt(0) lgkmcnt(0)
	v_fmac_f64_e32 v[76:77], v[78:79], v[70:71]
	;; [unrolled: 9-line block ×3, first 2 shown]
	buffer_load_dword v71, off, s[0:3], 0 offset:244
	buffer_load_dword v70, off, s[0:3], 0 offset:240
	s_waitcnt vmcnt(0)
	v_fmac_f64_e32 v[76:77], v[70:71], v[72:73]
	buffer_load_dword v73, off, s[0:3], 0 offset:252
	buffer_load_dword v72, off, s[0:3], 0 offset:248
	ds_read2_b64 v[68:71], v68 offset0:65 offset1:66
	s_waitcnt vmcnt(0) lgkmcnt(0)
	v_fmac_f64_e32 v[76:77], v[72:73], v[68:69]
	buffer_load_dword v69, off, s[0:3], 0 offset:260
	buffer_load_dword v68, off, s[0:3], 0 offset:256
	s_waitcnt vmcnt(0)
	v_fmac_f64_e32 v[76:77], v[68:69], v[70:71]
	v_add_f64 v[68:69], v[74:75], -v[76:77]
	buffer_store_dword v69, off, s[0:3], 0 offset:132
	buffer_store_dword v68, off, s[0:3], 0 offset:128
	s_and_saveexec_b64 s[4:5], vcc
	s_cbranch_execz .LBB32_175
; %bb.174:
	buffer_load_dword v68, off, s[0:3], 0 offset:120
	buffer_load_dword v69, off, s[0:3], 0 offset:124
	v_mov_b32_e32 v70, 0
	buffer_store_dword v70, off, s[0:3], 0 offset:120
	buffer_store_dword v70, off, s[0:3], 0 offset:124
	s_waitcnt vmcnt(2)
	ds_write_b64 v1, v[68:69]
.LBB32_175:
	s_or_b64 exec, exec, s[4:5]
	s_waitcnt lgkmcnt(0)
	; wave barrier
	s_waitcnt lgkmcnt(0)
	buffer_load_dword v68, off, s[0:3], 0 offset:120
	buffer_load_dword v69, off, s[0:3], 0 offset:124
	;; [unrolled: 1-line block ×16, first 2 shown]
	v_mov_b32_e32 v72, 0
	ds_read_b128 v[74:77], v72 offset:400
	ds_read_b128 v[78:81], v72 offset:416
	;; [unrolled: 1-line block ×4, first 2 shown]
	v_cmp_lt_u32_e32 vcc, 14, v0
	s_waitcnt vmcnt(12) lgkmcnt(3)
	v_fma_f64 v[70:71], v[70:71], v[74:75], 0
	buffer_load_dword v75, off, s[0:3], 0 offset:188
	buffer_load_dword v74, off, s[0:3], 0 offset:184
	s_waitcnt vmcnt(12)
	v_fmac_f64_e32 v[70:71], v[90:91], v[76:77]
	s_waitcnt vmcnt(10) lgkmcnt(2)
	v_fmac_f64_e32 v[70:71], v[92:93], v[78:79]
	buffer_load_dword v79, off, s[0:3], 0 offset:196
	buffer_load_dword v78, off, s[0:3], 0 offset:192
	s_waitcnt vmcnt(10)
	v_fmac_f64_e32 v[70:71], v[94:95], v[80:81]
	s_waitcnt vmcnt(8) lgkmcnt(1)
	v_fmac_f64_e32 v[70:71], v[96:97], v[82:83]
	s_waitcnt vmcnt(6)
	v_fmac_f64_e32 v[70:71], v[98:99], v[84:85]
	s_waitcnt vmcnt(4) lgkmcnt(0)
	v_fmac_f64_e32 v[70:71], v[100:101], v[86:87]
	s_waitcnt vmcnt(2)
	v_fmac_f64_e32 v[70:71], v[74:75], v[88:89]
	ds_read_b128 v[74:77], v72 offset:464
	s_waitcnt vmcnt(0) lgkmcnt(0)
	v_fmac_f64_e32 v[70:71], v[78:79], v[74:75]
	buffer_load_dword v75, off, s[0:3], 0 offset:204
	buffer_load_dword v74, off, s[0:3], 0 offset:200
	buffer_load_dword v79, off, s[0:3], 0 offset:212
	buffer_load_dword v78, off, s[0:3], 0 offset:208
	s_waitcnt vmcnt(2)
	v_fmac_f64_e32 v[70:71], v[74:75], v[76:77]
	ds_read_b128 v[74:77], v72 offset:480
	s_waitcnt vmcnt(0) lgkmcnt(0)
	v_fmac_f64_e32 v[70:71], v[78:79], v[74:75]
	buffer_load_dword v75, off, s[0:3], 0 offset:220
	buffer_load_dword v74, off, s[0:3], 0 offset:216
	buffer_load_dword v79, off, s[0:3], 0 offset:228
	buffer_load_dword v78, off, s[0:3], 0 offset:224
	;; [unrolled: 9-line block ×3, first 2 shown]
	s_waitcnt vmcnt(2)
	v_fmac_f64_e32 v[70:71], v[74:75], v[76:77]
	ds_read_b128 v[74:77], v72 offset:512
	s_waitcnt vmcnt(0) lgkmcnt(0)
	v_fmac_f64_e32 v[70:71], v[78:79], v[74:75]
	buffer_load_dword v75, off, s[0:3], 0 offset:252
	buffer_load_dword v74, off, s[0:3], 0 offset:248
	s_waitcnt vmcnt(0)
	v_fmac_f64_e32 v[70:71], v[74:75], v[76:77]
	buffer_load_dword v75, off, s[0:3], 0 offset:260
	buffer_load_dword v74, off, s[0:3], 0 offset:256
	ds_read_b64 v[76:77], v72 offset:528
	s_waitcnt vmcnt(0) lgkmcnt(0)
	v_fmac_f64_e32 v[70:71], v[74:75], v[76:77]
	v_add_f64 v[68:69], v[68:69], -v[70:71]
	buffer_store_dword v69, off, s[0:3], 0 offset:124
	buffer_store_dword v68, off, s[0:3], 0 offset:120
	s_and_saveexec_b64 s[4:5], vcc
	s_cbranch_execz .LBB32_177
; %bb.176:
	buffer_load_dword v68, off, s[0:3], 0 offset:112
	buffer_load_dword v69, off, s[0:3], 0 offset:116
	s_waitcnt vmcnt(0)
	ds_write_b64 v1, v[68:69]
	buffer_store_dword v72, off, s[0:3], 0 offset:112
	buffer_store_dword v72, off, s[0:3], 0 offset:116
.LBB32_177:
	s_or_b64 exec, exec, s[4:5]
	s_waitcnt lgkmcnt(0)
	; wave barrier
	s_waitcnt lgkmcnt(0)
	buffer_load_dword v68, off, s[0:3], 0 offset:112
	buffer_load_dword v69, off, s[0:3], 0 offset:116
	;; [unrolled: 1-line block ×16, first 2 shown]
	ds_read2_b64 v[74:77], v72 offset0:49 offset1:50
	v_cmp_lt_u32_e32 vcc, 13, v0
	s_waitcnt vmcnt(12) lgkmcnt(0)
	v_fma_f64 v[70:71], v[70:71], v[74:75], 0
	s_waitcnt vmcnt(10)
	v_fmac_f64_e32 v[70:71], v[78:79], v[76:77]
	ds_read2_b64 v[74:77], v72 offset0:51 offset1:52
	s_waitcnt vmcnt(8) lgkmcnt(0)
	v_fmac_f64_e32 v[70:71], v[80:81], v[74:75]
	s_waitcnt vmcnt(6)
	v_fmac_f64_e32 v[70:71], v[82:83], v[76:77]
	ds_read2_b64 v[74:77], v72 offset0:53 offset1:54
	s_waitcnt vmcnt(4) lgkmcnt(0)
	v_fmac_f64_e32 v[70:71], v[84:85], v[74:75]
	;; [unrolled: 5-line block ×3, first 2 shown]
	buffer_load_dword v75, off, s[0:3], 0 offset:180
	buffer_load_dword v74, off, s[0:3], 0 offset:176
	buffer_load_dword v79, off, s[0:3], 0 offset:188
	buffer_load_dword v78, off, s[0:3], 0 offset:184
	s_waitcnt vmcnt(2)
	v_fmac_f64_e32 v[70:71], v[74:75], v[76:77]
	ds_read2_b64 v[74:77], v72 offset0:57 offset1:58
	s_waitcnt vmcnt(0) lgkmcnt(0)
	v_fmac_f64_e32 v[70:71], v[78:79], v[74:75]
	buffer_load_dword v75, off, s[0:3], 0 offset:196
	buffer_load_dword v74, off, s[0:3], 0 offset:192
	buffer_load_dword v79, off, s[0:3], 0 offset:204
	buffer_load_dword v78, off, s[0:3], 0 offset:200
	s_waitcnt vmcnt(2)
	v_fmac_f64_e32 v[70:71], v[74:75], v[76:77]
	ds_read2_b64 v[74:77], v72 offset0:59 offset1:60
	s_waitcnt vmcnt(0) lgkmcnt(0)
	v_fmac_f64_e32 v[70:71], v[78:79], v[74:75]
	;; [unrolled: 9-line block ×4, first 2 shown]
	buffer_load_dword v75, off, s[0:3], 0 offset:244
	buffer_load_dword v74, off, s[0:3], 0 offset:240
	s_waitcnt vmcnt(0)
	v_fmac_f64_e32 v[70:71], v[74:75], v[76:77]
	buffer_load_dword v77, off, s[0:3], 0 offset:252
	buffer_load_dword v76, off, s[0:3], 0 offset:248
	ds_read2_b64 v[72:75], v72 offset0:65 offset1:66
	s_waitcnt vmcnt(0) lgkmcnt(0)
	v_fmac_f64_e32 v[70:71], v[76:77], v[72:73]
	buffer_load_dword v73, off, s[0:3], 0 offset:260
	buffer_load_dword v72, off, s[0:3], 0 offset:256
	s_waitcnt vmcnt(0)
	v_fmac_f64_e32 v[70:71], v[72:73], v[74:75]
	v_add_f64 v[68:69], v[68:69], -v[70:71]
	buffer_store_dword v69, off, s[0:3], 0 offset:116
	buffer_store_dword v68, off, s[0:3], 0 offset:112
	s_and_saveexec_b64 s[4:5], vcc
	s_cbranch_execz .LBB32_179
; %bb.178:
	buffer_load_dword v68, off, s[0:3], 0 offset:104
	buffer_load_dword v69, off, s[0:3], 0 offset:108
	v_mov_b32_e32 v70, 0
	buffer_store_dword v70, off, s[0:3], 0 offset:104
	buffer_store_dword v70, off, s[0:3], 0 offset:108
	s_waitcnt vmcnt(2)
	ds_write_b64 v1, v[68:69]
.LBB32_179:
	s_or_b64 exec, exec, s[4:5]
	s_waitcnt lgkmcnt(0)
	; wave barrier
	s_waitcnt lgkmcnt(0)
	buffer_load_dword v68, off, s[0:3], 0 offset:104
	buffer_load_dword v69, off, s[0:3], 0 offset:108
	;; [unrolled: 1-line block ×16, first 2 shown]
	v_mov_b32_e32 v72, 0
	ds_read_b128 v[74:77], v72 offset:384
	ds_read_b128 v[78:81], v72 offset:400
	;; [unrolled: 1-line block ×4, first 2 shown]
	v_cmp_lt_u32_e32 vcc, 12, v0
	s_waitcnt vmcnt(12) lgkmcnt(3)
	v_fma_f64 v[70:71], v[70:71], v[74:75], 0
	buffer_load_dword v75, off, s[0:3], 0 offset:172
	buffer_load_dword v74, off, s[0:3], 0 offset:168
	s_waitcnt vmcnt(12)
	v_fmac_f64_e32 v[70:71], v[90:91], v[76:77]
	s_waitcnt vmcnt(10) lgkmcnt(2)
	v_fmac_f64_e32 v[70:71], v[92:93], v[78:79]
	buffer_load_dword v79, off, s[0:3], 0 offset:180
	buffer_load_dword v78, off, s[0:3], 0 offset:176
	s_waitcnt vmcnt(10)
	v_fmac_f64_e32 v[70:71], v[94:95], v[80:81]
	s_waitcnt vmcnt(8) lgkmcnt(1)
	v_fmac_f64_e32 v[70:71], v[96:97], v[82:83]
	s_waitcnt vmcnt(6)
	v_fmac_f64_e32 v[70:71], v[98:99], v[84:85]
	s_waitcnt vmcnt(4) lgkmcnt(0)
	v_fmac_f64_e32 v[70:71], v[100:101], v[86:87]
	s_waitcnt vmcnt(2)
	v_fmac_f64_e32 v[70:71], v[74:75], v[88:89]
	ds_read_b128 v[74:77], v72 offset:448
	s_waitcnt vmcnt(0) lgkmcnt(0)
	v_fmac_f64_e32 v[70:71], v[78:79], v[74:75]
	buffer_load_dword v75, off, s[0:3], 0 offset:188
	buffer_load_dword v74, off, s[0:3], 0 offset:184
	buffer_load_dword v79, off, s[0:3], 0 offset:196
	buffer_load_dword v78, off, s[0:3], 0 offset:192
	s_waitcnt vmcnt(2)
	v_fmac_f64_e32 v[70:71], v[74:75], v[76:77]
	ds_read_b128 v[74:77], v72 offset:464
	s_waitcnt vmcnt(0) lgkmcnt(0)
	v_fmac_f64_e32 v[70:71], v[78:79], v[74:75]
	buffer_load_dword v75, off, s[0:3], 0 offset:204
	buffer_load_dword v74, off, s[0:3], 0 offset:200
	buffer_load_dword v79, off, s[0:3], 0 offset:212
	buffer_load_dword v78, off, s[0:3], 0 offset:208
	;; [unrolled: 9-line block ×4, first 2 shown]
	s_waitcnt vmcnt(2)
	v_fmac_f64_e32 v[70:71], v[74:75], v[76:77]
	ds_read_b128 v[74:77], v72 offset:512
	s_waitcnt vmcnt(0) lgkmcnt(0)
	v_fmac_f64_e32 v[70:71], v[78:79], v[74:75]
	buffer_load_dword v75, off, s[0:3], 0 offset:252
	buffer_load_dword v74, off, s[0:3], 0 offset:248
	s_waitcnt vmcnt(0)
	v_fmac_f64_e32 v[70:71], v[74:75], v[76:77]
	buffer_load_dword v75, off, s[0:3], 0 offset:260
	buffer_load_dword v74, off, s[0:3], 0 offset:256
	ds_read_b64 v[76:77], v72 offset:528
	s_waitcnt vmcnt(0) lgkmcnt(0)
	v_fmac_f64_e32 v[70:71], v[74:75], v[76:77]
	v_add_f64 v[68:69], v[68:69], -v[70:71]
	buffer_store_dword v69, off, s[0:3], 0 offset:108
	buffer_store_dword v68, off, s[0:3], 0 offset:104
	s_and_saveexec_b64 s[4:5], vcc
	s_cbranch_execz .LBB32_181
; %bb.180:
	buffer_load_dword v68, off, s[0:3], 0 offset:96
	buffer_load_dword v69, off, s[0:3], 0 offset:100
	s_waitcnt vmcnt(0)
	ds_write_b64 v1, v[68:69]
	buffer_store_dword v72, off, s[0:3], 0 offset:96
	buffer_store_dword v72, off, s[0:3], 0 offset:100
.LBB32_181:
	s_or_b64 exec, exec, s[4:5]
	s_waitcnt lgkmcnt(0)
	; wave barrier
	s_waitcnt lgkmcnt(0)
	buffer_load_dword v68, off, s[0:3], 0 offset:96
	buffer_load_dword v69, off, s[0:3], 0 offset:100
	;; [unrolled: 1-line block ×16, first 2 shown]
	ds_read2_b64 v[74:77], v72 offset0:47 offset1:48
	v_cmp_lt_u32_e32 vcc, 11, v0
	s_waitcnt vmcnt(12) lgkmcnt(0)
	v_fma_f64 v[70:71], v[70:71], v[74:75], 0
	s_waitcnt vmcnt(10)
	v_fmac_f64_e32 v[70:71], v[78:79], v[76:77]
	ds_read2_b64 v[74:77], v72 offset0:49 offset1:50
	s_waitcnt vmcnt(8) lgkmcnt(0)
	v_fmac_f64_e32 v[70:71], v[80:81], v[74:75]
	s_waitcnt vmcnt(6)
	v_fmac_f64_e32 v[70:71], v[82:83], v[76:77]
	ds_read2_b64 v[74:77], v72 offset0:51 offset1:52
	s_waitcnt vmcnt(4) lgkmcnt(0)
	v_fmac_f64_e32 v[70:71], v[84:85], v[74:75]
	;; [unrolled: 5-line block ×3, first 2 shown]
	buffer_load_dword v75, off, s[0:3], 0 offset:164
	buffer_load_dword v74, off, s[0:3], 0 offset:160
	buffer_load_dword v79, off, s[0:3], 0 offset:172
	buffer_load_dword v78, off, s[0:3], 0 offset:168
	s_waitcnt vmcnt(2)
	v_fmac_f64_e32 v[70:71], v[74:75], v[76:77]
	ds_read2_b64 v[74:77], v72 offset0:55 offset1:56
	s_waitcnt vmcnt(0) lgkmcnt(0)
	v_fmac_f64_e32 v[70:71], v[78:79], v[74:75]
	buffer_load_dword v75, off, s[0:3], 0 offset:180
	buffer_load_dword v74, off, s[0:3], 0 offset:176
	buffer_load_dword v79, off, s[0:3], 0 offset:188
	buffer_load_dword v78, off, s[0:3], 0 offset:184
	s_waitcnt vmcnt(2)
	v_fmac_f64_e32 v[70:71], v[74:75], v[76:77]
	ds_read2_b64 v[74:77], v72 offset0:57 offset1:58
	s_waitcnt vmcnt(0) lgkmcnt(0)
	v_fmac_f64_e32 v[70:71], v[78:79], v[74:75]
	buffer_load_dword v75, off, s[0:3], 0 offset:196
	buffer_load_dword v74, off, s[0:3], 0 offset:192
	buffer_load_dword v79, off, s[0:3], 0 offset:204
	buffer_load_dword v78, off, s[0:3], 0 offset:200
	s_waitcnt vmcnt(2)
	v_fmac_f64_e32 v[70:71], v[74:75], v[76:77]
	ds_read2_b64 v[74:77], v72 offset0:59 offset1:60
	s_waitcnt vmcnt(0) lgkmcnt(0)
	v_fmac_f64_e32 v[70:71], v[78:79], v[74:75]
	buffer_load_dword v75, off, s[0:3], 0 offset:212
	buffer_load_dword v74, off, s[0:3], 0 offset:208
	buffer_load_dword v79, off, s[0:3], 0 offset:220
	buffer_load_dword v78, off, s[0:3], 0 offset:216
	s_waitcnt vmcnt(2)
	v_fmac_f64_e32 v[70:71], v[74:75], v[76:77]
	ds_read2_b64 v[74:77], v72 offset0:61 offset1:62
	s_waitcnt vmcnt(0) lgkmcnt(0)
	v_fmac_f64_e32 v[70:71], v[78:79], v[74:75]
	buffer_load_dword v75, off, s[0:3], 0 offset:228
	buffer_load_dword v74, off, s[0:3], 0 offset:224
	buffer_load_dword v79, off, s[0:3], 0 offset:236
	buffer_load_dword v78, off, s[0:3], 0 offset:232
	s_waitcnt vmcnt(2)
	v_fmac_f64_e32 v[70:71], v[74:75], v[76:77]
	ds_read2_b64 v[74:77], v72 offset0:63 offset1:64
	s_waitcnt vmcnt(0) lgkmcnt(0)
	v_fmac_f64_e32 v[70:71], v[78:79], v[74:75]
	buffer_load_dword v75, off, s[0:3], 0 offset:244
	buffer_load_dword v74, off, s[0:3], 0 offset:240
	s_waitcnt vmcnt(0)
	v_fmac_f64_e32 v[70:71], v[74:75], v[76:77]
	buffer_load_dword v77, off, s[0:3], 0 offset:252
	buffer_load_dword v76, off, s[0:3], 0 offset:248
	ds_read2_b64 v[72:75], v72 offset0:65 offset1:66
	s_waitcnt vmcnt(0) lgkmcnt(0)
	v_fmac_f64_e32 v[70:71], v[76:77], v[72:73]
	buffer_load_dword v73, off, s[0:3], 0 offset:260
	buffer_load_dword v72, off, s[0:3], 0 offset:256
	s_waitcnt vmcnt(0)
	v_fmac_f64_e32 v[70:71], v[72:73], v[74:75]
	v_add_f64 v[68:69], v[68:69], -v[70:71]
	buffer_store_dword v69, off, s[0:3], 0 offset:100
	buffer_store_dword v68, off, s[0:3], 0 offset:96
	s_and_saveexec_b64 s[4:5], vcc
	s_cbranch_execz .LBB32_183
; %bb.182:
	buffer_load_dword v68, off, s[0:3], 0 offset:88
	buffer_load_dword v69, off, s[0:3], 0 offset:92
	v_mov_b32_e32 v70, 0
	buffer_store_dword v70, off, s[0:3], 0 offset:88
	buffer_store_dword v70, off, s[0:3], 0 offset:92
	s_waitcnt vmcnt(2)
	ds_write_b64 v1, v[68:69]
.LBB32_183:
	s_or_b64 exec, exec, s[4:5]
	s_waitcnt lgkmcnt(0)
	; wave barrier
	s_waitcnt lgkmcnt(0)
	buffer_load_dword v68, off, s[0:3], 0 offset:88
	buffer_load_dword v69, off, s[0:3], 0 offset:92
	;; [unrolled: 1-line block ×16, first 2 shown]
	v_mov_b32_e32 v72, 0
	ds_read_b128 v[74:77], v72 offset:368
	ds_read_b128 v[78:81], v72 offset:384
	;; [unrolled: 1-line block ×4, first 2 shown]
	v_cmp_lt_u32_e32 vcc, 10, v0
	s_waitcnt vmcnt(12) lgkmcnt(3)
	v_fma_f64 v[70:71], v[70:71], v[74:75], 0
	buffer_load_dword v75, off, s[0:3], 0 offset:156
	buffer_load_dword v74, off, s[0:3], 0 offset:152
	s_waitcnt vmcnt(12)
	v_fmac_f64_e32 v[70:71], v[90:91], v[76:77]
	s_waitcnt vmcnt(10) lgkmcnt(2)
	v_fmac_f64_e32 v[70:71], v[92:93], v[78:79]
	buffer_load_dword v79, off, s[0:3], 0 offset:164
	buffer_load_dword v78, off, s[0:3], 0 offset:160
	s_waitcnt vmcnt(10)
	v_fmac_f64_e32 v[70:71], v[94:95], v[80:81]
	s_waitcnt vmcnt(8) lgkmcnt(1)
	v_fmac_f64_e32 v[70:71], v[96:97], v[82:83]
	s_waitcnt vmcnt(6)
	v_fmac_f64_e32 v[70:71], v[98:99], v[84:85]
	s_waitcnt vmcnt(4) lgkmcnt(0)
	v_fmac_f64_e32 v[70:71], v[100:101], v[86:87]
	s_waitcnt vmcnt(2)
	v_fmac_f64_e32 v[70:71], v[74:75], v[88:89]
	ds_read_b128 v[74:77], v72 offset:432
	s_waitcnt vmcnt(0) lgkmcnt(0)
	v_fmac_f64_e32 v[70:71], v[78:79], v[74:75]
	buffer_load_dword v75, off, s[0:3], 0 offset:172
	buffer_load_dword v74, off, s[0:3], 0 offset:168
	buffer_load_dword v79, off, s[0:3], 0 offset:180
	buffer_load_dword v78, off, s[0:3], 0 offset:176
	s_waitcnt vmcnt(2)
	v_fmac_f64_e32 v[70:71], v[74:75], v[76:77]
	ds_read_b128 v[74:77], v72 offset:448
	s_waitcnt vmcnt(0) lgkmcnt(0)
	v_fmac_f64_e32 v[70:71], v[78:79], v[74:75]
	buffer_load_dword v75, off, s[0:3], 0 offset:188
	buffer_load_dword v74, off, s[0:3], 0 offset:184
	buffer_load_dword v79, off, s[0:3], 0 offset:196
	buffer_load_dword v78, off, s[0:3], 0 offset:192
	;; [unrolled: 9-line block ×5, first 2 shown]
	s_waitcnt vmcnt(2)
	v_fmac_f64_e32 v[70:71], v[74:75], v[76:77]
	ds_read_b128 v[74:77], v72 offset:512
	s_waitcnt vmcnt(0) lgkmcnt(0)
	v_fmac_f64_e32 v[70:71], v[78:79], v[74:75]
	buffer_load_dword v75, off, s[0:3], 0 offset:252
	buffer_load_dword v74, off, s[0:3], 0 offset:248
	s_waitcnt vmcnt(0)
	v_fmac_f64_e32 v[70:71], v[74:75], v[76:77]
	buffer_load_dword v75, off, s[0:3], 0 offset:260
	buffer_load_dword v74, off, s[0:3], 0 offset:256
	ds_read_b64 v[76:77], v72 offset:528
	s_waitcnt vmcnt(0) lgkmcnt(0)
	v_fmac_f64_e32 v[70:71], v[74:75], v[76:77]
	v_add_f64 v[68:69], v[68:69], -v[70:71]
	buffer_store_dword v69, off, s[0:3], 0 offset:92
	buffer_store_dword v68, off, s[0:3], 0 offset:88
	s_and_saveexec_b64 s[4:5], vcc
	s_cbranch_execz .LBB32_185
; %bb.184:
	buffer_load_dword v68, off, s[0:3], 0 offset:80
	buffer_load_dword v69, off, s[0:3], 0 offset:84
	s_waitcnt vmcnt(0)
	ds_write_b64 v1, v[68:69]
	buffer_store_dword v72, off, s[0:3], 0 offset:80
	buffer_store_dword v72, off, s[0:3], 0 offset:84
.LBB32_185:
	s_or_b64 exec, exec, s[4:5]
	s_waitcnt lgkmcnt(0)
	; wave barrier
	s_waitcnt lgkmcnt(0)
	buffer_load_dword v68, off, s[0:3], 0 offset:80
	buffer_load_dword v69, off, s[0:3], 0 offset:84
	;; [unrolled: 1-line block ×16, first 2 shown]
	ds_read2_b64 v[74:77], v72 offset0:45 offset1:46
	v_cmp_lt_u32_e32 vcc, 9, v0
	s_waitcnt vmcnt(12) lgkmcnt(0)
	v_fma_f64 v[70:71], v[70:71], v[74:75], 0
	s_waitcnt vmcnt(10)
	v_fmac_f64_e32 v[70:71], v[78:79], v[76:77]
	ds_read2_b64 v[74:77], v72 offset0:47 offset1:48
	s_waitcnt vmcnt(8) lgkmcnt(0)
	v_fmac_f64_e32 v[70:71], v[80:81], v[74:75]
	s_waitcnt vmcnt(6)
	v_fmac_f64_e32 v[70:71], v[82:83], v[76:77]
	ds_read2_b64 v[74:77], v72 offset0:49 offset1:50
	s_waitcnt vmcnt(4) lgkmcnt(0)
	v_fmac_f64_e32 v[70:71], v[84:85], v[74:75]
	;; [unrolled: 5-line block ×3, first 2 shown]
	buffer_load_dword v75, off, s[0:3], 0 offset:148
	buffer_load_dword v74, off, s[0:3], 0 offset:144
	buffer_load_dword v79, off, s[0:3], 0 offset:156
	buffer_load_dword v78, off, s[0:3], 0 offset:152
	s_waitcnt vmcnt(2)
	v_fmac_f64_e32 v[70:71], v[74:75], v[76:77]
	ds_read2_b64 v[74:77], v72 offset0:53 offset1:54
	s_waitcnt vmcnt(0) lgkmcnt(0)
	v_fmac_f64_e32 v[70:71], v[78:79], v[74:75]
	buffer_load_dword v75, off, s[0:3], 0 offset:164
	buffer_load_dword v74, off, s[0:3], 0 offset:160
	buffer_load_dword v79, off, s[0:3], 0 offset:172
	buffer_load_dword v78, off, s[0:3], 0 offset:168
	s_waitcnt vmcnt(2)
	v_fmac_f64_e32 v[70:71], v[74:75], v[76:77]
	ds_read2_b64 v[74:77], v72 offset0:55 offset1:56
	s_waitcnt vmcnt(0) lgkmcnt(0)
	v_fmac_f64_e32 v[70:71], v[78:79], v[74:75]
	;; [unrolled: 9-line block ×6, first 2 shown]
	buffer_load_dword v75, off, s[0:3], 0 offset:244
	buffer_load_dword v74, off, s[0:3], 0 offset:240
	s_waitcnt vmcnt(0)
	v_fmac_f64_e32 v[70:71], v[74:75], v[76:77]
	buffer_load_dword v77, off, s[0:3], 0 offset:252
	buffer_load_dword v76, off, s[0:3], 0 offset:248
	ds_read2_b64 v[72:75], v72 offset0:65 offset1:66
	s_waitcnt vmcnt(0) lgkmcnt(0)
	v_fmac_f64_e32 v[70:71], v[76:77], v[72:73]
	buffer_load_dword v73, off, s[0:3], 0 offset:260
	buffer_load_dword v72, off, s[0:3], 0 offset:256
	s_waitcnt vmcnt(0)
	v_fmac_f64_e32 v[70:71], v[72:73], v[74:75]
	v_add_f64 v[68:69], v[68:69], -v[70:71]
	buffer_store_dword v69, off, s[0:3], 0 offset:84
	buffer_store_dword v68, off, s[0:3], 0 offset:80
	s_and_saveexec_b64 s[4:5], vcc
	s_cbranch_execz .LBB32_187
; %bb.186:
	buffer_load_dword v68, off, s[0:3], 0 offset:72
	buffer_load_dword v69, off, s[0:3], 0 offset:76
	v_mov_b32_e32 v70, 0
	buffer_store_dword v70, off, s[0:3], 0 offset:72
	buffer_store_dword v70, off, s[0:3], 0 offset:76
	s_waitcnt vmcnt(2)
	ds_write_b64 v1, v[68:69]
.LBB32_187:
	s_or_b64 exec, exec, s[4:5]
	s_waitcnt lgkmcnt(0)
	; wave barrier
	s_waitcnt lgkmcnt(0)
	buffer_load_dword v68, off, s[0:3], 0 offset:72
	buffer_load_dword v69, off, s[0:3], 0 offset:76
	;; [unrolled: 1-line block ×16, first 2 shown]
	v_mov_b32_e32 v72, 0
	ds_read_b128 v[74:77], v72 offset:352
	ds_read_b128 v[78:81], v72 offset:368
	;; [unrolled: 1-line block ×4, first 2 shown]
	v_cmp_lt_u32_e32 vcc, 8, v0
	s_waitcnt vmcnt(12) lgkmcnt(3)
	v_fma_f64 v[70:71], v[70:71], v[74:75], 0
	buffer_load_dword v75, off, s[0:3], 0 offset:140
	buffer_load_dword v74, off, s[0:3], 0 offset:136
	s_waitcnt vmcnt(12)
	v_fmac_f64_e32 v[70:71], v[90:91], v[76:77]
	s_waitcnt vmcnt(10) lgkmcnt(2)
	v_fmac_f64_e32 v[70:71], v[92:93], v[78:79]
	buffer_load_dword v79, off, s[0:3], 0 offset:148
	buffer_load_dword v78, off, s[0:3], 0 offset:144
	s_waitcnt vmcnt(10)
	v_fmac_f64_e32 v[70:71], v[94:95], v[80:81]
	s_waitcnt vmcnt(8) lgkmcnt(1)
	v_fmac_f64_e32 v[70:71], v[96:97], v[82:83]
	s_waitcnt vmcnt(6)
	v_fmac_f64_e32 v[70:71], v[98:99], v[84:85]
	s_waitcnt vmcnt(4) lgkmcnt(0)
	v_fmac_f64_e32 v[70:71], v[100:101], v[86:87]
	s_waitcnt vmcnt(2)
	v_fmac_f64_e32 v[70:71], v[74:75], v[88:89]
	ds_read_b128 v[74:77], v72 offset:416
	s_waitcnt vmcnt(0) lgkmcnt(0)
	v_fmac_f64_e32 v[70:71], v[78:79], v[74:75]
	buffer_load_dword v75, off, s[0:3], 0 offset:156
	buffer_load_dword v74, off, s[0:3], 0 offset:152
	buffer_load_dword v79, off, s[0:3], 0 offset:164
	buffer_load_dword v78, off, s[0:3], 0 offset:160
	s_waitcnt vmcnt(2)
	v_fmac_f64_e32 v[70:71], v[74:75], v[76:77]
	ds_read_b128 v[74:77], v72 offset:432
	s_waitcnt vmcnt(0) lgkmcnt(0)
	v_fmac_f64_e32 v[70:71], v[78:79], v[74:75]
	buffer_load_dword v75, off, s[0:3], 0 offset:172
	buffer_load_dword v74, off, s[0:3], 0 offset:168
	buffer_load_dword v79, off, s[0:3], 0 offset:180
	buffer_load_dword v78, off, s[0:3], 0 offset:176
	;; [unrolled: 9-line block ×6, first 2 shown]
	s_waitcnt vmcnt(2)
	v_fmac_f64_e32 v[70:71], v[74:75], v[76:77]
	ds_read_b128 v[74:77], v72 offset:512
	s_waitcnt vmcnt(0) lgkmcnt(0)
	v_fmac_f64_e32 v[70:71], v[78:79], v[74:75]
	buffer_load_dword v75, off, s[0:3], 0 offset:252
	buffer_load_dword v74, off, s[0:3], 0 offset:248
	s_waitcnt vmcnt(0)
	v_fmac_f64_e32 v[70:71], v[74:75], v[76:77]
	buffer_load_dword v75, off, s[0:3], 0 offset:260
	buffer_load_dword v74, off, s[0:3], 0 offset:256
	ds_read_b64 v[76:77], v72 offset:528
	s_waitcnt vmcnt(0) lgkmcnt(0)
	v_fmac_f64_e32 v[70:71], v[74:75], v[76:77]
	v_add_f64 v[68:69], v[68:69], -v[70:71]
	buffer_store_dword v69, off, s[0:3], 0 offset:76
	buffer_store_dword v68, off, s[0:3], 0 offset:72
	s_and_saveexec_b64 s[4:5], vcc
	s_cbranch_execz .LBB32_189
; %bb.188:
	buffer_load_dword v68, off, s[0:3], 0 offset:64
	buffer_load_dword v69, off, s[0:3], 0 offset:68
	s_waitcnt vmcnt(0)
	ds_write_b64 v1, v[68:69]
	buffer_store_dword v72, off, s[0:3], 0 offset:64
	buffer_store_dword v72, off, s[0:3], 0 offset:68
.LBB32_189:
	s_or_b64 exec, exec, s[4:5]
	s_waitcnt lgkmcnt(0)
	; wave barrier
	s_waitcnt lgkmcnt(0)
	buffer_load_dword v68, off, s[0:3], 0 offset:64
	buffer_load_dword v69, off, s[0:3], 0 offset:68
	;; [unrolled: 1-line block ×16, first 2 shown]
	ds_read2_b64 v[74:77], v72 offset0:43 offset1:44
	v_cmp_lt_u32_e32 vcc, 7, v0
	s_waitcnt vmcnt(12) lgkmcnt(0)
	v_fma_f64 v[70:71], v[70:71], v[74:75], 0
	s_waitcnt vmcnt(10)
	v_fmac_f64_e32 v[70:71], v[78:79], v[76:77]
	ds_read2_b64 v[74:77], v72 offset0:45 offset1:46
	s_waitcnt vmcnt(8) lgkmcnt(0)
	v_fmac_f64_e32 v[70:71], v[80:81], v[74:75]
	s_waitcnt vmcnt(6)
	v_fmac_f64_e32 v[70:71], v[82:83], v[76:77]
	ds_read2_b64 v[74:77], v72 offset0:47 offset1:48
	s_waitcnt vmcnt(4) lgkmcnt(0)
	v_fmac_f64_e32 v[70:71], v[84:85], v[74:75]
	;; [unrolled: 5-line block ×3, first 2 shown]
	buffer_load_dword v75, off, s[0:3], 0 offset:132
	buffer_load_dword v74, off, s[0:3], 0 offset:128
	buffer_load_dword v79, off, s[0:3], 0 offset:140
	buffer_load_dword v78, off, s[0:3], 0 offset:136
	s_waitcnt vmcnt(2)
	v_fmac_f64_e32 v[70:71], v[74:75], v[76:77]
	ds_read2_b64 v[74:77], v72 offset0:51 offset1:52
	s_waitcnt vmcnt(0) lgkmcnt(0)
	v_fmac_f64_e32 v[70:71], v[78:79], v[74:75]
	buffer_load_dword v75, off, s[0:3], 0 offset:148
	buffer_load_dword v74, off, s[0:3], 0 offset:144
	buffer_load_dword v79, off, s[0:3], 0 offset:156
	buffer_load_dword v78, off, s[0:3], 0 offset:152
	s_waitcnt vmcnt(2)
	v_fmac_f64_e32 v[70:71], v[74:75], v[76:77]
	ds_read2_b64 v[74:77], v72 offset0:53 offset1:54
	s_waitcnt vmcnt(0) lgkmcnt(0)
	v_fmac_f64_e32 v[70:71], v[78:79], v[74:75]
	;; [unrolled: 9-line block ×7, first 2 shown]
	buffer_load_dword v75, off, s[0:3], 0 offset:244
	buffer_load_dword v74, off, s[0:3], 0 offset:240
	s_waitcnt vmcnt(0)
	v_fmac_f64_e32 v[70:71], v[74:75], v[76:77]
	buffer_load_dword v77, off, s[0:3], 0 offset:252
	buffer_load_dword v76, off, s[0:3], 0 offset:248
	ds_read2_b64 v[72:75], v72 offset0:65 offset1:66
	s_waitcnt vmcnt(0) lgkmcnt(0)
	v_fmac_f64_e32 v[70:71], v[76:77], v[72:73]
	buffer_load_dword v73, off, s[0:3], 0 offset:260
	buffer_load_dword v72, off, s[0:3], 0 offset:256
	s_waitcnt vmcnt(0)
	v_fmac_f64_e32 v[70:71], v[72:73], v[74:75]
	v_add_f64 v[68:69], v[68:69], -v[70:71]
	buffer_store_dword v69, off, s[0:3], 0 offset:68
	buffer_store_dword v68, off, s[0:3], 0 offset:64
	s_and_saveexec_b64 s[4:5], vcc
	s_cbranch_execz .LBB32_191
; %bb.190:
	buffer_load_dword v68, off, s[0:3], 0 offset:56
	buffer_load_dword v69, off, s[0:3], 0 offset:60
	v_mov_b32_e32 v70, 0
	buffer_store_dword v70, off, s[0:3], 0 offset:56
	buffer_store_dword v70, off, s[0:3], 0 offset:60
	s_waitcnt vmcnt(2)
	ds_write_b64 v1, v[68:69]
.LBB32_191:
	s_or_b64 exec, exec, s[4:5]
	s_waitcnt lgkmcnt(0)
	; wave barrier
	s_waitcnt lgkmcnt(0)
	buffer_load_dword v68, off, s[0:3], 0 offset:56
	buffer_load_dword v69, off, s[0:3], 0 offset:60
	;; [unrolled: 1-line block ×16, first 2 shown]
	v_mov_b32_e32 v72, 0
	ds_read_b128 v[74:77], v72 offset:336
	ds_read_b128 v[78:81], v72 offset:352
	;; [unrolled: 1-line block ×4, first 2 shown]
	v_cmp_lt_u32_e32 vcc, 6, v0
	s_waitcnt vmcnt(12) lgkmcnt(3)
	v_fma_f64 v[70:71], v[70:71], v[74:75], 0
	buffer_load_dword v75, off, s[0:3], 0 offset:124
	buffer_load_dword v74, off, s[0:3], 0 offset:120
	s_waitcnt vmcnt(12)
	v_fmac_f64_e32 v[70:71], v[90:91], v[76:77]
	s_waitcnt vmcnt(10) lgkmcnt(2)
	v_fmac_f64_e32 v[70:71], v[92:93], v[78:79]
	buffer_load_dword v79, off, s[0:3], 0 offset:132
	buffer_load_dword v78, off, s[0:3], 0 offset:128
	s_waitcnt vmcnt(10)
	v_fmac_f64_e32 v[70:71], v[94:95], v[80:81]
	s_waitcnt vmcnt(8) lgkmcnt(1)
	v_fmac_f64_e32 v[70:71], v[96:97], v[82:83]
	s_waitcnt vmcnt(6)
	v_fmac_f64_e32 v[70:71], v[98:99], v[84:85]
	s_waitcnt vmcnt(4) lgkmcnt(0)
	v_fmac_f64_e32 v[70:71], v[100:101], v[86:87]
	s_waitcnt vmcnt(2)
	v_fmac_f64_e32 v[70:71], v[74:75], v[88:89]
	ds_read_b128 v[74:77], v72 offset:400
	s_waitcnt vmcnt(0) lgkmcnt(0)
	v_fmac_f64_e32 v[70:71], v[78:79], v[74:75]
	buffer_load_dword v75, off, s[0:3], 0 offset:140
	buffer_load_dword v74, off, s[0:3], 0 offset:136
	buffer_load_dword v79, off, s[0:3], 0 offset:148
	buffer_load_dword v78, off, s[0:3], 0 offset:144
	s_waitcnt vmcnt(2)
	v_fmac_f64_e32 v[70:71], v[74:75], v[76:77]
	ds_read_b128 v[74:77], v72 offset:416
	s_waitcnt vmcnt(0) lgkmcnt(0)
	v_fmac_f64_e32 v[70:71], v[78:79], v[74:75]
	buffer_load_dword v75, off, s[0:3], 0 offset:156
	buffer_load_dword v74, off, s[0:3], 0 offset:152
	buffer_load_dword v79, off, s[0:3], 0 offset:164
	buffer_load_dword v78, off, s[0:3], 0 offset:160
	;; [unrolled: 9-line block ×7, first 2 shown]
	s_waitcnt vmcnt(2)
	v_fmac_f64_e32 v[70:71], v[74:75], v[76:77]
	ds_read_b128 v[74:77], v72 offset:512
	s_waitcnt vmcnt(0) lgkmcnt(0)
	v_fmac_f64_e32 v[70:71], v[78:79], v[74:75]
	buffer_load_dword v75, off, s[0:3], 0 offset:252
	buffer_load_dword v74, off, s[0:3], 0 offset:248
	s_waitcnt vmcnt(0)
	v_fmac_f64_e32 v[70:71], v[74:75], v[76:77]
	buffer_load_dword v75, off, s[0:3], 0 offset:260
	buffer_load_dword v74, off, s[0:3], 0 offset:256
	ds_read_b64 v[76:77], v72 offset:528
	s_waitcnt vmcnt(0) lgkmcnt(0)
	v_fmac_f64_e32 v[70:71], v[74:75], v[76:77]
	v_add_f64 v[68:69], v[68:69], -v[70:71]
	buffer_store_dword v69, off, s[0:3], 0 offset:60
	buffer_store_dword v68, off, s[0:3], 0 offset:56
	s_and_saveexec_b64 s[4:5], vcc
	s_cbranch_execz .LBB32_193
; %bb.192:
	buffer_load_dword v68, off, s[0:3], 0 offset:48
	buffer_load_dword v69, off, s[0:3], 0 offset:52
	s_waitcnt vmcnt(0)
	ds_write_b64 v1, v[68:69]
	buffer_store_dword v72, off, s[0:3], 0 offset:48
	buffer_store_dword v72, off, s[0:3], 0 offset:52
.LBB32_193:
	s_or_b64 exec, exec, s[4:5]
	s_waitcnt lgkmcnt(0)
	; wave barrier
	s_waitcnt lgkmcnt(0)
	buffer_load_dword v68, off, s[0:3], 0 offset:48
	buffer_load_dword v69, off, s[0:3], 0 offset:52
	;; [unrolled: 1-line block ×16, first 2 shown]
	ds_read2_b64 v[74:77], v72 offset0:41 offset1:42
	v_cmp_lt_u32_e32 vcc, 5, v0
	s_waitcnt vmcnt(12) lgkmcnt(0)
	v_fma_f64 v[70:71], v[70:71], v[74:75], 0
	s_waitcnt vmcnt(10)
	v_fmac_f64_e32 v[70:71], v[78:79], v[76:77]
	ds_read2_b64 v[74:77], v72 offset0:43 offset1:44
	s_waitcnt vmcnt(8) lgkmcnt(0)
	v_fmac_f64_e32 v[70:71], v[80:81], v[74:75]
	s_waitcnt vmcnt(6)
	v_fmac_f64_e32 v[70:71], v[82:83], v[76:77]
	ds_read2_b64 v[74:77], v72 offset0:45 offset1:46
	s_waitcnt vmcnt(4) lgkmcnt(0)
	v_fmac_f64_e32 v[70:71], v[84:85], v[74:75]
	;; [unrolled: 5-line block ×3, first 2 shown]
	buffer_load_dword v75, off, s[0:3], 0 offset:116
	buffer_load_dword v74, off, s[0:3], 0 offset:112
	buffer_load_dword v79, off, s[0:3], 0 offset:124
	buffer_load_dword v78, off, s[0:3], 0 offset:120
	s_waitcnt vmcnt(2)
	v_fmac_f64_e32 v[70:71], v[74:75], v[76:77]
	ds_read2_b64 v[74:77], v72 offset0:49 offset1:50
	s_waitcnt vmcnt(0) lgkmcnt(0)
	v_fmac_f64_e32 v[70:71], v[78:79], v[74:75]
	buffer_load_dword v75, off, s[0:3], 0 offset:132
	buffer_load_dword v74, off, s[0:3], 0 offset:128
	buffer_load_dword v79, off, s[0:3], 0 offset:140
	buffer_load_dword v78, off, s[0:3], 0 offset:136
	s_waitcnt vmcnt(2)
	v_fmac_f64_e32 v[70:71], v[74:75], v[76:77]
	ds_read2_b64 v[74:77], v72 offset0:51 offset1:52
	s_waitcnt vmcnt(0) lgkmcnt(0)
	v_fmac_f64_e32 v[70:71], v[78:79], v[74:75]
	;; [unrolled: 9-line block ×8, first 2 shown]
	buffer_load_dword v75, off, s[0:3], 0 offset:244
	buffer_load_dword v74, off, s[0:3], 0 offset:240
	s_waitcnt vmcnt(0)
	v_fmac_f64_e32 v[70:71], v[74:75], v[76:77]
	buffer_load_dword v77, off, s[0:3], 0 offset:252
	buffer_load_dword v76, off, s[0:3], 0 offset:248
	ds_read2_b64 v[72:75], v72 offset0:65 offset1:66
	s_waitcnt vmcnt(0) lgkmcnt(0)
	v_fmac_f64_e32 v[70:71], v[76:77], v[72:73]
	buffer_load_dword v73, off, s[0:3], 0 offset:260
	buffer_load_dword v72, off, s[0:3], 0 offset:256
	s_waitcnt vmcnt(0)
	v_fmac_f64_e32 v[70:71], v[72:73], v[74:75]
	v_add_f64 v[68:69], v[68:69], -v[70:71]
	buffer_store_dword v69, off, s[0:3], 0 offset:52
	buffer_store_dword v68, off, s[0:3], 0 offset:48
	s_and_saveexec_b64 s[4:5], vcc
	s_cbranch_execz .LBB32_195
; %bb.194:
	buffer_load_dword v68, off, s[0:3], 0 offset:40
	buffer_load_dword v69, off, s[0:3], 0 offset:44
	v_mov_b32_e32 v70, 0
	buffer_store_dword v70, off, s[0:3], 0 offset:40
	buffer_store_dword v70, off, s[0:3], 0 offset:44
	s_waitcnt vmcnt(2)
	ds_write_b64 v1, v[68:69]
.LBB32_195:
	s_or_b64 exec, exec, s[4:5]
	s_waitcnt lgkmcnt(0)
	; wave barrier
	s_waitcnt lgkmcnt(0)
	buffer_load_dword v68, off, s[0:3], 0 offset:40
	buffer_load_dword v69, off, s[0:3], 0 offset:44
	buffer_load_dword v70, off, s[0:3], 0 offset:48
	buffer_load_dword v71, off, s[0:3], 0 offset:52
	buffer_load_dword v90, off, s[0:3], 0 offset:56
	buffer_load_dword v91, off, s[0:3], 0 offset:60
	buffer_load_dword v92, off, s[0:3], 0 offset:64
	buffer_load_dword v93, off, s[0:3], 0 offset:68
	buffer_load_dword v94, off, s[0:3], 0 offset:72
	buffer_load_dword v95, off, s[0:3], 0 offset:76
	buffer_load_dword v96, off, s[0:3], 0 offset:80
	buffer_load_dword v97, off, s[0:3], 0 offset:84
	buffer_load_dword v98, off, s[0:3], 0 offset:88
	buffer_load_dword v99, off, s[0:3], 0 offset:92
	buffer_load_dword v100, off, s[0:3], 0 offset:96
	buffer_load_dword v101, off, s[0:3], 0 offset:100
	v_mov_b32_e32 v72, 0
	ds_read_b128 v[74:77], v72 offset:320
	ds_read_b128 v[78:81], v72 offset:336
	;; [unrolled: 1-line block ×4, first 2 shown]
	v_cmp_lt_u32_e32 vcc, 4, v0
	s_waitcnt vmcnt(12) lgkmcnt(3)
	v_fma_f64 v[70:71], v[70:71], v[74:75], 0
	buffer_load_dword v75, off, s[0:3], 0 offset:108
	buffer_load_dword v74, off, s[0:3], 0 offset:104
	s_waitcnt vmcnt(12)
	v_fmac_f64_e32 v[70:71], v[90:91], v[76:77]
	s_waitcnt vmcnt(10) lgkmcnt(2)
	v_fmac_f64_e32 v[70:71], v[92:93], v[78:79]
	buffer_load_dword v79, off, s[0:3], 0 offset:116
	buffer_load_dword v78, off, s[0:3], 0 offset:112
	s_waitcnt vmcnt(10)
	v_fmac_f64_e32 v[70:71], v[94:95], v[80:81]
	s_waitcnt vmcnt(8) lgkmcnt(1)
	v_fmac_f64_e32 v[70:71], v[96:97], v[82:83]
	s_waitcnt vmcnt(6)
	v_fmac_f64_e32 v[70:71], v[98:99], v[84:85]
	s_waitcnt vmcnt(4) lgkmcnt(0)
	v_fmac_f64_e32 v[70:71], v[100:101], v[86:87]
	s_waitcnt vmcnt(2)
	v_fmac_f64_e32 v[70:71], v[74:75], v[88:89]
	ds_read_b128 v[74:77], v72 offset:384
	s_waitcnt vmcnt(0) lgkmcnt(0)
	v_fmac_f64_e32 v[70:71], v[78:79], v[74:75]
	buffer_load_dword v75, off, s[0:3], 0 offset:124
	buffer_load_dword v74, off, s[0:3], 0 offset:120
	buffer_load_dword v79, off, s[0:3], 0 offset:132
	buffer_load_dword v78, off, s[0:3], 0 offset:128
	s_waitcnt vmcnt(2)
	v_fmac_f64_e32 v[70:71], v[74:75], v[76:77]
	ds_read_b128 v[74:77], v72 offset:400
	s_waitcnt vmcnt(0) lgkmcnt(0)
	v_fmac_f64_e32 v[70:71], v[78:79], v[74:75]
	buffer_load_dword v75, off, s[0:3], 0 offset:140
	buffer_load_dword v74, off, s[0:3], 0 offset:136
	buffer_load_dword v79, off, s[0:3], 0 offset:148
	buffer_load_dword v78, off, s[0:3], 0 offset:144
	;; [unrolled: 9-line block ×8, first 2 shown]
	s_waitcnt vmcnt(2)
	v_fmac_f64_e32 v[70:71], v[74:75], v[76:77]
	ds_read_b128 v[74:77], v72 offset:512
	s_waitcnt vmcnt(0) lgkmcnt(0)
	v_fmac_f64_e32 v[70:71], v[78:79], v[74:75]
	buffer_load_dword v75, off, s[0:3], 0 offset:252
	buffer_load_dword v74, off, s[0:3], 0 offset:248
	s_waitcnt vmcnt(0)
	v_fmac_f64_e32 v[70:71], v[74:75], v[76:77]
	buffer_load_dword v75, off, s[0:3], 0 offset:260
	buffer_load_dword v74, off, s[0:3], 0 offset:256
	ds_read_b64 v[76:77], v72 offset:528
	s_waitcnt vmcnt(0) lgkmcnt(0)
	v_fmac_f64_e32 v[70:71], v[74:75], v[76:77]
	v_add_f64 v[68:69], v[68:69], -v[70:71]
	buffer_store_dword v69, off, s[0:3], 0 offset:44
	buffer_store_dword v68, off, s[0:3], 0 offset:40
	s_and_saveexec_b64 s[4:5], vcc
	s_cbranch_execz .LBB32_197
; %bb.196:
	buffer_load_dword v68, off, s[0:3], 0 offset:32
	buffer_load_dword v69, off, s[0:3], 0 offset:36
	s_waitcnt vmcnt(0)
	ds_write_b64 v1, v[68:69]
	buffer_store_dword v72, off, s[0:3], 0 offset:32
	buffer_store_dword v72, off, s[0:3], 0 offset:36
.LBB32_197:
	s_or_b64 exec, exec, s[4:5]
	s_waitcnt lgkmcnt(0)
	; wave barrier
	s_waitcnt lgkmcnt(0)
	buffer_load_dword v68, off, s[0:3], 0 offset:32
	buffer_load_dword v69, off, s[0:3], 0 offset:36
	buffer_load_dword v70, off, s[0:3], 0 offset:40
	buffer_load_dword v71, off, s[0:3], 0 offset:44
	buffer_load_dword v78, off, s[0:3], 0 offset:48
	buffer_load_dword v79, off, s[0:3], 0 offset:52
	buffer_load_dword v80, off, s[0:3], 0 offset:56
	buffer_load_dword v81, off, s[0:3], 0 offset:60
	buffer_load_dword v82, off, s[0:3], 0 offset:64
	buffer_load_dword v83, off, s[0:3], 0 offset:68
	buffer_load_dword v84, off, s[0:3], 0 offset:72
	buffer_load_dword v85, off, s[0:3], 0 offset:76
	buffer_load_dword v86, off, s[0:3], 0 offset:80
	buffer_load_dword v87, off, s[0:3], 0 offset:84
	buffer_load_dword v88, off, s[0:3], 0 offset:88
	buffer_load_dword v89, off, s[0:3], 0 offset:92
	ds_read2_b64 v[74:77], v72 offset0:39 offset1:40
	v_cmp_lt_u32_e32 vcc, 3, v0
	s_waitcnt vmcnt(12) lgkmcnt(0)
	v_fma_f64 v[70:71], v[70:71], v[74:75], 0
	s_waitcnt vmcnt(10)
	v_fmac_f64_e32 v[70:71], v[78:79], v[76:77]
	ds_read2_b64 v[74:77], v72 offset0:41 offset1:42
	s_waitcnt vmcnt(8) lgkmcnt(0)
	v_fmac_f64_e32 v[70:71], v[80:81], v[74:75]
	s_waitcnt vmcnt(6)
	v_fmac_f64_e32 v[70:71], v[82:83], v[76:77]
	ds_read2_b64 v[74:77], v72 offset0:43 offset1:44
	s_waitcnt vmcnt(4) lgkmcnt(0)
	v_fmac_f64_e32 v[70:71], v[84:85], v[74:75]
	;; [unrolled: 5-line block ×3, first 2 shown]
	buffer_load_dword v75, off, s[0:3], 0 offset:100
	buffer_load_dword v74, off, s[0:3], 0 offset:96
	buffer_load_dword v79, off, s[0:3], 0 offset:108
	buffer_load_dword v78, off, s[0:3], 0 offset:104
	s_waitcnt vmcnt(2)
	v_fmac_f64_e32 v[70:71], v[74:75], v[76:77]
	ds_read2_b64 v[74:77], v72 offset0:47 offset1:48
	s_waitcnt vmcnt(0) lgkmcnt(0)
	v_fmac_f64_e32 v[70:71], v[78:79], v[74:75]
	buffer_load_dword v75, off, s[0:3], 0 offset:116
	buffer_load_dword v74, off, s[0:3], 0 offset:112
	buffer_load_dword v79, off, s[0:3], 0 offset:124
	buffer_load_dword v78, off, s[0:3], 0 offset:120
	s_waitcnt vmcnt(2)
	v_fmac_f64_e32 v[70:71], v[74:75], v[76:77]
	ds_read2_b64 v[74:77], v72 offset0:49 offset1:50
	s_waitcnt vmcnt(0) lgkmcnt(0)
	v_fmac_f64_e32 v[70:71], v[78:79], v[74:75]
	;; [unrolled: 9-line block ×9, first 2 shown]
	buffer_load_dword v75, off, s[0:3], 0 offset:244
	buffer_load_dword v74, off, s[0:3], 0 offset:240
	s_waitcnt vmcnt(0)
	v_fmac_f64_e32 v[70:71], v[74:75], v[76:77]
	buffer_load_dword v77, off, s[0:3], 0 offset:252
	buffer_load_dword v76, off, s[0:3], 0 offset:248
	ds_read2_b64 v[72:75], v72 offset0:65 offset1:66
	s_waitcnt vmcnt(0) lgkmcnt(0)
	v_fmac_f64_e32 v[70:71], v[76:77], v[72:73]
	buffer_load_dword v73, off, s[0:3], 0 offset:260
	buffer_load_dword v72, off, s[0:3], 0 offset:256
	s_waitcnt vmcnt(0)
	v_fmac_f64_e32 v[70:71], v[72:73], v[74:75]
	v_add_f64 v[68:69], v[68:69], -v[70:71]
	buffer_store_dword v69, off, s[0:3], 0 offset:36
	buffer_store_dword v68, off, s[0:3], 0 offset:32
	s_and_saveexec_b64 s[4:5], vcc
	s_cbranch_execz .LBB32_199
; %bb.198:
	buffer_load_dword v68, off, s[0:3], 0 offset:24
	buffer_load_dword v69, off, s[0:3], 0 offset:28
	v_mov_b32_e32 v70, 0
	buffer_store_dword v70, off, s[0:3], 0 offset:24
	buffer_store_dword v70, off, s[0:3], 0 offset:28
	s_waitcnt vmcnt(2)
	ds_write_b64 v1, v[68:69]
.LBB32_199:
	s_or_b64 exec, exec, s[4:5]
	s_waitcnt lgkmcnt(0)
	; wave barrier
	s_waitcnt lgkmcnt(0)
	buffer_load_dword v68, off, s[0:3], 0 offset:24
	buffer_load_dword v69, off, s[0:3], 0 offset:28
	;; [unrolled: 1-line block ×16, first 2 shown]
	v_mov_b32_e32 v72, 0
	ds_read_b128 v[74:77], v72 offset:304
	ds_read_b128 v[78:81], v72 offset:320
	;; [unrolled: 1-line block ×4, first 2 shown]
	v_cmp_lt_u32_e32 vcc, 2, v0
	s_waitcnt vmcnt(12) lgkmcnt(3)
	v_fma_f64 v[70:71], v[70:71], v[74:75], 0
	buffer_load_dword v75, off, s[0:3], 0 offset:92
	buffer_load_dword v74, off, s[0:3], 0 offset:88
	s_waitcnt vmcnt(12)
	v_fmac_f64_e32 v[70:71], v[90:91], v[76:77]
	s_waitcnt vmcnt(10) lgkmcnt(2)
	v_fmac_f64_e32 v[70:71], v[92:93], v[78:79]
	buffer_load_dword v79, off, s[0:3], 0 offset:100
	buffer_load_dword v78, off, s[0:3], 0 offset:96
	s_waitcnt vmcnt(10)
	v_fmac_f64_e32 v[70:71], v[94:95], v[80:81]
	s_waitcnt vmcnt(8) lgkmcnt(1)
	v_fmac_f64_e32 v[70:71], v[96:97], v[82:83]
	s_waitcnt vmcnt(6)
	v_fmac_f64_e32 v[70:71], v[98:99], v[84:85]
	s_waitcnt vmcnt(4) lgkmcnt(0)
	v_fmac_f64_e32 v[70:71], v[100:101], v[86:87]
	s_waitcnt vmcnt(2)
	v_fmac_f64_e32 v[70:71], v[74:75], v[88:89]
	ds_read_b128 v[74:77], v72 offset:368
	s_waitcnt vmcnt(0) lgkmcnt(0)
	v_fmac_f64_e32 v[70:71], v[78:79], v[74:75]
	buffer_load_dword v75, off, s[0:3], 0 offset:108
	buffer_load_dword v74, off, s[0:3], 0 offset:104
	buffer_load_dword v79, off, s[0:3], 0 offset:116
	buffer_load_dword v78, off, s[0:3], 0 offset:112
	s_waitcnt vmcnt(2)
	v_fmac_f64_e32 v[70:71], v[74:75], v[76:77]
	ds_read_b128 v[74:77], v72 offset:384
	s_waitcnt vmcnt(0) lgkmcnt(0)
	v_fmac_f64_e32 v[70:71], v[78:79], v[74:75]
	buffer_load_dword v75, off, s[0:3], 0 offset:124
	buffer_load_dword v74, off, s[0:3], 0 offset:120
	buffer_load_dword v79, off, s[0:3], 0 offset:132
	buffer_load_dword v78, off, s[0:3], 0 offset:128
	;; [unrolled: 9-line block ×9, first 2 shown]
	s_waitcnt vmcnt(2)
	v_fmac_f64_e32 v[70:71], v[74:75], v[76:77]
	ds_read_b128 v[74:77], v72 offset:512
	s_waitcnt vmcnt(0) lgkmcnt(0)
	v_fmac_f64_e32 v[70:71], v[78:79], v[74:75]
	buffer_load_dword v75, off, s[0:3], 0 offset:252
	buffer_load_dword v74, off, s[0:3], 0 offset:248
	s_waitcnt vmcnt(0)
	v_fmac_f64_e32 v[70:71], v[74:75], v[76:77]
	buffer_load_dword v75, off, s[0:3], 0 offset:260
	buffer_load_dword v74, off, s[0:3], 0 offset:256
	ds_read_b64 v[76:77], v72 offset:528
	s_waitcnt vmcnt(0) lgkmcnt(0)
	v_fmac_f64_e32 v[70:71], v[74:75], v[76:77]
	v_add_f64 v[68:69], v[68:69], -v[70:71]
	buffer_store_dword v69, off, s[0:3], 0 offset:28
	buffer_store_dword v68, off, s[0:3], 0 offset:24
	s_and_saveexec_b64 s[4:5], vcc
	s_cbranch_execz .LBB32_201
; %bb.200:
	buffer_load_dword v68, off, s[0:3], 0 offset:16
	buffer_load_dword v69, off, s[0:3], 0 offset:20
	s_waitcnt vmcnt(0)
	ds_write_b64 v1, v[68:69]
	buffer_store_dword v72, off, s[0:3], 0 offset:16
	buffer_store_dword v72, off, s[0:3], 0 offset:20
.LBB32_201:
	s_or_b64 exec, exec, s[4:5]
	s_waitcnt lgkmcnt(0)
	; wave barrier
	s_waitcnt lgkmcnt(0)
	buffer_load_dword v68, off, s[0:3], 0 offset:16
	buffer_load_dword v69, off, s[0:3], 0 offset:20
	;; [unrolled: 1-line block ×16, first 2 shown]
	ds_read2_b64 v[74:77], v72 offset0:37 offset1:38
	v_cmp_lt_u32_e32 vcc, 1, v0
	s_waitcnt vmcnt(12) lgkmcnt(0)
	v_fma_f64 v[70:71], v[70:71], v[74:75], 0
	s_waitcnt vmcnt(10)
	v_fmac_f64_e32 v[70:71], v[78:79], v[76:77]
	ds_read2_b64 v[74:77], v72 offset0:39 offset1:40
	s_waitcnt vmcnt(8) lgkmcnt(0)
	v_fmac_f64_e32 v[70:71], v[80:81], v[74:75]
	s_waitcnt vmcnt(6)
	v_fmac_f64_e32 v[70:71], v[82:83], v[76:77]
	ds_read2_b64 v[74:77], v72 offset0:41 offset1:42
	s_waitcnt vmcnt(4) lgkmcnt(0)
	v_fmac_f64_e32 v[70:71], v[84:85], v[74:75]
	;; [unrolled: 5-line block ×3, first 2 shown]
	buffer_load_dword v75, off, s[0:3], 0 offset:84
	buffer_load_dword v74, off, s[0:3], 0 offset:80
	buffer_load_dword v79, off, s[0:3], 0 offset:92
	buffer_load_dword v78, off, s[0:3], 0 offset:88
	s_waitcnt vmcnt(2)
	v_fmac_f64_e32 v[70:71], v[74:75], v[76:77]
	ds_read2_b64 v[74:77], v72 offset0:45 offset1:46
	s_waitcnt vmcnt(0) lgkmcnt(0)
	v_fmac_f64_e32 v[70:71], v[78:79], v[74:75]
	buffer_load_dword v75, off, s[0:3], 0 offset:100
	buffer_load_dword v74, off, s[0:3], 0 offset:96
	buffer_load_dword v79, off, s[0:3], 0 offset:108
	buffer_load_dword v78, off, s[0:3], 0 offset:104
	s_waitcnt vmcnt(2)
	v_fmac_f64_e32 v[70:71], v[74:75], v[76:77]
	ds_read2_b64 v[74:77], v72 offset0:47 offset1:48
	s_waitcnt vmcnt(0) lgkmcnt(0)
	v_fmac_f64_e32 v[70:71], v[78:79], v[74:75]
	;; [unrolled: 9-line block ×10, first 2 shown]
	buffer_load_dword v75, off, s[0:3], 0 offset:244
	buffer_load_dword v74, off, s[0:3], 0 offset:240
	s_waitcnt vmcnt(0)
	v_fmac_f64_e32 v[70:71], v[74:75], v[76:77]
	buffer_load_dword v77, off, s[0:3], 0 offset:252
	buffer_load_dword v76, off, s[0:3], 0 offset:248
	ds_read2_b64 v[72:75], v72 offset0:65 offset1:66
	s_waitcnt vmcnt(0) lgkmcnt(0)
	v_fmac_f64_e32 v[70:71], v[76:77], v[72:73]
	buffer_load_dword v73, off, s[0:3], 0 offset:260
	buffer_load_dword v72, off, s[0:3], 0 offset:256
	s_waitcnt vmcnt(0)
	v_fmac_f64_e32 v[70:71], v[72:73], v[74:75]
	v_add_f64 v[68:69], v[68:69], -v[70:71]
	buffer_store_dword v69, off, s[0:3], 0 offset:20
	buffer_store_dword v68, off, s[0:3], 0 offset:16
	s_and_saveexec_b64 s[4:5], vcc
	s_cbranch_execz .LBB32_203
; %bb.202:
	buffer_load_dword v68, off, s[0:3], 0 offset:8
	buffer_load_dword v69, off, s[0:3], 0 offset:12
	v_mov_b32_e32 v70, 0
	buffer_store_dword v70, off, s[0:3], 0 offset:8
	buffer_store_dword v70, off, s[0:3], 0 offset:12
	s_waitcnt vmcnt(2)
	ds_write_b64 v1, v[68:69]
.LBB32_203:
	s_or_b64 exec, exec, s[4:5]
	s_waitcnt lgkmcnt(0)
	; wave barrier
	s_waitcnt lgkmcnt(0)
	buffer_load_dword v68, off, s[0:3], 0 offset:8
	buffer_load_dword v69, off, s[0:3], 0 offset:12
	;; [unrolled: 1-line block ×16, first 2 shown]
	v_mov_b32_e32 v72, 0
	ds_read_b128 v[74:77], v72 offset:288
	ds_read_b128 v[78:81], v72 offset:304
	;; [unrolled: 1-line block ×4, first 2 shown]
	v_cmp_ne_u32_e32 vcc, 0, v0
	s_waitcnt vmcnt(12) lgkmcnt(3)
	v_fma_f64 v[70:71], v[70:71], v[74:75], 0
	buffer_load_dword v75, off, s[0:3], 0 offset:76
	buffer_load_dword v74, off, s[0:3], 0 offset:72
	s_waitcnt vmcnt(12)
	v_fmac_f64_e32 v[70:71], v[90:91], v[76:77]
	s_waitcnt vmcnt(10) lgkmcnt(2)
	v_fmac_f64_e32 v[70:71], v[92:93], v[78:79]
	buffer_load_dword v79, off, s[0:3], 0 offset:84
	buffer_load_dword v78, off, s[0:3], 0 offset:80
	s_waitcnt vmcnt(10)
	v_fmac_f64_e32 v[70:71], v[94:95], v[80:81]
	s_waitcnt vmcnt(8) lgkmcnt(1)
	v_fmac_f64_e32 v[70:71], v[96:97], v[82:83]
	s_waitcnt vmcnt(6)
	v_fmac_f64_e32 v[70:71], v[98:99], v[84:85]
	s_waitcnt vmcnt(4) lgkmcnt(0)
	v_fmac_f64_e32 v[70:71], v[100:101], v[86:87]
	s_waitcnt vmcnt(2)
	v_fmac_f64_e32 v[70:71], v[74:75], v[88:89]
	ds_read_b128 v[74:77], v72 offset:352
	s_waitcnt vmcnt(0) lgkmcnt(0)
	v_fmac_f64_e32 v[70:71], v[78:79], v[74:75]
	buffer_load_dword v75, off, s[0:3], 0 offset:92
	buffer_load_dword v74, off, s[0:3], 0 offset:88
	buffer_load_dword v79, off, s[0:3], 0 offset:100
	buffer_load_dword v78, off, s[0:3], 0 offset:96
	s_waitcnt vmcnt(2)
	v_fmac_f64_e32 v[70:71], v[74:75], v[76:77]
	ds_read_b128 v[74:77], v72 offset:368
	s_waitcnt vmcnt(0) lgkmcnt(0)
	v_fmac_f64_e32 v[70:71], v[78:79], v[74:75]
	buffer_load_dword v75, off, s[0:3], 0 offset:108
	buffer_load_dword v74, off, s[0:3], 0 offset:104
	buffer_load_dword v79, off, s[0:3], 0 offset:116
	buffer_load_dword v78, off, s[0:3], 0 offset:112
	;; [unrolled: 9-line block ×10, first 2 shown]
	s_waitcnt vmcnt(2)
	v_fmac_f64_e32 v[70:71], v[74:75], v[76:77]
	ds_read_b128 v[74:77], v72 offset:512
	s_waitcnt vmcnt(0) lgkmcnt(0)
	v_fmac_f64_e32 v[70:71], v[78:79], v[74:75]
	buffer_load_dword v75, off, s[0:3], 0 offset:252
	buffer_load_dword v74, off, s[0:3], 0 offset:248
	s_waitcnt vmcnt(0)
	v_fmac_f64_e32 v[70:71], v[74:75], v[76:77]
	buffer_load_dword v75, off, s[0:3], 0 offset:260
	buffer_load_dword v74, off, s[0:3], 0 offset:256
	ds_read_b64 v[76:77], v72 offset:528
	s_waitcnt vmcnt(0) lgkmcnt(0)
	v_fmac_f64_e32 v[70:71], v[74:75], v[76:77]
	v_add_f64 v[68:69], v[68:69], -v[70:71]
	buffer_store_dword v69, off, s[0:3], 0 offset:12
	buffer_store_dword v68, off, s[0:3], 0 offset:8
	s_and_saveexec_b64 s[4:5], vcc
	s_cbranch_execz .LBB32_205
; %bb.204:
	buffer_load_dword v68, off, s[0:3], 0
	buffer_load_dword v69, off, s[0:3], 0 offset:4
	s_waitcnt vmcnt(0)
	ds_write_b64 v1, v[68:69]
	buffer_store_dword v72, off, s[0:3], 0
	buffer_store_dword v72, off, s[0:3], 0 offset:4
.LBB32_205:
	s_or_b64 exec, exec, s[4:5]
	s_waitcnt lgkmcnt(0)
	; wave barrier
	s_waitcnt lgkmcnt(0)
	buffer_load_dword v0, off, s[0:3], 0
	buffer_load_dword v1, off, s[0:3], 0 offset:4
	buffer_load_dword v74, off, s[0:3], 0 offset:8
	;; [unrolled: 1-line block ×15, first 2 shown]
	ds_read2_b64 v[68:71], v72 offset0:35 offset1:36
	s_and_b64 vcc, exec, s[20:21]
	s_waitcnt vmcnt(12) lgkmcnt(0)
	v_fma_f64 v[68:69], v[74:75], v[68:69], 0
	s_waitcnt vmcnt(10)
	v_fmac_f64_e32 v[68:69], v[76:77], v[70:71]
	ds_read2_b64 v[74:77], v72 offset0:37 offset1:38
	s_waitcnt vmcnt(8) lgkmcnt(0)
	v_fmac_f64_e32 v[68:69], v[78:79], v[74:75]
	s_waitcnt vmcnt(6)
	v_fmac_f64_e32 v[68:69], v[80:81], v[76:77]
	ds_read2_b64 v[74:77], v72 offset0:39 offset1:40
	s_waitcnt vmcnt(4) lgkmcnt(0)
	v_fmac_f64_e32 v[68:69], v[82:83], v[74:75]
	s_waitcnt vmcnt(2)
	v_fmac_f64_e32 v[68:69], v[84:85], v[76:77]
	ds_read2_b64 v[74:77], v72 offset0:41 offset1:42
	buffer_load_dword v71, off, s[0:3], 0 offset:68
	buffer_load_dword v70, off, s[0:3], 0 offset:64
	s_waitcnt vmcnt(2) lgkmcnt(0)
	v_fmac_f64_e32 v[68:69], v[86:87], v[74:75]
	s_waitcnt vmcnt(0)
	v_fmac_f64_e32 v[68:69], v[70:71], v[76:77]
	buffer_load_dword v71, off, s[0:3], 0 offset:76
	buffer_load_dword v70, off, s[0:3], 0 offset:72
	ds_read2_b64 v[74:77], v72 offset0:43 offset1:44
	s_waitcnt vmcnt(0) lgkmcnt(0)
	v_fmac_f64_e32 v[68:69], v[70:71], v[74:75]
	buffer_load_dword v71, off, s[0:3], 0 offset:84
	buffer_load_dword v70, off, s[0:3], 0 offset:80
	s_waitcnt vmcnt(0)
	v_fmac_f64_e32 v[68:69], v[70:71], v[76:77]
	buffer_load_dword v71, off, s[0:3], 0 offset:92
	buffer_load_dword v70, off, s[0:3], 0 offset:88
	ds_read2_b64 v[74:77], v72 offset0:45 offset1:46
	s_waitcnt vmcnt(0) lgkmcnt(0)
	v_fmac_f64_e32 v[68:69], v[70:71], v[74:75]
	buffer_load_dword v71, off, s[0:3], 0 offset:100
	buffer_load_dword v70, off, s[0:3], 0 offset:96
	;; [unrolled: 9-line block ×12, first 2 shown]
	s_waitcnt vmcnt(0)
	v_fmac_f64_e32 v[68:69], v[72:73], v[74:75]
	v_add_f64 v[0:1], v[0:1], -v[68:69]
	buffer_store_dword v1, off, s[0:3], 0 offset:4
	buffer_store_dword v0, off, s[0:3], 0
	s_cbranch_vccz .LBB32_271
; %bb.206:
	v_pk_mov_b32 v[0:1], s[10:11], s[10:11] op_sel:[0,1]
	flat_load_dword v0, v[0:1] offset:124
	s_waitcnt vmcnt(0) lgkmcnt(0)
	v_add_u32_e32 v0, -1, v0
	v_cmp_ne_u32_e32 vcc, 31, v0
	s_and_saveexec_b64 s[4:5], vcc
	s_cbranch_execz .LBB32_208
; %bb.207:
	v_mov_b32_e32 v1, 0
	v_lshl_add_u32 v0, v0, 3, v1
	buffer_load_dword v1, v0, s[0:3], 0 offen
	buffer_load_dword v68, v0, s[0:3], 0 offen offset:4
	s_waitcnt vmcnt(1)
	buffer_store_dword v1, off, s[0:3], 0 offset:248
	s_waitcnt vmcnt(1)
	buffer_store_dword v68, off, s[0:3], 0 offset:252
	buffer_store_dword v70, v0, s[0:3], 0 offen
	buffer_store_dword v71, v0, s[0:3], 0 offen offset:4
.LBB32_208:
	s_or_b64 exec, exec, s[4:5]
	v_pk_mov_b32 v[0:1], s[10:11], s[10:11] op_sel:[0,1]
	flat_load_dword v0, v[0:1] offset:120
	s_waitcnt vmcnt(0) lgkmcnt(0)
	v_add_u32_e32 v0, -1, v0
	v_cmp_ne_u32_e32 vcc, 30, v0
	s_and_saveexec_b64 s[4:5], vcc
	s_cbranch_execz .LBB32_210
; %bb.209:
	v_mov_b32_e32 v1, 0
	v_lshl_add_u32 v0, v0, 3, v1
	buffer_load_dword v1, v0, s[0:3], 0 offen
	buffer_load_dword v68, v0, s[0:3], 0 offen offset:4
	buffer_load_dword v69, off, s[0:3], 0 offset:244
	buffer_load_dword v70, off, s[0:3], 0 offset:240
	s_waitcnt vmcnt(3)
	buffer_store_dword v1, off, s[0:3], 0 offset:240
	s_waitcnt vmcnt(3)
	buffer_store_dword v68, off, s[0:3], 0 offset:244
	s_waitcnt vmcnt(3)
	buffer_store_dword v69, v0, s[0:3], 0 offen offset:4
	s_waitcnt vmcnt(3)
	buffer_store_dword v70, v0, s[0:3], 0 offen
.LBB32_210:
	s_or_b64 exec, exec, s[4:5]
	v_pk_mov_b32 v[0:1], s[10:11], s[10:11] op_sel:[0,1]
	flat_load_dword v0, v[0:1] offset:116
	s_waitcnt vmcnt(0) lgkmcnt(0)
	v_add_u32_e32 v0, -1, v0
	v_cmp_ne_u32_e32 vcc, 29, v0
	s_and_saveexec_b64 s[4:5], vcc
	s_cbranch_execz .LBB32_212
; %bb.211:
	v_mov_b32_e32 v1, 0
	v_lshl_add_u32 v0, v0, 3, v1
	buffer_load_dword v1, v0, s[0:3], 0 offen
	buffer_load_dword v68, v0, s[0:3], 0 offen offset:4
	buffer_load_dword v69, off, s[0:3], 0 offset:232
	buffer_load_dword v70, off, s[0:3], 0 offset:236
	s_waitcnt vmcnt(3)
	buffer_store_dword v1, off, s[0:3], 0 offset:232
	s_waitcnt vmcnt(3)
	buffer_store_dword v68, off, s[0:3], 0 offset:236
	s_waitcnt vmcnt(3)
	buffer_store_dword v69, v0, s[0:3], 0 offen
	s_waitcnt vmcnt(3)
	buffer_store_dword v70, v0, s[0:3], 0 offen offset:4
.LBB32_212:
	s_or_b64 exec, exec, s[4:5]
	v_pk_mov_b32 v[0:1], s[10:11], s[10:11] op_sel:[0,1]
	flat_load_dword v0, v[0:1] offset:112
	s_waitcnt vmcnt(0) lgkmcnt(0)
	v_add_u32_e32 v0, -1, v0
	v_cmp_ne_u32_e32 vcc, 28, v0
	s_and_saveexec_b64 s[4:5], vcc
	s_cbranch_execz .LBB32_214
; %bb.213:
	v_mov_b32_e32 v1, 0
	v_lshl_add_u32 v0, v0, 3, v1
	buffer_load_dword v1, v0, s[0:3], 0 offen
	buffer_load_dword v68, v0, s[0:3], 0 offen offset:4
	buffer_load_dword v69, off, s[0:3], 0 offset:228
	buffer_load_dword v70, off, s[0:3], 0 offset:224
	s_waitcnt vmcnt(3)
	buffer_store_dword v1, off, s[0:3], 0 offset:224
	s_waitcnt vmcnt(3)
	buffer_store_dword v68, off, s[0:3], 0 offset:228
	s_waitcnt vmcnt(3)
	buffer_store_dword v69, v0, s[0:3], 0 offen offset:4
	s_waitcnt vmcnt(3)
	buffer_store_dword v70, v0, s[0:3], 0 offen
.LBB32_214:
	s_or_b64 exec, exec, s[4:5]
	v_pk_mov_b32 v[0:1], s[10:11], s[10:11] op_sel:[0,1]
	flat_load_dword v0, v[0:1] offset:108
	s_waitcnt vmcnt(0) lgkmcnt(0)
	v_add_u32_e32 v0, -1, v0
	v_cmp_ne_u32_e32 vcc, 27, v0
	s_and_saveexec_b64 s[4:5], vcc
	s_cbranch_execz .LBB32_216
; %bb.215:
	v_mov_b32_e32 v1, 0
	v_lshl_add_u32 v0, v0, 3, v1
	buffer_load_dword v1, v0, s[0:3], 0 offen
	buffer_load_dword v68, v0, s[0:3], 0 offen offset:4
	buffer_load_dword v69, off, s[0:3], 0 offset:216
	buffer_load_dword v70, off, s[0:3], 0 offset:220
	s_waitcnt vmcnt(3)
	buffer_store_dword v1, off, s[0:3], 0 offset:216
	s_waitcnt vmcnt(3)
	buffer_store_dword v68, off, s[0:3], 0 offset:220
	s_waitcnt vmcnt(3)
	buffer_store_dword v69, v0, s[0:3], 0 offen
	s_waitcnt vmcnt(3)
	buffer_store_dword v70, v0, s[0:3], 0 offen offset:4
.LBB32_216:
	;; [unrolled: 48-line block ×15, first 2 shown]
	s_or_b64 exec, exec, s[4:5]
	v_pk_mov_b32 v[0:1], s[10:11], s[10:11] op_sel:[0,1]
	flat_load_dword v68, v[0:1]
	s_nop 0
	buffer_load_dword v0, off, s[0:3], 0
	buffer_load_dword v1, off, s[0:3], 0 offset:4
	s_waitcnt vmcnt(0) lgkmcnt(0)
	v_add_u32_e32 v68, -1, v68
	v_cmp_ne_u32_e32 vcc, 0, v68
	s_and_saveexec_b64 s[4:5], vcc
	s_cbranch_execz .LBB32_270
; %bb.269:
	v_mov_b32_e32 v69, 0
	v_lshl_add_u32 v68, v68, 3, v69
	buffer_load_dword v69, v68, s[0:3], 0 offen offset:4
	buffer_load_dword v70, v68, s[0:3], 0 offen
	s_waitcnt vmcnt(1)
	buffer_store_dword v69, off, s[0:3], 0 offset:4
	s_waitcnt vmcnt(1)
	buffer_store_dword v70, off, s[0:3], 0
	buffer_store_dword v1, v68, s[0:3], 0 offen offset:4
	buffer_store_dword v0, v68, s[0:3], 0 offen
	buffer_load_dword v0, off, s[0:3], 0
	s_nop 0
	buffer_load_dword v1, off, s[0:3], 0 offset:4
.LBB32_270:
	s_or_b64 exec, exec, s[4:5]
.LBB32_271:
	s_waitcnt vmcnt(0)
	global_store_dwordx2 v[66:67], v[0:1], off
	buffer_load_dword v0, off, s[0:3], 0 offset:8
	s_nop 0
	buffer_load_dword v1, off, s[0:3], 0 offset:12
	buffer_load_dword v66, off, s[0:3], 0 offset:16
	;; [unrolled: 1-line block ×15, first 2 shown]
	s_waitcnt vmcnt(14)
	global_store_dwordx2 v[64:65], v[0:1], off
	s_waitcnt vmcnt(13)
	global_store_dwordx2 v[2:3], v[66:67], off
	;; [unrolled: 2-line block ×8, first 2 shown]
	buffer_load_dword v0, off, s[0:3], 0 offset:72
	buffer_load_dword v1, off, s[0:3], 0 offset:76
	s_waitcnt vmcnt(0)
	global_store_dwordx2 v[14:15], v[0:1], off
	buffer_load_dword v0, off, s[0:3], 0 offset:80
	s_nop 0
	buffer_load_dword v1, off, s[0:3], 0 offset:84
	s_waitcnt vmcnt(0)
	global_store_dwordx2 v[16:17], v[0:1], off
	buffer_load_dword v0, off, s[0:3], 0 offset:88
	s_nop 0
	;; [unrolled: 5-line block ×23, first 2 shown]
	buffer_load_dword v1, off, s[0:3], 0 offset:260
	s_waitcnt vmcnt(0)
	global_store_dwordx2 v[60:61], v[0:1], off
	s_endpgm
	.section	.rodata,"a",@progbits
	.p2align	6, 0x0
	.amdhsa_kernel _ZN9rocsolver6v33100L18getri_kernel_smallILi33EdPdEEvT1_iilPiilS4_bb
		.amdhsa_group_segment_fixed_size 536
		.amdhsa_private_segment_fixed_size 272
		.amdhsa_kernarg_size 60
		.amdhsa_user_sgpr_count 8
		.amdhsa_user_sgpr_private_segment_buffer 1
		.amdhsa_user_sgpr_dispatch_ptr 0
		.amdhsa_user_sgpr_queue_ptr 0
		.amdhsa_user_sgpr_kernarg_segment_ptr 1
		.amdhsa_user_sgpr_dispatch_id 0
		.amdhsa_user_sgpr_flat_scratch_init 1
		.amdhsa_user_sgpr_kernarg_preload_length 0
		.amdhsa_user_sgpr_kernarg_preload_offset 0
		.amdhsa_user_sgpr_private_segment_size 0
		.amdhsa_uses_dynamic_stack 0
		.amdhsa_system_sgpr_private_segment_wavefront_offset 1
		.amdhsa_system_sgpr_workgroup_id_x 1
		.amdhsa_system_sgpr_workgroup_id_y 0
		.amdhsa_system_sgpr_workgroup_id_z 0
		.amdhsa_system_sgpr_workgroup_info 0
		.amdhsa_system_vgpr_workitem_id 0
		.amdhsa_next_free_vgpr 128
		.amdhsa_next_free_sgpr 23
		.amdhsa_accum_offset 128
		.amdhsa_reserve_vcc 1
		.amdhsa_reserve_flat_scratch 1
		.amdhsa_float_round_mode_32 0
		.amdhsa_float_round_mode_16_64 0
		.amdhsa_float_denorm_mode_32 3
		.amdhsa_float_denorm_mode_16_64 3
		.amdhsa_dx10_clamp 1
		.amdhsa_ieee_mode 1
		.amdhsa_fp16_overflow 0
		.amdhsa_tg_split 0
		.amdhsa_exception_fp_ieee_invalid_op 0
		.amdhsa_exception_fp_denorm_src 0
		.amdhsa_exception_fp_ieee_div_zero 0
		.amdhsa_exception_fp_ieee_overflow 0
		.amdhsa_exception_fp_ieee_underflow 0
		.amdhsa_exception_fp_ieee_inexact 0
		.amdhsa_exception_int_div_zero 0
	.end_amdhsa_kernel
	.section	.text._ZN9rocsolver6v33100L18getri_kernel_smallILi33EdPdEEvT1_iilPiilS4_bb,"axG",@progbits,_ZN9rocsolver6v33100L18getri_kernel_smallILi33EdPdEEvT1_iilPiilS4_bb,comdat
.Lfunc_end32:
	.size	_ZN9rocsolver6v33100L18getri_kernel_smallILi33EdPdEEvT1_iilPiilS4_bb, .Lfunc_end32-_ZN9rocsolver6v33100L18getri_kernel_smallILi33EdPdEEvT1_iilPiilS4_bb
                                        ; -- End function
	.section	.AMDGPU.csdata,"",@progbits
; Kernel info:
; codeLenInByte = 32192
; NumSgprs: 29
; NumVgprs: 128
; NumAgprs: 0
; TotalNumVgprs: 128
; ScratchSize: 272
; MemoryBound: 0
; FloatMode: 240
; IeeeMode: 1
; LDSByteSize: 536 bytes/workgroup (compile time only)
; SGPRBlocks: 3
; VGPRBlocks: 15
; NumSGPRsForWavesPerEU: 29
; NumVGPRsForWavesPerEU: 128
; AccumOffset: 128
; Occupancy: 4
; WaveLimiterHint : 1
; COMPUTE_PGM_RSRC2:SCRATCH_EN: 1
; COMPUTE_PGM_RSRC2:USER_SGPR: 8
; COMPUTE_PGM_RSRC2:TRAP_HANDLER: 0
; COMPUTE_PGM_RSRC2:TGID_X_EN: 1
; COMPUTE_PGM_RSRC2:TGID_Y_EN: 0
; COMPUTE_PGM_RSRC2:TGID_Z_EN: 0
; COMPUTE_PGM_RSRC2:TIDIG_COMP_CNT: 0
; COMPUTE_PGM_RSRC3_GFX90A:ACCUM_OFFSET: 31
; COMPUTE_PGM_RSRC3_GFX90A:TG_SPLIT: 0
	.section	.text._ZN9rocsolver6v33100L18getri_kernel_smallILi34EdPdEEvT1_iilPiilS4_bb,"axG",@progbits,_ZN9rocsolver6v33100L18getri_kernel_smallILi34EdPdEEvT1_iilPiilS4_bb,comdat
	.globl	_ZN9rocsolver6v33100L18getri_kernel_smallILi34EdPdEEvT1_iilPiilS4_bb ; -- Begin function _ZN9rocsolver6v33100L18getri_kernel_smallILi34EdPdEEvT1_iilPiilS4_bb
	.p2align	8
	.type	_ZN9rocsolver6v33100L18getri_kernel_smallILi34EdPdEEvT1_iilPiilS4_bb,@function
_ZN9rocsolver6v33100L18getri_kernel_smallILi34EdPdEEvT1_iilPiilS4_bb: ; @_ZN9rocsolver6v33100L18getri_kernel_smallILi34EdPdEEvT1_iilPiilS4_bb
; %bb.0:
	s_add_u32 flat_scratch_lo, s6, s9
	s_addc_u32 flat_scratch_hi, s7, 0
	s_add_u32 s0, s0, s9
	s_addc_u32 s1, s1, 0
	v_cmp_gt_u32_e32 vcc, 34, v0
	s_and_saveexec_b64 s[6:7], vcc
	s_cbranch_execz .LBB33_144
; %bb.1:
	s_load_dword s22, s[4:5], 0x38
	s_load_dwordx4 s[16:19], s[4:5], 0x10
	s_load_dwordx4 s[12:15], s[4:5], 0x28
                                        ; implicit-def: $sgpr10_sgpr11
	s_waitcnt lgkmcnt(0)
	s_bitcmp1_b32 s22, 8
	s_cselect_b64 s[20:21], -1, 0
	s_ashr_i32 s9, s8, 31
	s_bfe_u32 s6, s22, 0x10008
	s_cmp_eq_u32 s6, 0
	s_cbranch_scc1 .LBB33_3
; %bb.2:
	s_load_dword s6, s[4:5], 0x20
	s_mul_i32 s7, s8, s13
	s_mul_hi_u32 s10, s8, s12
	s_mul_i32 s11, s9, s12
	s_add_i32 s10, s10, s7
	s_add_i32 s11, s10, s11
	s_mul_i32 s10, s8, s12
	s_waitcnt lgkmcnt(0)
	s_ashr_i32 s7, s6, 31
	s_lshl_b64 s[10:11], s[10:11], 2
	s_add_u32 s10, s18, s10
	s_addc_u32 s11, s19, s11
	s_lshl_b64 s[6:7], s[6:7], 2
	s_add_u32 s10, s10, s6
	s_addc_u32 s11, s11, s7
.LBB33_3:
	s_load_dwordx4 s[4:7], s[4:5], 0x0
	s_mul_i32 s12, s8, s17
	s_mul_hi_u32 s13, s8, s16
	s_add_i32 s17, s13, s12
	s_waitcnt lgkmcnt(0)
	s_ashr_i32 s13, s6, 31
	s_mov_b32 s12, s6
	s_mul_i32 s6, s9, s16
	s_add_i32 s17, s17, s6
	s_mul_i32 s16, s8, s16
	s_lshl_b64 s[16:17], s[16:17], 3
	s_add_u32 s6, s4, s16
	s_addc_u32 s16, s5, s17
	s_lshl_b64 s[4:5], s[12:13], 3
	s_add_u32 s4, s6, s4
	s_addc_u32 s5, s16, s5
	s_add_i32 s6, s7, s7
	v_add_u32_e32 v4, s6, v0
	v_ashrrev_i32_e32 v5, 31, v4
	v_lshlrev_b64 v[2:3], 3, v[4:5]
	v_add_u32_e32 v6, s7, v4
	v_mov_b32_e32 v1, s5
	v_add_co_u32_e32 v2, vcc, s4, v2
	v_ashrrev_i32_e32 v7, 31, v6
	v_addc_co_u32_e32 v3, vcc, v1, v3, vcc
	v_lshlrev_b64 v[4:5], 3, v[6:7]
	v_add_u32_e32 v8, s7, v6
	v_add_co_u32_e32 v4, vcc, s4, v4
	v_ashrrev_i32_e32 v9, 31, v8
	v_addc_co_u32_e32 v5, vcc, v1, v5, vcc
	v_lshlrev_b64 v[6:7], 3, v[8:9]
	v_add_u32_e32 v10, s7, v8
	;; [unrolled: 5-line block ×5, first 2 shown]
	v_add_co_u32_e32 v12, vcc, s4, v12
	v_ashrrev_i32_e32 v15, 31, v14
	v_addc_co_u32_e32 v13, vcc, v1, v13, vcc
	v_lshlrev_b64 v[16:17], 3, v[14:15]
	v_add_co_u32_e32 v18, vcc, s4, v16
	v_add_u32_e32 v16, s7, v14
	v_addc_co_u32_e32 v19, vcc, v1, v17, vcc
	v_ashrrev_i32_e32 v17, 31, v16
	v_lshlrev_b64 v[14:15], 3, v[16:17]
	v_add_u32_e32 v20, s7, v16
	v_add_co_u32_e32 v14, vcc, s4, v14
	v_ashrrev_i32_e32 v21, 31, v20
	v_addc_co_u32_e32 v15, vcc, v1, v15, vcc
	v_lshlrev_b64 v[16:17], 3, v[20:21]
	v_add_u32_e32 v22, s7, v20
	v_add_co_u32_e32 v16, vcc, s4, v16
	v_ashrrev_i32_e32 v23, 31, v22
	v_addc_co_u32_e32 v17, vcc, v1, v17, vcc
	;; [unrolled: 5-line block ×16, first 2 shown]
	v_lshlrev_b64 v[48:49], 3, v[50:51]
	v_add_co_u32_e32 v48, vcc, s4, v48
	v_addc_co_u32_e32 v49, vcc, v1, v49, vcc
	v_lshlrev_b32_e32 v1, 3, v0
	global_load_dwordx2 v[70:71], v1, s[4:5]
	global_load_dwordx2 v[74:75], v[2:3], off
	global_load_dwordx2 v[76:77], v[4:5], off
	;; [unrolled: 1-line block ×3, first 2 shown]
	v_mov_b32_e32 v54, s5
	v_add_co_u32_e32 v68, vcc, s4, v1
	s_ashr_i32 s13, s7, 31
	s_mov_b32 s12, s7
	v_addc_co_u32_e32 v69, vcc, 0, v54, vcc
	s_lshl_b64 s[12:13], s[12:13], 3
	v_mov_b32_e32 v54, s13
	v_add_co_u32_e32 v66, vcc, s12, v68
	v_addc_co_u32_e32 v67, vcc, v69, v54, vcc
	global_load_dwordx2 v[72:73], v[66:67], off
	global_load_dwordx2 v[82:83], v[10:11], off
	global_load_dwordx2 v[80:81], v[8:9], off
	v_add_u32_e32 v52, s7, v50
	v_ashrrev_i32_e32 v53, 31, v52
	v_lshlrev_b64 v[50:51], 3, v[52:53]
	v_add_u32_e32 v54, s7, v52
	v_mov_b32_e32 v53, s5
	v_add_co_u32_e32 v50, vcc, s4, v50
	v_ashrrev_i32_e32 v55, 31, v54
	v_addc_co_u32_e32 v51, vcc, v53, v51, vcc
	v_lshlrev_b64 v[52:53], 3, v[54:55]
	v_mov_b32_e32 v55, s5
	v_add_co_u32_e32 v52, vcc, s4, v52
	v_add_u32_e32 v54, s7, v54
	v_addc_co_u32_e32 v53, vcc, v55, v53, vcc
	v_ashrrev_i32_e32 v55, 31, v54
	v_lshlrev_b64 v[56:57], 3, v[54:55]
	v_mov_b32_e32 v55, s5
	v_add_co_u32_e32 v56, vcc, s4, v56
	v_add_u32_e32 v54, s7, v54
	v_addc_co_u32_e32 v57, vcc, v55, v57, vcc
	v_ashrrev_i32_e32 v55, 31, v54
	;; [unrolled: 6-line block ×3, first 2 shown]
	v_lshlrev_b64 v[60:61], 3, v[54:55]
	v_add_u32_e32 v54, s7, v54
	v_mov_b32_e32 v62, s5
	v_add_co_u32_e32 v60, vcc, s4, v60
	v_ashrrev_i32_e32 v55, 31, v54
	v_addc_co_u32_e32 v61, vcc, v62, v61, vcc
	v_lshlrev_b64 v[62:63], 3, v[54:55]
	v_add_u32_e32 v54, s7, v54
	v_mov_b32_e32 v64, s5
	v_add_co_u32_e32 v62, vcc, s4, v62
	v_ashrrev_i32_e32 v55, 31, v54
	v_addc_co_u32_e32 v63, vcc, v64, v63, vcc
	v_lshlrev_b64 v[64:65], 3, v[54:55]
	v_add_u32_e32 v54, s7, v54
	v_mov_b32_e32 v88, s5
	v_add_co_u32_e32 v64, vcc, s4, v64
	v_ashrrev_i32_e32 v55, 31, v54
	v_addc_co_u32_e32 v65, vcc, v88, v65, vcc
	v_lshlrev_b64 v[54:55], 3, v[54:55]
	v_mov_b32_e32 v104, s5
	v_add_co_u32_e32 v54, vcc, s4, v54
	global_load_dwordx2 v[84:85], v[12:13], off
	global_load_dwordx2 v[86:87], v[18:19], off
	;; [unrolled: 1-line block ×10, first 2 shown]
	v_addc_co_u32_e32 v55, vcc, v104, v55, vcc
	global_load_dwordx2 v[104:105], v[32:33], off
	global_load_dwordx2 v[106:107], v[54:55], off
	;; [unrolled: 1-line block ×10, first 2 shown]
	s_bitcmp0_b32 s22, 0
	s_waitcnt vmcnt(26)
	buffer_store_dword v71, off, s[0:3], 0 offset:4
	buffer_store_dword v70, off, s[0:3], 0
	global_load_dwordx2 v[70:71], v[38:39], off
	s_mov_b64 s[6:7], -1
	s_waitcnt vmcnt(25)
	buffer_store_dword v73, off, s[0:3], 0 offset:12
	buffer_store_dword v72, off, s[0:3], 0 offset:8
	global_load_dwordx2 v[72:73], v[42:43], off
	s_nop 0
	buffer_store_dword v75, off, s[0:3], 0 offset:20
	buffer_store_dword v74, off, s[0:3], 0 offset:16
	global_load_dwordx2 v[74:75], v[46:47], off
	s_nop 0
	;; [unrolled: 4-line block ×3, first 2 shown]
	buffer_store_dword v79, off, s[0:3], 0 offset:36
	buffer_store_dword v78, off, s[0:3], 0 offset:32
	global_load_dwordx2 v[78:79], v[56:57], off
	s_waitcnt vmcnt(35)
	buffer_store_dword v81, off, s[0:3], 0 offset:44
	buffer_store_dword v80, off, s[0:3], 0 offset:40
	global_load_dwordx2 v[80:81], v[60:61], off
	s_nop 0
	buffer_store_dword v83, off, s[0:3], 0 offset:52
	buffer_store_dword v82, off, s[0:3], 0 offset:48
	global_load_dwordx2 v[82:83], v[64:65], off
	s_waitcnt vmcnt(40)
	buffer_store_dword v85, off, s[0:3], 0 offset:60
	buffer_store_dword v84, off, s[0:3], 0 offset:56
	s_waitcnt vmcnt(41)
	buffer_store_dword v87, off, s[0:3], 0 offset:68
	buffer_store_dword v86, off, s[0:3], 0 offset:64
	;; [unrolled: 3-line block ×14, first 2 shown]
	buffer_store_dword v112, off, s[0:3], 0 offset:168
	buffer_store_dword v113, off, s[0:3], 0 offset:172
	s_waitcnt vmcnt(45)
	buffer_store_dword v72, off, s[0:3], 0 offset:176
	buffer_store_dword v73, off, s[0:3], 0 offset:180
	buffer_store_dword v114, off, s[0:3], 0 offset:184
	buffer_store_dword v115, off, s[0:3], 0 offset:188
	s_waitcnt vmcnt(46)
	buffer_store_dword v74, off, s[0:3], 0 offset:192
	buffer_store_dword v75, off, s[0:3], 0 offset:196
	;; [unrolled: 5-line block ×6, first 2 shown]
	buffer_store_dword v106, off, s[0:3], 0 offset:264
	buffer_store_dword v107, off, s[0:3], 0 offset:268
	s_cbranch_scc1 .LBB33_142
; %bb.4:
	v_cmp_eq_u32_e64 s[4:5], 0, v0
	s_and_saveexec_b64 s[6:7], s[4:5]
	s_cbranch_execz .LBB33_6
; %bb.5:
	v_mov_b32_e32 v70, 0
	ds_write_b32 v70, v70 offset:544
.LBB33_6:
	s_or_b64 exec, exec, s[6:7]
	v_mov_b32_e32 v70, 0
	v_lshl_add_u32 v70, v0, 3, v70
	s_waitcnt lgkmcnt(0)
	; wave barrier
	s_waitcnt lgkmcnt(0)
	buffer_load_dword v72, v70, s[0:3], 0 offen
	buffer_load_dword v73, v70, s[0:3], 0 offen offset:4
	s_waitcnt vmcnt(0)
	v_cmp_eq_f64_e32 vcc, 0, v[72:73]
	s_and_saveexec_b64 s[12:13], vcc
	s_cbranch_execz .LBB33_10
; %bb.7:
	v_mov_b32_e32 v71, 0
	ds_read_b32 v73, v71 offset:544
	v_add_u32_e32 v72, 1, v0
	s_waitcnt lgkmcnt(0)
	v_readfirstlane_b32 s6, v73
	s_cmp_eq_u32 s6, 0
	s_cselect_b64 s[16:17], -1, 0
	v_cmp_gt_i32_e32 vcc, s6, v72
	s_or_b64 s[16:17], s[16:17], vcc
	s_and_b64 exec, exec, s[16:17]
	s_cbranch_execz .LBB33_10
; %bb.8:
	s_mov_b64 s[16:17], 0
	v_mov_b32_e32 v73, s6
.LBB33_9:                               ; =>This Inner Loop Header: Depth=1
	ds_cmpst_rtn_b32 v73, v71, v73, v72 offset:544
	s_waitcnt lgkmcnt(0)
	v_cmp_ne_u32_e32 vcc, 0, v73
	v_cmp_le_i32_e64 s[6:7], v73, v72
	s_and_b64 s[6:7], vcc, s[6:7]
	s_and_b64 s[6:7], exec, s[6:7]
	s_or_b64 s[16:17], s[6:7], s[16:17]
	s_andn2_b64 exec, exec, s[16:17]
	s_cbranch_execnz .LBB33_9
.LBB33_10:
	s_or_b64 exec, exec, s[12:13]
	v_mov_b32_e32 v72, 0
	s_waitcnt lgkmcnt(0)
	; wave barrier
	ds_read_b32 v71, v72 offset:544
	s_and_saveexec_b64 s[6:7], s[4:5]
	s_cbranch_execz .LBB33_12
; %bb.11:
	s_lshl_b64 s[12:13], s[8:9], 2
	s_add_u32 s12, s14, s12
	s_addc_u32 s13, s15, s13
	s_waitcnt lgkmcnt(0)
	global_store_dword v72, v71, s[12:13]
.LBB33_12:
	s_or_b64 exec, exec, s[6:7]
	s_waitcnt lgkmcnt(0)
	v_cmp_ne_u32_e32 vcc, 0, v71
	s_mov_b64 s[6:7], 0
	s_cbranch_vccnz .LBB33_142
; %bb.13:
	buffer_load_dword v72, v70, s[0:3], 0 offen
	buffer_load_dword v73, v70, s[0:3], 0 offen offset:4
	s_waitcnt vmcnt(0)
	v_div_scale_f64 v[74:75], s[6:7], v[72:73], v[72:73], 1.0
	v_rcp_f64_e32 v[76:77], v[74:75]
	v_div_scale_f64 v[78:79], vcc, 1.0, v[72:73], 1.0
	v_fma_f64 v[80:81], -v[74:75], v[76:77], 1.0
	v_fmac_f64_e32 v[76:77], v[76:77], v[80:81]
	v_fma_f64 v[80:81], -v[74:75], v[76:77], 1.0
	v_fmac_f64_e32 v[76:77], v[76:77], v[80:81]
	v_mul_f64 v[80:81], v[78:79], v[76:77]
	v_fma_f64 v[74:75], -v[74:75], v[80:81], v[78:79]
	v_div_fmas_f64 v[74:75], v[74:75], v[76:77], v[80:81]
	v_div_fixup_f64 v[74:75], v[74:75], v[72:73], 1.0
	buffer_store_dword v75, v70, s[0:3], 0 offen offset:4
	buffer_store_dword v74, v70, s[0:3], 0 offen
	buffer_load_dword v77, off, s[0:3], 0 offset:12
	buffer_load_dword v76, off, s[0:3], 0 offset:8
	v_add_u32_e32 v72, 0x110, v1
	v_xor_b32_e32 v75, 0x80000000, v75
	s_waitcnt vmcnt(0)
	ds_write2_b64 v1, v[74:75], v[76:77] offset1:34
	s_waitcnt lgkmcnt(0)
	; wave barrier
	s_waitcnt lgkmcnt(0)
	s_and_saveexec_b64 s[6:7], s[4:5]
	s_cbranch_execz .LBB33_15
; %bb.14:
	buffer_load_dword v74, v70, s[0:3], 0 offen
	buffer_load_dword v75, v70, s[0:3], 0 offen offset:4
	v_mov_b32_e32 v71, 0
	ds_read_b64 v[76:77], v72
	ds_read_b64 v[78:79], v71 offset:8
	s_waitcnt vmcnt(0) lgkmcnt(1)
	v_fma_f64 v[74:75], v[74:75], v[76:77], 0
	s_waitcnt lgkmcnt(0)
	v_mul_f64 v[74:75], v[74:75], v[78:79]
	buffer_store_dword v74, off, s[0:3], 0 offset:8
	buffer_store_dword v75, off, s[0:3], 0 offset:12
.LBB33_15:
	s_or_b64 exec, exec, s[6:7]
	s_waitcnt lgkmcnt(0)
	; wave barrier
	buffer_load_dword v74, off, s[0:3], 0 offset:16
	buffer_load_dword v75, off, s[0:3], 0 offset:20
	v_cmp_gt_u32_e32 vcc, 2, v0
	s_waitcnt vmcnt(0)
	ds_write_b64 v72, v[74:75]
	s_waitcnt lgkmcnt(0)
	; wave barrier
	s_waitcnt lgkmcnt(0)
	s_and_saveexec_b64 s[6:7], vcc
	s_cbranch_execz .LBB33_17
; %bb.16:
	buffer_load_dword v71, v70, s[0:3], 0 offen offset:4
	buffer_load_dword v78, off, s[0:3], 0 offset:8
	s_nop 0
	buffer_load_dword v70, v70, s[0:3], 0 offen
	s_nop 0
	buffer_load_dword v79, off, s[0:3], 0 offset:12
	ds_read_b64 v[80:81], v72
	v_mov_b32_e32 v73, 0
	ds_read2_b64 v[74:77], v73 offset0:2 offset1:35
	s_waitcnt vmcnt(1) lgkmcnt(1)
	v_fma_f64 v[70:71], v[70:71], v[80:81], 0
	s_waitcnt vmcnt(0) lgkmcnt(0)
	v_fma_f64 v[76:77], v[78:79], v[76:77], v[70:71]
	v_cndmask_b32_e64 v71, v71, v77, s[4:5]
	v_cndmask_b32_e64 v70, v70, v76, s[4:5]
	v_mul_f64 v[70:71], v[70:71], v[74:75]
	buffer_store_dword v71, off, s[0:3], 0 offset:20
	buffer_store_dword v70, off, s[0:3], 0 offset:16
.LBB33_17:
	s_or_b64 exec, exec, s[6:7]
	s_waitcnt lgkmcnt(0)
	; wave barrier
	buffer_load_dword v70, off, s[0:3], 0 offset:24
	buffer_load_dword v71, off, s[0:3], 0 offset:28
	v_cmp_gt_u32_e32 vcc, 3, v0
	v_add_u32_e32 v73, -1, v0
	s_waitcnt vmcnt(0)
	ds_write_b64 v72, v[70:71]
	s_waitcnt lgkmcnt(0)
	; wave barrier
	s_waitcnt lgkmcnt(0)
	s_and_saveexec_b64 s[4:5], vcc
	s_cbranch_execz .LBB33_21
; %bb.18:
	v_add_u32_e32 v74, -1, v0
	v_add_u32_e32 v75, 0x110, v1
	v_add_u32_e32 v76, 0, v1
	s_mov_b64 s[6:7], 0
	v_pk_mov_b32 v[70:71], 0, 0
.LBB33_19:                              ; =>This Inner Loop Header: Depth=1
	buffer_load_dword v78, v76, s[0:3], 0 offen
	buffer_load_dword v79, v76, s[0:3], 0 offen offset:4
	ds_read_b64 v[80:81], v75
	v_add_u32_e32 v74, 1, v74
	v_cmp_lt_u32_e32 vcc, 1, v74
	v_add_u32_e32 v75, 8, v75
	v_add_u32_e32 v76, 8, v76
	s_or_b64 s[6:7], vcc, s[6:7]
	s_waitcnt vmcnt(0) lgkmcnt(0)
	v_fmac_f64_e32 v[70:71], v[78:79], v[80:81]
	s_andn2_b64 exec, exec, s[6:7]
	s_cbranch_execnz .LBB33_19
; %bb.20:
	s_or_b64 exec, exec, s[6:7]
	v_mov_b32_e32 v74, 0
	ds_read_b64 v[74:75], v74 offset:24
	s_waitcnt lgkmcnt(0)
	v_mul_f64 v[70:71], v[70:71], v[74:75]
	buffer_store_dword v71, off, s[0:3], 0 offset:28
	buffer_store_dword v70, off, s[0:3], 0 offset:24
.LBB33_21:
	s_or_b64 exec, exec, s[4:5]
	s_waitcnt lgkmcnt(0)
	; wave barrier
	buffer_load_dword v70, off, s[0:3], 0 offset:32
	buffer_load_dword v71, off, s[0:3], 0 offset:36
	v_cmp_gt_u32_e32 vcc, 4, v0
	s_waitcnt vmcnt(0)
	ds_write_b64 v72, v[70:71]
	s_waitcnt lgkmcnt(0)
	; wave barrier
	s_waitcnt lgkmcnt(0)
	s_and_saveexec_b64 s[4:5], vcc
	s_cbranch_execz .LBB33_25
; %bb.22:
	v_add_u32_e32 v74, -1, v0
	v_add_u32_e32 v75, 0x110, v1
	v_add_u32_e32 v76, 0, v1
	s_mov_b64 s[6:7], 0
	v_pk_mov_b32 v[70:71], 0, 0
.LBB33_23:                              ; =>This Inner Loop Header: Depth=1
	buffer_load_dword v78, v76, s[0:3], 0 offen
	buffer_load_dword v79, v76, s[0:3], 0 offen offset:4
	ds_read_b64 v[80:81], v75
	v_add_u32_e32 v74, 1, v74
	v_cmp_lt_u32_e32 vcc, 2, v74
	v_add_u32_e32 v75, 8, v75
	v_add_u32_e32 v76, 8, v76
	s_or_b64 s[6:7], vcc, s[6:7]
	s_waitcnt vmcnt(0) lgkmcnt(0)
	v_fmac_f64_e32 v[70:71], v[78:79], v[80:81]
	s_andn2_b64 exec, exec, s[6:7]
	s_cbranch_execnz .LBB33_23
; %bb.24:
	s_or_b64 exec, exec, s[6:7]
	v_mov_b32_e32 v74, 0
	ds_read_b64 v[74:75], v74 offset:32
	s_waitcnt lgkmcnt(0)
	v_mul_f64 v[70:71], v[70:71], v[74:75]
	buffer_store_dword v71, off, s[0:3], 0 offset:36
	buffer_store_dword v70, off, s[0:3], 0 offset:32
.LBB33_25:
	s_or_b64 exec, exec, s[4:5]
	s_waitcnt lgkmcnt(0)
	; wave barrier
	buffer_load_dword v70, off, s[0:3], 0 offset:40
	buffer_load_dword v71, off, s[0:3], 0 offset:44
	v_cmp_gt_u32_e32 vcc, 5, v0
	s_waitcnt vmcnt(0)
	ds_write_b64 v72, v[70:71]
	s_waitcnt lgkmcnt(0)
	; wave barrier
	s_waitcnt lgkmcnt(0)
	s_and_saveexec_b64 s[4:5], vcc
	s_cbranch_execz .LBB33_29
; %bb.26:
	v_add_u32_e32 v74, -1, v0
	v_add_u32_e32 v75, 0x110, v1
	v_add_u32_e32 v76, 0, v1
	s_mov_b64 s[6:7], 0
	v_pk_mov_b32 v[70:71], 0, 0
.LBB33_27:                              ; =>This Inner Loop Header: Depth=1
	buffer_load_dword v78, v76, s[0:3], 0 offen
	buffer_load_dword v79, v76, s[0:3], 0 offen offset:4
	ds_read_b64 v[80:81], v75
	v_add_u32_e32 v74, 1, v74
	v_cmp_lt_u32_e32 vcc, 3, v74
	v_add_u32_e32 v75, 8, v75
	v_add_u32_e32 v76, 8, v76
	s_or_b64 s[6:7], vcc, s[6:7]
	s_waitcnt vmcnt(0) lgkmcnt(0)
	v_fmac_f64_e32 v[70:71], v[78:79], v[80:81]
	s_andn2_b64 exec, exec, s[6:7]
	s_cbranch_execnz .LBB33_27
; %bb.28:
	s_or_b64 exec, exec, s[6:7]
	v_mov_b32_e32 v74, 0
	ds_read_b64 v[74:75], v74 offset:40
	s_waitcnt lgkmcnt(0)
	v_mul_f64 v[70:71], v[70:71], v[74:75]
	buffer_store_dword v71, off, s[0:3], 0 offset:44
	buffer_store_dword v70, off, s[0:3], 0 offset:40
.LBB33_29:
	s_or_b64 exec, exec, s[4:5]
	s_waitcnt lgkmcnt(0)
	; wave barrier
	buffer_load_dword v70, off, s[0:3], 0 offset:48
	buffer_load_dword v71, off, s[0:3], 0 offset:52
	v_cmp_gt_u32_e32 vcc, 6, v0
	s_waitcnt vmcnt(0)
	ds_write_b64 v72, v[70:71]
	s_waitcnt lgkmcnt(0)
	; wave barrier
	s_waitcnt lgkmcnt(0)
	s_and_saveexec_b64 s[4:5], vcc
	s_cbranch_execz .LBB33_33
; %bb.30:
	v_add_u32_e32 v74, -1, v0
	v_add_u32_e32 v75, 0x110, v1
	v_add_u32_e32 v76, 0, v1
	s_mov_b64 s[6:7], 0
	v_pk_mov_b32 v[70:71], 0, 0
.LBB33_31:                              ; =>This Inner Loop Header: Depth=1
	buffer_load_dword v78, v76, s[0:3], 0 offen
	buffer_load_dword v79, v76, s[0:3], 0 offen offset:4
	ds_read_b64 v[80:81], v75
	v_add_u32_e32 v74, 1, v74
	v_cmp_lt_u32_e32 vcc, 4, v74
	v_add_u32_e32 v75, 8, v75
	v_add_u32_e32 v76, 8, v76
	s_or_b64 s[6:7], vcc, s[6:7]
	s_waitcnt vmcnt(0) lgkmcnt(0)
	v_fmac_f64_e32 v[70:71], v[78:79], v[80:81]
	s_andn2_b64 exec, exec, s[6:7]
	s_cbranch_execnz .LBB33_31
; %bb.32:
	s_or_b64 exec, exec, s[6:7]
	v_mov_b32_e32 v74, 0
	ds_read_b64 v[74:75], v74 offset:48
	s_waitcnt lgkmcnt(0)
	v_mul_f64 v[70:71], v[70:71], v[74:75]
	buffer_store_dword v71, off, s[0:3], 0 offset:52
	buffer_store_dword v70, off, s[0:3], 0 offset:48
.LBB33_33:
	s_or_b64 exec, exec, s[4:5]
	s_waitcnt lgkmcnt(0)
	; wave barrier
	buffer_load_dword v70, off, s[0:3], 0 offset:56
	buffer_load_dword v71, off, s[0:3], 0 offset:60
	v_cmp_gt_u32_e32 vcc, 7, v0
	s_waitcnt vmcnt(0)
	ds_write_b64 v72, v[70:71]
	s_waitcnt lgkmcnt(0)
	; wave barrier
	s_waitcnt lgkmcnt(0)
	s_and_saveexec_b64 s[4:5], vcc
	s_cbranch_execz .LBB33_37
; %bb.34:
	v_add_u32_e32 v74, -1, v0
	v_add_u32_e32 v75, 0x110, v1
	v_add_u32_e32 v76, 0, v1
	s_mov_b64 s[6:7], 0
	v_pk_mov_b32 v[70:71], 0, 0
.LBB33_35:                              ; =>This Inner Loop Header: Depth=1
	buffer_load_dword v78, v76, s[0:3], 0 offen
	buffer_load_dword v79, v76, s[0:3], 0 offen offset:4
	ds_read_b64 v[80:81], v75
	v_add_u32_e32 v74, 1, v74
	v_cmp_lt_u32_e32 vcc, 5, v74
	v_add_u32_e32 v75, 8, v75
	v_add_u32_e32 v76, 8, v76
	s_or_b64 s[6:7], vcc, s[6:7]
	s_waitcnt vmcnt(0) lgkmcnt(0)
	v_fmac_f64_e32 v[70:71], v[78:79], v[80:81]
	s_andn2_b64 exec, exec, s[6:7]
	s_cbranch_execnz .LBB33_35
; %bb.36:
	s_or_b64 exec, exec, s[6:7]
	v_mov_b32_e32 v74, 0
	ds_read_b64 v[74:75], v74 offset:56
	s_waitcnt lgkmcnt(0)
	v_mul_f64 v[70:71], v[70:71], v[74:75]
	buffer_store_dword v71, off, s[0:3], 0 offset:60
	buffer_store_dword v70, off, s[0:3], 0 offset:56
.LBB33_37:
	s_or_b64 exec, exec, s[4:5]
	s_waitcnt lgkmcnt(0)
	; wave barrier
	buffer_load_dword v70, off, s[0:3], 0 offset:64
	buffer_load_dword v71, off, s[0:3], 0 offset:68
	v_cmp_gt_u32_e32 vcc, 8, v0
	s_waitcnt vmcnt(0)
	ds_write_b64 v72, v[70:71]
	s_waitcnt lgkmcnt(0)
	; wave barrier
	s_waitcnt lgkmcnt(0)
	s_and_saveexec_b64 s[4:5], vcc
	s_cbranch_execz .LBB33_41
; %bb.38:
	v_add_u32_e32 v74, -1, v0
	v_add_u32_e32 v75, 0x110, v1
	v_add_u32_e32 v76, 0, v1
	s_mov_b64 s[6:7], 0
	v_pk_mov_b32 v[70:71], 0, 0
.LBB33_39:                              ; =>This Inner Loop Header: Depth=1
	buffer_load_dword v78, v76, s[0:3], 0 offen
	buffer_load_dword v79, v76, s[0:3], 0 offen offset:4
	ds_read_b64 v[80:81], v75
	v_add_u32_e32 v74, 1, v74
	v_cmp_lt_u32_e32 vcc, 6, v74
	v_add_u32_e32 v75, 8, v75
	v_add_u32_e32 v76, 8, v76
	s_or_b64 s[6:7], vcc, s[6:7]
	s_waitcnt vmcnt(0) lgkmcnt(0)
	v_fmac_f64_e32 v[70:71], v[78:79], v[80:81]
	s_andn2_b64 exec, exec, s[6:7]
	s_cbranch_execnz .LBB33_39
; %bb.40:
	s_or_b64 exec, exec, s[6:7]
	v_mov_b32_e32 v74, 0
	ds_read_b64 v[74:75], v74 offset:64
	s_waitcnt lgkmcnt(0)
	v_mul_f64 v[70:71], v[70:71], v[74:75]
	buffer_store_dword v71, off, s[0:3], 0 offset:68
	buffer_store_dword v70, off, s[0:3], 0 offset:64
.LBB33_41:
	s_or_b64 exec, exec, s[4:5]
	s_waitcnt lgkmcnt(0)
	; wave barrier
	buffer_load_dword v70, off, s[0:3], 0 offset:72
	buffer_load_dword v71, off, s[0:3], 0 offset:76
	v_cmp_gt_u32_e32 vcc, 9, v0
	s_waitcnt vmcnt(0)
	ds_write_b64 v72, v[70:71]
	s_waitcnt lgkmcnt(0)
	; wave barrier
	s_waitcnt lgkmcnt(0)
	s_and_saveexec_b64 s[4:5], vcc
	s_cbranch_execz .LBB33_45
; %bb.42:
	v_add_u32_e32 v74, -1, v0
	v_add_u32_e32 v75, 0x110, v1
	v_add_u32_e32 v76, 0, v1
	s_mov_b64 s[6:7], 0
	v_pk_mov_b32 v[70:71], 0, 0
.LBB33_43:                              ; =>This Inner Loop Header: Depth=1
	buffer_load_dword v78, v76, s[0:3], 0 offen
	buffer_load_dword v79, v76, s[0:3], 0 offen offset:4
	ds_read_b64 v[80:81], v75
	v_add_u32_e32 v74, 1, v74
	v_cmp_lt_u32_e32 vcc, 7, v74
	v_add_u32_e32 v75, 8, v75
	v_add_u32_e32 v76, 8, v76
	s_or_b64 s[6:7], vcc, s[6:7]
	s_waitcnt vmcnt(0) lgkmcnt(0)
	v_fmac_f64_e32 v[70:71], v[78:79], v[80:81]
	s_andn2_b64 exec, exec, s[6:7]
	s_cbranch_execnz .LBB33_43
; %bb.44:
	s_or_b64 exec, exec, s[6:7]
	v_mov_b32_e32 v74, 0
	ds_read_b64 v[74:75], v74 offset:72
	s_waitcnt lgkmcnt(0)
	v_mul_f64 v[70:71], v[70:71], v[74:75]
	buffer_store_dword v71, off, s[0:3], 0 offset:76
	buffer_store_dword v70, off, s[0:3], 0 offset:72
.LBB33_45:
	s_or_b64 exec, exec, s[4:5]
	s_waitcnt lgkmcnt(0)
	; wave barrier
	buffer_load_dword v70, off, s[0:3], 0 offset:80
	buffer_load_dword v71, off, s[0:3], 0 offset:84
	v_cmp_gt_u32_e32 vcc, 10, v0
	s_waitcnt vmcnt(0)
	ds_write_b64 v72, v[70:71]
	s_waitcnt lgkmcnt(0)
	; wave barrier
	s_waitcnt lgkmcnt(0)
	s_and_saveexec_b64 s[4:5], vcc
	s_cbranch_execz .LBB33_49
; %bb.46:
	v_add_u32_e32 v74, -1, v0
	v_add_u32_e32 v75, 0x110, v1
	v_add_u32_e32 v76, 0, v1
	s_mov_b64 s[6:7], 0
	v_pk_mov_b32 v[70:71], 0, 0
.LBB33_47:                              ; =>This Inner Loop Header: Depth=1
	buffer_load_dword v78, v76, s[0:3], 0 offen
	buffer_load_dword v79, v76, s[0:3], 0 offen offset:4
	ds_read_b64 v[80:81], v75
	v_add_u32_e32 v74, 1, v74
	v_cmp_lt_u32_e32 vcc, 8, v74
	v_add_u32_e32 v75, 8, v75
	v_add_u32_e32 v76, 8, v76
	s_or_b64 s[6:7], vcc, s[6:7]
	s_waitcnt vmcnt(0) lgkmcnt(0)
	v_fmac_f64_e32 v[70:71], v[78:79], v[80:81]
	s_andn2_b64 exec, exec, s[6:7]
	s_cbranch_execnz .LBB33_47
; %bb.48:
	s_or_b64 exec, exec, s[6:7]
	v_mov_b32_e32 v74, 0
	ds_read_b64 v[74:75], v74 offset:80
	s_waitcnt lgkmcnt(0)
	v_mul_f64 v[70:71], v[70:71], v[74:75]
	buffer_store_dword v71, off, s[0:3], 0 offset:84
	buffer_store_dword v70, off, s[0:3], 0 offset:80
.LBB33_49:
	s_or_b64 exec, exec, s[4:5]
	s_waitcnt lgkmcnt(0)
	; wave barrier
	buffer_load_dword v70, off, s[0:3], 0 offset:88
	buffer_load_dword v71, off, s[0:3], 0 offset:92
	v_cmp_gt_u32_e32 vcc, 11, v0
	s_waitcnt vmcnt(0)
	ds_write_b64 v72, v[70:71]
	s_waitcnt lgkmcnt(0)
	; wave barrier
	s_waitcnt lgkmcnt(0)
	s_and_saveexec_b64 s[4:5], vcc
	s_cbranch_execz .LBB33_53
; %bb.50:
	v_add_u32_e32 v74, -1, v0
	v_add_u32_e32 v75, 0x110, v1
	v_add_u32_e32 v76, 0, v1
	s_mov_b64 s[6:7], 0
	v_pk_mov_b32 v[70:71], 0, 0
.LBB33_51:                              ; =>This Inner Loop Header: Depth=1
	buffer_load_dword v78, v76, s[0:3], 0 offen
	buffer_load_dword v79, v76, s[0:3], 0 offen offset:4
	ds_read_b64 v[80:81], v75
	v_add_u32_e32 v74, 1, v74
	v_cmp_lt_u32_e32 vcc, 9, v74
	v_add_u32_e32 v75, 8, v75
	v_add_u32_e32 v76, 8, v76
	s_or_b64 s[6:7], vcc, s[6:7]
	s_waitcnt vmcnt(0) lgkmcnt(0)
	v_fmac_f64_e32 v[70:71], v[78:79], v[80:81]
	s_andn2_b64 exec, exec, s[6:7]
	s_cbranch_execnz .LBB33_51
; %bb.52:
	s_or_b64 exec, exec, s[6:7]
	v_mov_b32_e32 v74, 0
	ds_read_b64 v[74:75], v74 offset:88
	s_waitcnt lgkmcnt(0)
	v_mul_f64 v[70:71], v[70:71], v[74:75]
	buffer_store_dword v71, off, s[0:3], 0 offset:92
	buffer_store_dword v70, off, s[0:3], 0 offset:88
.LBB33_53:
	s_or_b64 exec, exec, s[4:5]
	s_waitcnt lgkmcnt(0)
	; wave barrier
	buffer_load_dword v70, off, s[0:3], 0 offset:96
	buffer_load_dword v71, off, s[0:3], 0 offset:100
	v_cmp_gt_u32_e32 vcc, 12, v0
	s_waitcnt vmcnt(0)
	ds_write_b64 v72, v[70:71]
	s_waitcnt lgkmcnt(0)
	; wave barrier
	s_waitcnt lgkmcnt(0)
	s_and_saveexec_b64 s[4:5], vcc
	s_cbranch_execz .LBB33_57
; %bb.54:
	v_add_u32_e32 v74, -1, v0
	v_add_u32_e32 v75, 0x110, v1
	v_add_u32_e32 v76, 0, v1
	s_mov_b64 s[6:7], 0
	v_pk_mov_b32 v[70:71], 0, 0
.LBB33_55:                              ; =>This Inner Loop Header: Depth=1
	buffer_load_dword v78, v76, s[0:3], 0 offen
	buffer_load_dword v79, v76, s[0:3], 0 offen offset:4
	ds_read_b64 v[80:81], v75
	v_add_u32_e32 v74, 1, v74
	v_cmp_lt_u32_e32 vcc, 10, v74
	v_add_u32_e32 v75, 8, v75
	v_add_u32_e32 v76, 8, v76
	s_or_b64 s[6:7], vcc, s[6:7]
	s_waitcnt vmcnt(0) lgkmcnt(0)
	v_fmac_f64_e32 v[70:71], v[78:79], v[80:81]
	s_andn2_b64 exec, exec, s[6:7]
	s_cbranch_execnz .LBB33_55
; %bb.56:
	s_or_b64 exec, exec, s[6:7]
	v_mov_b32_e32 v74, 0
	ds_read_b64 v[74:75], v74 offset:96
	s_waitcnt lgkmcnt(0)
	v_mul_f64 v[70:71], v[70:71], v[74:75]
	buffer_store_dword v71, off, s[0:3], 0 offset:100
	buffer_store_dword v70, off, s[0:3], 0 offset:96
.LBB33_57:
	s_or_b64 exec, exec, s[4:5]
	s_waitcnt lgkmcnt(0)
	; wave barrier
	buffer_load_dword v70, off, s[0:3], 0 offset:104
	buffer_load_dword v71, off, s[0:3], 0 offset:108
	v_cmp_gt_u32_e32 vcc, 13, v0
	s_waitcnt vmcnt(0)
	ds_write_b64 v72, v[70:71]
	s_waitcnt lgkmcnt(0)
	; wave barrier
	s_waitcnt lgkmcnt(0)
	s_and_saveexec_b64 s[4:5], vcc
	s_cbranch_execz .LBB33_61
; %bb.58:
	v_add_u32_e32 v74, -1, v0
	v_add_u32_e32 v75, 0x110, v1
	v_add_u32_e32 v76, 0, v1
	s_mov_b64 s[6:7], 0
	v_pk_mov_b32 v[70:71], 0, 0
.LBB33_59:                              ; =>This Inner Loop Header: Depth=1
	buffer_load_dword v78, v76, s[0:3], 0 offen
	buffer_load_dword v79, v76, s[0:3], 0 offen offset:4
	ds_read_b64 v[80:81], v75
	v_add_u32_e32 v74, 1, v74
	v_cmp_lt_u32_e32 vcc, 11, v74
	v_add_u32_e32 v75, 8, v75
	v_add_u32_e32 v76, 8, v76
	s_or_b64 s[6:7], vcc, s[6:7]
	s_waitcnt vmcnt(0) lgkmcnt(0)
	v_fmac_f64_e32 v[70:71], v[78:79], v[80:81]
	s_andn2_b64 exec, exec, s[6:7]
	s_cbranch_execnz .LBB33_59
; %bb.60:
	s_or_b64 exec, exec, s[6:7]
	v_mov_b32_e32 v74, 0
	ds_read_b64 v[74:75], v74 offset:104
	s_waitcnt lgkmcnt(0)
	v_mul_f64 v[70:71], v[70:71], v[74:75]
	buffer_store_dword v71, off, s[0:3], 0 offset:108
	buffer_store_dword v70, off, s[0:3], 0 offset:104
.LBB33_61:
	s_or_b64 exec, exec, s[4:5]
	s_waitcnt lgkmcnt(0)
	; wave barrier
	buffer_load_dword v70, off, s[0:3], 0 offset:112
	buffer_load_dword v71, off, s[0:3], 0 offset:116
	v_cmp_gt_u32_e32 vcc, 14, v0
	s_waitcnt vmcnt(0)
	ds_write_b64 v72, v[70:71]
	s_waitcnt lgkmcnt(0)
	; wave barrier
	s_waitcnt lgkmcnt(0)
	s_and_saveexec_b64 s[4:5], vcc
	s_cbranch_execz .LBB33_65
; %bb.62:
	v_add_u32_e32 v74, -1, v0
	v_add_u32_e32 v75, 0x110, v1
	v_add_u32_e32 v76, 0, v1
	s_mov_b64 s[6:7], 0
	v_pk_mov_b32 v[70:71], 0, 0
.LBB33_63:                              ; =>This Inner Loop Header: Depth=1
	buffer_load_dword v78, v76, s[0:3], 0 offen
	buffer_load_dword v79, v76, s[0:3], 0 offen offset:4
	ds_read_b64 v[80:81], v75
	v_add_u32_e32 v74, 1, v74
	v_cmp_lt_u32_e32 vcc, 12, v74
	v_add_u32_e32 v75, 8, v75
	v_add_u32_e32 v76, 8, v76
	s_or_b64 s[6:7], vcc, s[6:7]
	s_waitcnt vmcnt(0) lgkmcnt(0)
	v_fmac_f64_e32 v[70:71], v[78:79], v[80:81]
	s_andn2_b64 exec, exec, s[6:7]
	s_cbranch_execnz .LBB33_63
; %bb.64:
	s_or_b64 exec, exec, s[6:7]
	v_mov_b32_e32 v74, 0
	ds_read_b64 v[74:75], v74 offset:112
	s_waitcnt lgkmcnt(0)
	v_mul_f64 v[70:71], v[70:71], v[74:75]
	buffer_store_dword v71, off, s[0:3], 0 offset:116
	buffer_store_dword v70, off, s[0:3], 0 offset:112
.LBB33_65:
	s_or_b64 exec, exec, s[4:5]
	s_waitcnt lgkmcnt(0)
	; wave barrier
	buffer_load_dword v70, off, s[0:3], 0 offset:120
	buffer_load_dword v71, off, s[0:3], 0 offset:124
	v_cmp_gt_u32_e32 vcc, 15, v0
	s_waitcnt vmcnt(0)
	ds_write_b64 v72, v[70:71]
	s_waitcnt lgkmcnt(0)
	; wave barrier
	s_waitcnt lgkmcnt(0)
	s_and_saveexec_b64 s[4:5], vcc
	s_cbranch_execz .LBB33_69
; %bb.66:
	v_add_u32_e32 v74, -1, v0
	v_add_u32_e32 v75, 0x110, v1
	v_add_u32_e32 v76, 0, v1
	s_mov_b64 s[6:7], 0
	v_pk_mov_b32 v[70:71], 0, 0
.LBB33_67:                              ; =>This Inner Loop Header: Depth=1
	buffer_load_dword v78, v76, s[0:3], 0 offen
	buffer_load_dword v79, v76, s[0:3], 0 offen offset:4
	ds_read_b64 v[80:81], v75
	v_add_u32_e32 v74, 1, v74
	v_cmp_lt_u32_e32 vcc, 13, v74
	v_add_u32_e32 v75, 8, v75
	v_add_u32_e32 v76, 8, v76
	s_or_b64 s[6:7], vcc, s[6:7]
	s_waitcnt vmcnt(0) lgkmcnt(0)
	v_fmac_f64_e32 v[70:71], v[78:79], v[80:81]
	s_andn2_b64 exec, exec, s[6:7]
	s_cbranch_execnz .LBB33_67
; %bb.68:
	s_or_b64 exec, exec, s[6:7]
	v_mov_b32_e32 v74, 0
	ds_read_b64 v[74:75], v74 offset:120
	s_waitcnt lgkmcnt(0)
	v_mul_f64 v[70:71], v[70:71], v[74:75]
	buffer_store_dword v71, off, s[0:3], 0 offset:124
	buffer_store_dword v70, off, s[0:3], 0 offset:120
.LBB33_69:
	s_or_b64 exec, exec, s[4:5]
	s_waitcnt lgkmcnt(0)
	; wave barrier
	buffer_load_dword v70, off, s[0:3], 0 offset:128
	buffer_load_dword v71, off, s[0:3], 0 offset:132
	v_cmp_gt_u32_e32 vcc, 16, v0
	s_waitcnt vmcnt(0)
	ds_write_b64 v72, v[70:71]
	s_waitcnt lgkmcnt(0)
	; wave barrier
	s_waitcnt lgkmcnt(0)
	s_and_saveexec_b64 s[4:5], vcc
	s_cbranch_execz .LBB33_73
; %bb.70:
	v_add_u32_e32 v74, -1, v0
	v_add_u32_e32 v75, 0x110, v1
	v_add_u32_e32 v76, 0, v1
	s_mov_b64 s[6:7], 0
	v_pk_mov_b32 v[70:71], 0, 0
.LBB33_71:                              ; =>This Inner Loop Header: Depth=1
	buffer_load_dword v78, v76, s[0:3], 0 offen
	buffer_load_dword v79, v76, s[0:3], 0 offen offset:4
	ds_read_b64 v[80:81], v75
	v_add_u32_e32 v74, 1, v74
	v_cmp_lt_u32_e32 vcc, 14, v74
	v_add_u32_e32 v75, 8, v75
	v_add_u32_e32 v76, 8, v76
	s_or_b64 s[6:7], vcc, s[6:7]
	s_waitcnt vmcnt(0) lgkmcnt(0)
	v_fmac_f64_e32 v[70:71], v[78:79], v[80:81]
	s_andn2_b64 exec, exec, s[6:7]
	s_cbranch_execnz .LBB33_71
; %bb.72:
	s_or_b64 exec, exec, s[6:7]
	v_mov_b32_e32 v74, 0
	ds_read_b64 v[74:75], v74 offset:128
	s_waitcnt lgkmcnt(0)
	v_mul_f64 v[70:71], v[70:71], v[74:75]
	buffer_store_dword v71, off, s[0:3], 0 offset:132
	buffer_store_dword v70, off, s[0:3], 0 offset:128
.LBB33_73:
	s_or_b64 exec, exec, s[4:5]
	s_waitcnt lgkmcnt(0)
	; wave barrier
	buffer_load_dword v70, off, s[0:3], 0 offset:136
	buffer_load_dword v71, off, s[0:3], 0 offset:140
	v_cmp_gt_u32_e32 vcc, 17, v0
	s_waitcnt vmcnt(0)
	ds_write_b64 v72, v[70:71]
	s_waitcnt lgkmcnt(0)
	; wave barrier
	s_waitcnt lgkmcnt(0)
	s_and_saveexec_b64 s[4:5], vcc
	s_cbranch_execz .LBB33_77
; %bb.74:
	v_add_u32_e32 v74, -1, v0
	v_add_u32_e32 v75, 0x110, v1
	v_add_u32_e32 v76, 0, v1
	s_mov_b64 s[6:7], 0
	v_pk_mov_b32 v[70:71], 0, 0
.LBB33_75:                              ; =>This Inner Loop Header: Depth=1
	buffer_load_dword v78, v76, s[0:3], 0 offen
	buffer_load_dword v79, v76, s[0:3], 0 offen offset:4
	ds_read_b64 v[80:81], v75
	v_add_u32_e32 v74, 1, v74
	v_cmp_lt_u32_e32 vcc, 15, v74
	v_add_u32_e32 v75, 8, v75
	v_add_u32_e32 v76, 8, v76
	s_or_b64 s[6:7], vcc, s[6:7]
	s_waitcnt vmcnt(0) lgkmcnt(0)
	v_fmac_f64_e32 v[70:71], v[78:79], v[80:81]
	s_andn2_b64 exec, exec, s[6:7]
	s_cbranch_execnz .LBB33_75
; %bb.76:
	s_or_b64 exec, exec, s[6:7]
	v_mov_b32_e32 v74, 0
	ds_read_b64 v[74:75], v74 offset:136
	s_waitcnt lgkmcnt(0)
	v_mul_f64 v[70:71], v[70:71], v[74:75]
	buffer_store_dword v71, off, s[0:3], 0 offset:140
	buffer_store_dword v70, off, s[0:3], 0 offset:136
.LBB33_77:
	s_or_b64 exec, exec, s[4:5]
	s_waitcnt lgkmcnt(0)
	; wave barrier
	buffer_load_dword v70, off, s[0:3], 0 offset:144
	buffer_load_dword v71, off, s[0:3], 0 offset:148
	v_cmp_gt_u32_e32 vcc, 18, v0
	s_waitcnt vmcnt(0)
	ds_write_b64 v72, v[70:71]
	s_waitcnt lgkmcnt(0)
	; wave barrier
	s_waitcnt lgkmcnt(0)
	s_and_saveexec_b64 s[4:5], vcc
	s_cbranch_execz .LBB33_81
; %bb.78:
	v_add_u32_e32 v74, -1, v0
	v_add_u32_e32 v75, 0x110, v1
	v_add_u32_e32 v76, 0, v1
	s_mov_b64 s[6:7], 0
	v_pk_mov_b32 v[70:71], 0, 0
.LBB33_79:                              ; =>This Inner Loop Header: Depth=1
	buffer_load_dword v78, v76, s[0:3], 0 offen
	buffer_load_dword v79, v76, s[0:3], 0 offen offset:4
	ds_read_b64 v[80:81], v75
	v_add_u32_e32 v74, 1, v74
	v_cmp_lt_u32_e32 vcc, 16, v74
	v_add_u32_e32 v75, 8, v75
	v_add_u32_e32 v76, 8, v76
	s_or_b64 s[6:7], vcc, s[6:7]
	s_waitcnt vmcnt(0) lgkmcnt(0)
	v_fmac_f64_e32 v[70:71], v[78:79], v[80:81]
	s_andn2_b64 exec, exec, s[6:7]
	s_cbranch_execnz .LBB33_79
; %bb.80:
	s_or_b64 exec, exec, s[6:7]
	v_mov_b32_e32 v74, 0
	ds_read_b64 v[74:75], v74 offset:144
	s_waitcnt lgkmcnt(0)
	v_mul_f64 v[70:71], v[70:71], v[74:75]
	buffer_store_dword v71, off, s[0:3], 0 offset:148
	buffer_store_dword v70, off, s[0:3], 0 offset:144
.LBB33_81:
	s_or_b64 exec, exec, s[4:5]
	s_waitcnt lgkmcnt(0)
	; wave barrier
	buffer_load_dword v70, off, s[0:3], 0 offset:152
	buffer_load_dword v71, off, s[0:3], 0 offset:156
	v_cmp_gt_u32_e32 vcc, 19, v0
	s_waitcnt vmcnt(0)
	ds_write_b64 v72, v[70:71]
	s_waitcnt lgkmcnt(0)
	; wave barrier
	s_waitcnt lgkmcnt(0)
	s_and_saveexec_b64 s[4:5], vcc
	s_cbranch_execz .LBB33_85
; %bb.82:
	v_add_u32_e32 v74, -1, v0
	v_add_u32_e32 v75, 0x110, v1
	v_add_u32_e32 v76, 0, v1
	s_mov_b64 s[6:7], 0
	v_pk_mov_b32 v[70:71], 0, 0
.LBB33_83:                              ; =>This Inner Loop Header: Depth=1
	buffer_load_dword v78, v76, s[0:3], 0 offen
	buffer_load_dword v79, v76, s[0:3], 0 offen offset:4
	ds_read_b64 v[80:81], v75
	v_add_u32_e32 v74, 1, v74
	v_cmp_lt_u32_e32 vcc, 17, v74
	v_add_u32_e32 v75, 8, v75
	v_add_u32_e32 v76, 8, v76
	s_or_b64 s[6:7], vcc, s[6:7]
	s_waitcnt vmcnt(0) lgkmcnt(0)
	v_fmac_f64_e32 v[70:71], v[78:79], v[80:81]
	s_andn2_b64 exec, exec, s[6:7]
	s_cbranch_execnz .LBB33_83
; %bb.84:
	s_or_b64 exec, exec, s[6:7]
	v_mov_b32_e32 v74, 0
	ds_read_b64 v[74:75], v74 offset:152
	s_waitcnt lgkmcnt(0)
	v_mul_f64 v[70:71], v[70:71], v[74:75]
	buffer_store_dword v71, off, s[0:3], 0 offset:156
	buffer_store_dword v70, off, s[0:3], 0 offset:152
.LBB33_85:
	s_or_b64 exec, exec, s[4:5]
	s_waitcnt lgkmcnt(0)
	; wave barrier
	buffer_load_dword v70, off, s[0:3], 0 offset:160
	buffer_load_dword v71, off, s[0:3], 0 offset:164
	v_cmp_gt_u32_e32 vcc, 20, v0
	s_waitcnt vmcnt(0)
	ds_write_b64 v72, v[70:71]
	s_waitcnt lgkmcnt(0)
	; wave barrier
	s_waitcnt lgkmcnt(0)
	s_and_saveexec_b64 s[4:5], vcc
	s_cbranch_execz .LBB33_89
; %bb.86:
	v_add_u32_e32 v74, -1, v0
	v_add_u32_e32 v75, 0x110, v1
	v_add_u32_e32 v76, 0, v1
	s_mov_b64 s[6:7], 0
	v_pk_mov_b32 v[70:71], 0, 0
.LBB33_87:                              ; =>This Inner Loop Header: Depth=1
	buffer_load_dword v78, v76, s[0:3], 0 offen
	buffer_load_dword v79, v76, s[0:3], 0 offen offset:4
	ds_read_b64 v[80:81], v75
	v_add_u32_e32 v74, 1, v74
	v_cmp_lt_u32_e32 vcc, 18, v74
	v_add_u32_e32 v75, 8, v75
	v_add_u32_e32 v76, 8, v76
	s_or_b64 s[6:7], vcc, s[6:7]
	s_waitcnt vmcnt(0) lgkmcnt(0)
	v_fmac_f64_e32 v[70:71], v[78:79], v[80:81]
	s_andn2_b64 exec, exec, s[6:7]
	s_cbranch_execnz .LBB33_87
; %bb.88:
	s_or_b64 exec, exec, s[6:7]
	v_mov_b32_e32 v74, 0
	ds_read_b64 v[74:75], v74 offset:160
	s_waitcnt lgkmcnt(0)
	v_mul_f64 v[70:71], v[70:71], v[74:75]
	buffer_store_dword v71, off, s[0:3], 0 offset:164
	buffer_store_dword v70, off, s[0:3], 0 offset:160
.LBB33_89:
	s_or_b64 exec, exec, s[4:5]
	s_waitcnt lgkmcnt(0)
	; wave barrier
	buffer_load_dword v70, off, s[0:3], 0 offset:168
	buffer_load_dword v71, off, s[0:3], 0 offset:172
	v_cmp_gt_u32_e32 vcc, 21, v0
	s_waitcnt vmcnt(0)
	ds_write_b64 v72, v[70:71]
	s_waitcnt lgkmcnt(0)
	; wave barrier
	s_waitcnt lgkmcnt(0)
	s_and_saveexec_b64 s[4:5], vcc
	s_cbranch_execz .LBB33_93
; %bb.90:
	v_add_u32_e32 v74, -1, v0
	v_add_u32_e32 v75, 0x110, v1
	v_add_u32_e32 v76, 0, v1
	s_mov_b64 s[6:7], 0
	v_pk_mov_b32 v[70:71], 0, 0
.LBB33_91:                              ; =>This Inner Loop Header: Depth=1
	buffer_load_dword v78, v76, s[0:3], 0 offen
	buffer_load_dword v79, v76, s[0:3], 0 offen offset:4
	ds_read_b64 v[80:81], v75
	v_add_u32_e32 v74, 1, v74
	v_cmp_lt_u32_e32 vcc, 19, v74
	v_add_u32_e32 v75, 8, v75
	v_add_u32_e32 v76, 8, v76
	s_or_b64 s[6:7], vcc, s[6:7]
	s_waitcnt vmcnt(0) lgkmcnt(0)
	v_fmac_f64_e32 v[70:71], v[78:79], v[80:81]
	s_andn2_b64 exec, exec, s[6:7]
	s_cbranch_execnz .LBB33_91
; %bb.92:
	s_or_b64 exec, exec, s[6:7]
	v_mov_b32_e32 v74, 0
	ds_read_b64 v[74:75], v74 offset:168
	s_waitcnt lgkmcnt(0)
	v_mul_f64 v[70:71], v[70:71], v[74:75]
	buffer_store_dword v71, off, s[0:3], 0 offset:172
	buffer_store_dword v70, off, s[0:3], 0 offset:168
.LBB33_93:
	s_or_b64 exec, exec, s[4:5]
	s_waitcnt lgkmcnt(0)
	; wave barrier
	buffer_load_dword v70, off, s[0:3], 0 offset:176
	buffer_load_dword v71, off, s[0:3], 0 offset:180
	v_cmp_gt_u32_e32 vcc, 22, v0
	s_waitcnt vmcnt(0)
	ds_write_b64 v72, v[70:71]
	s_waitcnt lgkmcnt(0)
	; wave barrier
	s_waitcnt lgkmcnt(0)
	s_and_saveexec_b64 s[4:5], vcc
	s_cbranch_execz .LBB33_97
; %bb.94:
	v_add_u32_e32 v74, -1, v0
	v_add_u32_e32 v75, 0x110, v1
	v_add_u32_e32 v76, 0, v1
	s_mov_b64 s[6:7], 0
	v_pk_mov_b32 v[70:71], 0, 0
.LBB33_95:                              ; =>This Inner Loop Header: Depth=1
	buffer_load_dword v78, v76, s[0:3], 0 offen
	buffer_load_dword v79, v76, s[0:3], 0 offen offset:4
	ds_read_b64 v[80:81], v75
	v_add_u32_e32 v74, 1, v74
	v_cmp_lt_u32_e32 vcc, 20, v74
	v_add_u32_e32 v75, 8, v75
	v_add_u32_e32 v76, 8, v76
	s_or_b64 s[6:7], vcc, s[6:7]
	s_waitcnt vmcnt(0) lgkmcnt(0)
	v_fmac_f64_e32 v[70:71], v[78:79], v[80:81]
	s_andn2_b64 exec, exec, s[6:7]
	s_cbranch_execnz .LBB33_95
; %bb.96:
	s_or_b64 exec, exec, s[6:7]
	v_mov_b32_e32 v74, 0
	ds_read_b64 v[74:75], v74 offset:176
	s_waitcnt lgkmcnt(0)
	v_mul_f64 v[70:71], v[70:71], v[74:75]
	buffer_store_dword v71, off, s[0:3], 0 offset:180
	buffer_store_dword v70, off, s[0:3], 0 offset:176
.LBB33_97:
	s_or_b64 exec, exec, s[4:5]
	s_waitcnt lgkmcnt(0)
	; wave barrier
	buffer_load_dword v70, off, s[0:3], 0 offset:184
	buffer_load_dword v71, off, s[0:3], 0 offset:188
	v_cmp_gt_u32_e32 vcc, 23, v0
	s_waitcnt vmcnt(0)
	ds_write_b64 v72, v[70:71]
	s_waitcnt lgkmcnt(0)
	; wave barrier
	s_waitcnt lgkmcnt(0)
	s_and_saveexec_b64 s[4:5], vcc
	s_cbranch_execz .LBB33_101
; %bb.98:
	v_add_u32_e32 v74, -1, v0
	v_add_u32_e32 v75, 0x110, v1
	v_add_u32_e32 v76, 0, v1
	s_mov_b64 s[6:7], 0
	v_pk_mov_b32 v[70:71], 0, 0
.LBB33_99:                              ; =>This Inner Loop Header: Depth=1
	buffer_load_dword v78, v76, s[0:3], 0 offen
	buffer_load_dword v79, v76, s[0:3], 0 offen offset:4
	ds_read_b64 v[80:81], v75
	v_add_u32_e32 v74, 1, v74
	v_cmp_lt_u32_e32 vcc, 21, v74
	v_add_u32_e32 v75, 8, v75
	v_add_u32_e32 v76, 8, v76
	s_or_b64 s[6:7], vcc, s[6:7]
	s_waitcnt vmcnt(0) lgkmcnt(0)
	v_fmac_f64_e32 v[70:71], v[78:79], v[80:81]
	s_andn2_b64 exec, exec, s[6:7]
	s_cbranch_execnz .LBB33_99
; %bb.100:
	s_or_b64 exec, exec, s[6:7]
	v_mov_b32_e32 v74, 0
	ds_read_b64 v[74:75], v74 offset:184
	s_waitcnt lgkmcnt(0)
	v_mul_f64 v[70:71], v[70:71], v[74:75]
	buffer_store_dword v71, off, s[0:3], 0 offset:188
	buffer_store_dword v70, off, s[0:3], 0 offset:184
.LBB33_101:
	s_or_b64 exec, exec, s[4:5]
	s_waitcnt lgkmcnt(0)
	; wave barrier
	buffer_load_dword v70, off, s[0:3], 0 offset:192
	buffer_load_dword v71, off, s[0:3], 0 offset:196
	v_cmp_gt_u32_e32 vcc, 24, v0
	s_waitcnt vmcnt(0)
	ds_write_b64 v72, v[70:71]
	s_waitcnt lgkmcnt(0)
	; wave barrier
	s_waitcnt lgkmcnt(0)
	s_and_saveexec_b64 s[4:5], vcc
	s_cbranch_execz .LBB33_105
; %bb.102:
	v_add_u32_e32 v74, -1, v0
	v_add_u32_e32 v75, 0x110, v1
	v_add_u32_e32 v76, 0, v1
	s_mov_b64 s[6:7], 0
	v_pk_mov_b32 v[70:71], 0, 0
.LBB33_103:                             ; =>This Inner Loop Header: Depth=1
	buffer_load_dword v78, v76, s[0:3], 0 offen
	buffer_load_dword v79, v76, s[0:3], 0 offen offset:4
	ds_read_b64 v[80:81], v75
	v_add_u32_e32 v74, 1, v74
	v_cmp_lt_u32_e32 vcc, 22, v74
	v_add_u32_e32 v75, 8, v75
	v_add_u32_e32 v76, 8, v76
	s_or_b64 s[6:7], vcc, s[6:7]
	s_waitcnt vmcnt(0) lgkmcnt(0)
	v_fmac_f64_e32 v[70:71], v[78:79], v[80:81]
	s_andn2_b64 exec, exec, s[6:7]
	s_cbranch_execnz .LBB33_103
; %bb.104:
	s_or_b64 exec, exec, s[6:7]
	v_mov_b32_e32 v74, 0
	ds_read_b64 v[74:75], v74 offset:192
	s_waitcnt lgkmcnt(0)
	v_mul_f64 v[70:71], v[70:71], v[74:75]
	buffer_store_dword v71, off, s[0:3], 0 offset:196
	buffer_store_dword v70, off, s[0:3], 0 offset:192
.LBB33_105:
	s_or_b64 exec, exec, s[4:5]
	s_waitcnt lgkmcnt(0)
	; wave barrier
	buffer_load_dword v70, off, s[0:3], 0 offset:200
	buffer_load_dword v71, off, s[0:3], 0 offset:204
	v_cmp_gt_u32_e32 vcc, 25, v0
	s_waitcnt vmcnt(0)
	ds_write_b64 v72, v[70:71]
	s_waitcnt lgkmcnt(0)
	; wave barrier
	s_waitcnt lgkmcnt(0)
	s_and_saveexec_b64 s[4:5], vcc
	s_cbranch_execz .LBB33_109
; %bb.106:
	v_add_u32_e32 v74, -1, v0
	v_add_u32_e32 v75, 0x110, v1
	v_add_u32_e32 v76, 0, v1
	s_mov_b64 s[6:7], 0
	v_pk_mov_b32 v[70:71], 0, 0
.LBB33_107:                             ; =>This Inner Loop Header: Depth=1
	buffer_load_dword v78, v76, s[0:3], 0 offen
	buffer_load_dword v79, v76, s[0:3], 0 offen offset:4
	ds_read_b64 v[80:81], v75
	v_add_u32_e32 v74, 1, v74
	v_cmp_lt_u32_e32 vcc, 23, v74
	v_add_u32_e32 v75, 8, v75
	v_add_u32_e32 v76, 8, v76
	s_or_b64 s[6:7], vcc, s[6:7]
	s_waitcnt vmcnt(0) lgkmcnt(0)
	v_fmac_f64_e32 v[70:71], v[78:79], v[80:81]
	s_andn2_b64 exec, exec, s[6:7]
	s_cbranch_execnz .LBB33_107
; %bb.108:
	s_or_b64 exec, exec, s[6:7]
	v_mov_b32_e32 v74, 0
	ds_read_b64 v[74:75], v74 offset:200
	s_waitcnt lgkmcnt(0)
	v_mul_f64 v[70:71], v[70:71], v[74:75]
	buffer_store_dword v71, off, s[0:3], 0 offset:204
	buffer_store_dword v70, off, s[0:3], 0 offset:200
.LBB33_109:
	s_or_b64 exec, exec, s[4:5]
	s_waitcnt lgkmcnt(0)
	; wave barrier
	buffer_load_dword v70, off, s[0:3], 0 offset:208
	buffer_load_dword v71, off, s[0:3], 0 offset:212
	v_cmp_gt_u32_e32 vcc, 26, v0
	;; [unrolled: 41-line block ×8, first 2 shown]
	s_waitcnt vmcnt(0)
	ds_write_b64 v72, v[70:71]
	s_waitcnt lgkmcnt(0)
	; wave barrier
	s_waitcnt lgkmcnt(0)
	s_and_saveexec_b64 s[4:5], vcc
	s_cbranch_execz .LBB33_137
; %bb.134:
	v_add_u32_e32 v74, -1, v0
	v_add_u32_e32 v75, 0x110, v1
	v_add_u32_e32 v76, 0, v1
	s_mov_b64 s[6:7], 0
	v_pk_mov_b32 v[70:71], 0, 0
.LBB33_135:                             ; =>This Inner Loop Header: Depth=1
	buffer_load_dword v78, v76, s[0:3], 0 offen
	buffer_load_dword v79, v76, s[0:3], 0 offen offset:4
	ds_read_b64 v[80:81], v75
	v_add_u32_e32 v74, 1, v74
	v_cmp_lt_u32_e32 vcc, 30, v74
	v_add_u32_e32 v75, 8, v75
	v_add_u32_e32 v76, 8, v76
	s_or_b64 s[6:7], vcc, s[6:7]
	s_waitcnt vmcnt(0) lgkmcnt(0)
	v_fmac_f64_e32 v[70:71], v[78:79], v[80:81]
	s_andn2_b64 exec, exec, s[6:7]
	s_cbranch_execnz .LBB33_135
; %bb.136:
	s_or_b64 exec, exec, s[6:7]
	v_mov_b32_e32 v74, 0
	ds_read_b64 v[74:75], v74 offset:256
	s_waitcnt lgkmcnt(0)
	v_mul_f64 v[70:71], v[70:71], v[74:75]
	buffer_store_dword v71, off, s[0:3], 0 offset:260
	buffer_store_dword v70, off, s[0:3], 0 offset:256
.LBB33_137:
	s_or_b64 exec, exec, s[4:5]
	s_waitcnt lgkmcnt(0)
	; wave barrier
	buffer_load_dword v70, off, s[0:3], 0 offset:264
	buffer_load_dword v71, off, s[0:3], 0 offset:268
	v_cmp_ne_u32_e32 vcc, 33, v0
	s_waitcnt vmcnt(0)
	ds_write_b64 v72, v[70:71]
	s_waitcnt lgkmcnt(0)
	; wave barrier
	s_waitcnt lgkmcnt(0)
	s_and_saveexec_b64 s[4:5], vcc
	s_cbranch_execz .LBB33_141
; %bb.138:
	v_add_u32_e32 v72, 0x110, v1
	v_add_u32_e32 v1, 0, v1
	s_mov_b64 s[6:7], 0
	v_pk_mov_b32 v[70:71], 0, 0
.LBB33_139:                             ; =>This Inner Loop Header: Depth=1
	buffer_load_dword v74, v1, s[0:3], 0 offen
	buffer_load_dword v75, v1, s[0:3], 0 offen offset:4
	ds_read_b64 v[76:77], v72
	v_add_u32_e32 v73, 1, v73
	v_cmp_lt_u32_e32 vcc, 31, v73
	v_add_u32_e32 v72, 8, v72
	v_add_u32_e32 v1, 8, v1
	s_or_b64 s[6:7], vcc, s[6:7]
	s_waitcnt vmcnt(0) lgkmcnt(0)
	v_fmac_f64_e32 v[70:71], v[74:75], v[76:77]
	s_andn2_b64 exec, exec, s[6:7]
	s_cbranch_execnz .LBB33_139
; %bb.140:
	s_or_b64 exec, exec, s[6:7]
	v_mov_b32_e32 v1, 0
	ds_read_b64 v[72:73], v1 offset:264
	s_waitcnt lgkmcnt(0)
	v_mul_f64 v[70:71], v[70:71], v[72:73]
	buffer_store_dword v71, off, s[0:3], 0 offset:268
	buffer_store_dword v70, off, s[0:3], 0 offset:264
.LBB33_141:
	s_or_b64 exec, exec, s[4:5]
	s_mov_b64 s[6:7], -1
	s_waitcnt lgkmcnt(0)
	; wave barrier
.LBB33_142:
	s_and_b64 vcc, exec, s[6:7]
	s_cbranch_vccz .LBB33_144
; %bb.143:
	s_lshl_b64 s[4:5], s[8:9], 2
	s_add_u32 s4, s14, s4
	s_addc_u32 s5, s15, s5
	v_mov_b32_e32 v1, 0
	global_load_dword v1, v1, s[4:5]
	s_waitcnt vmcnt(0)
	v_cmp_ne_u32_e32 vcc, 0, v1
	s_cbranch_vccz .LBB33_145
.LBB33_144:
	s_endpgm
.LBB33_145:
	v_mov_b32_e32 v1, 0x110
	v_lshl_add_u32 v1, v0, 3, v1
	v_cmp_eq_u32_e32 vcc, 33, v0
	s_and_saveexec_b64 s[4:5], vcc
	s_cbranch_execz .LBB33_147
; %bb.146:
	buffer_load_dword v70, off, s[0:3], 0 offset:256
	buffer_load_dword v71, off, s[0:3], 0 offset:260
	v_mov_b32_e32 v72, 0
	buffer_store_dword v72, off, s[0:3], 0 offset:256
	buffer_store_dword v72, off, s[0:3], 0 offset:260
	s_waitcnt vmcnt(2)
	ds_write_b64 v1, v[70:71]
.LBB33_147:
	s_or_b64 exec, exec, s[4:5]
	s_waitcnt lgkmcnt(0)
	; wave barrier
	s_waitcnt lgkmcnt(0)
	buffer_load_dword v72, off, s[0:3], 0 offset:264
	buffer_load_dword v73, off, s[0:3], 0 offset:268
	;; [unrolled: 1-line block ×4, first 2 shown]
	v_mov_b32_e32 v70, 0
	ds_read_b64 v[76:77], v70 offset:536
	v_cmp_lt_u32_e32 vcc, 31, v0
	s_waitcnt vmcnt(2) lgkmcnt(0)
	v_fma_f64 v[72:73], v[72:73], v[76:77], 0
	s_waitcnt vmcnt(0)
	v_add_f64 v[72:73], v[74:75], -v[72:73]
	buffer_store_dword v72, off, s[0:3], 0 offset:256
	buffer_store_dword v73, off, s[0:3], 0 offset:260
	s_and_saveexec_b64 s[4:5], vcc
	s_cbranch_execz .LBB33_149
; %bb.148:
	buffer_load_dword v72, off, s[0:3], 0 offset:248
	buffer_load_dword v73, off, s[0:3], 0 offset:252
	s_waitcnt vmcnt(0)
	ds_write_b64 v1, v[72:73]
	buffer_store_dword v70, off, s[0:3], 0 offset:248
	buffer_store_dword v70, off, s[0:3], 0 offset:252
.LBB33_149:
	s_or_b64 exec, exec, s[4:5]
	s_waitcnt lgkmcnt(0)
	; wave barrier
	s_waitcnt lgkmcnt(0)
	buffer_load_dword v74, off, s[0:3], 0 offset:256
	buffer_load_dword v75, off, s[0:3], 0 offset:260
	;; [unrolled: 1-line block ×6, first 2 shown]
	ds_read_b128 v[70:73], v70 offset:528
	v_cmp_lt_u32_e32 vcc, 30, v0
	s_waitcnt vmcnt(4) lgkmcnt(0)
	v_fma_f64 v[70:71], v[74:75], v[70:71], 0
	s_waitcnt vmcnt(2)
	v_fmac_f64_e32 v[70:71], v[76:77], v[72:73]
	s_waitcnt vmcnt(0)
	v_add_f64 v[70:71], v[78:79], -v[70:71]
	buffer_store_dword v70, off, s[0:3], 0 offset:248
	buffer_store_dword v71, off, s[0:3], 0 offset:252
	s_and_saveexec_b64 s[4:5], vcc
	s_cbranch_execz .LBB33_151
; %bb.150:
	buffer_load_dword v70, off, s[0:3], 0 offset:240
	buffer_load_dword v71, off, s[0:3], 0 offset:244
	v_mov_b32_e32 v72, 0
	buffer_store_dword v72, off, s[0:3], 0 offset:240
	buffer_store_dword v72, off, s[0:3], 0 offset:244
	s_waitcnt vmcnt(2)
	ds_write_b64 v1, v[70:71]
.LBB33_151:
	s_or_b64 exec, exec, s[4:5]
	s_waitcnt lgkmcnt(0)
	; wave barrier
	s_waitcnt lgkmcnt(0)
	buffer_load_dword v76, off, s[0:3], 0 offset:248
	buffer_load_dword v77, off, s[0:3], 0 offset:252
	buffer_load_dword v78, off, s[0:3], 0 offset:256
	buffer_load_dword v79, off, s[0:3], 0 offset:260
	buffer_load_dword v80, off, s[0:3], 0 offset:264
	buffer_load_dword v81, off, s[0:3], 0 offset:268
	buffer_load_dword v82, off, s[0:3], 0 offset:240
	buffer_load_dword v83, off, s[0:3], 0 offset:244
	v_mov_b32_e32 v70, 0
	ds_read2_b64 v[72:75], v70 offset0:65 offset1:66
	ds_read_b64 v[84:85], v70 offset:536
	v_cmp_lt_u32_e32 vcc, 29, v0
	s_waitcnt vmcnt(6) lgkmcnt(1)
	v_fma_f64 v[72:73], v[76:77], v[72:73], 0
	s_waitcnt vmcnt(4)
	v_fmac_f64_e32 v[72:73], v[78:79], v[74:75]
	s_waitcnt vmcnt(2) lgkmcnt(0)
	v_fmac_f64_e32 v[72:73], v[80:81], v[84:85]
	s_waitcnt vmcnt(0)
	v_add_f64 v[72:73], v[82:83], -v[72:73]
	buffer_store_dword v72, off, s[0:3], 0 offset:240
	buffer_store_dword v73, off, s[0:3], 0 offset:244
	s_and_saveexec_b64 s[4:5], vcc
	s_cbranch_execz .LBB33_153
; %bb.152:
	buffer_load_dword v72, off, s[0:3], 0 offset:232
	buffer_load_dword v73, off, s[0:3], 0 offset:236
	s_waitcnt vmcnt(0)
	ds_write_b64 v1, v[72:73]
	buffer_store_dword v70, off, s[0:3], 0 offset:232
	buffer_store_dword v70, off, s[0:3], 0 offset:236
.LBB33_153:
	s_or_b64 exec, exec, s[4:5]
	s_waitcnt lgkmcnt(0)
	; wave barrier
	s_waitcnt lgkmcnt(0)
	buffer_load_dword v80, off, s[0:3], 0 offset:240
	buffer_load_dword v81, off, s[0:3], 0 offset:244
	;; [unrolled: 1-line block ×10, first 2 shown]
	ds_read_b128 v[72:75], v70 offset:512
	ds_read_b128 v[76:79], v70 offset:528
	v_cmp_lt_u32_e32 vcc, 28, v0
	s_waitcnt vmcnt(8) lgkmcnt(1)
	v_fma_f64 v[70:71], v[80:81], v[72:73], 0
	s_waitcnt vmcnt(6)
	v_fmac_f64_e32 v[70:71], v[82:83], v[74:75]
	s_waitcnt vmcnt(4) lgkmcnt(0)
	v_fmac_f64_e32 v[70:71], v[84:85], v[76:77]
	s_waitcnt vmcnt(2)
	v_fmac_f64_e32 v[70:71], v[86:87], v[78:79]
	s_waitcnt vmcnt(0)
	v_add_f64 v[70:71], v[88:89], -v[70:71]
	buffer_store_dword v70, off, s[0:3], 0 offset:232
	buffer_store_dword v71, off, s[0:3], 0 offset:236
	s_and_saveexec_b64 s[4:5], vcc
	s_cbranch_execz .LBB33_155
; %bb.154:
	buffer_load_dword v70, off, s[0:3], 0 offset:224
	buffer_load_dword v71, off, s[0:3], 0 offset:228
	v_mov_b32_e32 v72, 0
	buffer_store_dword v72, off, s[0:3], 0 offset:224
	buffer_store_dword v72, off, s[0:3], 0 offset:228
	s_waitcnt vmcnt(2)
	ds_write_b64 v1, v[70:71]
.LBB33_155:
	s_or_b64 exec, exec, s[4:5]
	s_waitcnt lgkmcnt(0)
	; wave barrier
	s_waitcnt lgkmcnt(0)
	buffer_load_dword v80, off, s[0:3], 0 offset:232
	buffer_load_dword v81, off, s[0:3], 0 offset:236
	;; [unrolled: 1-line block ×12, first 2 shown]
	v_mov_b32_e32 v70, 0
	ds_read2_b64 v[72:75], v70 offset0:63 offset1:64
	ds_read2_b64 v[76:79], v70 offset0:65 offset1:66
	ds_read_b64 v[92:93], v70 offset:536
	v_cmp_lt_u32_e32 vcc, 27, v0
	s_waitcnt vmcnt(10) lgkmcnt(2)
	v_fma_f64 v[72:73], v[80:81], v[72:73], 0
	s_waitcnt vmcnt(8)
	v_fmac_f64_e32 v[72:73], v[82:83], v[74:75]
	s_waitcnt vmcnt(6) lgkmcnt(1)
	v_fmac_f64_e32 v[72:73], v[84:85], v[76:77]
	s_waitcnt vmcnt(4)
	v_fmac_f64_e32 v[72:73], v[86:87], v[78:79]
	s_waitcnt vmcnt(2) lgkmcnt(0)
	v_fmac_f64_e32 v[72:73], v[88:89], v[92:93]
	s_waitcnt vmcnt(0)
	v_add_f64 v[72:73], v[90:91], -v[72:73]
	buffer_store_dword v72, off, s[0:3], 0 offset:224
	buffer_store_dword v73, off, s[0:3], 0 offset:228
	s_and_saveexec_b64 s[4:5], vcc
	s_cbranch_execz .LBB33_157
; %bb.156:
	buffer_load_dword v72, off, s[0:3], 0 offset:216
	buffer_load_dword v73, off, s[0:3], 0 offset:220
	s_waitcnt vmcnt(0)
	ds_write_b64 v1, v[72:73]
	buffer_store_dword v70, off, s[0:3], 0 offset:216
	buffer_store_dword v70, off, s[0:3], 0 offset:220
.LBB33_157:
	s_or_b64 exec, exec, s[4:5]
	s_waitcnt lgkmcnt(0)
	; wave barrier
	s_waitcnt lgkmcnt(0)
	buffer_load_dword v84, off, s[0:3], 0 offset:224
	buffer_load_dword v85, off, s[0:3], 0 offset:228
	;; [unrolled: 1-line block ×14, first 2 shown]
	ds_read_b128 v[72:75], v70 offset:496
	ds_read_b128 v[76:79], v70 offset:512
	;; [unrolled: 1-line block ×3, first 2 shown]
	v_cmp_lt_u32_e32 vcc, 26, v0
	s_waitcnt vmcnt(12) lgkmcnt(2)
	v_fma_f64 v[70:71], v[84:85], v[72:73], 0
	s_waitcnt vmcnt(10)
	v_fmac_f64_e32 v[70:71], v[86:87], v[74:75]
	s_waitcnt vmcnt(8) lgkmcnt(1)
	v_fmac_f64_e32 v[70:71], v[88:89], v[76:77]
	s_waitcnt vmcnt(6)
	v_fmac_f64_e32 v[70:71], v[90:91], v[78:79]
	s_waitcnt vmcnt(4) lgkmcnt(0)
	v_fmac_f64_e32 v[70:71], v[92:93], v[80:81]
	s_waitcnt vmcnt(2)
	v_fmac_f64_e32 v[70:71], v[94:95], v[82:83]
	s_waitcnt vmcnt(0)
	v_add_f64 v[70:71], v[96:97], -v[70:71]
	buffer_store_dword v70, off, s[0:3], 0 offset:216
	buffer_store_dword v71, off, s[0:3], 0 offset:220
	s_and_saveexec_b64 s[4:5], vcc
	s_cbranch_execz .LBB33_159
; %bb.158:
	buffer_load_dword v70, off, s[0:3], 0 offset:208
	buffer_load_dword v71, off, s[0:3], 0 offset:212
	v_mov_b32_e32 v72, 0
	buffer_store_dword v72, off, s[0:3], 0 offset:208
	buffer_store_dword v72, off, s[0:3], 0 offset:212
	s_waitcnt vmcnt(2)
	ds_write_b64 v1, v[70:71]
.LBB33_159:
	s_or_b64 exec, exec, s[4:5]
	s_waitcnt lgkmcnt(0)
	; wave barrier
	s_waitcnt lgkmcnt(0)
	buffer_load_dword v84, off, s[0:3], 0 offset:216
	buffer_load_dword v85, off, s[0:3], 0 offset:220
	;; [unrolled: 1-line block ×16, first 2 shown]
	v_mov_b32_e32 v70, 0
	ds_read2_b64 v[72:75], v70 offset0:61 offset1:62
	ds_read2_b64 v[76:79], v70 offset0:63 offset1:64
	;; [unrolled: 1-line block ×3, first 2 shown]
	ds_read_b64 v[100:101], v70 offset:536
	v_cmp_lt_u32_e32 vcc, 25, v0
	s_waitcnt vmcnt(14) lgkmcnt(3)
	v_fma_f64 v[72:73], v[84:85], v[72:73], 0
	s_waitcnt vmcnt(12)
	v_fmac_f64_e32 v[72:73], v[86:87], v[74:75]
	s_waitcnt vmcnt(10) lgkmcnt(2)
	v_fmac_f64_e32 v[72:73], v[88:89], v[76:77]
	s_waitcnt vmcnt(8)
	v_fmac_f64_e32 v[72:73], v[90:91], v[78:79]
	s_waitcnt vmcnt(6) lgkmcnt(1)
	v_fmac_f64_e32 v[72:73], v[92:93], v[80:81]
	s_waitcnt vmcnt(4)
	v_fmac_f64_e32 v[72:73], v[94:95], v[82:83]
	s_waitcnt vmcnt(2) lgkmcnt(0)
	v_fmac_f64_e32 v[72:73], v[96:97], v[100:101]
	s_waitcnt vmcnt(0)
	v_add_f64 v[72:73], v[98:99], -v[72:73]
	buffer_store_dword v72, off, s[0:3], 0 offset:208
	buffer_store_dword v73, off, s[0:3], 0 offset:212
	s_and_saveexec_b64 s[4:5], vcc
	s_cbranch_execz .LBB33_161
; %bb.160:
	buffer_load_dword v72, off, s[0:3], 0 offset:200
	buffer_load_dword v73, off, s[0:3], 0 offset:204
	s_waitcnt vmcnt(0)
	ds_write_b64 v1, v[72:73]
	buffer_store_dword v70, off, s[0:3], 0 offset:200
	buffer_store_dword v70, off, s[0:3], 0 offset:204
.LBB33_161:
	s_or_b64 exec, exec, s[4:5]
	s_waitcnt lgkmcnt(0)
	; wave barrier
	s_waitcnt lgkmcnt(0)
	buffer_load_dword v88, off, s[0:3], 0 offset:208
	buffer_load_dword v89, off, s[0:3], 0 offset:212
	;; [unrolled: 1-line block ×18, first 2 shown]
	ds_read_b128 v[72:75], v70 offset:480
	ds_read_b128 v[76:79], v70 offset:496
	;; [unrolled: 1-line block ×4, first 2 shown]
	v_cmp_lt_u32_e32 vcc, 24, v0
	s_waitcnt vmcnt(16) lgkmcnt(3)
	v_fma_f64 v[70:71], v[88:89], v[72:73], 0
	s_waitcnt vmcnt(14)
	v_fmac_f64_e32 v[70:71], v[90:91], v[74:75]
	s_waitcnt vmcnt(12) lgkmcnt(2)
	v_fmac_f64_e32 v[70:71], v[92:93], v[76:77]
	s_waitcnt vmcnt(10)
	v_fmac_f64_e32 v[70:71], v[94:95], v[78:79]
	s_waitcnt vmcnt(8) lgkmcnt(1)
	v_fmac_f64_e32 v[70:71], v[96:97], v[80:81]
	;; [unrolled: 4-line block ×3, first 2 shown]
	s_waitcnt vmcnt(2)
	v_fmac_f64_e32 v[70:71], v[102:103], v[86:87]
	s_waitcnt vmcnt(0)
	v_add_f64 v[70:71], v[104:105], -v[70:71]
	buffer_store_dword v70, off, s[0:3], 0 offset:200
	buffer_store_dword v71, off, s[0:3], 0 offset:204
	s_and_saveexec_b64 s[4:5], vcc
	s_cbranch_execz .LBB33_163
; %bb.162:
	buffer_load_dword v70, off, s[0:3], 0 offset:192
	buffer_load_dword v71, off, s[0:3], 0 offset:196
	v_mov_b32_e32 v72, 0
	buffer_store_dword v72, off, s[0:3], 0 offset:192
	buffer_store_dword v72, off, s[0:3], 0 offset:196
	s_waitcnt vmcnt(2)
	ds_write_b64 v1, v[70:71]
.LBB33_163:
	s_or_b64 exec, exec, s[4:5]
	s_waitcnt lgkmcnt(0)
	; wave barrier
	s_waitcnt lgkmcnt(0)
	buffer_load_dword v88, off, s[0:3], 0 offset:200
	buffer_load_dword v89, off, s[0:3], 0 offset:204
	;; [unrolled: 1-line block ×20, first 2 shown]
	v_mov_b32_e32 v70, 0
	ds_read2_b64 v[72:75], v70 offset0:59 offset1:60
	ds_read2_b64 v[76:79], v70 offset0:61 offset1:62
	;; [unrolled: 1-line block ×4, first 2 shown]
	ds_read_b64 v[108:109], v70 offset:536
	v_cmp_lt_u32_e32 vcc, 23, v0
	s_waitcnt vmcnt(18) lgkmcnt(4)
	v_fma_f64 v[72:73], v[88:89], v[72:73], 0
	s_waitcnt vmcnt(16)
	v_fmac_f64_e32 v[72:73], v[90:91], v[74:75]
	s_waitcnt vmcnt(14) lgkmcnt(3)
	v_fmac_f64_e32 v[72:73], v[92:93], v[76:77]
	s_waitcnt vmcnt(12)
	v_fmac_f64_e32 v[72:73], v[94:95], v[78:79]
	s_waitcnt vmcnt(10) lgkmcnt(2)
	v_fmac_f64_e32 v[72:73], v[96:97], v[80:81]
	s_waitcnt vmcnt(8)
	v_fmac_f64_e32 v[72:73], v[98:99], v[82:83]
	s_waitcnt vmcnt(6) lgkmcnt(1)
	v_fmac_f64_e32 v[72:73], v[100:101], v[84:85]
	s_waitcnt vmcnt(2)
	v_fmac_f64_e32 v[72:73], v[104:105], v[86:87]
	s_waitcnt lgkmcnt(0)
	v_fmac_f64_e32 v[72:73], v[102:103], v[108:109]
	s_waitcnt vmcnt(0)
	v_add_f64 v[72:73], v[106:107], -v[72:73]
	buffer_store_dword v72, off, s[0:3], 0 offset:192
	buffer_store_dword v73, off, s[0:3], 0 offset:196
	s_and_saveexec_b64 s[4:5], vcc
	s_cbranch_execz .LBB33_165
; %bb.164:
	buffer_load_dword v72, off, s[0:3], 0 offset:184
	buffer_load_dword v73, off, s[0:3], 0 offset:188
	s_waitcnt vmcnt(0)
	ds_write_b64 v1, v[72:73]
	buffer_store_dword v70, off, s[0:3], 0 offset:184
	buffer_store_dword v70, off, s[0:3], 0 offset:188
.LBB33_165:
	s_or_b64 exec, exec, s[4:5]
	s_waitcnt lgkmcnt(0)
	; wave barrier
	s_waitcnt lgkmcnt(0)
	buffer_load_dword v92, off, s[0:3], 0 offset:192
	buffer_load_dword v93, off, s[0:3], 0 offset:196
	;; [unrolled: 1-line block ×22, first 2 shown]
	ds_read_b128 v[72:75], v70 offset:464
	ds_read_b128 v[76:79], v70 offset:480
	;; [unrolled: 1-line block ×5, first 2 shown]
	v_cmp_lt_u32_e32 vcc, 22, v0
	s_waitcnt vmcnt(20) lgkmcnt(4)
	v_fma_f64 v[70:71], v[92:93], v[72:73], 0
	s_waitcnt vmcnt(18)
	v_fmac_f64_e32 v[70:71], v[94:95], v[74:75]
	s_waitcnt vmcnt(16) lgkmcnt(3)
	v_fmac_f64_e32 v[70:71], v[96:97], v[76:77]
	s_waitcnt vmcnt(14)
	v_fmac_f64_e32 v[70:71], v[98:99], v[78:79]
	s_waitcnt vmcnt(12) lgkmcnt(2)
	v_fmac_f64_e32 v[70:71], v[100:101], v[80:81]
	;; [unrolled: 4-line block ×3, first 2 shown]
	s_waitcnt vmcnt(3)
	v_fmac_f64_e32 v[70:71], v[110:111], v[86:87]
	s_waitcnt lgkmcnt(0)
	v_fmac_f64_e32 v[70:71], v[108:109], v[88:89]
	s_waitcnt vmcnt(2)
	v_fmac_f64_e32 v[70:71], v[106:107], v[90:91]
	s_waitcnt vmcnt(0)
	v_add_f64 v[70:71], v[112:113], -v[70:71]
	buffer_store_dword v70, off, s[0:3], 0 offset:184
	buffer_store_dword v71, off, s[0:3], 0 offset:188
	s_and_saveexec_b64 s[4:5], vcc
	s_cbranch_execz .LBB33_167
; %bb.166:
	buffer_load_dword v70, off, s[0:3], 0 offset:176
	buffer_load_dword v71, off, s[0:3], 0 offset:180
	v_mov_b32_e32 v72, 0
	buffer_store_dword v72, off, s[0:3], 0 offset:176
	buffer_store_dword v72, off, s[0:3], 0 offset:180
	s_waitcnt vmcnt(2)
	ds_write_b64 v1, v[70:71]
.LBB33_167:
	s_or_b64 exec, exec, s[4:5]
	s_waitcnt lgkmcnt(0)
	; wave barrier
	s_waitcnt lgkmcnt(0)
	buffer_load_dword v92, off, s[0:3], 0 offset:184
	buffer_load_dword v93, off, s[0:3], 0 offset:188
	;; [unrolled: 1-line block ×24, first 2 shown]
	v_mov_b32_e32 v70, 0
	ds_read2_b64 v[72:75], v70 offset0:57 offset1:58
	ds_read2_b64 v[76:79], v70 offset0:59 offset1:60
	;; [unrolled: 1-line block ×5, first 2 shown]
	ds_read_b64 v[116:117], v70 offset:536
	v_cmp_lt_u32_e32 vcc, 21, v0
	s_waitcnt vmcnt(22) lgkmcnt(5)
	v_fma_f64 v[72:73], v[92:93], v[72:73], 0
	s_waitcnt vmcnt(20)
	v_fmac_f64_e32 v[72:73], v[94:95], v[74:75]
	s_waitcnt vmcnt(18) lgkmcnt(4)
	v_fmac_f64_e32 v[72:73], v[96:97], v[76:77]
	s_waitcnt vmcnt(16)
	v_fmac_f64_e32 v[72:73], v[98:99], v[78:79]
	s_waitcnt vmcnt(14) lgkmcnt(3)
	v_fmac_f64_e32 v[72:73], v[100:101], v[80:81]
	;; [unrolled: 4-line block ×3, first 2 shown]
	s_waitcnt vmcnt(4)
	v_fmac_f64_e32 v[72:73], v[112:113], v[86:87]
	s_waitcnt lgkmcnt(1)
	v_fmac_f64_e32 v[72:73], v[110:111], v[88:89]
	s_waitcnt vmcnt(3)
	v_fmac_f64_e32 v[72:73], v[108:109], v[90:91]
	s_waitcnt vmcnt(2) lgkmcnt(0)
	v_fmac_f64_e32 v[72:73], v[106:107], v[116:117]
	s_waitcnt vmcnt(0)
	v_add_f64 v[72:73], v[114:115], -v[72:73]
	buffer_store_dword v73, off, s[0:3], 0 offset:180
	buffer_store_dword v72, off, s[0:3], 0 offset:176
	s_and_saveexec_b64 s[4:5], vcc
	s_cbranch_execz .LBB33_169
; %bb.168:
	buffer_load_dword v72, off, s[0:3], 0 offset:168
	buffer_load_dword v73, off, s[0:3], 0 offset:172
	s_waitcnt vmcnt(0)
	ds_write_b64 v1, v[72:73]
	buffer_store_dword v70, off, s[0:3], 0 offset:168
	buffer_store_dword v70, off, s[0:3], 0 offset:172
.LBB33_169:
	s_or_b64 exec, exec, s[4:5]
	s_waitcnt lgkmcnt(0)
	; wave barrier
	s_waitcnt lgkmcnt(0)
	buffer_load_dword v96, off, s[0:3], 0 offset:176
	buffer_load_dword v97, off, s[0:3], 0 offset:180
	;; [unrolled: 1-line block ×26, first 2 shown]
	ds_read_b128 v[72:75], v70 offset:448
	ds_read_b128 v[76:79], v70 offset:464
	;; [unrolled: 1-line block ×6, first 2 shown]
	v_cmp_lt_u32_e32 vcc, 20, v0
	s_waitcnt vmcnt(24) lgkmcnt(5)
	v_fma_f64 v[70:71], v[96:97], v[72:73], 0
	s_waitcnt vmcnt(22)
	v_fmac_f64_e32 v[70:71], v[98:99], v[74:75]
	s_waitcnt vmcnt(20) lgkmcnt(4)
	v_fmac_f64_e32 v[70:71], v[100:101], v[76:77]
	s_waitcnt vmcnt(18)
	v_fmac_f64_e32 v[70:71], v[102:103], v[78:79]
	s_waitcnt vmcnt(16) lgkmcnt(3)
	v_fmac_f64_e32 v[70:71], v[104:105], v[80:81]
	;; [unrolled: 4-line block ×3, first 2 shown]
	s_waitcnt vmcnt(5)
	v_fmac_f64_e32 v[70:71], v[116:117], v[86:87]
	s_waitcnt lgkmcnt(1)
	v_fmac_f64_e32 v[70:71], v[114:115], v[88:89]
	v_fmac_f64_e32 v[70:71], v[112:113], v[90:91]
	s_waitcnt vmcnt(4) lgkmcnt(0)
	v_fmac_f64_e32 v[70:71], v[110:111], v[92:93]
	s_waitcnt vmcnt(2)
	v_fmac_f64_e32 v[70:71], v[118:119], v[94:95]
	s_waitcnt vmcnt(0)
	v_add_f64 v[70:71], v[120:121], -v[70:71]
	buffer_store_dword v71, off, s[0:3], 0 offset:172
	buffer_store_dword v70, off, s[0:3], 0 offset:168
	s_and_saveexec_b64 s[4:5], vcc
	s_cbranch_execz .LBB33_171
; %bb.170:
	buffer_load_dword v70, off, s[0:3], 0 offset:160
	buffer_load_dword v71, off, s[0:3], 0 offset:164
	v_mov_b32_e32 v72, 0
	buffer_store_dword v72, off, s[0:3], 0 offset:160
	buffer_store_dword v72, off, s[0:3], 0 offset:164
	s_waitcnt vmcnt(2)
	ds_write_b64 v1, v[70:71]
.LBB33_171:
	s_or_b64 exec, exec, s[4:5]
	s_waitcnt lgkmcnt(0)
	; wave barrier
	s_waitcnt lgkmcnt(0)
	buffer_load_dword v96, off, s[0:3], 0 offset:168
	buffer_load_dword v97, off, s[0:3], 0 offset:172
	buffer_load_dword v98, off, s[0:3], 0 offset:176
	buffer_load_dword v99, off, s[0:3], 0 offset:180
	buffer_load_dword v100, off, s[0:3], 0 offset:184
	buffer_load_dword v101, off, s[0:3], 0 offset:188
	buffer_load_dword v102, off, s[0:3], 0 offset:192
	buffer_load_dword v103, off, s[0:3], 0 offset:196
	buffer_load_dword v104, off, s[0:3], 0 offset:200
	buffer_load_dword v105, off, s[0:3], 0 offset:204
	buffer_load_dword v106, off, s[0:3], 0 offset:208
	buffer_load_dword v107, off, s[0:3], 0 offset:212
	buffer_load_dword v108, off, s[0:3], 0 offset:216
	buffer_load_dword v109, off, s[0:3], 0 offset:220
	buffer_load_dword v111, off, s[0:3], 0 offset:252
	buffer_load_dword v110, off, s[0:3], 0 offset:248
	buffer_load_dword v113, off, s[0:3], 0 offset:244
	buffer_load_dword v112, off, s[0:3], 0 offset:240
	buffer_load_dword v115, off, s[0:3], 0 offset:236
	buffer_load_dword v114, off, s[0:3], 0 offset:232
	buffer_load_dword v117, off, s[0:3], 0 offset:228
	buffer_load_dword v116, off, s[0:3], 0 offset:224
	buffer_load_dword v119, off, s[0:3], 0 offset:268
	buffer_load_dword v118, off, s[0:3], 0 offset:264
	buffer_load_dword v121, off, s[0:3], 0 offset:260
	buffer_load_dword v120, off, s[0:3], 0 offset:256
	buffer_load_dword v122, off, s[0:3], 0 offset:160
	buffer_load_dword v123, off, s[0:3], 0 offset:164
	v_mov_b32_e32 v70, 0
	ds_read2_b64 v[72:75], v70 offset0:55 offset1:56
	ds_read2_b64 v[76:79], v70 offset0:57 offset1:58
	;; [unrolled: 1-line block ×6, first 2 shown]
	ds_read_b64 v[124:125], v70 offset:536
	v_cmp_lt_u32_e32 vcc, 19, v0
	s_waitcnt vmcnt(26) lgkmcnt(6)
	v_fma_f64 v[72:73], v[96:97], v[72:73], 0
	s_waitcnt vmcnt(24)
	v_fmac_f64_e32 v[72:73], v[98:99], v[74:75]
	s_waitcnt vmcnt(22) lgkmcnt(5)
	v_fmac_f64_e32 v[72:73], v[100:101], v[76:77]
	s_waitcnt vmcnt(20)
	v_fmac_f64_e32 v[72:73], v[102:103], v[78:79]
	s_waitcnt vmcnt(18) lgkmcnt(4)
	v_fmac_f64_e32 v[72:73], v[104:105], v[80:81]
	;; [unrolled: 4-line block ×3, first 2 shown]
	s_waitcnt vmcnt(6)
	v_fmac_f64_e32 v[72:73], v[116:117], v[86:87]
	s_waitcnt lgkmcnt(2)
	v_fmac_f64_e32 v[72:73], v[114:115], v[88:89]
	v_fmac_f64_e32 v[72:73], v[112:113], v[90:91]
	s_waitcnt lgkmcnt(1)
	v_fmac_f64_e32 v[72:73], v[110:111], v[92:93]
	s_waitcnt vmcnt(2)
	v_fmac_f64_e32 v[72:73], v[120:121], v[94:95]
	s_waitcnt lgkmcnt(0)
	v_fmac_f64_e32 v[72:73], v[118:119], v[124:125]
	s_waitcnt vmcnt(0)
	v_add_f64 v[72:73], v[122:123], -v[72:73]
	buffer_store_dword v73, off, s[0:3], 0 offset:164
	buffer_store_dword v72, off, s[0:3], 0 offset:160
	s_and_saveexec_b64 s[4:5], vcc
	s_cbranch_execz .LBB33_173
; %bb.172:
	buffer_load_dword v72, off, s[0:3], 0 offset:152
	buffer_load_dword v73, off, s[0:3], 0 offset:156
	s_waitcnt vmcnt(0)
	ds_write_b64 v1, v[72:73]
	buffer_store_dword v70, off, s[0:3], 0 offset:152
	buffer_store_dword v70, off, s[0:3], 0 offset:156
.LBB33_173:
	s_or_b64 exec, exec, s[4:5]
	s_waitcnt lgkmcnt(0)
	; wave barrier
	s_waitcnt lgkmcnt(0)
	buffer_load_dword v88, off, s[0:3], 0 offset:152
	buffer_load_dword v89, off, s[0:3], 0 offset:156
	;; [unrolled: 1-line block ×16, first 2 shown]
	ds_read_b128 v[72:75], v70 offset:432
	ds_read_b128 v[76:79], v70 offset:448
	;; [unrolled: 1-line block ×4, first 2 shown]
	v_cmp_lt_u32_e32 vcc, 18, v0
	s_waitcnt vmcnt(12) lgkmcnt(3)
	v_fma_f64 v[90:91], v[90:91], v[72:73], 0
	buffer_load_dword v73, off, s[0:3], 0 offset:220
	buffer_load_dword v72, off, s[0:3], 0 offset:216
	s_waitcnt vmcnt(12)
	v_fmac_f64_e32 v[90:91], v[92:93], v[74:75]
	s_waitcnt vmcnt(10) lgkmcnt(2)
	v_fmac_f64_e32 v[90:91], v[94:95], v[76:77]
	buffer_load_dword v77, off, s[0:3], 0 offset:228
	buffer_load_dword v76, off, s[0:3], 0 offset:224
	s_waitcnt vmcnt(10)
	v_fmac_f64_e32 v[90:91], v[96:97], v[78:79]
	s_waitcnt vmcnt(8) lgkmcnt(1)
	v_fmac_f64_e32 v[90:91], v[98:99], v[80:81]
	s_waitcnt vmcnt(6)
	v_fmac_f64_e32 v[90:91], v[100:101], v[82:83]
	s_waitcnt vmcnt(4) lgkmcnt(0)
	v_fmac_f64_e32 v[90:91], v[102:103], v[84:85]
	s_waitcnt vmcnt(2)
	v_fmac_f64_e32 v[90:91], v[72:73], v[86:87]
	ds_read_b128 v[72:75], v70 offset:496
	s_waitcnt vmcnt(0) lgkmcnt(0)
	v_fmac_f64_e32 v[90:91], v[76:77], v[72:73]
	buffer_load_dword v73, off, s[0:3], 0 offset:236
	buffer_load_dword v72, off, s[0:3], 0 offset:232
	;; [unrolled: 1-line block ×4, first 2 shown]
	s_waitcnt vmcnt(2)
	v_fmac_f64_e32 v[90:91], v[72:73], v[74:75]
	ds_read_b128 v[72:75], v70 offset:512
	s_waitcnt vmcnt(0) lgkmcnt(0)
	v_fmac_f64_e32 v[90:91], v[76:77], v[72:73]
	buffer_load_dword v73, off, s[0:3], 0 offset:252
	buffer_load_dword v72, off, s[0:3], 0 offset:248
	s_waitcnt vmcnt(0)
	v_fmac_f64_e32 v[90:91], v[72:73], v[74:75]
	buffer_load_dword v75, off, s[0:3], 0 offset:260
	buffer_load_dword v74, off, s[0:3], 0 offset:256
	ds_read_b128 v[70:73], v70 offset:528
	s_waitcnt vmcnt(0) lgkmcnt(0)
	v_fmac_f64_e32 v[90:91], v[74:75], v[70:71]
	buffer_load_dword v71, off, s[0:3], 0 offset:268
	buffer_load_dword v70, off, s[0:3], 0 offset:264
	s_waitcnt vmcnt(0)
	v_fmac_f64_e32 v[90:91], v[70:71], v[72:73]
	v_add_f64 v[70:71], v[88:89], -v[90:91]
	buffer_store_dword v71, off, s[0:3], 0 offset:156
	buffer_store_dword v70, off, s[0:3], 0 offset:152
	s_and_saveexec_b64 s[4:5], vcc
	s_cbranch_execz .LBB33_175
; %bb.174:
	buffer_load_dword v70, off, s[0:3], 0 offset:144
	buffer_load_dword v71, off, s[0:3], 0 offset:148
	v_mov_b32_e32 v72, 0
	buffer_store_dword v72, off, s[0:3], 0 offset:144
	buffer_store_dword v72, off, s[0:3], 0 offset:148
	s_waitcnt vmcnt(2)
	ds_write_b64 v1, v[70:71]
.LBB33_175:
	s_or_b64 exec, exec, s[4:5]
	s_waitcnt lgkmcnt(0)
	; wave barrier
	s_waitcnt lgkmcnt(0)
	buffer_load_dword v76, off, s[0:3], 0 offset:144
	buffer_load_dword v77, off, s[0:3], 0 offset:148
	;; [unrolled: 1-line block ×16, first 2 shown]
	v_mov_b32_e32 v70, 0
	ds_read2_b64 v[72:75], v70 offset0:53 offset1:54
	v_cmp_lt_u32_e32 vcc, 17, v0
	s_waitcnt vmcnt(12) lgkmcnt(0)
	v_fma_f64 v[78:79], v[78:79], v[72:73], 0
	s_waitcnt vmcnt(10)
	v_fmac_f64_e32 v[78:79], v[80:81], v[74:75]
	ds_read2_b64 v[72:75], v70 offset0:55 offset1:56
	s_waitcnt vmcnt(8) lgkmcnt(0)
	v_fmac_f64_e32 v[78:79], v[82:83], v[72:73]
	s_waitcnt vmcnt(6)
	v_fmac_f64_e32 v[78:79], v[84:85], v[74:75]
	ds_read2_b64 v[72:75], v70 offset0:57 offset1:58
	s_waitcnt vmcnt(4) lgkmcnt(0)
	v_fmac_f64_e32 v[78:79], v[86:87], v[72:73]
	;; [unrolled: 5-line block ×3, first 2 shown]
	buffer_load_dword v73, off, s[0:3], 0 offset:212
	buffer_load_dword v72, off, s[0:3], 0 offset:208
	buffer_load_dword v81, off, s[0:3], 0 offset:220
	buffer_load_dword v80, off, s[0:3], 0 offset:216
	s_waitcnt vmcnt(2)
	v_fmac_f64_e32 v[78:79], v[72:73], v[74:75]
	ds_read2_b64 v[72:75], v70 offset0:61 offset1:62
	s_waitcnt vmcnt(0) lgkmcnt(0)
	v_fmac_f64_e32 v[78:79], v[80:81], v[72:73]
	buffer_load_dword v73, off, s[0:3], 0 offset:228
	buffer_load_dword v72, off, s[0:3], 0 offset:224
	buffer_load_dword v81, off, s[0:3], 0 offset:236
	buffer_load_dword v80, off, s[0:3], 0 offset:232
	s_waitcnt vmcnt(2)
	v_fmac_f64_e32 v[78:79], v[72:73], v[74:75]
	ds_read2_b64 v[72:75], v70 offset0:63 offset1:64
	s_waitcnt vmcnt(0) lgkmcnt(0)
	v_fmac_f64_e32 v[78:79], v[80:81], v[72:73]
	;; [unrolled: 9-line block ×3, first 2 shown]
	buffer_load_dword v73, off, s[0:3], 0 offset:260
	buffer_load_dword v72, off, s[0:3], 0 offset:256
	s_waitcnt vmcnt(0)
	v_fmac_f64_e32 v[78:79], v[72:73], v[74:75]
	buffer_load_dword v73, off, s[0:3], 0 offset:268
	buffer_load_dword v72, off, s[0:3], 0 offset:264
	ds_read_b64 v[74:75], v70 offset:536
	s_waitcnt vmcnt(0) lgkmcnt(0)
	v_fmac_f64_e32 v[78:79], v[72:73], v[74:75]
	v_add_f64 v[72:73], v[76:77], -v[78:79]
	buffer_store_dword v73, off, s[0:3], 0 offset:148
	buffer_store_dword v72, off, s[0:3], 0 offset:144
	s_and_saveexec_b64 s[4:5], vcc
	s_cbranch_execz .LBB33_177
; %bb.176:
	buffer_load_dword v72, off, s[0:3], 0 offset:136
	buffer_load_dword v73, off, s[0:3], 0 offset:140
	s_waitcnt vmcnt(0)
	ds_write_b64 v1, v[72:73]
	buffer_store_dword v70, off, s[0:3], 0 offset:136
	buffer_store_dword v70, off, s[0:3], 0 offset:140
.LBB33_177:
	s_or_b64 exec, exec, s[4:5]
	s_waitcnt lgkmcnt(0)
	; wave barrier
	s_waitcnt lgkmcnt(0)
	buffer_load_dword v88, off, s[0:3], 0 offset:136
	buffer_load_dword v89, off, s[0:3], 0 offset:140
	;; [unrolled: 1-line block ×16, first 2 shown]
	ds_read_b128 v[72:75], v70 offset:416
	ds_read_b128 v[76:79], v70 offset:432
	;; [unrolled: 1-line block ×4, first 2 shown]
	v_cmp_lt_u32_e32 vcc, 16, v0
	s_waitcnt vmcnt(12) lgkmcnt(3)
	v_fma_f64 v[90:91], v[90:91], v[72:73], 0
	buffer_load_dword v73, off, s[0:3], 0 offset:204
	buffer_load_dword v72, off, s[0:3], 0 offset:200
	s_waitcnt vmcnt(12)
	v_fmac_f64_e32 v[90:91], v[92:93], v[74:75]
	s_waitcnt vmcnt(10) lgkmcnt(2)
	v_fmac_f64_e32 v[90:91], v[94:95], v[76:77]
	buffer_load_dword v77, off, s[0:3], 0 offset:212
	buffer_load_dword v76, off, s[0:3], 0 offset:208
	s_waitcnt vmcnt(10)
	v_fmac_f64_e32 v[90:91], v[96:97], v[78:79]
	s_waitcnt vmcnt(8) lgkmcnt(1)
	v_fmac_f64_e32 v[90:91], v[98:99], v[80:81]
	s_waitcnt vmcnt(6)
	v_fmac_f64_e32 v[90:91], v[100:101], v[82:83]
	s_waitcnt vmcnt(4) lgkmcnt(0)
	v_fmac_f64_e32 v[90:91], v[102:103], v[84:85]
	s_waitcnt vmcnt(2)
	v_fmac_f64_e32 v[90:91], v[72:73], v[86:87]
	ds_read_b128 v[72:75], v70 offset:480
	s_waitcnt vmcnt(0) lgkmcnt(0)
	v_fmac_f64_e32 v[90:91], v[76:77], v[72:73]
	buffer_load_dword v73, off, s[0:3], 0 offset:220
	buffer_load_dword v72, off, s[0:3], 0 offset:216
	;; [unrolled: 1-line block ×4, first 2 shown]
	s_waitcnt vmcnt(2)
	v_fmac_f64_e32 v[90:91], v[72:73], v[74:75]
	ds_read_b128 v[72:75], v70 offset:496
	s_waitcnt vmcnt(0) lgkmcnt(0)
	v_fmac_f64_e32 v[90:91], v[76:77], v[72:73]
	buffer_load_dword v73, off, s[0:3], 0 offset:236
	buffer_load_dword v72, off, s[0:3], 0 offset:232
	;; [unrolled: 1-line block ×4, first 2 shown]
	s_waitcnt vmcnt(2)
	v_fmac_f64_e32 v[90:91], v[72:73], v[74:75]
	ds_read_b128 v[72:75], v70 offset:512
	s_waitcnt vmcnt(0) lgkmcnt(0)
	v_fmac_f64_e32 v[90:91], v[76:77], v[72:73]
	buffer_load_dword v73, off, s[0:3], 0 offset:252
	buffer_load_dword v72, off, s[0:3], 0 offset:248
	s_waitcnt vmcnt(0)
	v_fmac_f64_e32 v[90:91], v[72:73], v[74:75]
	buffer_load_dword v75, off, s[0:3], 0 offset:260
	buffer_load_dword v74, off, s[0:3], 0 offset:256
	ds_read_b128 v[70:73], v70 offset:528
	s_waitcnt vmcnt(0) lgkmcnt(0)
	v_fmac_f64_e32 v[90:91], v[74:75], v[70:71]
	buffer_load_dword v71, off, s[0:3], 0 offset:268
	buffer_load_dword v70, off, s[0:3], 0 offset:264
	s_waitcnt vmcnt(0)
	v_fmac_f64_e32 v[90:91], v[70:71], v[72:73]
	v_add_f64 v[70:71], v[88:89], -v[90:91]
	buffer_store_dword v71, off, s[0:3], 0 offset:140
	buffer_store_dword v70, off, s[0:3], 0 offset:136
	s_and_saveexec_b64 s[4:5], vcc
	s_cbranch_execz .LBB33_179
; %bb.178:
	buffer_load_dword v70, off, s[0:3], 0 offset:128
	buffer_load_dword v71, off, s[0:3], 0 offset:132
	v_mov_b32_e32 v72, 0
	buffer_store_dword v72, off, s[0:3], 0 offset:128
	buffer_store_dword v72, off, s[0:3], 0 offset:132
	s_waitcnt vmcnt(2)
	ds_write_b64 v1, v[70:71]
.LBB33_179:
	s_or_b64 exec, exec, s[4:5]
	s_waitcnt lgkmcnt(0)
	; wave barrier
	s_waitcnt lgkmcnt(0)
	buffer_load_dword v70, off, s[0:3], 0 offset:128
	buffer_load_dword v71, off, s[0:3], 0 offset:132
	;; [unrolled: 1-line block ×16, first 2 shown]
	v_mov_b32_e32 v74, 0
	ds_read2_b64 v[76:79], v74 offset0:51 offset1:52
	v_cmp_lt_u32_e32 vcc, 15, v0
	s_waitcnt vmcnt(12) lgkmcnt(0)
	v_fma_f64 v[72:73], v[72:73], v[76:77], 0
	s_waitcnt vmcnt(10)
	v_fmac_f64_e32 v[72:73], v[80:81], v[78:79]
	ds_read2_b64 v[76:79], v74 offset0:53 offset1:54
	s_waitcnt vmcnt(8) lgkmcnt(0)
	v_fmac_f64_e32 v[72:73], v[82:83], v[76:77]
	s_waitcnt vmcnt(6)
	v_fmac_f64_e32 v[72:73], v[84:85], v[78:79]
	ds_read2_b64 v[76:79], v74 offset0:55 offset1:56
	s_waitcnt vmcnt(4) lgkmcnt(0)
	v_fmac_f64_e32 v[72:73], v[86:87], v[76:77]
	;; [unrolled: 5-line block ×3, first 2 shown]
	buffer_load_dword v77, off, s[0:3], 0 offset:196
	buffer_load_dword v76, off, s[0:3], 0 offset:192
	buffer_load_dword v81, off, s[0:3], 0 offset:204
	buffer_load_dword v80, off, s[0:3], 0 offset:200
	s_waitcnt vmcnt(2)
	v_fmac_f64_e32 v[72:73], v[76:77], v[78:79]
	ds_read2_b64 v[76:79], v74 offset0:59 offset1:60
	s_waitcnt vmcnt(0) lgkmcnt(0)
	v_fmac_f64_e32 v[72:73], v[80:81], v[76:77]
	buffer_load_dword v77, off, s[0:3], 0 offset:212
	buffer_load_dword v76, off, s[0:3], 0 offset:208
	buffer_load_dword v81, off, s[0:3], 0 offset:220
	buffer_load_dword v80, off, s[0:3], 0 offset:216
	s_waitcnt vmcnt(2)
	v_fmac_f64_e32 v[72:73], v[76:77], v[78:79]
	ds_read2_b64 v[76:79], v74 offset0:61 offset1:62
	s_waitcnt vmcnt(0) lgkmcnt(0)
	v_fmac_f64_e32 v[72:73], v[80:81], v[76:77]
	;; [unrolled: 9-line block ×4, first 2 shown]
	buffer_load_dword v77, off, s[0:3], 0 offset:260
	buffer_load_dword v76, off, s[0:3], 0 offset:256
	s_waitcnt vmcnt(0)
	v_fmac_f64_e32 v[72:73], v[76:77], v[78:79]
	buffer_load_dword v77, off, s[0:3], 0 offset:268
	buffer_load_dword v76, off, s[0:3], 0 offset:264
	ds_read_b64 v[78:79], v74 offset:536
	s_waitcnt vmcnt(0) lgkmcnt(0)
	v_fmac_f64_e32 v[72:73], v[76:77], v[78:79]
	v_add_f64 v[70:71], v[70:71], -v[72:73]
	buffer_store_dword v71, off, s[0:3], 0 offset:132
	buffer_store_dword v70, off, s[0:3], 0 offset:128
	s_and_saveexec_b64 s[4:5], vcc
	s_cbranch_execz .LBB33_181
; %bb.180:
	buffer_load_dword v70, off, s[0:3], 0 offset:120
	buffer_load_dword v71, off, s[0:3], 0 offset:124
	s_waitcnt vmcnt(0)
	ds_write_b64 v1, v[70:71]
	buffer_store_dword v74, off, s[0:3], 0 offset:120
	buffer_store_dword v74, off, s[0:3], 0 offset:124
.LBB33_181:
	s_or_b64 exec, exec, s[4:5]
	s_waitcnt lgkmcnt(0)
	; wave barrier
	s_waitcnt lgkmcnt(0)
	buffer_load_dword v70, off, s[0:3], 0 offset:120
	buffer_load_dword v71, off, s[0:3], 0 offset:124
	;; [unrolled: 1-line block ×16, first 2 shown]
	ds_read_b128 v[76:79], v74 offset:400
	ds_read_b128 v[80:83], v74 offset:416
	;; [unrolled: 1-line block ×4, first 2 shown]
	v_cmp_lt_u32_e32 vcc, 14, v0
	s_waitcnt vmcnt(12) lgkmcnt(3)
	v_fma_f64 v[72:73], v[72:73], v[76:77], 0
	buffer_load_dword v77, off, s[0:3], 0 offset:188
	buffer_load_dword v76, off, s[0:3], 0 offset:184
	s_waitcnt vmcnt(12)
	v_fmac_f64_e32 v[72:73], v[92:93], v[78:79]
	s_waitcnt vmcnt(10) lgkmcnt(2)
	v_fmac_f64_e32 v[72:73], v[94:95], v[80:81]
	buffer_load_dword v81, off, s[0:3], 0 offset:196
	buffer_load_dword v80, off, s[0:3], 0 offset:192
	s_waitcnt vmcnt(10)
	v_fmac_f64_e32 v[72:73], v[96:97], v[82:83]
	s_waitcnt vmcnt(8) lgkmcnt(1)
	v_fmac_f64_e32 v[72:73], v[98:99], v[84:85]
	s_waitcnt vmcnt(6)
	v_fmac_f64_e32 v[72:73], v[100:101], v[86:87]
	s_waitcnt vmcnt(4) lgkmcnt(0)
	v_fmac_f64_e32 v[72:73], v[102:103], v[88:89]
	s_waitcnt vmcnt(2)
	v_fmac_f64_e32 v[72:73], v[76:77], v[90:91]
	ds_read_b128 v[76:79], v74 offset:464
	s_waitcnt vmcnt(0) lgkmcnt(0)
	v_fmac_f64_e32 v[72:73], v[80:81], v[76:77]
	buffer_load_dword v77, off, s[0:3], 0 offset:204
	buffer_load_dword v76, off, s[0:3], 0 offset:200
	buffer_load_dword v81, off, s[0:3], 0 offset:212
	buffer_load_dword v80, off, s[0:3], 0 offset:208
	s_waitcnt vmcnt(2)
	v_fmac_f64_e32 v[72:73], v[76:77], v[78:79]
	ds_read_b128 v[76:79], v74 offset:480
	s_waitcnt vmcnt(0) lgkmcnt(0)
	v_fmac_f64_e32 v[72:73], v[80:81], v[76:77]
	buffer_load_dword v77, off, s[0:3], 0 offset:220
	buffer_load_dword v76, off, s[0:3], 0 offset:216
	buffer_load_dword v81, off, s[0:3], 0 offset:228
	buffer_load_dword v80, off, s[0:3], 0 offset:224
	;; [unrolled: 9-line block ×3, first 2 shown]
	s_waitcnt vmcnt(2)
	v_fmac_f64_e32 v[72:73], v[76:77], v[78:79]
	ds_read_b128 v[76:79], v74 offset:512
	s_waitcnt vmcnt(0) lgkmcnt(0)
	v_fmac_f64_e32 v[72:73], v[80:81], v[76:77]
	buffer_load_dword v77, off, s[0:3], 0 offset:252
	buffer_load_dword v76, off, s[0:3], 0 offset:248
	s_waitcnt vmcnt(0)
	v_fmac_f64_e32 v[72:73], v[76:77], v[78:79]
	buffer_load_dword v79, off, s[0:3], 0 offset:260
	buffer_load_dword v78, off, s[0:3], 0 offset:256
	ds_read_b128 v[74:77], v74 offset:528
	s_waitcnt vmcnt(0) lgkmcnt(0)
	v_fmac_f64_e32 v[72:73], v[78:79], v[74:75]
	buffer_load_dword v75, off, s[0:3], 0 offset:268
	buffer_load_dword v74, off, s[0:3], 0 offset:264
	s_waitcnt vmcnt(0)
	v_fmac_f64_e32 v[72:73], v[74:75], v[76:77]
	v_add_f64 v[70:71], v[70:71], -v[72:73]
	buffer_store_dword v71, off, s[0:3], 0 offset:124
	buffer_store_dword v70, off, s[0:3], 0 offset:120
	s_and_saveexec_b64 s[4:5], vcc
	s_cbranch_execz .LBB33_183
; %bb.182:
	buffer_load_dword v70, off, s[0:3], 0 offset:112
	buffer_load_dword v71, off, s[0:3], 0 offset:116
	v_mov_b32_e32 v72, 0
	buffer_store_dword v72, off, s[0:3], 0 offset:112
	buffer_store_dword v72, off, s[0:3], 0 offset:116
	s_waitcnt vmcnt(2)
	ds_write_b64 v1, v[70:71]
.LBB33_183:
	s_or_b64 exec, exec, s[4:5]
	s_waitcnt lgkmcnt(0)
	; wave barrier
	s_waitcnt lgkmcnt(0)
	buffer_load_dword v70, off, s[0:3], 0 offset:112
	buffer_load_dword v71, off, s[0:3], 0 offset:116
	;; [unrolled: 1-line block ×16, first 2 shown]
	v_mov_b32_e32 v74, 0
	ds_read2_b64 v[76:79], v74 offset0:49 offset1:50
	v_cmp_lt_u32_e32 vcc, 13, v0
	s_waitcnt vmcnt(12) lgkmcnt(0)
	v_fma_f64 v[72:73], v[72:73], v[76:77], 0
	s_waitcnt vmcnt(10)
	v_fmac_f64_e32 v[72:73], v[80:81], v[78:79]
	ds_read2_b64 v[76:79], v74 offset0:51 offset1:52
	s_waitcnt vmcnt(8) lgkmcnt(0)
	v_fmac_f64_e32 v[72:73], v[82:83], v[76:77]
	s_waitcnt vmcnt(6)
	v_fmac_f64_e32 v[72:73], v[84:85], v[78:79]
	ds_read2_b64 v[76:79], v74 offset0:53 offset1:54
	s_waitcnt vmcnt(4) lgkmcnt(0)
	v_fmac_f64_e32 v[72:73], v[86:87], v[76:77]
	;; [unrolled: 5-line block ×3, first 2 shown]
	buffer_load_dword v77, off, s[0:3], 0 offset:180
	buffer_load_dword v76, off, s[0:3], 0 offset:176
	buffer_load_dword v81, off, s[0:3], 0 offset:188
	buffer_load_dword v80, off, s[0:3], 0 offset:184
	s_waitcnt vmcnt(2)
	v_fmac_f64_e32 v[72:73], v[76:77], v[78:79]
	ds_read2_b64 v[76:79], v74 offset0:57 offset1:58
	s_waitcnt vmcnt(0) lgkmcnt(0)
	v_fmac_f64_e32 v[72:73], v[80:81], v[76:77]
	buffer_load_dword v77, off, s[0:3], 0 offset:196
	buffer_load_dword v76, off, s[0:3], 0 offset:192
	buffer_load_dword v81, off, s[0:3], 0 offset:204
	buffer_load_dword v80, off, s[0:3], 0 offset:200
	s_waitcnt vmcnt(2)
	v_fmac_f64_e32 v[72:73], v[76:77], v[78:79]
	ds_read2_b64 v[76:79], v74 offset0:59 offset1:60
	s_waitcnt vmcnt(0) lgkmcnt(0)
	v_fmac_f64_e32 v[72:73], v[80:81], v[76:77]
	;; [unrolled: 9-line block ×5, first 2 shown]
	buffer_load_dword v77, off, s[0:3], 0 offset:260
	buffer_load_dword v76, off, s[0:3], 0 offset:256
	s_waitcnt vmcnt(0)
	v_fmac_f64_e32 v[72:73], v[76:77], v[78:79]
	buffer_load_dword v77, off, s[0:3], 0 offset:268
	buffer_load_dword v76, off, s[0:3], 0 offset:264
	ds_read_b64 v[78:79], v74 offset:536
	s_waitcnt vmcnt(0) lgkmcnt(0)
	v_fmac_f64_e32 v[72:73], v[76:77], v[78:79]
	v_add_f64 v[70:71], v[70:71], -v[72:73]
	buffer_store_dword v71, off, s[0:3], 0 offset:116
	buffer_store_dword v70, off, s[0:3], 0 offset:112
	s_and_saveexec_b64 s[4:5], vcc
	s_cbranch_execz .LBB33_185
; %bb.184:
	buffer_load_dword v70, off, s[0:3], 0 offset:104
	buffer_load_dword v71, off, s[0:3], 0 offset:108
	s_waitcnt vmcnt(0)
	ds_write_b64 v1, v[70:71]
	buffer_store_dword v74, off, s[0:3], 0 offset:104
	buffer_store_dword v74, off, s[0:3], 0 offset:108
.LBB33_185:
	s_or_b64 exec, exec, s[4:5]
	s_waitcnt lgkmcnt(0)
	; wave barrier
	s_waitcnt lgkmcnt(0)
	buffer_load_dword v70, off, s[0:3], 0 offset:104
	buffer_load_dword v71, off, s[0:3], 0 offset:108
	;; [unrolled: 1-line block ×16, first 2 shown]
	ds_read_b128 v[76:79], v74 offset:384
	ds_read_b128 v[80:83], v74 offset:400
	;; [unrolled: 1-line block ×4, first 2 shown]
	v_cmp_lt_u32_e32 vcc, 12, v0
	s_waitcnt vmcnt(12) lgkmcnt(3)
	v_fma_f64 v[72:73], v[72:73], v[76:77], 0
	buffer_load_dword v77, off, s[0:3], 0 offset:172
	buffer_load_dword v76, off, s[0:3], 0 offset:168
	s_waitcnt vmcnt(12)
	v_fmac_f64_e32 v[72:73], v[92:93], v[78:79]
	s_waitcnt vmcnt(10) lgkmcnt(2)
	v_fmac_f64_e32 v[72:73], v[94:95], v[80:81]
	buffer_load_dword v81, off, s[0:3], 0 offset:180
	buffer_load_dword v80, off, s[0:3], 0 offset:176
	s_waitcnt vmcnt(10)
	v_fmac_f64_e32 v[72:73], v[96:97], v[82:83]
	s_waitcnt vmcnt(8) lgkmcnt(1)
	v_fmac_f64_e32 v[72:73], v[98:99], v[84:85]
	s_waitcnt vmcnt(6)
	v_fmac_f64_e32 v[72:73], v[100:101], v[86:87]
	s_waitcnt vmcnt(4) lgkmcnt(0)
	v_fmac_f64_e32 v[72:73], v[102:103], v[88:89]
	s_waitcnt vmcnt(2)
	v_fmac_f64_e32 v[72:73], v[76:77], v[90:91]
	ds_read_b128 v[76:79], v74 offset:448
	s_waitcnt vmcnt(0) lgkmcnt(0)
	v_fmac_f64_e32 v[72:73], v[80:81], v[76:77]
	buffer_load_dword v77, off, s[0:3], 0 offset:188
	buffer_load_dword v76, off, s[0:3], 0 offset:184
	buffer_load_dword v81, off, s[0:3], 0 offset:196
	buffer_load_dword v80, off, s[0:3], 0 offset:192
	s_waitcnt vmcnt(2)
	v_fmac_f64_e32 v[72:73], v[76:77], v[78:79]
	ds_read_b128 v[76:79], v74 offset:464
	s_waitcnt vmcnt(0) lgkmcnt(0)
	v_fmac_f64_e32 v[72:73], v[80:81], v[76:77]
	buffer_load_dword v77, off, s[0:3], 0 offset:204
	buffer_load_dword v76, off, s[0:3], 0 offset:200
	buffer_load_dword v81, off, s[0:3], 0 offset:212
	buffer_load_dword v80, off, s[0:3], 0 offset:208
	;; [unrolled: 9-line block ×4, first 2 shown]
	s_waitcnt vmcnt(2)
	v_fmac_f64_e32 v[72:73], v[76:77], v[78:79]
	ds_read_b128 v[76:79], v74 offset:512
	s_waitcnt vmcnt(0) lgkmcnt(0)
	v_fmac_f64_e32 v[72:73], v[80:81], v[76:77]
	buffer_load_dword v77, off, s[0:3], 0 offset:252
	buffer_load_dword v76, off, s[0:3], 0 offset:248
	s_waitcnt vmcnt(0)
	v_fmac_f64_e32 v[72:73], v[76:77], v[78:79]
	buffer_load_dword v79, off, s[0:3], 0 offset:260
	buffer_load_dword v78, off, s[0:3], 0 offset:256
	ds_read_b128 v[74:77], v74 offset:528
	s_waitcnt vmcnt(0) lgkmcnt(0)
	v_fmac_f64_e32 v[72:73], v[78:79], v[74:75]
	buffer_load_dword v75, off, s[0:3], 0 offset:268
	buffer_load_dword v74, off, s[0:3], 0 offset:264
	s_waitcnt vmcnt(0)
	v_fmac_f64_e32 v[72:73], v[74:75], v[76:77]
	v_add_f64 v[70:71], v[70:71], -v[72:73]
	buffer_store_dword v71, off, s[0:3], 0 offset:108
	buffer_store_dword v70, off, s[0:3], 0 offset:104
	s_and_saveexec_b64 s[4:5], vcc
	s_cbranch_execz .LBB33_187
; %bb.186:
	buffer_load_dword v70, off, s[0:3], 0 offset:96
	buffer_load_dword v71, off, s[0:3], 0 offset:100
	v_mov_b32_e32 v72, 0
	buffer_store_dword v72, off, s[0:3], 0 offset:96
	buffer_store_dword v72, off, s[0:3], 0 offset:100
	s_waitcnt vmcnt(2)
	ds_write_b64 v1, v[70:71]
.LBB33_187:
	s_or_b64 exec, exec, s[4:5]
	s_waitcnt lgkmcnt(0)
	; wave barrier
	s_waitcnt lgkmcnt(0)
	buffer_load_dword v70, off, s[0:3], 0 offset:96
	buffer_load_dword v71, off, s[0:3], 0 offset:100
	;; [unrolled: 1-line block ×16, first 2 shown]
	v_mov_b32_e32 v74, 0
	ds_read2_b64 v[76:79], v74 offset0:47 offset1:48
	v_cmp_lt_u32_e32 vcc, 11, v0
	s_waitcnt vmcnt(12) lgkmcnt(0)
	v_fma_f64 v[72:73], v[72:73], v[76:77], 0
	s_waitcnt vmcnt(10)
	v_fmac_f64_e32 v[72:73], v[80:81], v[78:79]
	ds_read2_b64 v[76:79], v74 offset0:49 offset1:50
	s_waitcnt vmcnt(8) lgkmcnt(0)
	v_fmac_f64_e32 v[72:73], v[82:83], v[76:77]
	s_waitcnt vmcnt(6)
	v_fmac_f64_e32 v[72:73], v[84:85], v[78:79]
	ds_read2_b64 v[76:79], v74 offset0:51 offset1:52
	s_waitcnt vmcnt(4) lgkmcnt(0)
	v_fmac_f64_e32 v[72:73], v[86:87], v[76:77]
	;; [unrolled: 5-line block ×3, first 2 shown]
	buffer_load_dword v77, off, s[0:3], 0 offset:164
	buffer_load_dword v76, off, s[0:3], 0 offset:160
	buffer_load_dword v81, off, s[0:3], 0 offset:172
	buffer_load_dword v80, off, s[0:3], 0 offset:168
	s_waitcnt vmcnt(2)
	v_fmac_f64_e32 v[72:73], v[76:77], v[78:79]
	ds_read2_b64 v[76:79], v74 offset0:55 offset1:56
	s_waitcnt vmcnt(0) lgkmcnt(0)
	v_fmac_f64_e32 v[72:73], v[80:81], v[76:77]
	buffer_load_dword v77, off, s[0:3], 0 offset:180
	buffer_load_dword v76, off, s[0:3], 0 offset:176
	buffer_load_dword v81, off, s[0:3], 0 offset:188
	buffer_load_dword v80, off, s[0:3], 0 offset:184
	s_waitcnt vmcnt(2)
	v_fmac_f64_e32 v[72:73], v[76:77], v[78:79]
	ds_read2_b64 v[76:79], v74 offset0:57 offset1:58
	s_waitcnt vmcnt(0) lgkmcnt(0)
	v_fmac_f64_e32 v[72:73], v[80:81], v[76:77]
	;; [unrolled: 9-line block ×6, first 2 shown]
	buffer_load_dword v77, off, s[0:3], 0 offset:260
	buffer_load_dword v76, off, s[0:3], 0 offset:256
	s_waitcnt vmcnt(0)
	v_fmac_f64_e32 v[72:73], v[76:77], v[78:79]
	buffer_load_dword v77, off, s[0:3], 0 offset:268
	buffer_load_dword v76, off, s[0:3], 0 offset:264
	ds_read_b64 v[78:79], v74 offset:536
	s_waitcnt vmcnt(0) lgkmcnt(0)
	v_fmac_f64_e32 v[72:73], v[76:77], v[78:79]
	v_add_f64 v[70:71], v[70:71], -v[72:73]
	buffer_store_dword v71, off, s[0:3], 0 offset:100
	buffer_store_dword v70, off, s[0:3], 0 offset:96
	s_and_saveexec_b64 s[4:5], vcc
	s_cbranch_execz .LBB33_189
; %bb.188:
	buffer_load_dword v70, off, s[0:3], 0 offset:88
	buffer_load_dword v71, off, s[0:3], 0 offset:92
	s_waitcnt vmcnt(0)
	ds_write_b64 v1, v[70:71]
	buffer_store_dword v74, off, s[0:3], 0 offset:88
	buffer_store_dword v74, off, s[0:3], 0 offset:92
.LBB33_189:
	s_or_b64 exec, exec, s[4:5]
	s_waitcnt lgkmcnt(0)
	; wave barrier
	s_waitcnt lgkmcnt(0)
	buffer_load_dword v70, off, s[0:3], 0 offset:88
	buffer_load_dword v71, off, s[0:3], 0 offset:92
	buffer_load_dword v72, off, s[0:3], 0 offset:96
	buffer_load_dword v73, off, s[0:3], 0 offset:100
	buffer_load_dword v92, off, s[0:3], 0 offset:104
	buffer_load_dword v93, off, s[0:3], 0 offset:108
	buffer_load_dword v94, off, s[0:3], 0 offset:112
	buffer_load_dword v95, off, s[0:3], 0 offset:116
	buffer_load_dword v96, off, s[0:3], 0 offset:120
	buffer_load_dword v97, off, s[0:3], 0 offset:124
	buffer_load_dword v98, off, s[0:3], 0 offset:128
	buffer_load_dword v99, off, s[0:3], 0 offset:132
	buffer_load_dword v100, off, s[0:3], 0 offset:136
	buffer_load_dword v101, off, s[0:3], 0 offset:140
	buffer_load_dword v102, off, s[0:3], 0 offset:144
	buffer_load_dword v103, off, s[0:3], 0 offset:148
	ds_read_b128 v[76:79], v74 offset:368
	ds_read_b128 v[80:83], v74 offset:384
	;; [unrolled: 1-line block ×4, first 2 shown]
	v_cmp_lt_u32_e32 vcc, 10, v0
	s_waitcnt vmcnt(12) lgkmcnt(3)
	v_fma_f64 v[72:73], v[72:73], v[76:77], 0
	buffer_load_dword v77, off, s[0:3], 0 offset:156
	buffer_load_dword v76, off, s[0:3], 0 offset:152
	s_waitcnt vmcnt(12)
	v_fmac_f64_e32 v[72:73], v[92:93], v[78:79]
	s_waitcnt vmcnt(10) lgkmcnt(2)
	v_fmac_f64_e32 v[72:73], v[94:95], v[80:81]
	buffer_load_dword v81, off, s[0:3], 0 offset:164
	buffer_load_dword v80, off, s[0:3], 0 offset:160
	s_waitcnt vmcnt(10)
	v_fmac_f64_e32 v[72:73], v[96:97], v[82:83]
	s_waitcnt vmcnt(8) lgkmcnt(1)
	v_fmac_f64_e32 v[72:73], v[98:99], v[84:85]
	s_waitcnt vmcnt(6)
	v_fmac_f64_e32 v[72:73], v[100:101], v[86:87]
	s_waitcnt vmcnt(4) lgkmcnt(0)
	v_fmac_f64_e32 v[72:73], v[102:103], v[88:89]
	s_waitcnt vmcnt(2)
	v_fmac_f64_e32 v[72:73], v[76:77], v[90:91]
	ds_read_b128 v[76:79], v74 offset:432
	s_waitcnt vmcnt(0) lgkmcnt(0)
	v_fmac_f64_e32 v[72:73], v[80:81], v[76:77]
	buffer_load_dword v77, off, s[0:3], 0 offset:172
	buffer_load_dword v76, off, s[0:3], 0 offset:168
	buffer_load_dword v81, off, s[0:3], 0 offset:180
	buffer_load_dword v80, off, s[0:3], 0 offset:176
	s_waitcnt vmcnt(2)
	v_fmac_f64_e32 v[72:73], v[76:77], v[78:79]
	ds_read_b128 v[76:79], v74 offset:448
	s_waitcnt vmcnt(0) lgkmcnt(0)
	v_fmac_f64_e32 v[72:73], v[80:81], v[76:77]
	buffer_load_dword v77, off, s[0:3], 0 offset:188
	buffer_load_dword v76, off, s[0:3], 0 offset:184
	buffer_load_dword v81, off, s[0:3], 0 offset:196
	buffer_load_dword v80, off, s[0:3], 0 offset:192
	;; [unrolled: 9-line block ×5, first 2 shown]
	s_waitcnt vmcnt(2)
	v_fmac_f64_e32 v[72:73], v[76:77], v[78:79]
	ds_read_b128 v[76:79], v74 offset:512
	s_waitcnt vmcnt(0) lgkmcnt(0)
	v_fmac_f64_e32 v[72:73], v[80:81], v[76:77]
	buffer_load_dword v77, off, s[0:3], 0 offset:252
	buffer_load_dword v76, off, s[0:3], 0 offset:248
	s_waitcnt vmcnt(0)
	v_fmac_f64_e32 v[72:73], v[76:77], v[78:79]
	buffer_load_dword v79, off, s[0:3], 0 offset:260
	buffer_load_dword v78, off, s[0:3], 0 offset:256
	ds_read_b128 v[74:77], v74 offset:528
	s_waitcnt vmcnt(0) lgkmcnt(0)
	v_fmac_f64_e32 v[72:73], v[78:79], v[74:75]
	buffer_load_dword v75, off, s[0:3], 0 offset:268
	buffer_load_dword v74, off, s[0:3], 0 offset:264
	s_waitcnt vmcnt(0)
	v_fmac_f64_e32 v[72:73], v[74:75], v[76:77]
	v_add_f64 v[70:71], v[70:71], -v[72:73]
	buffer_store_dword v71, off, s[0:3], 0 offset:92
	buffer_store_dword v70, off, s[0:3], 0 offset:88
	s_and_saveexec_b64 s[4:5], vcc
	s_cbranch_execz .LBB33_191
; %bb.190:
	buffer_load_dword v70, off, s[0:3], 0 offset:80
	buffer_load_dword v71, off, s[0:3], 0 offset:84
	v_mov_b32_e32 v72, 0
	buffer_store_dword v72, off, s[0:3], 0 offset:80
	buffer_store_dword v72, off, s[0:3], 0 offset:84
	s_waitcnt vmcnt(2)
	ds_write_b64 v1, v[70:71]
.LBB33_191:
	s_or_b64 exec, exec, s[4:5]
	s_waitcnt lgkmcnt(0)
	; wave barrier
	s_waitcnt lgkmcnt(0)
	buffer_load_dword v70, off, s[0:3], 0 offset:80
	buffer_load_dword v71, off, s[0:3], 0 offset:84
	;; [unrolled: 1-line block ×16, first 2 shown]
	v_mov_b32_e32 v74, 0
	ds_read2_b64 v[76:79], v74 offset0:45 offset1:46
	v_cmp_lt_u32_e32 vcc, 9, v0
	s_waitcnt vmcnt(12) lgkmcnt(0)
	v_fma_f64 v[72:73], v[72:73], v[76:77], 0
	s_waitcnt vmcnt(10)
	v_fmac_f64_e32 v[72:73], v[80:81], v[78:79]
	ds_read2_b64 v[76:79], v74 offset0:47 offset1:48
	s_waitcnt vmcnt(8) lgkmcnt(0)
	v_fmac_f64_e32 v[72:73], v[82:83], v[76:77]
	s_waitcnt vmcnt(6)
	v_fmac_f64_e32 v[72:73], v[84:85], v[78:79]
	ds_read2_b64 v[76:79], v74 offset0:49 offset1:50
	s_waitcnt vmcnt(4) lgkmcnt(0)
	v_fmac_f64_e32 v[72:73], v[86:87], v[76:77]
	;; [unrolled: 5-line block ×3, first 2 shown]
	buffer_load_dword v77, off, s[0:3], 0 offset:148
	buffer_load_dword v76, off, s[0:3], 0 offset:144
	buffer_load_dword v81, off, s[0:3], 0 offset:156
	buffer_load_dword v80, off, s[0:3], 0 offset:152
	s_waitcnt vmcnt(2)
	v_fmac_f64_e32 v[72:73], v[76:77], v[78:79]
	ds_read2_b64 v[76:79], v74 offset0:53 offset1:54
	s_waitcnt vmcnt(0) lgkmcnt(0)
	v_fmac_f64_e32 v[72:73], v[80:81], v[76:77]
	buffer_load_dword v77, off, s[0:3], 0 offset:164
	buffer_load_dword v76, off, s[0:3], 0 offset:160
	buffer_load_dword v81, off, s[0:3], 0 offset:172
	buffer_load_dword v80, off, s[0:3], 0 offset:168
	s_waitcnt vmcnt(2)
	v_fmac_f64_e32 v[72:73], v[76:77], v[78:79]
	ds_read2_b64 v[76:79], v74 offset0:55 offset1:56
	s_waitcnt vmcnt(0) lgkmcnt(0)
	v_fmac_f64_e32 v[72:73], v[80:81], v[76:77]
	;; [unrolled: 9-line block ×7, first 2 shown]
	buffer_load_dword v77, off, s[0:3], 0 offset:260
	buffer_load_dword v76, off, s[0:3], 0 offset:256
	s_waitcnt vmcnt(0)
	v_fmac_f64_e32 v[72:73], v[76:77], v[78:79]
	buffer_load_dword v77, off, s[0:3], 0 offset:268
	buffer_load_dword v76, off, s[0:3], 0 offset:264
	ds_read_b64 v[78:79], v74 offset:536
	s_waitcnt vmcnt(0) lgkmcnt(0)
	v_fmac_f64_e32 v[72:73], v[76:77], v[78:79]
	v_add_f64 v[70:71], v[70:71], -v[72:73]
	buffer_store_dword v71, off, s[0:3], 0 offset:84
	buffer_store_dword v70, off, s[0:3], 0 offset:80
	s_and_saveexec_b64 s[4:5], vcc
	s_cbranch_execz .LBB33_193
; %bb.192:
	buffer_load_dword v70, off, s[0:3], 0 offset:72
	buffer_load_dword v71, off, s[0:3], 0 offset:76
	s_waitcnt vmcnt(0)
	ds_write_b64 v1, v[70:71]
	buffer_store_dword v74, off, s[0:3], 0 offset:72
	buffer_store_dword v74, off, s[0:3], 0 offset:76
.LBB33_193:
	s_or_b64 exec, exec, s[4:5]
	s_waitcnt lgkmcnt(0)
	; wave barrier
	s_waitcnt lgkmcnt(0)
	buffer_load_dword v70, off, s[0:3], 0 offset:72
	buffer_load_dword v71, off, s[0:3], 0 offset:76
	buffer_load_dword v72, off, s[0:3], 0 offset:80
	buffer_load_dword v73, off, s[0:3], 0 offset:84
	buffer_load_dword v92, off, s[0:3], 0 offset:88
	buffer_load_dword v93, off, s[0:3], 0 offset:92
	buffer_load_dword v94, off, s[0:3], 0 offset:96
	buffer_load_dword v95, off, s[0:3], 0 offset:100
	buffer_load_dword v96, off, s[0:3], 0 offset:104
	buffer_load_dword v97, off, s[0:3], 0 offset:108
	buffer_load_dword v98, off, s[0:3], 0 offset:112
	buffer_load_dword v99, off, s[0:3], 0 offset:116
	buffer_load_dword v100, off, s[0:3], 0 offset:120
	buffer_load_dword v101, off, s[0:3], 0 offset:124
	buffer_load_dword v102, off, s[0:3], 0 offset:128
	buffer_load_dword v103, off, s[0:3], 0 offset:132
	ds_read_b128 v[76:79], v74 offset:352
	ds_read_b128 v[80:83], v74 offset:368
	;; [unrolled: 1-line block ×4, first 2 shown]
	v_cmp_lt_u32_e32 vcc, 8, v0
	s_waitcnt vmcnt(12) lgkmcnt(3)
	v_fma_f64 v[72:73], v[72:73], v[76:77], 0
	buffer_load_dword v77, off, s[0:3], 0 offset:140
	buffer_load_dword v76, off, s[0:3], 0 offset:136
	s_waitcnt vmcnt(12)
	v_fmac_f64_e32 v[72:73], v[92:93], v[78:79]
	s_waitcnt vmcnt(10) lgkmcnt(2)
	v_fmac_f64_e32 v[72:73], v[94:95], v[80:81]
	buffer_load_dword v81, off, s[0:3], 0 offset:148
	buffer_load_dword v80, off, s[0:3], 0 offset:144
	s_waitcnt vmcnt(10)
	v_fmac_f64_e32 v[72:73], v[96:97], v[82:83]
	s_waitcnt vmcnt(8) lgkmcnt(1)
	v_fmac_f64_e32 v[72:73], v[98:99], v[84:85]
	s_waitcnt vmcnt(6)
	v_fmac_f64_e32 v[72:73], v[100:101], v[86:87]
	s_waitcnt vmcnt(4) lgkmcnt(0)
	v_fmac_f64_e32 v[72:73], v[102:103], v[88:89]
	s_waitcnt vmcnt(2)
	v_fmac_f64_e32 v[72:73], v[76:77], v[90:91]
	ds_read_b128 v[76:79], v74 offset:416
	s_waitcnt vmcnt(0) lgkmcnt(0)
	v_fmac_f64_e32 v[72:73], v[80:81], v[76:77]
	buffer_load_dword v77, off, s[0:3], 0 offset:156
	buffer_load_dword v76, off, s[0:3], 0 offset:152
	buffer_load_dword v81, off, s[0:3], 0 offset:164
	buffer_load_dword v80, off, s[0:3], 0 offset:160
	s_waitcnt vmcnt(2)
	v_fmac_f64_e32 v[72:73], v[76:77], v[78:79]
	ds_read_b128 v[76:79], v74 offset:432
	s_waitcnt vmcnt(0) lgkmcnt(0)
	v_fmac_f64_e32 v[72:73], v[80:81], v[76:77]
	buffer_load_dword v77, off, s[0:3], 0 offset:172
	buffer_load_dword v76, off, s[0:3], 0 offset:168
	buffer_load_dword v81, off, s[0:3], 0 offset:180
	buffer_load_dword v80, off, s[0:3], 0 offset:176
	;; [unrolled: 9-line block ×6, first 2 shown]
	s_waitcnt vmcnt(2)
	v_fmac_f64_e32 v[72:73], v[76:77], v[78:79]
	ds_read_b128 v[76:79], v74 offset:512
	s_waitcnt vmcnt(0) lgkmcnt(0)
	v_fmac_f64_e32 v[72:73], v[80:81], v[76:77]
	buffer_load_dword v77, off, s[0:3], 0 offset:252
	buffer_load_dword v76, off, s[0:3], 0 offset:248
	s_waitcnt vmcnt(0)
	v_fmac_f64_e32 v[72:73], v[76:77], v[78:79]
	buffer_load_dword v79, off, s[0:3], 0 offset:260
	buffer_load_dword v78, off, s[0:3], 0 offset:256
	ds_read_b128 v[74:77], v74 offset:528
	s_waitcnt vmcnt(0) lgkmcnt(0)
	v_fmac_f64_e32 v[72:73], v[78:79], v[74:75]
	buffer_load_dword v75, off, s[0:3], 0 offset:268
	buffer_load_dword v74, off, s[0:3], 0 offset:264
	s_waitcnt vmcnt(0)
	v_fmac_f64_e32 v[72:73], v[74:75], v[76:77]
	v_add_f64 v[70:71], v[70:71], -v[72:73]
	buffer_store_dword v71, off, s[0:3], 0 offset:76
	buffer_store_dword v70, off, s[0:3], 0 offset:72
	s_and_saveexec_b64 s[4:5], vcc
	s_cbranch_execz .LBB33_195
; %bb.194:
	buffer_load_dword v70, off, s[0:3], 0 offset:64
	buffer_load_dword v71, off, s[0:3], 0 offset:68
	v_mov_b32_e32 v72, 0
	buffer_store_dword v72, off, s[0:3], 0 offset:64
	buffer_store_dword v72, off, s[0:3], 0 offset:68
	s_waitcnt vmcnt(2)
	ds_write_b64 v1, v[70:71]
.LBB33_195:
	s_or_b64 exec, exec, s[4:5]
	s_waitcnt lgkmcnt(0)
	; wave barrier
	s_waitcnt lgkmcnt(0)
	buffer_load_dword v70, off, s[0:3], 0 offset:64
	buffer_load_dword v71, off, s[0:3], 0 offset:68
	;; [unrolled: 1-line block ×16, first 2 shown]
	v_mov_b32_e32 v74, 0
	ds_read2_b64 v[76:79], v74 offset0:43 offset1:44
	v_cmp_lt_u32_e32 vcc, 7, v0
	s_waitcnt vmcnt(12) lgkmcnt(0)
	v_fma_f64 v[72:73], v[72:73], v[76:77], 0
	s_waitcnt vmcnt(10)
	v_fmac_f64_e32 v[72:73], v[80:81], v[78:79]
	ds_read2_b64 v[76:79], v74 offset0:45 offset1:46
	s_waitcnt vmcnt(8) lgkmcnt(0)
	v_fmac_f64_e32 v[72:73], v[82:83], v[76:77]
	s_waitcnt vmcnt(6)
	v_fmac_f64_e32 v[72:73], v[84:85], v[78:79]
	ds_read2_b64 v[76:79], v74 offset0:47 offset1:48
	s_waitcnt vmcnt(4) lgkmcnt(0)
	v_fmac_f64_e32 v[72:73], v[86:87], v[76:77]
	s_waitcnt vmcnt(2)
	v_fmac_f64_e32 v[72:73], v[88:89], v[78:79]
	ds_read2_b64 v[76:79], v74 offset0:49 offset1:50
	s_waitcnt vmcnt(0) lgkmcnt(0)
	v_fmac_f64_e32 v[72:73], v[90:91], v[76:77]
	buffer_load_dword v77, off, s[0:3], 0 offset:132
	buffer_load_dword v76, off, s[0:3], 0 offset:128
	buffer_load_dword v81, off, s[0:3], 0 offset:140
	buffer_load_dword v80, off, s[0:3], 0 offset:136
	s_waitcnt vmcnt(2)
	v_fmac_f64_e32 v[72:73], v[76:77], v[78:79]
	ds_read2_b64 v[76:79], v74 offset0:51 offset1:52
	s_waitcnt vmcnt(0) lgkmcnt(0)
	v_fmac_f64_e32 v[72:73], v[80:81], v[76:77]
	buffer_load_dword v77, off, s[0:3], 0 offset:148
	buffer_load_dword v76, off, s[0:3], 0 offset:144
	buffer_load_dword v81, off, s[0:3], 0 offset:156
	buffer_load_dword v80, off, s[0:3], 0 offset:152
	s_waitcnt vmcnt(2)
	v_fmac_f64_e32 v[72:73], v[76:77], v[78:79]
	ds_read2_b64 v[76:79], v74 offset0:53 offset1:54
	s_waitcnt vmcnt(0) lgkmcnt(0)
	v_fmac_f64_e32 v[72:73], v[80:81], v[76:77]
	;; [unrolled: 9-line block ×8, first 2 shown]
	buffer_load_dword v77, off, s[0:3], 0 offset:260
	buffer_load_dword v76, off, s[0:3], 0 offset:256
	s_waitcnt vmcnt(0)
	v_fmac_f64_e32 v[72:73], v[76:77], v[78:79]
	buffer_load_dword v77, off, s[0:3], 0 offset:268
	buffer_load_dword v76, off, s[0:3], 0 offset:264
	ds_read_b64 v[78:79], v74 offset:536
	s_waitcnt vmcnt(0) lgkmcnt(0)
	v_fmac_f64_e32 v[72:73], v[76:77], v[78:79]
	v_add_f64 v[70:71], v[70:71], -v[72:73]
	buffer_store_dword v71, off, s[0:3], 0 offset:68
	buffer_store_dword v70, off, s[0:3], 0 offset:64
	s_and_saveexec_b64 s[4:5], vcc
	s_cbranch_execz .LBB33_197
; %bb.196:
	buffer_load_dword v70, off, s[0:3], 0 offset:56
	buffer_load_dword v71, off, s[0:3], 0 offset:60
	s_waitcnt vmcnt(0)
	ds_write_b64 v1, v[70:71]
	buffer_store_dword v74, off, s[0:3], 0 offset:56
	buffer_store_dword v74, off, s[0:3], 0 offset:60
.LBB33_197:
	s_or_b64 exec, exec, s[4:5]
	s_waitcnt lgkmcnt(0)
	; wave barrier
	s_waitcnt lgkmcnt(0)
	buffer_load_dword v70, off, s[0:3], 0 offset:56
	buffer_load_dword v71, off, s[0:3], 0 offset:60
	;; [unrolled: 1-line block ×16, first 2 shown]
	ds_read_b128 v[76:79], v74 offset:336
	ds_read_b128 v[80:83], v74 offset:352
	;; [unrolled: 1-line block ×4, first 2 shown]
	v_cmp_lt_u32_e32 vcc, 6, v0
	s_waitcnt vmcnt(12) lgkmcnt(3)
	v_fma_f64 v[72:73], v[72:73], v[76:77], 0
	buffer_load_dword v77, off, s[0:3], 0 offset:124
	buffer_load_dword v76, off, s[0:3], 0 offset:120
	s_waitcnt vmcnt(12)
	v_fmac_f64_e32 v[72:73], v[92:93], v[78:79]
	s_waitcnt vmcnt(10) lgkmcnt(2)
	v_fmac_f64_e32 v[72:73], v[94:95], v[80:81]
	buffer_load_dword v81, off, s[0:3], 0 offset:132
	buffer_load_dword v80, off, s[0:3], 0 offset:128
	s_waitcnt vmcnt(10)
	v_fmac_f64_e32 v[72:73], v[96:97], v[82:83]
	s_waitcnt vmcnt(8) lgkmcnt(1)
	v_fmac_f64_e32 v[72:73], v[98:99], v[84:85]
	s_waitcnt vmcnt(6)
	v_fmac_f64_e32 v[72:73], v[100:101], v[86:87]
	s_waitcnt vmcnt(4) lgkmcnt(0)
	v_fmac_f64_e32 v[72:73], v[102:103], v[88:89]
	s_waitcnt vmcnt(2)
	v_fmac_f64_e32 v[72:73], v[76:77], v[90:91]
	ds_read_b128 v[76:79], v74 offset:400
	s_waitcnt vmcnt(0) lgkmcnt(0)
	v_fmac_f64_e32 v[72:73], v[80:81], v[76:77]
	buffer_load_dword v77, off, s[0:3], 0 offset:140
	buffer_load_dword v76, off, s[0:3], 0 offset:136
	buffer_load_dword v81, off, s[0:3], 0 offset:148
	buffer_load_dword v80, off, s[0:3], 0 offset:144
	s_waitcnt vmcnt(2)
	v_fmac_f64_e32 v[72:73], v[76:77], v[78:79]
	ds_read_b128 v[76:79], v74 offset:416
	s_waitcnt vmcnt(0) lgkmcnt(0)
	v_fmac_f64_e32 v[72:73], v[80:81], v[76:77]
	buffer_load_dword v77, off, s[0:3], 0 offset:156
	buffer_load_dword v76, off, s[0:3], 0 offset:152
	buffer_load_dword v81, off, s[0:3], 0 offset:164
	buffer_load_dword v80, off, s[0:3], 0 offset:160
	s_waitcnt vmcnt(2)
	v_fmac_f64_e32 v[72:73], v[76:77], v[78:79]
	ds_read_b128 v[76:79], v74 offset:432
	s_waitcnt vmcnt(0) lgkmcnt(0)
	v_fmac_f64_e32 v[72:73], v[80:81], v[76:77]
	buffer_load_dword v77, off, s[0:3], 0 offset:172
	buffer_load_dword v76, off, s[0:3], 0 offset:168
	buffer_load_dword v81, off, s[0:3], 0 offset:180
	buffer_load_dword v80, off, s[0:3], 0 offset:176
	s_waitcnt vmcnt(2)
	v_fmac_f64_e32 v[72:73], v[76:77], v[78:79]
	ds_read_b128 v[76:79], v74 offset:448
	s_waitcnt vmcnt(0) lgkmcnt(0)
	v_fmac_f64_e32 v[72:73], v[80:81], v[76:77]
	buffer_load_dword v77, off, s[0:3], 0 offset:188
	buffer_load_dword v76, off, s[0:3], 0 offset:184
	buffer_load_dword v81, off, s[0:3], 0 offset:196
	buffer_load_dword v80, off, s[0:3], 0 offset:192
	s_waitcnt vmcnt(2)
	v_fmac_f64_e32 v[72:73], v[76:77], v[78:79]
	ds_read_b128 v[76:79], v74 offset:464
	s_waitcnt vmcnt(0) lgkmcnt(0)
	v_fmac_f64_e32 v[72:73], v[80:81], v[76:77]
	buffer_load_dword v77, off, s[0:3], 0 offset:204
	buffer_load_dword v76, off, s[0:3], 0 offset:200
	buffer_load_dword v81, off, s[0:3], 0 offset:212
	buffer_load_dword v80, off, s[0:3], 0 offset:208
	s_waitcnt vmcnt(2)
	v_fmac_f64_e32 v[72:73], v[76:77], v[78:79]
	ds_read_b128 v[76:79], v74 offset:480
	s_waitcnt vmcnt(0) lgkmcnt(0)
	v_fmac_f64_e32 v[72:73], v[80:81], v[76:77]
	buffer_load_dword v77, off, s[0:3], 0 offset:220
	buffer_load_dword v76, off, s[0:3], 0 offset:216
	buffer_load_dword v81, off, s[0:3], 0 offset:228
	buffer_load_dword v80, off, s[0:3], 0 offset:224
	s_waitcnt vmcnt(2)
	v_fmac_f64_e32 v[72:73], v[76:77], v[78:79]
	ds_read_b128 v[76:79], v74 offset:496
	s_waitcnt vmcnt(0) lgkmcnt(0)
	v_fmac_f64_e32 v[72:73], v[80:81], v[76:77]
	buffer_load_dword v77, off, s[0:3], 0 offset:236
	buffer_load_dword v76, off, s[0:3], 0 offset:232
	buffer_load_dword v81, off, s[0:3], 0 offset:244
	buffer_load_dword v80, off, s[0:3], 0 offset:240
	s_waitcnt vmcnt(2)
	v_fmac_f64_e32 v[72:73], v[76:77], v[78:79]
	ds_read_b128 v[76:79], v74 offset:512
	s_waitcnt vmcnt(0) lgkmcnt(0)
	v_fmac_f64_e32 v[72:73], v[80:81], v[76:77]
	buffer_load_dword v77, off, s[0:3], 0 offset:252
	buffer_load_dword v76, off, s[0:3], 0 offset:248
	s_waitcnt vmcnt(0)
	v_fmac_f64_e32 v[72:73], v[76:77], v[78:79]
	buffer_load_dword v79, off, s[0:3], 0 offset:260
	buffer_load_dword v78, off, s[0:3], 0 offset:256
	ds_read_b128 v[74:77], v74 offset:528
	s_waitcnt vmcnt(0) lgkmcnt(0)
	v_fmac_f64_e32 v[72:73], v[78:79], v[74:75]
	buffer_load_dword v75, off, s[0:3], 0 offset:268
	buffer_load_dword v74, off, s[0:3], 0 offset:264
	s_waitcnt vmcnt(0)
	v_fmac_f64_e32 v[72:73], v[74:75], v[76:77]
	v_add_f64 v[70:71], v[70:71], -v[72:73]
	buffer_store_dword v71, off, s[0:3], 0 offset:60
	buffer_store_dword v70, off, s[0:3], 0 offset:56
	s_and_saveexec_b64 s[4:5], vcc
	s_cbranch_execz .LBB33_199
; %bb.198:
	buffer_load_dword v70, off, s[0:3], 0 offset:48
	buffer_load_dword v71, off, s[0:3], 0 offset:52
	v_mov_b32_e32 v72, 0
	buffer_store_dword v72, off, s[0:3], 0 offset:48
	buffer_store_dword v72, off, s[0:3], 0 offset:52
	s_waitcnt vmcnt(2)
	ds_write_b64 v1, v[70:71]
.LBB33_199:
	s_or_b64 exec, exec, s[4:5]
	s_waitcnt lgkmcnt(0)
	; wave barrier
	s_waitcnt lgkmcnt(0)
	buffer_load_dword v70, off, s[0:3], 0 offset:48
	buffer_load_dword v71, off, s[0:3], 0 offset:52
	;; [unrolled: 1-line block ×16, first 2 shown]
	v_mov_b32_e32 v74, 0
	ds_read2_b64 v[76:79], v74 offset0:41 offset1:42
	v_cmp_lt_u32_e32 vcc, 5, v0
	s_waitcnt vmcnt(12) lgkmcnt(0)
	v_fma_f64 v[72:73], v[72:73], v[76:77], 0
	s_waitcnt vmcnt(10)
	v_fmac_f64_e32 v[72:73], v[80:81], v[78:79]
	ds_read2_b64 v[76:79], v74 offset0:43 offset1:44
	s_waitcnt vmcnt(8) lgkmcnt(0)
	v_fmac_f64_e32 v[72:73], v[82:83], v[76:77]
	s_waitcnt vmcnt(6)
	v_fmac_f64_e32 v[72:73], v[84:85], v[78:79]
	ds_read2_b64 v[76:79], v74 offset0:45 offset1:46
	s_waitcnt vmcnt(4) lgkmcnt(0)
	v_fmac_f64_e32 v[72:73], v[86:87], v[76:77]
	;; [unrolled: 5-line block ×3, first 2 shown]
	buffer_load_dword v77, off, s[0:3], 0 offset:116
	buffer_load_dword v76, off, s[0:3], 0 offset:112
	buffer_load_dword v81, off, s[0:3], 0 offset:124
	buffer_load_dword v80, off, s[0:3], 0 offset:120
	s_waitcnt vmcnt(2)
	v_fmac_f64_e32 v[72:73], v[76:77], v[78:79]
	ds_read2_b64 v[76:79], v74 offset0:49 offset1:50
	s_waitcnt vmcnt(0) lgkmcnt(0)
	v_fmac_f64_e32 v[72:73], v[80:81], v[76:77]
	buffer_load_dword v77, off, s[0:3], 0 offset:132
	buffer_load_dword v76, off, s[0:3], 0 offset:128
	buffer_load_dword v81, off, s[0:3], 0 offset:140
	buffer_load_dword v80, off, s[0:3], 0 offset:136
	s_waitcnt vmcnt(2)
	v_fmac_f64_e32 v[72:73], v[76:77], v[78:79]
	ds_read2_b64 v[76:79], v74 offset0:51 offset1:52
	s_waitcnt vmcnt(0) lgkmcnt(0)
	v_fmac_f64_e32 v[72:73], v[80:81], v[76:77]
	;; [unrolled: 9-line block ×9, first 2 shown]
	buffer_load_dword v77, off, s[0:3], 0 offset:260
	buffer_load_dword v76, off, s[0:3], 0 offset:256
	s_waitcnt vmcnt(0)
	v_fmac_f64_e32 v[72:73], v[76:77], v[78:79]
	buffer_load_dword v77, off, s[0:3], 0 offset:268
	buffer_load_dword v76, off, s[0:3], 0 offset:264
	ds_read_b64 v[78:79], v74 offset:536
	s_waitcnt vmcnt(0) lgkmcnt(0)
	v_fmac_f64_e32 v[72:73], v[76:77], v[78:79]
	v_add_f64 v[70:71], v[70:71], -v[72:73]
	buffer_store_dword v71, off, s[0:3], 0 offset:52
	buffer_store_dword v70, off, s[0:3], 0 offset:48
	s_and_saveexec_b64 s[4:5], vcc
	s_cbranch_execz .LBB33_201
; %bb.200:
	buffer_load_dword v70, off, s[0:3], 0 offset:40
	buffer_load_dword v71, off, s[0:3], 0 offset:44
	s_waitcnt vmcnt(0)
	ds_write_b64 v1, v[70:71]
	buffer_store_dword v74, off, s[0:3], 0 offset:40
	buffer_store_dword v74, off, s[0:3], 0 offset:44
.LBB33_201:
	s_or_b64 exec, exec, s[4:5]
	s_waitcnt lgkmcnt(0)
	; wave barrier
	s_waitcnt lgkmcnt(0)
	buffer_load_dword v70, off, s[0:3], 0 offset:40
	buffer_load_dword v71, off, s[0:3], 0 offset:44
	;; [unrolled: 1-line block ×16, first 2 shown]
	ds_read_b128 v[76:79], v74 offset:320
	ds_read_b128 v[80:83], v74 offset:336
	;; [unrolled: 1-line block ×4, first 2 shown]
	v_cmp_lt_u32_e32 vcc, 4, v0
	s_waitcnt vmcnt(12) lgkmcnt(3)
	v_fma_f64 v[72:73], v[72:73], v[76:77], 0
	buffer_load_dword v77, off, s[0:3], 0 offset:108
	buffer_load_dword v76, off, s[0:3], 0 offset:104
	s_waitcnt vmcnt(12)
	v_fmac_f64_e32 v[72:73], v[92:93], v[78:79]
	s_waitcnt vmcnt(10) lgkmcnt(2)
	v_fmac_f64_e32 v[72:73], v[94:95], v[80:81]
	buffer_load_dword v81, off, s[0:3], 0 offset:116
	buffer_load_dword v80, off, s[0:3], 0 offset:112
	s_waitcnt vmcnt(10)
	v_fmac_f64_e32 v[72:73], v[96:97], v[82:83]
	s_waitcnt vmcnt(8) lgkmcnt(1)
	v_fmac_f64_e32 v[72:73], v[98:99], v[84:85]
	s_waitcnt vmcnt(6)
	v_fmac_f64_e32 v[72:73], v[100:101], v[86:87]
	s_waitcnt vmcnt(4) lgkmcnt(0)
	v_fmac_f64_e32 v[72:73], v[102:103], v[88:89]
	s_waitcnt vmcnt(2)
	v_fmac_f64_e32 v[72:73], v[76:77], v[90:91]
	ds_read_b128 v[76:79], v74 offset:384
	s_waitcnt vmcnt(0) lgkmcnt(0)
	v_fmac_f64_e32 v[72:73], v[80:81], v[76:77]
	buffer_load_dword v77, off, s[0:3], 0 offset:124
	buffer_load_dword v76, off, s[0:3], 0 offset:120
	buffer_load_dword v81, off, s[0:3], 0 offset:132
	buffer_load_dword v80, off, s[0:3], 0 offset:128
	s_waitcnt vmcnt(2)
	v_fmac_f64_e32 v[72:73], v[76:77], v[78:79]
	ds_read_b128 v[76:79], v74 offset:400
	s_waitcnt vmcnt(0) lgkmcnt(0)
	v_fmac_f64_e32 v[72:73], v[80:81], v[76:77]
	buffer_load_dword v77, off, s[0:3], 0 offset:140
	buffer_load_dword v76, off, s[0:3], 0 offset:136
	buffer_load_dword v81, off, s[0:3], 0 offset:148
	buffer_load_dword v80, off, s[0:3], 0 offset:144
	;; [unrolled: 9-line block ×8, first 2 shown]
	s_waitcnt vmcnt(2)
	v_fmac_f64_e32 v[72:73], v[76:77], v[78:79]
	ds_read_b128 v[76:79], v74 offset:512
	s_waitcnt vmcnt(0) lgkmcnt(0)
	v_fmac_f64_e32 v[72:73], v[80:81], v[76:77]
	buffer_load_dword v77, off, s[0:3], 0 offset:252
	buffer_load_dword v76, off, s[0:3], 0 offset:248
	s_waitcnt vmcnt(0)
	v_fmac_f64_e32 v[72:73], v[76:77], v[78:79]
	buffer_load_dword v79, off, s[0:3], 0 offset:260
	buffer_load_dword v78, off, s[0:3], 0 offset:256
	ds_read_b128 v[74:77], v74 offset:528
	s_waitcnt vmcnt(0) lgkmcnt(0)
	v_fmac_f64_e32 v[72:73], v[78:79], v[74:75]
	buffer_load_dword v75, off, s[0:3], 0 offset:268
	buffer_load_dword v74, off, s[0:3], 0 offset:264
	s_waitcnt vmcnt(0)
	v_fmac_f64_e32 v[72:73], v[74:75], v[76:77]
	v_add_f64 v[70:71], v[70:71], -v[72:73]
	buffer_store_dword v71, off, s[0:3], 0 offset:44
	buffer_store_dword v70, off, s[0:3], 0 offset:40
	s_and_saveexec_b64 s[4:5], vcc
	s_cbranch_execz .LBB33_203
; %bb.202:
	buffer_load_dword v70, off, s[0:3], 0 offset:32
	buffer_load_dword v71, off, s[0:3], 0 offset:36
	v_mov_b32_e32 v72, 0
	buffer_store_dword v72, off, s[0:3], 0 offset:32
	buffer_store_dword v72, off, s[0:3], 0 offset:36
	s_waitcnt vmcnt(2)
	ds_write_b64 v1, v[70:71]
.LBB33_203:
	s_or_b64 exec, exec, s[4:5]
	s_waitcnt lgkmcnt(0)
	; wave barrier
	s_waitcnt lgkmcnt(0)
	buffer_load_dword v70, off, s[0:3], 0 offset:32
	buffer_load_dword v71, off, s[0:3], 0 offset:36
	;; [unrolled: 1-line block ×16, first 2 shown]
	v_mov_b32_e32 v74, 0
	ds_read2_b64 v[76:79], v74 offset0:39 offset1:40
	v_cmp_lt_u32_e32 vcc, 3, v0
	s_waitcnt vmcnt(12) lgkmcnt(0)
	v_fma_f64 v[72:73], v[72:73], v[76:77], 0
	s_waitcnt vmcnt(10)
	v_fmac_f64_e32 v[72:73], v[80:81], v[78:79]
	ds_read2_b64 v[76:79], v74 offset0:41 offset1:42
	s_waitcnt vmcnt(8) lgkmcnt(0)
	v_fmac_f64_e32 v[72:73], v[82:83], v[76:77]
	s_waitcnt vmcnt(6)
	v_fmac_f64_e32 v[72:73], v[84:85], v[78:79]
	ds_read2_b64 v[76:79], v74 offset0:43 offset1:44
	s_waitcnt vmcnt(4) lgkmcnt(0)
	v_fmac_f64_e32 v[72:73], v[86:87], v[76:77]
	;; [unrolled: 5-line block ×3, first 2 shown]
	buffer_load_dword v77, off, s[0:3], 0 offset:100
	buffer_load_dword v76, off, s[0:3], 0 offset:96
	buffer_load_dword v81, off, s[0:3], 0 offset:108
	buffer_load_dword v80, off, s[0:3], 0 offset:104
	s_waitcnt vmcnt(2)
	v_fmac_f64_e32 v[72:73], v[76:77], v[78:79]
	ds_read2_b64 v[76:79], v74 offset0:47 offset1:48
	s_waitcnt vmcnt(0) lgkmcnt(0)
	v_fmac_f64_e32 v[72:73], v[80:81], v[76:77]
	buffer_load_dword v77, off, s[0:3], 0 offset:116
	buffer_load_dword v76, off, s[0:3], 0 offset:112
	buffer_load_dword v81, off, s[0:3], 0 offset:124
	buffer_load_dword v80, off, s[0:3], 0 offset:120
	s_waitcnt vmcnt(2)
	v_fmac_f64_e32 v[72:73], v[76:77], v[78:79]
	ds_read2_b64 v[76:79], v74 offset0:49 offset1:50
	s_waitcnt vmcnt(0) lgkmcnt(0)
	v_fmac_f64_e32 v[72:73], v[80:81], v[76:77]
	;; [unrolled: 9-line block ×10, first 2 shown]
	buffer_load_dword v77, off, s[0:3], 0 offset:260
	buffer_load_dword v76, off, s[0:3], 0 offset:256
	s_waitcnt vmcnt(0)
	v_fmac_f64_e32 v[72:73], v[76:77], v[78:79]
	buffer_load_dword v77, off, s[0:3], 0 offset:268
	buffer_load_dword v76, off, s[0:3], 0 offset:264
	ds_read_b64 v[78:79], v74 offset:536
	s_waitcnt vmcnt(0) lgkmcnt(0)
	v_fmac_f64_e32 v[72:73], v[76:77], v[78:79]
	v_add_f64 v[70:71], v[70:71], -v[72:73]
	buffer_store_dword v71, off, s[0:3], 0 offset:36
	buffer_store_dword v70, off, s[0:3], 0 offset:32
	s_and_saveexec_b64 s[4:5], vcc
	s_cbranch_execz .LBB33_205
; %bb.204:
	buffer_load_dword v70, off, s[0:3], 0 offset:24
	buffer_load_dword v71, off, s[0:3], 0 offset:28
	s_waitcnt vmcnt(0)
	ds_write_b64 v1, v[70:71]
	buffer_store_dword v74, off, s[0:3], 0 offset:24
	buffer_store_dword v74, off, s[0:3], 0 offset:28
.LBB33_205:
	s_or_b64 exec, exec, s[4:5]
	s_waitcnt lgkmcnt(0)
	; wave barrier
	s_waitcnt lgkmcnt(0)
	buffer_load_dword v70, off, s[0:3], 0 offset:24
	buffer_load_dword v71, off, s[0:3], 0 offset:28
	;; [unrolled: 1-line block ×16, first 2 shown]
	ds_read_b128 v[76:79], v74 offset:304
	ds_read_b128 v[80:83], v74 offset:320
	;; [unrolled: 1-line block ×4, first 2 shown]
	v_cmp_lt_u32_e32 vcc, 2, v0
	s_waitcnt vmcnt(12) lgkmcnt(3)
	v_fma_f64 v[72:73], v[72:73], v[76:77], 0
	buffer_load_dword v77, off, s[0:3], 0 offset:92
	buffer_load_dword v76, off, s[0:3], 0 offset:88
	s_waitcnt vmcnt(12)
	v_fmac_f64_e32 v[72:73], v[92:93], v[78:79]
	s_waitcnt vmcnt(10) lgkmcnt(2)
	v_fmac_f64_e32 v[72:73], v[94:95], v[80:81]
	buffer_load_dword v81, off, s[0:3], 0 offset:100
	buffer_load_dword v80, off, s[0:3], 0 offset:96
	s_waitcnt vmcnt(10)
	v_fmac_f64_e32 v[72:73], v[96:97], v[82:83]
	s_waitcnt vmcnt(8) lgkmcnt(1)
	v_fmac_f64_e32 v[72:73], v[98:99], v[84:85]
	s_waitcnt vmcnt(6)
	v_fmac_f64_e32 v[72:73], v[100:101], v[86:87]
	s_waitcnt vmcnt(4) lgkmcnt(0)
	v_fmac_f64_e32 v[72:73], v[102:103], v[88:89]
	s_waitcnt vmcnt(2)
	v_fmac_f64_e32 v[72:73], v[76:77], v[90:91]
	ds_read_b128 v[76:79], v74 offset:368
	s_waitcnt vmcnt(0) lgkmcnt(0)
	v_fmac_f64_e32 v[72:73], v[80:81], v[76:77]
	buffer_load_dword v77, off, s[0:3], 0 offset:108
	buffer_load_dword v76, off, s[0:3], 0 offset:104
	buffer_load_dword v81, off, s[0:3], 0 offset:116
	buffer_load_dword v80, off, s[0:3], 0 offset:112
	s_waitcnt vmcnt(2)
	v_fmac_f64_e32 v[72:73], v[76:77], v[78:79]
	ds_read_b128 v[76:79], v74 offset:384
	s_waitcnt vmcnt(0) lgkmcnt(0)
	v_fmac_f64_e32 v[72:73], v[80:81], v[76:77]
	buffer_load_dword v77, off, s[0:3], 0 offset:124
	buffer_load_dword v76, off, s[0:3], 0 offset:120
	buffer_load_dword v81, off, s[0:3], 0 offset:132
	buffer_load_dword v80, off, s[0:3], 0 offset:128
	;; [unrolled: 9-line block ×9, first 2 shown]
	s_waitcnt vmcnt(2)
	v_fmac_f64_e32 v[72:73], v[76:77], v[78:79]
	ds_read_b128 v[76:79], v74 offset:512
	s_waitcnt vmcnt(0) lgkmcnt(0)
	v_fmac_f64_e32 v[72:73], v[80:81], v[76:77]
	buffer_load_dword v77, off, s[0:3], 0 offset:252
	buffer_load_dword v76, off, s[0:3], 0 offset:248
	s_waitcnt vmcnt(0)
	v_fmac_f64_e32 v[72:73], v[76:77], v[78:79]
	buffer_load_dword v79, off, s[0:3], 0 offset:260
	buffer_load_dword v78, off, s[0:3], 0 offset:256
	ds_read_b128 v[74:77], v74 offset:528
	s_waitcnt vmcnt(0) lgkmcnt(0)
	v_fmac_f64_e32 v[72:73], v[78:79], v[74:75]
	buffer_load_dword v75, off, s[0:3], 0 offset:268
	buffer_load_dword v74, off, s[0:3], 0 offset:264
	s_waitcnt vmcnt(0)
	v_fmac_f64_e32 v[72:73], v[74:75], v[76:77]
	v_add_f64 v[70:71], v[70:71], -v[72:73]
	buffer_store_dword v71, off, s[0:3], 0 offset:28
	buffer_store_dword v70, off, s[0:3], 0 offset:24
	s_and_saveexec_b64 s[4:5], vcc
	s_cbranch_execz .LBB33_207
; %bb.206:
	buffer_load_dword v70, off, s[0:3], 0 offset:16
	buffer_load_dword v71, off, s[0:3], 0 offset:20
	v_mov_b32_e32 v72, 0
	buffer_store_dword v72, off, s[0:3], 0 offset:16
	buffer_store_dword v72, off, s[0:3], 0 offset:20
	s_waitcnt vmcnt(2)
	ds_write_b64 v1, v[70:71]
.LBB33_207:
	s_or_b64 exec, exec, s[4:5]
	s_waitcnt lgkmcnt(0)
	; wave barrier
	s_waitcnt lgkmcnt(0)
	buffer_load_dword v70, off, s[0:3], 0 offset:16
	buffer_load_dword v71, off, s[0:3], 0 offset:20
	;; [unrolled: 1-line block ×16, first 2 shown]
	v_mov_b32_e32 v74, 0
	ds_read2_b64 v[76:79], v74 offset0:37 offset1:38
	v_cmp_lt_u32_e32 vcc, 1, v0
	s_waitcnt vmcnt(12) lgkmcnt(0)
	v_fma_f64 v[72:73], v[72:73], v[76:77], 0
	s_waitcnt vmcnt(10)
	v_fmac_f64_e32 v[72:73], v[80:81], v[78:79]
	ds_read2_b64 v[76:79], v74 offset0:39 offset1:40
	s_waitcnt vmcnt(8) lgkmcnt(0)
	v_fmac_f64_e32 v[72:73], v[82:83], v[76:77]
	s_waitcnt vmcnt(6)
	v_fmac_f64_e32 v[72:73], v[84:85], v[78:79]
	ds_read2_b64 v[76:79], v74 offset0:41 offset1:42
	s_waitcnt vmcnt(4) lgkmcnt(0)
	v_fmac_f64_e32 v[72:73], v[86:87], v[76:77]
	;; [unrolled: 5-line block ×3, first 2 shown]
	buffer_load_dword v77, off, s[0:3], 0 offset:84
	buffer_load_dword v76, off, s[0:3], 0 offset:80
	buffer_load_dword v81, off, s[0:3], 0 offset:92
	buffer_load_dword v80, off, s[0:3], 0 offset:88
	s_waitcnt vmcnt(2)
	v_fmac_f64_e32 v[72:73], v[76:77], v[78:79]
	ds_read2_b64 v[76:79], v74 offset0:45 offset1:46
	s_waitcnt vmcnt(0) lgkmcnt(0)
	v_fmac_f64_e32 v[72:73], v[80:81], v[76:77]
	buffer_load_dword v77, off, s[0:3], 0 offset:100
	buffer_load_dword v76, off, s[0:3], 0 offset:96
	buffer_load_dword v81, off, s[0:3], 0 offset:108
	buffer_load_dword v80, off, s[0:3], 0 offset:104
	s_waitcnt vmcnt(2)
	v_fmac_f64_e32 v[72:73], v[76:77], v[78:79]
	ds_read2_b64 v[76:79], v74 offset0:47 offset1:48
	s_waitcnt vmcnt(0) lgkmcnt(0)
	v_fmac_f64_e32 v[72:73], v[80:81], v[76:77]
	;; [unrolled: 9-line block ×11, first 2 shown]
	buffer_load_dword v77, off, s[0:3], 0 offset:260
	buffer_load_dword v76, off, s[0:3], 0 offset:256
	s_waitcnt vmcnt(0)
	v_fmac_f64_e32 v[72:73], v[76:77], v[78:79]
	buffer_load_dword v77, off, s[0:3], 0 offset:268
	buffer_load_dword v76, off, s[0:3], 0 offset:264
	ds_read_b64 v[78:79], v74 offset:536
	s_waitcnt vmcnt(0) lgkmcnt(0)
	v_fmac_f64_e32 v[72:73], v[76:77], v[78:79]
	v_add_f64 v[70:71], v[70:71], -v[72:73]
	buffer_store_dword v71, off, s[0:3], 0 offset:20
	buffer_store_dword v70, off, s[0:3], 0 offset:16
	s_and_saveexec_b64 s[4:5], vcc
	s_cbranch_execz .LBB33_209
; %bb.208:
	buffer_load_dword v70, off, s[0:3], 0 offset:8
	buffer_load_dword v71, off, s[0:3], 0 offset:12
	s_waitcnt vmcnt(0)
	ds_write_b64 v1, v[70:71]
	buffer_store_dword v74, off, s[0:3], 0 offset:8
	buffer_store_dword v74, off, s[0:3], 0 offset:12
.LBB33_209:
	s_or_b64 exec, exec, s[4:5]
	s_waitcnt lgkmcnt(0)
	; wave barrier
	s_waitcnt lgkmcnt(0)
	buffer_load_dword v70, off, s[0:3], 0 offset:8
	buffer_load_dword v71, off, s[0:3], 0 offset:12
	;; [unrolled: 1-line block ×16, first 2 shown]
	ds_read_b128 v[76:79], v74 offset:288
	ds_read_b128 v[80:83], v74 offset:304
	;; [unrolled: 1-line block ×4, first 2 shown]
	v_cmp_ne_u32_e32 vcc, 0, v0
	s_waitcnt vmcnt(12) lgkmcnt(3)
	v_fma_f64 v[72:73], v[72:73], v[76:77], 0
	buffer_load_dword v77, off, s[0:3], 0 offset:76
	buffer_load_dword v76, off, s[0:3], 0 offset:72
	s_waitcnt vmcnt(12)
	v_fmac_f64_e32 v[72:73], v[92:93], v[78:79]
	s_waitcnt vmcnt(10) lgkmcnt(2)
	v_fmac_f64_e32 v[72:73], v[94:95], v[80:81]
	buffer_load_dword v81, off, s[0:3], 0 offset:84
	buffer_load_dword v80, off, s[0:3], 0 offset:80
	s_waitcnt vmcnt(10)
	v_fmac_f64_e32 v[72:73], v[96:97], v[82:83]
	s_waitcnt vmcnt(8) lgkmcnt(1)
	v_fmac_f64_e32 v[72:73], v[98:99], v[84:85]
	s_waitcnt vmcnt(6)
	v_fmac_f64_e32 v[72:73], v[100:101], v[86:87]
	s_waitcnt vmcnt(4) lgkmcnt(0)
	v_fmac_f64_e32 v[72:73], v[102:103], v[88:89]
	s_waitcnt vmcnt(2)
	v_fmac_f64_e32 v[72:73], v[76:77], v[90:91]
	ds_read_b128 v[76:79], v74 offset:352
	s_waitcnt vmcnt(0) lgkmcnt(0)
	v_fmac_f64_e32 v[72:73], v[80:81], v[76:77]
	buffer_load_dword v77, off, s[0:3], 0 offset:92
	buffer_load_dword v76, off, s[0:3], 0 offset:88
	buffer_load_dword v81, off, s[0:3], 0 offset:100
	buffer_load_dword v80, off, s[0:3], 0 offset:96
	s_waitcnt vmcnt(2)
	v_fmac_f64_e32 v[72:73], v[76:77], v[78:79]
	ds_read_b128 v[76:79], v74 offset:368
	s_waitcnt vmcnt(0) lgkmcnt(0)
	v_fmac_f64_e32 v[72:73], v[80:81], v[76:77]
	buffer_load_dword v77, off, s[0:3], 0 offset:108
	buffer_load_dword v76, off, s[0:3], 0 offset:104
	buffer_load_dword v81, off, s[0:3], 0 offset:116
	buffer_load_dword v80, off, s[0:3], 0 offset:112
	;; [unrolled: 9-line block ×10, first 2 shown]
	s_waitcnt vmcnt(2)
	v_fmac_f64_e32 v[72:73], v[76:77], v[78:79]
	ds_read_b128 v[76:79], v74 offset:512
	s_waitcnt vmcnt(0) lgkmcnt(0)
	v_fmac_f64_e32 v[72:73], v[80:81], v[76:77]
	buffer_load_dword v77, off, s[0:3], 0 offset:252
	buffer_load_dword v76, off, s[0:3], 0 offset:248
	s_waitcnt vmcnt(0)
	v_fmac_f64_e32 v[72:73], v[76:77], v[78:79]
	buffer_load_dword v79, off, s[0:3], 0 offset:260
	buffer_load_dword v78, off, s[0:3], 0 offset:256
	ds_read_b128 v[74:77], v74 offset:528
	s_waitcnt vmcnt(0) lgkmcnt(0)
	v_fmac_f64_e32 v[72:73], v[78:79], v[74:75]
	buffer_load_dword v75, off, s[0:3], 0 offset:268
	buffer_load_dword v74, off, s[0:3], 0 offset:264
	s_waitcnt vmcnt(0)
	v_fmac_f64_e32 v[72:73], v[74:75], v[76:77]
	v_add_f64 v[70:71], v[70:71], -v[72:73]
	buffer_store_dword v71, off, s[0:3], 0 offset:12
	buffer_store_dword v70, off, s[0:3], 0 offset:8
	s_and_saveexec_b64 s[4:5], vcc
	s_cbranch_execz .LBB33_211
; %bb.210:
	buffer_load_dword v70, off, s[0:3], 0
	buffer_load_dword v71, off, s[0:3], 0 offset:4
	v_mov_b32_e32 v0, 0
	buffer_store_dword v0, off, s[0:3], 0
	buffer_store_dword v0, off, s[0:3], 0 offset:4
	s_waitcnt vmcnt(2)
	ds_write_b64 v1, v[70:71]
.LBB33_211:
	s_or_b64 exec, exec, s[4:5]
	s_waitcnt lgkmcnt(0)
	; wave barrier
	s_waitcnt lgkmcnt(0)
	buffer_load_dword v0, off, s[0:3], 0
	buffer_load_dword v1, off, s[0:3], 0 offset:4
	buffer_load_dword v74, off, s[0:3], 0 offset:8
	;; [unrolled: 1-line block ×15, first 2 shown]
	v_mov_b32_e32 v88, 0
	ds_read2_b64 v[70:73], v88 offset0:35 offset1:36
	s_and_b64 vcc, exec, s[20:21]
	s_waitcnt vmcnt(12) lgkmcnt(0)
	v_fma_f64 v[70:71], v[74:75], v[70:71], 0
	s_waitcnt vmcnt(10)
	v_fmac_f64_e32 v[70:71], v[76:77], v[72:73]
	ds_read2_b64 v[72:75], v88 offset0:37 offset1:38
	s_waitcnt vmcnt(8) lgkmcnt(0)
	v_fmac_f64_e32 v[70:71], v[78:79], v[72:73]
	s_waitcnt vmcnt(6)
	v_fmac_f64_e32 v[70:71], v[80:81], v[74:75]
	ds_read2_b64 v[72:75], v88 offset0:39 offset1:40
	s_waitcnt vmcnt(4) lgkmcnt(0)
	v_fmac_f64_e32 v[70:71], v[82:83], v[72:73]
	;; [unrolled: 5-line block ×3, first 2 shown]
	buffer_load_dword v73, off, s[0:3], 0 offset:68
	buffer_load_dword v72, off, s[0:3], 0 offset:64
	buffer_load_dword v77, off, s[0:3], 0 offset:76
	buffer_load_dword v76, off, s[0:3], 0 offset:72
	s_waitcnt vmcnt(2)
	v_fmac_f64_e32 v[70:71], v[72:73], v[74:75]
	ds_read2_b64 v[72:75], v88 offset0:43 offset1:44
	s_waitcnt vmcnt(0) lgkmcnt(0)
	v_fmac_f64_e32 v[70:71], v[76:77], v[72:73]
	buffer_load_dword v73, off, s[0:3], 0 offset:84
	buffer_load_dword v72, off, s[0:3], 0 offset:80
	buffer_load_dword v77, off, s[0:3], 0 offset:92
	buffer_load_dword v76, off, s[0:3], 0 offset:88
	s_waitcnt vmcnt(2)
	v_fmac_f64_e32 v[70:71], v[72:73], v[74:75]
	ds_read2_b64 v[72:75], v88 offset0:45 offset1:46
	s_waitcnt vmcnt(0) lgkmcnt(0)
	v_fmac_f64_e32 v[70:71], v[76:77], v[72:73]
	;; [unrolled: 9-line block ×12, first 2 shown]
	buffer_load_dword v73, off, s[0:3], 0 offset:260
	buffer_load_dword v72, off, s[0:3], 0 offset:256
	s_waitcnt vmcnt(0)
	v_fmac_f64_e32 v[70:71], v[72:73], v[74:75]
	buffer_load_dword v75, off, s[0:3], 0 offset:268
	buffer_load_dword v74, off, s[0:3], 0 offset:264
	ds_read_b64 v[76:77], v88 offset:536
	s_waitcnt vmcnt(0) lgkmcnt(0)
	v_fmac_f64_e32 v[70:71], v[74:75], v[76:77]
	v_add_f64 v[0:1], v[0:1], -v[70:71]
	buffer_store_dword v1, off, s[0:3], 0 offset:4
	buffer_store_dword v0, off, s[0:3], 0
	s_cbranch_vccz .LBB33_279
; %bb.212:
	v_pk_mov_b32 v[0:1], s[10:11], s[10:11] op_sel:[0,1]
	flat_load_dword v0, v[0:1] offset:128
	s_waitcnt vmcnt(0) lgkmcnt(0)
	v_add_u32_e32 v0, -1, v0
	v_cmp_ne_u32_e32 vcc, 32, v0
	s_and_saveexec_b64 s[4:5], vcc
	s_cbranch_execz .LBB33_214
; %bb.213:
	v_mov_b32_e32 v1, 0
	v_lshl_add_u32 v0, v0, 3, v1
	buffer_load_dword v1, v0, s[0:3], 0 offen offset:4
	buffer_load_dword v70, v0, s[0:3], 0 offen
	s_waitcnt vmcnt(1)
	buffer_store_dword v1, off, s[0:3], 0 offset:260
	s_waitcnt vmcnt(1)
	buffer_store_dword v70, off, s[0:3], 0 offset:256
	buffer_store_dword v73, v0, s[0:3], 0 offen offset:4
	buffer_store_dword v72, v0, s[0:3], 0 offen
.LBB33_214:
	s_or_b64 exec, exec, s[4:5]
	v_pk_mov_b32 v[0:1], s[10:11], s[10:11] op_sel:[0,1]
	flat_load_dword v0, v[0:1] offset:124
	s_waitcnt vmcnt(0) lgkmcnt(0)
	v_add_u32_e32 v0, -1, v0
	v_cmp_ne_u32_e32 vcc, 31, v0
	s_and_saveexec_b64 s[4:5], vcc
	s_cbranch_execz .LBB33_216
; %bb.215:
	v_mov_b32_e32 v1, 0
	v_lshl_add_u32 v0, v0, 3, v1
	buffer_load_dword v1, v0, s[0:3], 0 offen
	buffer_load_dword v70, v0, s[0:3], 0 offen offset:4
	buffer_load_dword v71, off, s[0:3], 0 offset:248
	buffer_load_dword v72, off, s[0:3], 0 offset:252
	s_waitcnt vmcnt(3)
	buffer_store_dword v1, off, s[0:3], 0 offset:248
	s_waitcnt vmcnt(3)
	buffer_store_dword v70, off, s[0:3], 0 offset:252
	s_waitcnt vmcnt(3)
	buffer_store_dword v71, v0, s[0:3], 0 offen
	s_waitcnt vmcnt(3)
	buffer_store_dword v72, v0, s[0:3], 0 offen offset:4
.LBB33_216:
	s_or_b64 exec, exec, s[4:5]
	v_pk_mov_b32 v[0:1], s[10:11], s[10:11] op_sel:[0,1]
	flat_load_dword v0, v[0:1] offset:120
	s_waitcnt vmcnt(0) lgkmcnt(0)
	v_add_u32_e32 v0, -1, v0
	v_cmp_ne_u32_e32 vcc, 30, v0
	s_and_saveexec_b64 s[4:5], vcc
	s_cbranch_execz .LBB33_218
; %bb.217:
	v_mov_b32_e32 v1, 0
	v_lshl_add_u32 v0, v0, 3, v1
	buffer_load_dword v1, v0, s[0:3], 0 offen
	buffer_load_dword v70, v0, s[0:3], 0 offen offset:4
	buffer_load_dword v71, off, s[0:3], 0 offset:244
	buffer_load_dword v72, off, s[0:3], 0 offset:240
	s_waitcnt vmcnt(3)
	buffer_store_dword v1, off, s[0:3], 0 offset:240
	s_waitcnt vmcnt(3)
	buffer_store_dword v70, off, s[0:3], 0 offset:244
	s_waitcnt vmcnt(3)
	buffer_store_dword v71, v0, s[0:3], 0 offen offset:4
	s_waitcnt vmcnt(3)
	buffer_store_dword v72, v0, s[0:3], 0 offen
.LBB33_218:
	s_or_b64 exec, exec, s[4:5]
	v_pk_mov_b32 v[0:1], s[10:11], s[10:11] op_sel:[0,1]
	flat_load_dword v0, v[0:1] offset:116
	s_waitcnt vmcnt(0) lgkmcnt(0)
	v_add_u32_e32 v0, -1, v0
	v_cmp_ne_u32_e32 vcc, 29, v0
	s_and_saveexec_b64 s[4:5], vcc
	s_cbranch_execz .LBB33_220
; %bb.219:
	v_mov_b32_e32 v1, 0
	v_lshl_add_u32 v0, v0, 3, v1
	buffer_load_dword v1, v0, s[0:3], 0 offen
	buffer_load_dword v70, v0, s[0:3], 0 offen offset:4
	buffer_load_dword v71, off, s[0:3], 0 offset:232
	buffer_load_dword v72, off, s[0:3], 0 offset:236
	s_waitcnt vmcnt(3)
	buffer_store_dword v1, off, s[0:3], 0 offset:232
	s_waitcnt vmcnt(3)
	buffer_store_dword v70, off, s[0:3], 0 offset:236
	s_waitcnt vmcnt(3)
	buffer_store_dword v71, v0, s[0:3], 0 offen
	s_waitcnt vmcnt(3)
	buffer_store_dword v72, v0, s[0:3], 0 offen offset:4
.LBB33_220:
	s_or_b64 exec, exec, s[4:5]
	v_pk_mov_b32 v[0:1], s[10:11], s[10:11] op_sel:[0,1]
	flat_load_dword v0, v[0:1] offset:112
	s_waitcnt vmcnt(0) lgkmcnt(0)
	v_add_u32_e32 v0, -1, v0
	v_cmp_ne_u32_e32 vcc, 28, v0
	s_and_saveexec_b64 s[4:5], vcc
	s_cbranch_execz .LBB33_222
; %bb.221:
	v_mov_b32_e32 v1, 0
	v_lshl_add_u32 v0, v0, 3, v1
	buffer_load_dword v1, v0, s[0:3], 0 offen
	buffer_load_dword v70, v0, s[0:3], 0 offen offset:4
	buffer_load_dword v71, off, s[0:3], 0 offset:228
	buffer_load_dword v72, off, s[0:3], 0 offset:224
	s_waitcnt vmcnt(3)
	buffer_store_dword v1, off, s[0:3], 0 offset:224
	s_waitcnt vmcnt(3)
	buffer_store_dword v70, off, s[0:3], 0 offset:228
	s_waitcnt vmcnt(3)
	buffer_store_dword v71, v0, s[0:3], 0 offen offset:4
	s_waitcnt vmcnt(3)
	buffer_store_dword v72, v0, s[0:3], 0 offen
.LBB33_222:
	;; [unrolled: 48-line block ×15, first 2 shown]
	s_or_b64 exec, exec, s[4:5]
	v_pk_mov_b32 v[0:1], s[10:11], s[10:11] op_sel:[0,1]
	flat_load_dword v0, v[0:1] offset:4
	s_waitcnt vmcnt(0) lgkmcnt(0)
	v_add_u32_e32 v0, -1, v0
	v_cmp_ne_u32_e32 vcc, 1, v0
	s_and_saveexec_b64 s[4:5], vcc
	s_cbranch_execz .LBB33_276
; %bb.275:
	v_mov_b32_e32 v1, 0
	v_lshl_add_u32 v0, v0, 3, v1
	buffer_load_dword v1, v0, s[0:3], 0 offen
	buffer_load_dword v70, v0, s[0:3], 0 offen offset:4
	buffer_load_dword v71, off, s[0:3], 0 offset:8
	buffer_load_dword v72, off, s[0:3], 0 offset:12
	s_waitcnt vmcnt(3)
	buffer_store_dword v1, off, s[0:3], 0 offset:8
	s_waitcnt vmcnt(3)
	buffer_store_dword v70, off, s[0:3], 0 offset:12
	s_waitcnt vmcnt(3)
	buffer_store_dword v71, v0, s[0:3], 0 offen
	s_waitcnt vmcnt(3)
	buffer_store_dword v72, v0, s[0:3], 0 offen offset:4
.LBB33_276:
	s_or_b64 exec, exec, s[4:5]
	v_pk_mov_b32 v[0:1], s[10:11], s[10:11] op_sel:[0,1]
	flat_load_dword v70, v[0:1]
	s_nop 0
	buffer_load_dword v0, off, s[0:3], 0
	buffer_load_dword v1, off, s[0:3], 0 offset:4
	s_waitcnt vmcnt(0) lgkmcnt(0)
	v_add_u32_e32 v70, -1, v70
	v_cmp_ne_u32_e32 vcc, 0, v70
	s_and_saveexec_b64 s[4:5], vcc
	s_cbranch_execz .LBB33_278
; %bb.277:
	v_mov_b32_e32 v71, 0
	v_lshl_add_u32 v70, v70, 3, v71
	buffer_load_dword v71, v70, s[0:3], 0 offen offset:4
	buffer_load_dword v72, v70, s[0:3], 0 offen
	s_waitcnt vmcnt(1)
	buffer_store_dword v71, off, s[0:3], 0 offset:4
	s_waitcnt vmcnt(1)
	buffer_store_dword v72, off, s[0:3], 0
	buffer_store_dword v1, v70, s[0:3], 0 offen offset:4
	buffer_store_dword v0, v70, s[0:3], 0 offen
	buffer_load_dword v0, off, s[0:3], 0
	s_nop 0
	buffer_load_dword v1, off, s[0:3], 0 offset:4
.LBB33_278:
	s_or_b64 exec, exec, s[4:5]
.LBB33_279:
	s_waitcnt vmcnt(0)
	global_store_dwordx2 v[68:69], v[0:1], off
	buffer_load_dword v0, off, s[0:3], 0 offset:8
	s_nop 0
	buffer_load_dword v1, off, s[0:3], 0 offset:12
	buffer_load_dword v68, off, s[0:3], 0 offset:16
	;; [unrolled: 1-line block ×15, first 2 shown]
	s_waitcnt vmcnt(14)
	global_store_dwordx2 v[66:67], v[0:1], off
	s_waitcnt vmcnt(13)
	global_store_dwordx2 v[2:3], v[68:69], off
	;; [unrolled: 2-line block ×8, first 2 shown]
	buffer_load_dword v0, off, s[0:3], 0 offset:72
	buffer_load_dword v1, off, s[0:3], 0 offset:76
	s_waitcnt vmcnt(0)
	global_store_dwordx2 v[14:15], v[0:1], off
	buffer_load_dword v0, off, s[0:3], 0 offset:80
	s_nop 0
	buffer_load_dword v1, off, s[0:3], 0 offset:84
	s_waitcnt vmcnt(0)
	global_store_dwordx2 v[16:17], v[0:1], off
	buffer_load_dword v0, off, s[0:3], 0 offset:88
	s_nop 0
	;; [unrolled: 5-line block ×24, first 2 shown]
	buffer_load_dword v1, off, s[0:3], 0 offset:268
	s_waitcnt vmcnt(0)
	global_store_dwordx2 v[54:55], v[0:1], off
	s_endpgm
	.section	.rodata,"a",@progbits
	.p2align	6, 0x0
	.amdhsa_kernel _ZN9rocsolver6v33100L18getri_kernel_smallILi34EdPdEEvT1_iilPiilS4_bb
		.amdhsa_group_segment_fixed_size 552
		.amdhsa_private_segment_fixed_size 288
		.amdhsa_kernarg_size 60
		.amdhsa_user_sgpr_count 8
		.amdhsa_user_sgpr_private_segment_buffer 1
		.amdhsa_user_sgpr_dispatch_ptr 0
		.amdhsa_user_sgpr_queue_ptr 0
		.amdhsa_user_sgpr_kernarg_segment_ptr 1
		.amdhsa_user_sgpr_dispatch_id 0
		.amdhsa_user_sgpr_flat_scratch_init 1
		.amdhsa_user_sgpr_kernarg_preload_length 0
		.amdhsa_user_sgpr_kernarg_preload_offset 0
		.amdhsa_user_sgpr_private_segment_size 0
		.amdhsa_uses_dynamic_stack 0
		.amdhsa_system_sgpr_private_segment_wavefront_offset 1
		.amdhsa_system_sgpr_workgroup_id_x 1
		.amdhsa_system_sgpr_workgroup_id_y 0
		.amdhsa_system_sgpr_workgroup_id_z 0
		.amdhsa_system_sgpr_workgroup_info 0
		.amdhsa_system_vgpr_workitem_id 0
		.amdhsa_next_free_vgpr 126
		.amdhsa_next_free_sgpr 23
		.amdhsa_accum_offset 128
		.amdhsa_reserve_vcc 1
		.amdhsa_reserve_flat_scratch 1
		.amdhsa_float_round_mode_32 0
		.amdhsa_float_round_mode_16_64 0
		.amdhsa_float_denorm_mode_32 3
		.amdhsa_float_denorm_mode_16_64 3
		.amdhsa_dx10_clamp 1
		.amdhsa_ieee_mode 1
		.amdhsa_fp16_overflow 0
		.amdhsa_tg_split 0
		.amdhsa_exception_fp_ieee_invalid_op 0
		.amdhsa_exception_fp_denorm_src 0
		.amdhsa_exception_fp_ieee_div_zero 0
		.amdhsa_exception_fp_ieee_overflow 0
		.amdhsa_exception_fp_ieee_underflow 0
		.amdhsa_exception_fp_ieee_inexact 0
		.amdhsa_exception_int_div_zero 0
	.end_amdhsa_kernel
	.section	.text._ZN9rocsolver6v33100L18getri_kernel_smallILi34EdPdEEvT1_iilPiilS4_bb,"axG",@progbits,_ZN9rocsolver6v33100L18getri_kernel_smallILi34EdPdEEvT1_iilPiilS4_bb,comdat
.Lfunc_end33:
	.size	_ZN9rocsolver6v33100L18getri_kernel_smallILi34EdPdEEvT1_iilPiilS4_bb, .Lfunc_end33-_ZN9rocsolver6v33100L18getri_kernel_smallILi34EdPdEEvT1_iilPiilS4_bb
                                        ; -- End function
	.section	.AMDGPU.csdata,"",@progbits
; Kernel info:
; codeLenInByte = 33636
; NumSgprs: 29
; NumVgprs: 126
; NumAgprs: 0
; TotalNumVgprs: 126
; ScratchSize: 288
; MemoryBound: 0
; FloatMode: 240
; IeeeMode: 1
; LDSByteSize: 552 bytes/workgroup (compile time only)
; SGPRBlocks: 3
; VGPRBlocks: 15
; NumSGPRsForWavesPerEU: 29
; NumVGPRsForWavesPerEU: 126
; AccumOffset: 128
; Occupancy: 4
; WaveLimiterHint : 1
; COMPUTE_PGM_RSRC2:SCRATCH_EN: 1
; COMPUTE_PGM_RSRC2:USER_SGPR: 8
; COMPUTE_PGM_RSRC2:TRAP_HANDLER: 0
; COMPUTE_PGM_RSRC2:TGID_X_EN: 1
; COMPUTE_PGM_RSRC2:TGID_Y_EN: 0
; COMPUTE_PGM_RSRC2:TGID_Z_EN: 0
; COMPUTE_PGM_RSRC2:TIDIG_COMP_CNT: 0
; COMPUTE_PGM_RSRC3_GFX90A:ACCUM_OFFSET: 31
; COMPUTE_PGM_RSRC3_GFX90A:TG_SPLIT: 0
	.section	.text._ZN9rocsolver6v33100L18getri_kernel_smallILi35EdPdEEvT1_iilPiilS4_bb,"axG",@progbits,_ZN9rocsolver6v33100L18getri_kernel_smallILi35EdPdEEvT1_iilPiilS4_bb,comdat
	.globl	_ZN9rocsolver6v33100L18getri_kernel_smallILi35EdPdEEvT1_iilPiilS4_bb ; -- Begin function _ZN9rocsolver6v33100L18getri_kernel_smallILi35EdPdEEvT1_iilPiilS4_bb
	.p2align	8
	.type	_ZN9rocsolver6v33100L18getri_kernel_smallILi35EdPdEEvT1_iilPiilS4_bb,@function
_ZN9rocsolver6v33100L18getri_kernel_smallILi35EdPdEEvT1_iilPiilS4_bb: ; @_ZN9rocsolver6v33100L18getri_kernel_smallILi35EdPdEEvT1_iilPiilS4_bb
; %bb.0:
	s_add_u32 flat_scratch_lo, s6, s9
	s_addc_u32 flat_scratch_hi, s7, 0
	s_add_u32 s0, s0, s9
	s_addc_u32 s1, s1, 0
	v_cmp_gt_u32_e32 vcc, 35, v0
	s_and_saveexec_b64 s[6:7], vcc
	s_cbranch_execz .LBB34_148
; %bb.1:
	s_load_dword s22, s[4:5], 0x38
	s_load_dwordx4 s[16:19], s[4:5], 0x10
	s_load_dwordx4 s[12:15], s[4:5], 0x28
                                        ; implicit-def: $sgpr10_sgpr11
	s_waitcnt lgkmcnt(0)
	s_bitcmp1_b32 s22, 8
	s_cselect_b64 s[20:21], -1, 0
	s_ashr_i32 s9, s8, 31
	s_bfe_u32 s6, s22, 0x10008
	s_cmp_eq_u32 s6, 0
	s_cbranch_scc1 .LBB34_3
; %bb.2:
	s_load_dword s6, s[4:5], 0x20
	s_mul_i32 s7, s8, s13
	s_mul_hi_u32 s10, s8, s12
	s_mul_i32 s11, s9, s12
	s_add_i32 s10, s10, s7
	s_add_i32 s11, s10, s11
	s_mul_i32 s10, s8, s12
	s_waitcnt lgkmcnt(0)
	s_ashr_i32 s7, s6, 31
	s_lshl_b64 s[10:11], s[10:11], 2
	s_add_u32 s10, s18, s10
	s_addc_u32 s11, s19, s11
	s_lshl_b64 s[6:7], s[6:7], 2
	s_add_u32 s10, s10, s6
	s_addc_u32 s11, s11, s7
.LBB34_3:
	s_load_dwordx4 s[4:7], s[4:5], 0x0
	s_mul_i32 s12, s8, s17
	s_mul_hi_u32 s13, s8, s16
	s_add_i32 s17, s13, s12
	s_waitcnt lgkmcnt(0)
	s_ashr_i32 s13, s6, 31
	s_mov_b32 s12, s6
	s_mul_i32 s6, s9, s16
	s_add_i32 s17, s17, s6
	s_mul_i32 s16, s8, s16
	s_lshl_b64 s[16:17], s[16:17], 3
	s_add_u32 s6, s4, s16
	s_addc_u32 s16, s5, s17
	s_lshl_b64 s[4:5], s[12:13], 3
	s_add_u32 s4, s6, s4
	s_addc_u32 s5, s16, s5
	s_add_i32 s6, s7, s7
	v_add_u32_e32 v4, s6, v0
	v_ashrrev_i32_e32 v5, 31, v4
	v_lshlrev_b64 v[2:3], 3, v[4:5]
	v_add_u32_e32 v6, s7, v4
	v_mov_b32_e32 v1, s5
	v_add_co_u32_e32 v2, vcc, s4, v2
	v_ashrrev_i32_e32 v7, 31, v6
	v_addc_co_u32_e32 v3, vcc, v1, v3, vcc
	v_lshlrev_b64 v[4:5], 3, v[6:7]
	v_add_u32_e32 v8, s7, v6
	v_add_co_u32_e32 v4, vcc, s4, v4
	v_ashrrev_i32_e32 v9, 31, v8
	v_addc_co_u32_e32 v5, vcc, v1, v5, vcc
	v_lshlrev_b64 v[6:7], 3, v[8:9]
	v_add_u32_e32 v10, s7, v8
	;; [unrolled: 5-line block ×5, first 2 shown]
	v_add_co_u32_e32 v12, vcc, s4, v12
	v_ashrrev_i32_e32 v15, 31, v14
	v_addc_co_u32_e32 v13, vcc, v1, v13, vcc
	v_lshlrev_b64 v[16:17], 3, v[14:15]
	v_add_co_u32_e32 v18, vcc, s4, v16
	v_add_u32_e32 v16, s7, v14
	v_addc_co_u32_e32 v19, vcc, v1, v17, vcc
	v_ashrrev_i32_e32 v17, 31, v16
	v_lshlrev_b64 v[14:15], 3, v[16:17]
	v_add_u32_e32 v20, s7, v16
	v_add_co_u32_e32 v14, vcc, s4, v14
	v_ashrrev_i32_e32 v21, 31, v20
	v_addc_co_u32_e32 v15, vcc, v1, v15, vcc
	v_lshlrev_b64 v[16:17], 3, v[20:21]
	v_add_u32_e32 v22, s7, v20
	v_add_co_u32_e32 v16, vcc, s4, v16
	v_ashrrev_i32_e32 v23, 31, v22
	v_addc_co_u32_e32 v17, vcc, v1, v17, vcc
	v_lshlrev_b64 v[20:21], 3, v[22:23]
	v_add_u32_e32 v24, s7, v22
	v_add_co_u32_e32 v20, vcc, s4, v20
	v_ashrrev_i32_e32 v25, 31, v24
	v_addc_co_u32_e32 v21, vcc, v1, v21, vcc
	v_lshlrev_b64 v[22:23], 3, v[24:25]
	v_add_u32_e32 v26, s7, v24
	v_add_co_u32_e32 v22, vcc, s4, v22
	v_ashrrev_i32_e32 v27, 31, v26
	v_addc_co_u32_e32 v23, vcc, v1, v23, vcc
	v_lshlrev_b64 v[24:25], 3, v[26:27]
	v_add_u32_e32 v28, s7, v26
	v_add_co_u32_e32 v24, vcc, s4, v24
	v_ashrrev_i32_e32 v29, 31, v28
	v_addc_co_u32_e32 v25, vcc, v1, v25, vcc
	v_lshlrev_b64 v[26:27], 3, v[28:29]
	v_add_u32_e32 v30, s7, v28
	v_add_co_u32_e32 v26, vcc, s4, v26
	v_ashrrev_i32_e32 v31, 31, v30
	v_addc_co_u32_e32 v27, vcc, v1, v27, vcc
	v_lshlrev_b64 v[28:29], 3, v[30:31]
	v_add_u32_e32 v32, s7, v30
	v_add_co_u32_e32 v28, vcc, s4, v28
	v_ashrrev_i32_e32 v33, 31, v32
	v_addc_co_u32_e32 v29, vcc, v1, v29, vcc
	v_lshlrev_b64 v[30:31], 3, v[32:33]
	v_add_u32_e32 v34, s7, v32
	v_add_co_u32_e32 v30, vcc, s4, v30
	v_ashrrev_i32_e32 v35, 31, v34
	v_addc_co_u32_e32 v31, vcc, v1, v31, vcc
	v_lshlrev_b64 v[32:33], 3, v[34:35]
	v_add_u32_e32 v36, s7, v34
	v_add_co_u32_e32 v32, vcc, s4, v32
	v_ashrrev_i32_e32 v37, 31, v36
	v_addc_co_u32_e32 v33, vcc, v1, v33, vcc
	v_lshlrev_b64 v[34:35], 3, v[36:37]
	v_add_u32_e32 v38, s7, v36
	v_add_co_u32_e32 v34, vcc, s4, v34
	v_ashrrev_i32_e32 v39, 31, v38
	v_addc_co_u32_e32 v35, vcc, v1, v35, vcc
	v_lshlrev_b64 v[36:37], 3, v[38:39]
	v_add_u32_e32 v40, s7, v38
	v_add_co_u32_e32 v36, vcc, s4, v36
	v_ashrrev_i32_e32 v41, 31, v40
	v_addc_co_u32_e32 v37, vcc, v1, v37, vcc
	v_lshlrev_b64 v[38:39], 3, v[40:41]
	v_add_u32_e32 v42, s7, v40
	v_add_co_u32_e32 v38, vcc, s4, v38
	v_ashrrev_i32_e32 v43, 31, v42
	v_addc_co_u32_e32 v39, vcc, v1, v39, vcc
	v_lshlrev_b64 v[40:41], 3, v[42:43]
	v_add_u32_e32 v44, s7, v42
	v_add_co_u32_e32 v40, vcc, s4, v40
	v_ashrrev_i32_e32 v45, 31, v44
	v_addc_co_u32_e32 v41, vcc, v1, v41, vcc
	v_lshlrev_b64 v[42:43], 3, v[44:45]
	v_add_u32_e32 v46, s7, v44
	v_add_co_u32_e32 v42, vcc, s4, v42
	v_ashrrev_i32_e32 v47, 31, v46
	v_addc_co_u32_e32 v43, vcc, v1, v43, vcc
	v_lshlrev_b64 v[44:45], 3, v[46:47]
	v_add_u32_e32 v48, s7, v46
	v_add_co_u32_e32 v44, vcc, s4, v44
	v_ashrrev_i32_e32 v49, 31, v48
	v_addc_co_u32_e32 v45, vcc, v1, v45, vcc
	v_lshlrev_b64 v[46:47], 3, v[48:49]
	v_add_u32_e32 v50, s7, v48
	v_add_co_u32_e32 v46, vcc, s4, v46
	v_ashrrev_i32_e32 v51, 31, v50
	v_addc_co_u32_e32 v47, vcc, v1, v47, vcc
	v_lshlrev_b64 v[48:49], 3, v[50:51]
	v_add_u32_e32 v52, s7, v50
	v_add_co_u32_e32 v48, vcc, s4, v48
	v_ashrrev_i32_e32 v53, 31, v52
	v_addc_co_u32_e32 v49, vcc, v1, v49, vcc
	v_lshlrev_b64 v[50:51], 3, v[52:53]
	v_add_co_u32_e32 v50, vcc, s4, v50
	v_addc_co_u32_e32 v51, vcc, v1, v51, vcc
	v_lshlrev_b32_e32 v1, 3, v0
	global_load_dwordx2 v[72:73], v1, s[4:5]
	v_mov_b32_e32 v56, s5
	v_add_co_u32_e32 v70, vcc, s4, v1
	s_ashr_i32 s13, s7, 31
	s_mov_b32 s12, s7
	v_addc_co_u32_e32 v71, vcc, 0, v56, vcc
	s_lshl_b64 s[12:13], s[12:13], 3
	v_mov_b32_e32 v56, s13
	v_add_co_u32_e32 v68, vcc, s12, v70
	v_addc_co_u32_e32 v69, vcc, v71, v56, vcc
	global_load_dwordx2 v[74:75], v[68:69], off
	global_load_dwordx2 v[76:77], v[2:3], off
	;; [unrolled: 1-line block ×8, first 2 shown]
	v_add_u32_e32 v52, s7, v52
	v_ashrrev_i32_e32 v53, 31, v52
	v_lshlrev_b64 v[54:55], 3, v[52:53]
	v_mov_b32_e32 v53, s5
	v_add_co_u32_e32 v54, vcc, s4, v54
	v_add_u32_e32 v52, s7, v52
	v_addc_co_u32_e32 v55, vcc, v53, v55, vcc
	v_ashrrev_i32_e32 v53, 31, v52
	v_lshlrev_b64 v[56:57], 3, v[52:53]
	v_mov_b32_e32 v53, s5
	v_add_co_u32_e32 v56, vcc, s4, v56
	v_add_u32_e32 v52, s7, v52
	v_addc_co_u32_e32 v57, vcc, v53, v57, vcc
	;; [unrolled: 6-line block ×3, first 2 shown]
	v_ashrrev_i32_e32 v53, 31, v52
	v_lshlrev_b64 v[60:61], 3, v[52:53]
	v_add_u32_e32 v52, s7, v52
	v_mov_b32_e32 v62, s5
	v_add_co_u32_e32 v60, vcc, s4, v60
	v_ashrrev_i32_e32 v53, 31, v52
	v_addc_co_u32_e32 v61, vcc, v62, v61, vcc
	v_lshlrev_b64 v[62:63], 3, v[52:53]
	v_add_u32_e32 v52, s7, v52
	v_mov_b32_e32 v64, s5
	v_add_co_u32_e32 v62, vcc, s4, v62
	v_ashrrev_i32_e32 v53, 31, v52
	v_addc_co_u32_e32 v63, vcc, v64, v63, vcc
	;; [unrolled: 6-line block ×4, first 2 shown]
	global_load_dwordx2 v[90:91], v[14:15], off
	v_lshlrev_b64 v[52:53], 3, v[52:53]
	v_mov_b32_e32 v100, s5
	v_add_co_u32_e32 v52, vcc, s4, v52
	global_load_dwordx2 v[92:93], v[16:17], off
	global_load_dwordx2 v[94:95], v[20:21], off
	;; [unrolled: 1-line block ×4, first 2 shown]
	v_addc_co_u32_e32 v53, vcc, v100, v53, vcc
	global_load_dwordx2 v[100:101], v[26:27], off
	global_load_dwordx2 v[102:103], v[52:53], off
	;; [unrolled: 1-line block ×12, first 2 shown]
	s_bitcmp0_b32 s22, 0
	s_waitcnt vmcnt(25)
	buffer_store_dword v73, off, s[0:3], 0 offset:4
	buffer_store_dword v72, off, s[0:3], 0
	global_load_dwordx2 v[72:73], v[32:33], off
	s_mov_b64 s[6:7], -1
	s_waitcnt vmcnt(27)
	buffer_store_dword v75, off, s[0:3], 0 offset:12
	buffer_store_dword v74, off, s[0:3], 0 offset:8
	global_load_dwordx2 v[74:75], v[36:37], off
	s_waitcnt vmcnt(29)
	buffer_store_dword v77, off, s[0:3], 0 offset:20
	buffer_store_dword v76, off, s[0:3], 0 offset:16
	global_load_dwordx2 v[76:77], v[40:41], off
	;; [unrolled: 4-line block ×8, first 2 shown]
	s_waitcnt vmcnt(43)
	buffer_store_dword v90, off, s[0:3], 0 offset:72
	buffer_store_dword v91, off, s[0:3], 0 offset:76
	s_waitcnt vmcnt(44)
	buffer_store_dword v92, off, s[0:3], 0 offset:80
	buffer_store_dword v93, off, s[0:3], 0 offset:84
	;; [unrolled: 3-line block ×9, first 2 shown]
	buffer_store_dword v108, off, s[0:3], 0 offset:144
	buffer_store_dword v109, off, s[0:3], 0 offset:148
	s_waitcnt vmcnt(41)
	buffer_store_dword v75, off, s[0:3], 0 offset:156
	buffer_store_dword v74, off, s[0:3], 0 offset:152
	buffer_store_dword v111, off, s[0:3], 0 offset:164
	buffer_store_dword v110, off, s[0:3], 0 offset:160
	s_waitcnt vmcnt(42)
	buffer_store_dword v76, off, s[0:3], 0 offset:168
	buffer_store_dword v77, off, s[0:3], 0 offset:172
	;; [unrolled: 5-line block ×8, first 2 shown]
	buffer_store_dword v102, off, s[0:3], 0 offset:272
	buffer_store_dword v103, off, s[0:3], 0 offset:276
	s_cbranch_scc1 .LBB34_146
; %bb.4:
	v_cmp_eq_u32_e64 s[4:5], 0, v0
	s_and_saveexec_b64 s[6:7], s[4:5]
	s_cbranch_execz .LBB34_6
; %bb.5:
	v_mov_b32_e32 v72, 0
	ds_write_b32 v72, v72 offset:280
.LBB34_6:
	s_or_b64 exec, exec, s[6:7]
	v_mov_b32_e32 v72, 0
	v_lshl_add_u32 v72, v0, 3, v72
	s_waitcnt lgkmcnt(0)
	; wave barrier
	s_waitcnt lgkmcnt(0)
	buffer_load_dword v74, v72, s[0:3], 0 offen
	buffer_load_dword v75, v72, s[0:3], 0 offen offset:4
	s_waitcnt vmcnt(0)
	v_cmp_eq_f64_e32 vcc, 0, v[74:75]
	s_and_saveexec_b64 s[12:13], vcc
	s_cbranch_execz .LBB34_10
; %bb.7:
	v_mov_b32_e32 v73, 0
	ds_read_b32 v75, v73 offset:280
	v_add_u32_e32 v74, 1, v0
	s_waitcnt lgkmcnt(0)
	v_readfirstlane_b32 s6, v75
	s_cmp_eq_u32 s6, 0
	s_cselect_b64 s[16:17], -1, 0
	v_cmp_gt_i32_e32 vcc, s6, v74
	s_or_b64 s[16:17], s[16:17], vcc
	s_and_b64 exec, exec, s[16:17]
	s_cbranch_execz .LBB34_10
; %bb.8:
	s_mov_b64 s[16:17], 0
	v_mov_b32_e32 v75, s6
.LBB34_9:                               ; =>This Inner Loop Header: Depth=1
	ds_cmpst_rtn_b32 v75, v73, v75, v74 offset:280
	s_waitcnt lgkmcnt(0)
	v_cmp_ne_u32_e32 vcc, 0, v75
	v_cmp_le_i32_e64 s[6:7], v75, v74
	s_and_b64 s[6:7], vcc, s[6:7]
	s_and_b64 s[6:7], exec, s[6:7]
	s_or_b64 s[16:17], s[6:7], s[16:17]
	s_andn2_b64 exec, exec, s[16:17]
	s_cbranch_execnz .LBB34_9
.LBB34_10:
	s_or_b64 exec, exec, s[12:13]
	v_mov_b32_e32 v74, 0
	s_waitcnt lgkmcnt(0)
	; wave barrier
	ds_read_b32 v73, v74 offset:280
	s_and_saveexec_b64 s[6:7], s[4:5]
	s_cbranch_execz .LBB34_12
; %bb.11:
	s_lshl_b64 s[12:13], s[8:9], 2
	s_add_u32 s12, s14, s12
	s_addc_u32 s13, s15, s13
	s_waitcnt lgkmcnt(0)
	global_store_dword v74, v73, s[12:13]
.LBB34_12:
	s_or_b64 exec, exec, s[6:7]
	s_waitcnt lgkmcnt(0)
	v_cmp_ne_u32_e32 vcc, 0, v73
	s_mov_b64 s[6:7], 0
	s_cbranch_vccnz .LBB34_146
; %bb.13:
	buffer_load_dword v74, v72, s[0:3], 0 offen
	buffer_load_dword v75, v72, s[0:3], 0 offen offset:4
	s_waitcnt vmcnt(0)
	v_div_scale_f64 v[76:77], s[6:7], v[74:75], v[74:75], 1.0
	v_rcp_f64_e32 v[78:79], v[76:77]
	v_div_scale_f64 v[80:81], vcc, 1.0, v[74:75], 1.0
	v_fma_f64 v[82:83], -v[76:77], v[78:79], 1.0
	v_fmac_f64_e32 v[78:79], v[78:79], v[82:83]
	v_fma_f64 v[82:83], -v[76:77], v[78:79], 1.0
	v_fmac_f64_e32 v[78:79], v[78:79], v[82:83]
	v_mul_f64 v[82:83], v[80:81], v[78:79]
	v_fma_f64 v[76:77], -v[76:77], v[82:83], v[80:81]
	v_div_fmas_f64 v[76:77], v[76:77], v[78:79], v[82:83]
	v_div_fixup_f64 v[76:77], v[76:77], v[74:75], 1.0
	buffer_store_dword v77, v72, s[0:3], 0 offen offset:4
	buffer_store_dword v76, v72, s[0:3], 0 offen
	buffer_load_dword v79, off, s[0:3], 0 offset:12
	buffer_load_dword v78, off, s[0:3], 0 offset:8
	v_add_u32_e32 v74, 0x120, v1
	v_xor_b32_e32 v77, 0x80000000, v77
	s_waitcnt vmcnt(0)
	ds_write2_b64 v1, v[76:77], v[78:79] offset1:36
	s_waitcnt lgkmcnt(0)
	; wave barrier
	s_waitcnt lgkmcnt(0)
	s_and_saveexec_b64 s[6:7], s[4:5]
	s_cbranch_execz .LBB34_15
; %bb.14:
	buffer_load_dword v76, v72, s[0:3], 0 offen
	buffer_load_dword v77, v72, s[0:3], 0 offen offset:4
	v_mov_b32_e32 v73, 0
	ds_read_b64 v[78:79], v74
	ds_read_b64 v[80:81], v73 offset:8
	s_waitcnt vmcnt(0) lgkmcnt(1)
	v_fma_f64 v[76:77], v[76:77], v[78:79], 0
	s_waitcnt lgkmcnt(0)
	v_mul_f64 v[76:77], v[76:77], v[80:81]
	buffer_store_dword v76, off, s[0:3], 0 offset:8
	buffer_store_dword v77, off, s[0:3], 0 offset:12
.LBB34_15:
	s_or_b64 exec, exec, s[6:7]
	s_waitcnt lgkmcnt(0)
	; wave barrier
	buffer_load_dword v76, off, s[0:3], 0 offset:16
	buffer_load_dword v77, off, s[0:3], 0 offset:20
	v_cmp_gt_u32_e32 vcc, 2, v0
	s_waitcnt vmcnt(0)
	ds_write_b64 v74, v[76:77]
	s_waitcnt lgkmcnt(0)
	; wave barrier
	s_waitcnt lgkmcnt(0)
	s_and_saveexec_b64 s[6:7], vcc
	s_cbranch_execz .LBB34_17
; %bb.16:
	buffer_load_dword v73, v72, s[0:3], 0 offen offset:4
	buffer_load_dword v80, off, s[0:3], 0 offset:8
	s_nop 0
	buffer_load_dword v72, v72, s[0:3], 0 offen
	s_nop 0
	buffer_load_dword v81, off, s[0:3], 0 offset:12
	ds_read_b64 v[82:83], v74
	v_mov_b32_e32 v75, 0
	ds_read2_b64 v[76:79], v75 offset0:2 offset1:37
	s_waitcnt vmcnt(1) lgkmcnt(1)
	v_fma_f64 v[72:73], v[72:73], v[82:83], 0
	s_waitcnt vmcnt(0) lgkmcnt(0)
	v_fma_f64 v[78:79], v[80:81], v[78:79], v[72:73]
	v_cndmask_b32_e64 v73, v73, v79, s[4:5]
	v_cndmask_b32_e64 v72, v72, v78, s[4:5]
	v_mul_f64 v[72:73], v[72:73], v[76:77]
	buffer_store_dword v73, off, s[0:3], 0 offset:20
	buffer_store_dword v72, off, s[0:3], 0 offset:16
.LBB34_17:
	s_or_b64 exec, exec, s[6:7]
	s_waitcnt lgkmcnt(0)
	; wave barrier
	buffer_load_dword v72, off, s[0:3], 0 offset:24
	buffer_load_dword v73, off, s[0:3], 0 offset:28
	v_cmp_gt_u32_e32 vcc, 3, v0
	v_add_u32_e32 v75, -1, v0
	s_waitcnt vmcnt(0)
	ds_write_b64 v74, v[72:73]
	s_waitcnt lgkmcnt(0)
	; wave barrier
	s_waitcnt lgkmcnt(0)
	s_and_saveexec_b64 s[4:5], vcc
	s_cbranch_execz .LBB34_21
; %bb.18:
	v_add_u32_e32 v76, -1, v0
	v_add_u32_e32 v77, 0x120, v1
	v_add_u32_e32 v78, 0, v1
	s_mov_b64 s[6:7], 0
	v_pk_mov_b32 v[72:73], 0, 0
.LBB34_19:                              ; =>This Inner Loop Header: Depth=1
	buffer_load_dword v80, v78, s[0:3], 0 offen
	buffer_load_dword v81, v78, s[0:3], 0 offen offset:4
	ds_read_b64 v[82:83], v77
	v_add_u32_e32 v76, 1, v76
	v_cmp_lt_u32_e32 vcc, 1, v76
	v_add_u32_e32 v77, 8, v77
	v_add_u32_e32 v78, 8, v78
	s_or_b64 s[6:7], vcc, s[6:7]
	s_waitcnt vmcnt(0) lgkmcnt(0)
	v_fmac_f64_e32 v[72:73], v[80:81], v[82:83]
	s_andn2_b64 exec, exec, s[6:7]
	s_cbranch_execnz .LBB34_19
; %bb.20:
	s_or_b64 exec, exec, s[6:7]
	v_mov_b32_e32 v76, 0
	ds_read_b64 v[76:77], v76 offset:24
	s_waitcnt lgkmcnt(0)
	v_mul_f64 v[72:73], v[72:73], v[76:77]
	buffer_store_dword v73, off, s[0:3], 0 offset:28
	buffer_store_dword v72, off, s[0:3], 0 offset:24
.LBB34_21:
	s_or_b64 exec, exec, s[4:5]
	s_waitcnt lgkmcnt(0)
	; wave barrier
	buffer_load_dword v72, off, s[0:3], 0 offset:32
	buffer_load_dword v73, off, s[0:3], 0 offset:36
	v_cmp_gt_u32_e32 vcc, 4, v0
	s_waitcnt vmcnt(0)
	ds_write_b64 v74, v[72:73]
	s_waitcnt lgkmcnt(0)
	; wave barrier
	s_waitcnt lgkmcnt(0)
	s_and_saveexec_b64 s[4:5], vcc
	s_cbranch_execz .LBB34_25
; %bb.22:
	v_add_u32_e32 v76, -1, v0
	v_add_u32_e32 v77, 0x120, v1
	v_add_u32_e32 v78, 0, v1
	s_mov_b64 s[6:7], 0
	v_pk_mov_b32 v[72:73], 0, 0
.LBB34_23:                              ; =>This Inner Loop Header: Depth=1
	buffer_load_dword v80, v78, s[0:3], 0 offen
	buffer_load_dword v81, v78, s[0:3], 0 offen offset:4
	ds_read_b64 v[82:83], v77
	v_add_u32_e32 v76, 1, v76
	v_cmp_lt_u32_e32 vcc, 2, v76
	v_add_u32_e32 v77, 8, v77
	v_add_u32_e32 v78, 8, v78
	s_or_b64 s[6:7], vcc, s[6:7]
	s_waitcnt vmcnt(0) lgkmcnt(0)
	v_fmac_f64_e32 v[72:73], v[80:81], v[82:83]
	s_andn2_b64 exec, exec, s[6:7]
	s_cbranch_execnz .LBB34_23
; %bb.24:
	s_or_b64 exec, exec, s[6:7]
	v_mov_b32_e32 v76, 0
	ds_read_b64 v[76:77], v76 offset:32
	s_waitcnt lgkmcnt(0)
	v_mul_f64 v[72:73], v[72:73], v[76:77]
	buffer_store_dword v73, off, s[0:3], 0 offset:36
	buffer_store_dword v72, off, s[0:3], 0 offset:32
.LBB34_25:
	s_or_b64 exec, exec, s[4:5]
	s_waitcnt lgkmcnt(0)
	; wave barrier
	buffer_load_dword v72, off, s[0:3], 0 offset:40
	buffer_load_dword v73, off, s[0:3], 0 offset:44
	v_cmp_gt_u32_e32 vcc, 5, v0
	;; [unrolled: 41-line block ×21, first 2 shown]
	s_waitcnt vmcnt(0)
	ds_write_b64 v74, v[72:73]
	s_waitcnt lgkmcnt(0)
	; wave barrier
	s_waitcnt lgkmcnt(0)
	s_and_saveexec_b64 s[4:5], vcc
	s_cbranch_execz .LBB34_105
; %bb.102:
	v_add_u32_e32 v76, -1, v0
	v_add_u32_e32 v77, 0x120, v1
	v_add_u32_e32 v78, 0, v1
	s_mov_b64 s[6:7], 0
	v_pk_mov_b32 v[72:73], 0, 0
.LBB34_103:                             ; =>This Inner Loop Header: Depth=1
	buffer_load_dword v80, v78, s[0:3], 0 offen
	buffer_load_dword v81, v78, s[0:3], 0 offen offset:4
	ds_read_b64 v[82:83], v77
	v_add_u32_e32 v76, 1, v76
	v_cmp_lt_u32_e32 vcc, 22, v76
	v_add_u32_e32 v77, 8, v77
	v_add_u32_e32 v78, 8, v78
	s_or_b64 s[6:7], vcc, s[6:7]
	s_waitcnt vmcnt(0) lgkmcnt(0)
	v_fmac_f64_e32 v[72:73], v[80:81], v[82:83]
	s_andn2_b64 exec, exec, s[6:7]
	s_cbranch_execnz .LBB34_103
; %bb.104:
	s_or_b64 exec, exec, s[6:7]
	v_mov_b32_e32 v76, 0
	ds_read_b64 v[76:77], v76 offset:192
	s_waitcnt lgkmcnt(0)
	v_mul_f64 v[72:73], v[72:73], v[76:77]
	buffer_store_dword v73, off, s[0:3], 0 offset:196
	buffer_store_dword v72, off, s[0:3], 0 offset:192
.LBB34_105:
	s_or_b64 exec, exec, s[4:5]
	s_waitcnt lgkmcnt(0)
	; wave barrier
	buffer_load_dword v72, off, s[0:3], 0 offset:200
	buffer_load_dword v73, off, s[0:3], 0 offset:204
	v_cmp_gt_u32_e32 vcc, 25, v0
	s_waitcnt vmcnt(0)
	ds_write_b64 v74, v[72:73]
	s_waitcnt lgkmcnt(0)
	; wave barrier
	s_waitcnt lgkmcnt(0)
	s_and_saveexec_b64 s[4:5], vcc
	s_cbranch_execz .LBB34_109
; %bb.106:
	v_add_u32_e32 v76, -1, v0
	v_add_u32_e32 v77, 0x120, v1
	v_add_u32_e32 v78, 0, v1
	s_mov_b64 s[6:7], 0
	v_pk_mov_b32 v[72:73], 0, 0
.LBB34_107:                             ; =>This Inner Loop Header: Depth=1
	buffer_load_dword v80, v78, s[0:3], 0 offen
	buffer_load_dword v81, v78, s[0:3], 0 offen offset:4
	ds_read_b64 v[82:83], v77
	v_add_u32_e32 v76, 1, v76
	v_cmp_lt_u32_e32 vcc, 23, v76
	v_add_u32_e32 v77, 8, v77
	v_add_u32_e32 v78, 8, v78
	s_or_b64 s[6:7], vcc, s[6:7]
	s_waitcnt vmcnt(0) lgkmcnt(0)
	v_fmac_f64_e32 v[72:73], v[80:81], v[82:83]
	s_andn2_b64 exec, exec, s[6:7]
	s_cbranch_execnz .LBB34_107
; %bb.108:
	s_or_b64 exec, exec, s[6:7]
	v_mov_b32_e32 v76, 0
	ds_read_b64 v[76:77], v76 offset:200
	s_waitcnt lgkmcnt(0)
	v_mul_f64 v[72:73], v[72:73], v[76:77]
	buffer_store_dword v73, off, s[0:3], 0 offset:204
	buffer_store_dword v72, off, s[0:3], 0 offset:200
.LBB34_109:
	s_or_b64 exec, exec, s[4:5]
	s_waitcnt lgkmcnt(0)
	; wave barrier
	buffer_load_dword v72, off, s[0:3], 0 offset:208
	buffer_load_dword v73, off, s[0:3], 0 offset:212
	v_cmp_gt_u32_e32 vcc, 26, v0
	;; [unrolled: 41-line block ×9, first 2 shown]
	s_waitcnt vmcnt(0)
	ds_write_b64 v74, v[72:73]
	s_waitcnt lgkmcnt(0)
	; wave barrier
	s_waitcnt lgkmcnt(0)
	s_and_saveexec_b64 s[4:5], vcc
	s_cbranch_execz .LBB34_141
; %bb.138:
	v_add_u32_e32 v76, -1, v0
	v_add_u32_e32 v77, 0x120, v1
	v_add_u32_e32 v78, 0, v1
	s_mov_b64 s[6:7], 0
	v_pk_mov_b32 v[72:73], 0, 0
.LBB34_139:                             ; =>This Inner Loop Header: Depth=1
	buffer_load_dword v80, v78, s[0:3], 0 offen
	buffer_load_dword v81, v78, s[0:3], 0 offen offset:4
	ds_read_b64 v[82:83], v77
	v_add_u32_e32 v76, 1, v76
	v_cmp_lt_u32_e32 vcc, 31, v76
	v_add_u32_e32 v77, 8, v77
	v_add_u32_e32 v78, 8, v78
	s_or_b64 s[6:7], vcc, s[6:7]
	s_waitcnt vmcnt(0) lgkmcnt(0)
	v_fmac_f64_e32 v[72:73], v[80:81], v[82:83]
	s_andn2_b64 exec, exec, s[6:7]
	s_cbranch_execnz .LBB34_139
; %bb.140:
	s_or_b64 exec, exec, s[6:7]
	v_mov_b32_e32 v76, 0
	ds_read_b64 v[76:77], v76 offset:264
	s_waitcnt lgkmcnt(0)
	v_mul_f64 v[72:73], v[72:73], v[76:77]
	buffer_store_dword v73, off, s[0:3], 0 offset:268
	buffer_store_dword v72, off, s[0:3], 0 offset:264
.LBB34_141:
	s_or_b64 exec, exec, s[4:5]
	s_waitcnt lgkmcnt(0)
	; wave barrier
	buffer_load_dword v72, off, s[0:3], 0 offset:272
	buffer_load_dword v73, off, s[0:3], 0 offset:276
	v_cmp_ne_u32_e32 vcc, 34, v0
	s_waitcnt vmcnt(0)
	ds_write_b64 v74, v[72:73]
	s_waitcnt lgkmcnt(0)
	; wave barrier
	s_waitcnt lgkmcnt(0)
	s_and_saveexec_b64 s[4:5], vcc
	s_cbranch_execz .LBB34_145
; %bb.142:
	v_add_u32_e32 v74, 0x120, v1
	v_add_u32_e32 v1, 0, v1
	s_mov_b64 s[6:7], 0
	v_pk_mov_b32 v[72:73], 0, 0
.LBB34_143:                             ; =>This Inner Loop Header: Depth=1
	buffer_load_dword v76, v1, s[0:3], 0 offen
	buffer_load_dword v77, v1, s[0:3], 0 offen offset:4
	ds_read_b64 v[78:79], v74
	v_add_u32_e32 v75, 1, v75
	v_cmp_lt_u32_e32 vcc, 32, v75
	v_add_u32_e32 v74, 8, v74
	v_add_u32_e32 v1, 8, v1
	s_or_b64 s[6:7], vcc, s[6:7]
	s_waitcnt vmcnt(0) lgkmcnt(0)
	v_fmac_f64_e32 v[72:73], v[76:77], v[78:79]
	s_andn2_b64 exec, exec, s[6:7]
	s_cbranch_execnz .LBB34_143
; %bb.144:
	s_or_b64 exec, exec, s[6:7]
	v_mov_b32_e32 v1, 0
	ds_read_b64 v[74:75], v1 offset:272
	s_waitcnt lgkmcnt(0)
	v_mul_f64 v[72:73], v[72:73], v[74:75]
	buffer_store_dword v73, off, s[0:3], 0 offset:276
	buffer_store_dword v72, off, s[0:3], 0 offset:272
.LBB34_145:
	s_or_b64 exec, exec, s[4:5]
	s_mov_b64 s[6:7], -1
	s_waitcnt lgkmcnt(0)
	; wave barrier
.LBB34_146:
	s_and_b64 vcc, exec, s[6:7]
	s_cbranch_vccz .LBB34_148
; %bb.147:
	s_lshl_b64 s[4:5], s[8:9], 2
	s_add_u32 s4, s14, s4
	s_addc_u32 s5, s15, s5
	v_mov_b32_e32 v1, 0
	global_load_dword v1, v1, s[4:5]
	s_waitcnt vmcnt(0)
	v_cmp_ne_u32_e32 vcc, 0, v1
	s_cbranch_vccz .LBB34_149
.LBB34_148:
	s_endpgm
.LBB34_149:
	v_mov_b32_e32 v1, 0x120
	v_lshl_add_u32 v1, v0, 3, v1
	v_cmp_eq_u32_e32 vcc, 34, v0
	s_and_saveexec_b64 s[4:5], vcc
	s_cbranch_execz .LBB34_151
; %bb.150:
	buffer_load_dword v72, off, s[0:3], 0 offset:264
	buffer_load_dword v73, off, s[0:3], 0 offset:268
	v_mov_b32_e32 v74, 0
	buffer_store_dword v74, off, s[0:3], 0 offset:264
	buffer_store_dword v74, off, s[0:3], 0 offset:268
	s_waitcnt vmcnt(2)
	ds_write_b64 v1, v[72:73]
.LBB34_151:
	s_or_b64 exec, exec, s[4:5]
	s_waitcnt lgkmcnt(0)
	; wave barrier
	s_waitcnt lgkmcnt(0)
	buffer_load_dword v74, off, s[0:3], 0 offset:272
	buffer_load_dword v75, off, s[0:3], 0 offset:276
	;; [unrolled: 1-line block ×4, first 2 shown]
	v_mov_b32_e32 v72, 0
	ds_read_b64 v[78:79], v72 offset:560
	v_cmp_lt_u32_e32 vcc, 32, v0
	s_waitcnt vmcnt(2) lgkmcnt(0)
	v_fma_f64 v[74:75], v[74:75], v[78:79], 0
	s_waitcnt vmcnt(0)
	v_add_f64 v[74:75], v[76:77], -v[74:75]
	buffer_store_dword v74, off, s[0:3], 0 offset:264
	buffer_store_dword v75, off, s[0:3], 0 offset:268
	s_and_saveexec_b64 s[4:5], vcc
	s_cbranch_execz .LBB34_153
; %bb.152:
	buffer_load_dword v74, off, s[0:3], 0 offset:256
	buffer_load_dword v75, off, s[0:3], 0 offset:260
	s_waitcnt vmcnt(0)
	ds_write_b64 v1, v[74:75]
	buffer_store_dword v72, off, s[0:3], 0 offset:256
	buffer_store_dword v72, off, s[0:3], 0 offset:260
.LBB34_153:
	s_or_b64 exec, exec, s[4:5]
	s_waitcnt lgkmcnt(0)
	; wave barrier
	s_waitcnt lgkmcnt(0)
	buffer_load_dword v76, off, s[0:3], 0 offset:264
	buffer_load_dword v77, off, s[0:3], 0 offset:268
	;; [unrolled: 1-line block ×6, first 2 shown]
	ds_read2_b64 v[72:75], v72 offset0:69 offset1:70
	v_cmp_lt_u32_e32 vcc, 31, v0
	s_waitcnt vmcnt(4) lgkmcnt(0)
	v_fma_f64 v[72:73], v[76:77], v[72:73], 0
	s_waitcnt vmcnt(2)
	v_fmac_f64_e32 v[72:73], v[78:79], v[74:75]
	s_waitcnt vmcnt(0)
	v_add_f64 v[72:73], v[80:81], -v[72:73]
	buffer_store_dword v72, off, s[0:3], 0 offset:256
	buffer_store_dword v73, off, s[0:3], 0 offset:260
	s_and_saveexec_b64 s[4:5], vcc
	s_cbranch_execz .LBB34_155
; %bb.154:
	buffer_load_dword v72, off, s[0:3], 0 offset:248
	buffer_load_dword v73, off, s[0:3], 0 offset:252
	v_mov_b32_e32 v74, 0
	buffer_store_dword v74, off, s[0:3], 0 offset:248
	buffer_store_dword v74, off, s[0:3], 0 offset:252
	s_waitcnt vmcnt(2)
	ds_write_b64 v1, v[72:73]
.LBB34_155:
	s_or_b64 exec, exec, s[4:5]
	s_waitcnt lgkmcnt(0)
	; wave barrier
	s_waitcnt lgkmcnt(0)
	buffer_load_dword v78, off, s[0:3], 0 offset:256
	buffer_load_dword v79, off, s[0:3], 0 offset:260
	buffer_load_dword v80, off, s[0:3], 0 offset:264
	buffer_load_dword v81, off, s[0:3], 0 offset:268
	buffer_load_dword v82, off, s[0:3], 0 offset:272
	buffer_load_dword v83, off, s[0:3], 0 offset:276
	buffer_load_dword v84, off, s[0:3], 0 offset:248
	buffer_load_dword v85, off, s[0:3], 0 offset:252
	v_mov_b32_e32 v72, 0
	ds_read_b128 v[74:77], v72 offset:544
	ds_read_b64 v[86:87], v72 offset:560
	v_cmp_lt_u32_e32 vcc, 30, v0
	s_waitcnt vmcnt(6) lgkmcnt(1)
	v_fma_f64 v[74:75], v[78:79], v[74:75], 0
	s_waitcnt vmcnt(4)
	v_fmac_f64_e32 v[74:75], v[80:81], v[76:77]
	s_waitcnt vmcnt(2) lgkmcnt(0)
	v_fmac_f64_e32 v[74:75], v[82:83], v[86:87]
	s_waitcnt vmcnt(0)
	v_add_f64 v[74:75], v[84:85], -v[74:75]
	buffer_store_dword v74, off, s[0:3], 0 offset:248
	buffer_store_dword v75, off, s[0:3], 0 offset:252
	s_and_saveexec_b64 s[4:5], vcc
	s_cbranch_execz .LBB34_157
; %bb.156:
	buffer_load_dword v74, off, s[0:3], 0 offset:240
	buffer_load_dword v75, off, s[0:3], 0 offset:244
	s_waitcnt vmcnt(0)
	ds_write_b64 v1, v[74:75]
	buffer_store_dword v72, off, s[0:3], 0 offset:240
	buffer_store_dword v72, off, s[0:3], 0 offset:244
.LBB34_157:
	s_or_b64 exec, exec, s[4:5]
	s_waitcnt lgkmcnt(0)
	; wave barrier
	s_waitcnt lgkmcnt(0)
	buffer_load_dword v82, off, s[0:3], 0 offset:248
	buffer_load_dword v83, off, s[0:3], 0 offset:252
	;; [unrolled: 1-line block ×10, first 2 shown]
	ds_read2_b64 v[74:77], v72 offset0:67 offset1:68
	ds_read2_b64 v[78:81], v72 offset0:69 offset1:70
	v_cmp_lt_u32_e32 vcc, 29, v0
	s_waitcnt vmcnt(8) lgkmcnt(1)
	v_fma_f64 v[72:73], v[82:83], v[74:75], 0
	s_waitcnt vmcnt(6)
	v_fmac_f64_e32 v[72:73], v[84:85], v[76:77]
	s_waitcnt vmcnt(4) lgkmcnt(0)
	v_fmac_f64_e32 v[72:73], v[86:87], v[78:79]
	s_waitcnt vmcnt(2)
	v_fmac_f64_e32 v[72:73], v[88:89], v[80:81]
	s_waitcnt vmcnt(0)
	v_add_f64 v[72:73], v[90:91], -v[72:73]
	buffer_store_dword v72, off, s[0:3], 0 offset:240
	buffer_store_dword v73, off, s[0:3], 0 offset:244
	s_and_saveexec_b64 s[4:5], vcc
	s_cbranch_execz .LBB34_159
; %bb.158:
	buffer_load_dword v72, off, s[0:3], 0 offset:232
	buffer_load_dword v73, off, s[0:3], 0 offset:236
	v_mov_b32_e32 v74, 0
	buffer_store_dword v74, off, s[0:3], 0 offset:232
	buffer_store_dword v74, off, s[0:3], 0 offset:236
	s_waitcnt vmcnt(2)
	ds_write_b64 v1, v[72:73]
.LBB34_159:
	s_or_b64 exec, exec, s[4:5]
	s_waitcnt lgkmcnt(0)
	; wave barrier
	s_waitcnt lgkmcnt(0)
	buffer_load_dword v82, off, s[0:3], 0 offset:240
	buffer_load_dword v83, off, s[0:3], 0 offset:244
	buffer_load_dword v84, off, s[0:3], 0 offset:248
	buffer_load_dword v85, off, s[0:3], 0 offset:252
	buffer_load_dword v86, off, s[0:3], 0 offset:256
	buffer_load_dword v87, off, s[0:3], 0 offset:260
	buffer_load_dword v88, off, s[0:3], 0 offset:264
	buffer_load_dword v89, off, s[0:3], 0 offset:268
	buffer_load_dword v90, off, s[0:3], 0 offset:272
	buffer_load_dword v91, off, s[0:3], 0 offset:276
	buffer_load_dword v92, off, s[0:3], 0 offset:232
	buffer_load_dword v93, off, s[0:3], 0 offset:236
	v_mov_b32_e32 v72, 0
	ds_read_b128 v[74:77], v72 offset:528
	ds_read_b128 v[78:81], v72 offset:544
	ds_read_b64 v[94:95], v72 offset:560
	v_cmp_lt_u32_e32 vcc, 28, v0
	s_waitcnt vmcnt(10) lgkmcnt(2)
	v_fma_f64 v[74:75], v[82:83], v[74:75], 0
	s_waitcnt vmcnt(8)
	v_fmac_f64_e32 v[74:75], v[84:85], v[76:77]
	s_waitcnt vmcnt(6) lgkmcnt(1)
	v_fmac_f64_e32 v[74:75], v[86:87], v[78:79]
	s_waitcnt vmcnt(4)
	v_fmac_f64_e32 v[74:75], v[88:89], v[80:81]
	s_waitcnt vmcnt(2) lgkmcnt(0)
	v_fmac_f64_e32 v[74:75], v[90:91], v[94:95]
	s_waitcnt vmcnt(0)
	v_add_f64 v[74:75], v[92:93], -v[74:75]
	buffer_store_dword v74, off, s[0:3], 0 offset:232
	buffer_store_dword v75, off, s[0:3], 0 offset:236
	s_and_saveexec_b64 s[4:5], vcc
	s_cbranch_execz .LBB34_161
; %bb.160:
	buffer_load_dword v74, off, s[0:3], 0 offset:224
	buffer_load_dword v75, off, s[0:3], 0 offset:228
	s_waitcnt vmcnt(0)
	ds_write_b64 v1, v[74:75]
	buffer_store_dword v72, off, s[0:3], 0 offset:224
	buffer_store_dword v72, off, s[0:3], 0 offset:228
.LBB34_161:
	s_or_b64 exec, exec, s[4:5]
	s_waitcnt lgkmcnt(0)
	; wave barrier
	s_waitcnt lgkmcnt(0)
	buffer_load_dword v86, off, s[0:3], 0 offset:232
	buffer_load_dword v87, off, s[0:3], 0 offset:236
	;; [unrolled: 1-line block ×14, first 2 shown]
	ds_read2_b64 v[74:77], v72 offset0:65 offset1:66
	ds_read2_b64 v[78:81], v72 offset0:67 offset1:68
	;; [unrolled: 1-line block ×3, first 2 shown]
	v_cmp_lt_u32_e32 vcc, 27, v0
	s_waitcnt vmcnt(12) lgkmcnt(2)
	v_fma_f64 v[72:73], v[86:87], v[74:75], 0
	s_waitcnt vmcnt(10)
	v_fmac_f64_e32 v[72:73], v[88:89], v[76:77]
	s_waitcnt vmcnt(8) lgkmcnt(1)
	v_fmac_f64_e32 v[72:73], v[90:91], v[78:79]
	s_waitcnt vmcnt(6)
	v_fmac_f64_e32 v[72:73], v[92:93], v[80:81]
	s_waitcnt vmcnt(4) lgkmcnt(0)
	v_fmac_f64_e32 v[72:73], v[94:95], v[82:83]
	s_waitcnt vmcnt(2)
	v_fmac_f64_e32 v[72:73], v[96:97], v[84:85]
	s_waitcnt vmcnt(0)
	v_add_f64 v[72:73], v[98:99], -v[72:73]
	buffer_store_dword v72, off, s[0:3], 0 offset:224
	buffer_store_dword v73, off, s[0:3], 0 offset:228
	s_and_saveexec_b64 s[4:5], vcc
	s_cbranch_execz .LBB34_163
; %bb.162:
	buffer_load_dword v72, off, s[0:3], 0 offset:216
	buffer_load_dword v73, off, s[0:3], 0 offset:220
	v_mov_b32_e32 v74, 0
	buffer_store_dword v74, off, s[0:3], 0 offset:216
	buffer_store_dword v74, off, s[0:3], 0 offset:220
	s_waitcnt vmcnt(2)
	ds_write_b64 v1, v[72:73]
.LBB34_163:
	s_or_b64 exec, exec, s[4:5]
	s_waitcnt lgkmcnt(0)
	; wave barrier
	s_waitcnt lgkmcnt(0)
	buffer_load_dword v86, off, s[0:3], 0 offset:224
	buffer_load_dword v87, off, s[0:3], 0 offset:228
	;; [unrolled: 1-line block ×16, first 2 shown]
	v_mov_b32_e32 v72, 0
	ds_read_b128 v[74:77], v72 offset:512
	ds_read_b128 v[78:81], v72 offset:528
	;; [unrolled: 1-line block ×3, first 2 shown]
	ds_read_b64 v[102:103], v72 offset:560
	v_cmp_lt_u32_e32 vcc, 26, v0
	s_waitcnt vmcnt(14) lgkmcnt(3)
	v_fma_f64 v[74:75], v[86:87], v[74:75], 0
	s_waitcnt vmcnt(12)
	v_fmac_f64_e32 v[74:75], v[88:89], v[76:77]
	s_waitcnt vmcnt(10) lgkmcnt(2)
	v_fmac_f64_e32 v[74:75], v[90:91], v[78:79]
	s_waitcnt vmcnt(8)
	v_fmac_f64_e32 v[74:75], v[92:93], v[80:81]
	s_waitcnt vmcnt(6) lgkmcnt(1)
	v_fmac_f64_e32 v[74:75], v[94:95], v[82:83]
	s_waitcnt vmcnt(4)
	v_fmac_f64_e32 v[74:75], v[96:97], v[84:85]
	s_waitcnt vmcnt(2) lgkmcnt(0)
	v_fmac_f64_e32 v[74:75], v[98:99], v[102:103]
	s_waitcnt vmcnt(0)
	v_add_f64 v[74:75], v[100:101], -v[74:75]
	buffer_store_dword v74, off, s[0:3], 0 offset:216
	buffer_store_dword v75, off, s[0:3], 0 offset:220
	s_and_saveexec_b64 s[4:5], vcc
	s_cbranch_execz .LBB34_165
; %bb.164:
	buffer_load_dword v74, off, s[0:3], 0 offset:208
	buffer_load_dword v75, off, s[0:3], 0 offset:212
	s_waitcnt vmcnt(0)
	ds_write_b64 v1, v[74:75]
	buffer_store_dword v72, off, s[0:3], 0 offset:208
	buffer_store_dword v72, off, s[0:3], 0 offset:212
.LBB34_165:
	s_or_b64 exec, exec, s[4:5]
	s_waitcnt lgkmcnt(0)
	; wave barrier
	s_waitcnt lgkmcnt(0)
	buffer_load_dword v90, off, s[0:3], 0 offset:216
	buffer_load_dword v91, off, s[0:3], 0 offset:220
	;; [unrolled: 1-line block ×18, first 2 shown]
	ds_read2_b64 v[74:77], v72 offset0:63 offset1:64
	ds_read2_b64 v[78:81], v72 offset0:65 offset1:66
	;; [unrolled: 1-line block ×4, first 2 shown]
	v_cmp_lt_u32_e32 vcc, 25, v0
	s_waitcnt vmcnt(16) lgkmcnt(3)
	v_fma_f64 v[72:73], v[90:91], v[74:75], 0
	s_waitcnt vmcnt(14)
	v_fmac_f64_e32 v[72:73], v[92:93], v[76:77]
	s_waitcnt vmcnt(12) lgkmcnt(2)
	v_fmac_f64_e32 v[72:73], v[94:95], v[78:79]
	s_waitcnt vmcnt(10)
	v_fmac_f64_e32 v[72:73], v[96:97], v[80:81]
	s_waitcnt vmcnt(8) lgkmcnt(1)
	v_fmac_f64_e32 v[72:73], v[98:99], v[82:83]
	;; [unrolled: 4-line block ×3, first 2 shown]
	s_waitcnt vmcnt(2)
	v_fmac_f64_e32 v[72:73], v[104:105], v[88:89]
	s_waitcnt vmcnt(0)
	v_add_f64 v[72:73], v[106:107], -v[72:73]
	buffer_store_dword v72, off, s[0:3], 0 offset:208
	buffer_store_dword v73, off, s[0:3], 0 offset:212
	s_and_saveexec_b64 s[4:5], vcc
	s_cbranch_execz .LBB34_167
; %bb.166:
	buffer_load_dword v72, off, s[0:3], 0 offset:200
	buffer_load_dword v73, off, s[0:3], 0 offset:204
	v_mov_b32_e32 v74, 0
	buffer_store_dword v74, off, s[0:3], 0 offset:200
	buffer_store_dword v74, off, s[0:3], 0 offset:204
	s_waitcnt vmcnt(2)
	ds_write_b64 v1, v[72:73]
.LBB34_167:
	s_or_b64 exec, exec, s[4:5]
	s_waitcnt lgkmcnt(0)
	; wave barrier
	s_waitcnt lgkmcnt(0)
	buffer_load_dword v90, off, s[0:3], 0 offset:208
	buffer_load_dword v91, off, s[0:3], 0 offset:212
	;; [unrolled: 1-line block ×20, first 2 shown]
	v_mov_b32_e32 v72, 0
	ds_read_b128 v[74:77], v72 offset:496
	ds_read_b128 v[78:81], v72 offset:512
	ds_read_b128 v[82:85], v72 offset:528
	ds_read_b128 v[86:89], v72 offset:544
	ds_read_b64 v[110:111], v72 offset:560
	v_cmp_lt_u32_e32 vcc, 24, v0
	s_waitcnt vmcnt(18) lgkmcnt(4)
	v_fma_f64 v[74:75], v[90:91], v[74:75], 0
	s_waitcnt vmcnt(16)
	v_fmac_f64_e32 v[74:75], v[92:93], v[76:77]
	s_waitcnt vmcnt(14) lgkmcnt(3)
	v_fmac_f64_e32 v[74:75], v[94:95], v[78:79]
	s_waitcnt vmcnt(12)
	v_fmac_f64_e32 v[74:75], v[96:97], v[80:81]
	s_waitcnt vmcnt(10) lgkmcnt(2)
	v_fmac_f64_e32 v[74:75], v[98:99], v[82:83]
	;; [unrolled: 4-line block ×3, first 2 shown]
	s_waitcnt vmcnt(2)
	v_fmac_f64_e32 v[74:75], v[106:107], v[88:89]
	s_waitcnt lgkmcnt(0)
	v_fmac_f64_e32 v[74:75], v[104:105], v[110:111]
	s_waitcnt vmcnt(0)
	v_add_f64 v[74:75], v[108:109], -v[74:75]
	buffer_store_dword v74, off, s[0:3], 0 offset:200
	buffer_store_dword v75, off, s[0:3], 0 offset:204
	s_and_saveexec_b64 s[4:5], vcc
	s_cbranch_execz .LBB34_169
; %bb.168:
	buffer_load_dword v74, off, s[0:3], 0 offset:192
	buffer_load_dword v75, off, s[0:3], 0 offset:196
	s_waitcnt vmcnt(0)
	ds_write_b64 v1, v[74:75]
	buffer_store_dword v72, off, s[0:3], 0 offset:192
	buffer_store_dword v72, off, s[0:3], 0 offset:196
.LBB34_169:
	s_or_b64 exec, exec, s[4:5]
	s_waitcnt lgkmcnt(0)
	; wave barrier
	s_waitcnt lgkmcnt(0)
	buffer_load_dword v94, off, s[0:3], 0 offset:200
	buffer_load_dword v95, off, s[0:3], 0 offset:204
	;; [unrolled: 1-line block ×22, first 2 shown]
	ds_read2_b64 v[74:77], v72 offset0:61 offset1:62
	ds_read2_b64 v[78:81], v72 offset0:63 offset1:64
	;; [unrolled: 1-line block ×5, first 2 shown]
	v_cmp_lt_u32_e32 vcc, 23, v0
	s_waitcnt vmcnt(20) lgkmcnt(4)
	v_fma_f64 v[72:73], v[94:95], v[74:75], 0
	s_waitcnt vmcnt(18)
	v_fmac_f64_e32 v[72:73], v[96:97], v[76:77]
	s_waitcnt vmcnt(16) lgkmcnt(3)
	v_fmac_f64_e32 v[72:73], v[98:99], v[78:79]
	s_waitcnt vmcnt(14)
	v_fmac_f64_e32 v[72:73], v[100:101], v[80:81]
	s_waitcnt vmcnt(12) lgkmcnt(2)
	v_fmac_f64_e32 v[72:73], v[102:103], v[82:83]
	;; [unrolled: 4-line block ×3, first 2 shown]
	s_waitcnt vmcnt(3)
	v_fmac_f64_e32 v[72:73], v[112:113], v[88:89]
	s_waitcnt lgkmcnt(0)
	v_fmac_f64_e32 v[72:73], v[110:111], v[90:91]
	s_waitcnt vmcnt(2)
	v_fmac_f64_e32 v[72:73], v[108:109], v[92:93]
	s_waitcnt vmcnt(0)
	v_add_f64 v[72:73], v[114:115], -v[72:73]
	buffer_store_dword v72, off, s[0:3], 0 offset:192
	buffer_store_dword v73, off, s[0:3], 0 offset:196
	s_and_saveexec_b64 s[4:5], vcc
	s_cbranch_execz .LBB34_171
; %bb.170:
	buffer_load_dword v72, off, s[0:3], 0 offset:184
	buffer_load_dword v73, off, s[0:3], 0 offset:188
	v_mov_b32_e32 v74, 0
	buffer_store_dword v74, off, s[0:3], 0 offset:184
	buffer_store_dword v74, off, s[0:3], 0 offset:188
	s_waitcnt vmcnt(2)
	ds_write_b64 v1, v[72:73]
.LBB34_171:
	s_or_b64 exec, exec, s[4:5]
	s_waitcnt lgkmcnt(0)
	; wave barrier
	s_waitcnt lgkmcnt(0)
	buffer_load_dword v94, off, s[0:3], 0 offset:192
	buffer_load_dword v95, off, s[0:3], 0 offset:196
	buffer_load_dword v96, off, s[0:3], 0 offset:200
	buffer_load_dword v97, off, s[0:3], 0 offset:204
	buffer_load_dword v98, off, s[0:3], 0 offset:208
	buffer_load_dword v99, off, s[0:3], 0 offset:212
	buffer_load_dword v100, off, s[0:3], 0 offset:216
	buffer_load_dword v101, off, s[0:3], 0 offset:220
	buffer_load_dword v102, off, s[0:3], 0 offset:224
	buffer_load_dword v103, off, s[0:3], 0 offset:228
	buffer_load_dword v104, off, s[0:3], 0 offset:232
	buffer_load_dword v105, off, s[0:3], 0 offset:236
	buffer_load_dword v106, off, s[0:3], 0 offset:240
	buffer_load_dword v107, off, s[0:3], 0 offset:244
	buffer_load_dword v108, off, s[0:3], 0 offset:272
	buffer_load_dword v110, off, s[0:3], 0 offset:264
	buffer_load_dword v113, off, s[0:3], 0 offset:260
	buffer_load_dword v112, off, s[0:3], 0 offset:256
	buffer_load_dword v115, off, s[0:3], 0 offset:252
	buffer_load_dword v114, off, s[0:3], 0 offset:248
	buffer_load_dword v111, off, s[0:3], 0 offset:268
	buffer_load_dword v109, off, s[0:3], 0 offset:276
	buffer_load_dword v116, off, s[0:3], 0 offset:184
	buffer_load_dword v117, off, s[0:3], 0 offset:188
	v_mov_b32_e32 v72, 0
	ds_read_b128 v[74:77], v72 offset:480
	ds_read_b128 v[78:81], v72 offset:496
	;; [unrolled: 1-line block ×5, first 2 shown]
	ds_read_b64 v[118:119], v72 offset:560
	v_cmp_lt_u32_e32 vcc, 22, v0
	s_waitcnt vmcnt(22) lgkmcnt(5)
	v_fma_f64 v[74:75], v[94:95], v[74:75], 0
	s_waitcnt vmcnt(20)
	v_fmac_f64_e32 v[74:75], v[96:97], v[76:77]
	s_waitcnt vmcnt(18) lgkmcnt(4)
	v_fmac_f64_e32 v[74:75], v[98:99], v[78:79]
	s_waitcnt vmcnt(16)
	v_fmac_f64_e32 v[74:75], v[100:101], v[80:81]
	s_waitcnt vmcnt(14) lgkmcnt(3)
	v_fmac_f64_e32 v[74:75], v[102:103], v[82:83]
	;; [unrolled: 4-line block ×3, first 2 shown]
	s_waitcnt vmcnt(4)
	v_fmac_f64_e32 v[74:75], v[114:115], v[88:89]
	s_waitcnt lgkmcnt(1)
	v_fmac_f64_e32 v[74:75], v[112:113], v[90:91]
	s_waitcnt vmcnt(3)
	v_fmac_f64_e32 v[74:75], v[110:111], v[92:93]
	s_waitcnt vmcnt(2) lgkmcnt(0)
	v_fmac_f64_e32 v[74:75], v[108:109], v[118:119]
	s_waitcnt vmcnt(0)
	v_add_f64 v[74:75], v[116:117], -v[74:75]
	buffer_store_dword v75, off, s[0:3], 0 offset:188
	buffer_store_dword v74, off, s[0:3], 0 offset:184
	s_and_saveexec_b64 s[4:5], vcc
	s_cbranch_execz .LBB34_173
; %bb.172:
	buffer_load_dword v74, off, s[0:3], 0 offset:176
	buffer_load_dword v75, off, s[0:3], 0 offset:180
	s_waitcnt vmcnt(0)
	ds_write_b64 v1, v[74:75]
	buffer_store_dword v72, off, s[0:3], 0 offset:176
	buffer_store_dword v72, off, s[0:3], 0 offset:180
.LBB34_173:
	s_or_b64 exec, exec, s[4:5]
	s_waitcnt lgkmcnt(0)
	; wave barrier
	s_waitcnt lgkmcnt(0)
	buffer_load_dword v98, off, s[0:3], 0 offset:184
	buffer_load_dword v99, off, s[0:3], 0 offset:188
	;; [unrolled: 1-line block ×26, first 2 shown]
	ds_read2_b64 v[74:77], v72 offset0:59 offset1:60
	ds_read2_b64 v[78:81], v72 offset0:61 offset1:62
	;; [unrolled: 1-line block ×6, first 2 shown]
	v_cmp_lt_u32_e32 vcc, 21, v0
	s_waitcnt vmcnt(24) lgkmcnt(5)
	v_fma_f64 v[72:73], v[98:99], v[74:75], 0
	s_waitcnt vmcnt(22)
	v_fmac_f64_e32 v[72:73], v[100:101], v[76:77]
	s_waitcnt vmcnt(20) lgkmcnt(4)
	v_fmac_f64_e32 v[72:73], v[102:103], v[78:79]
	s_waitcnt vmcnt(18)
	v_fmac_f64_e32 v[72:73], v[104:105], v[80:81]
	s_waitcnt vmcnt(16) lgkmcnt(3)
	v_fmac_f64_e32 v[72:73], v[106:107], v[82:83]
	;; [unrolled: 4-line block ×3, first 2 shown]
	s_waitcnt vmcnt(5)
	v_fmac_f64_e32 v[72:73], v[118:119], v[88:89]
	s_waitcnt lgkmcnt(1)
	v_fmac_f64_e32 v[72:73], v[116:117], v[90:91]
	v_fmac_f64_e32 v[72:73], v[114:115], v[92:93]
	s_waitcnt vmcnt(4) lgkmcnt(0)
	v_fmac_f64_e32 v[72:73], v[112:113], v[94:95]
	s_waitcnt vmcnt(2)
	v_fmac_f64_e32 v[72:73], v[120:121], v[96:97]
	s_waitcnt vmcnt(0)
	v_add_f64 v[72:73], v[122:123], -v[72:73]
	buffer_store_dword v73, off, s[0:3], 0 offset:180
	buffer_store_dword v72, off, s[0:3], 0 offset:176
	s_and_saveexec_b64 s[4:5], vcc
	s_cbranch_execz .LBB34_175
; %bb.174:
	buffer_load_dword v72, off, s[0:3], 0 offset:168
	buffer_load_dword v73, off, s[0:3], 0 offset:172
	v_mov_b32_e32 v74, 0
	buffer_store_dword v74, off, s[0:3], 0 offset:168
	buffer_store_dword v74, off, s[0:3], 0 offset:172
	s_waitcnt vmcnt(2)
	ds_write_b64 v1, v[72:73]
.LBB34_175:
	s_or_b64 exec, exec, s[4:5]
	s_waitcnt lgkmcnt(0)
	; wave barrier
	s_waitcnt lgkmcnt(0)
	buffer_load_dword v90, off, s[0:3], 0 offset:168
	buffer_load_dword v91, off, s[0:3], 0 offset:172
	;; [unrolled: 1-line block ×16, first 2 shown]
	v_mov_b32_e32 v72, 0
	ds_read_b128 v[74:77], v72 offset:464
	ds_read_b128 v[78:81], v72 offset:480
	;; [unrolled: 1-line block ×4, first 2 shown]
	v_cmp_lt_u32_e32 vcc, 20, v0
	s_waitcnt vmcnt(12) lgkmcnt(3)
	v_fma_f64 v[92:93], v[92:93], v[74:75], 0
	buffer_load_dword v75, off, s[0:3], 0 offset:236
	buffer_load_dword v74, off, s[0:3], 0 offset:232
	s_waitcnt vmcnt(12)
	v_fmac_f64_e32 v[92:93], v[94:95], v[76:77]
	s_waitcnt vmcnt(10) lgkmcnt(2)
	v_fmac_f64_e32 v[92:93], v[96:97], v[78:79]
	buffer_load_dword v79, off, s[0:3], 0 offset:244
	buffer_load_dword v78, off, s[0:3], 0 offset:240
	s_waitcnt vmcnt(10)
	v_fmac_f64_e32 v[92:93], v[98:99], v[80:81]
	s_waitcnt vmcnt(8) lgkmcnt(1)
	v_fmac_f64_e32 v[92:93], v[100:101], v[82:83]
	s_waitcnt vmcnt(6)
	v_fmac_f64_e32 v[92:93], v[102:103], v[84:85]
	s_waitcnt vmcnt(4) lgkmcnt(0)
	v_fmac_f64_e32 v[92:93], v[104:105], v[86:87]
	s_waitcnt vmcnt(2)
	v_fmac_f64_e32 v[92:93], v[74:75], v[88:89]
	ds_read_b128 v[74:77], v72 offset:528
	s_waitcnt vmcnt(0) lgkmcnt(0)
	v_fmac_f64_e32 v[92:93], v[78:79], v[74:75]
	buffer_load_dword v75, off, s[0:3], 0 offset:252
	buffer_load_dword v74, off, s[0:3], 0 offset:248
	;; [unrolled: 1-line block ×4, first 2 shown]
	s_waitcnt vmcnt(2)
	v_fmac_f64_e32 v[92:93], v[74:75], v[76:77]
	ds_read_b128 v[74:77], v72 offset:544
	s_waitcnt vmcnt(0) lgkmcnt(0)
	v_fmac_f64_e32 v[92:93], v[78:79], v[74:75]
	buffer_load_dword v75, off, s[0:3], 0 offset:268
	buffer_load_dword v74, off, s[0:3], 0 offset:264
	s_waitcnt vmcnt(0)
	v_fmac_f64_e32 v[92:93], v[74:75], v[76:77]
	buffer_load_dword v75, off, s[0:3], 0 offset:276
	buffer_load_dword v74, off, s[0:3], 0 offset:272
	ds_read_b64 v[76:77], v72 offset:560
	s_waitcnt vmcnt(0) lgkmcnt(0)
	v_fmac_f64_e32 v[92:93], v[74:75], v[76:77]
	v_add_f64 v[74:75], v[90:91], -v[92:93]
	buffer_store_dword v75, off, s[0:3], 0 offset:172
	buffer_store_dword v74, off, s[0:3], 0 offset:168
	s_and_saveexec_b64 s[4:5], vcc
	s_cbranch_execz .LBB34_177
; %bb.176:
	buffer_load_dword v74, off, s[0:3], 0 offset:160
	buffer_load_dword v75, off, s[0:3], 0 offset:164
	s_waitcnt vmcnt(0)
	ds_write_b64 v1, v[74:75]
	buffer_store_dword v72, off, s[0:3], 0 offset:160
	buffer_store_dword v72, off, s[0:3], 0 offset:164
.LBB34_177:
	s_or_b64 exec, exec, s[4:5]
	s_waitcnt lgkmcnt(0)
	; wave barrier
	s_waitcnt lgkmcnt(0)
	buffer_load_dword v78, off, s[0:3], 0 offset:160
	buffer_load_dword v79, off, s[0:3], 0 offset:164
	;; [unrolled: 1-line block ×16, first 2 shown]
	ds_read2_b64 v[74:77], v72 offset0:57 offset1:58
	v_cmp_lt_u32_e32 vcc, 19, v0
	s_waitcnt vmcnt(12) lgkmcnt(0)
	v_fma_f64 v[80:81], v[80:81], v[74:75], 0
	s_waitcnt vmcnt(10)
	v_fmac_f64_e32 v[80:81], v[82:83], v[76:77]
	ds_read2_b64 v[74:77], v72 offset0:59 offset1:60
	s_waitcnt vmcnt(8) lgkmcnt(0)
	v_fmac_f64_e32 v[80:81], v[84:85], v[74:75]
	s_waitcnt vmcnt(6)
	v_fmac_f64_e32 v[80:81], v[86:87], v[76:77]
	ds_read2_b64 v[74:77], v72 offset0:61 offset1:62
	s_waitcnt vmcnt(4) lgkmcnt(0)
	v_fmac_f64_e32 v[80:81], v[88:89], v[74:75]
	;; [unrolled: 5-line block ×3, first 2 shown]
	buffer_load_dword v75, off, s[0:3], 0 offset:228
	buffer_load_dword v74, off, s[0:3], 0 offset:224
	;; [unrolled: 1-line block ×4, first 2 shown]
	s_waitcnt vmcnt(2)
	v_fmac_f64_e32 v[80:81], v[74:75], v[76:77]
	ds_read2_b64 v[74:77], v72 offset0:65 offset1:66
	s_waitcnt vmcnt(0) lgkmcnt(0)
	v_fmac_f64_e32 v[80:81], v[82:83], v[74:75]
	buffer_load_dword v75, off, s[0:3], 0 offset:244
	buffer_load_dword v74, off, s[0:3], 0 offset:240
	;; [unrolled: 1-line block ×4, first 2 shown]
	s_waitcnt vmcnt(2)
	v_fmac_f64_e32 v[80:81], v[74:75], v[76:77]
	ds_read2_b64 v[74:77], v72 offset0:67 offset1:68
	s_waitcnt vmcnt(0) lgkmcnt(0)
	v_fmac_f64_e32 v[80:81], v[82:83], v[74:75]
	buffer_load_dword v75, off, s[0:3], 0 offset:260
	buffer_load_dword v74, off, s[0:3], 0 offset:256
	s_waitcnt vmcnt(0)
	v_fmac_f64_e32 v[80:81], v[74:75], v[76:77]
	buffer_load_dword v77, off, s[0:3], 0 offset:268
	buffer_load_dword v76, off, s[0:3], 0 offset:264
	ds_read2_b64 v[72:75], v72 offset0:69 offset1:70
	s_waitcnt vmcnt(0) lgkmcnt(0)
	v_fmac_f64_e32 v[80:81], v[76:77], v[72:73]
	buffer_load_dword v73, off, s[0:3], 0 offset:276
	buffer_load_dword v72, off, s[0:3], 0 offset:272
	s_waitcnt vmcnt(0)
	v_fmac_f64_e32 v[80:81], v[72:73], v[74:75]
	v_add_f64 v[72:73], v[78:79], -v[80:81]
	buffer_store_dword v73, off, s[0:3], 0 offset:164
	buffer_store_dword v72, off, s[0:3], 0 offset:160
	s_and_saveexec_b64 s[4:5], vcc
	s_cbranch_execz .LBB34_179
; %bb.178:
	buffer_load_dword v72, off, s[0:3], 0 offset:152
	buffer_load_dword v73, off, s[0:3], 0 offset:156
	v_mov_b32_e32 v74, 0
	buffer_store_dword v74, off, s[0:3], 0 offset:152
	buffer_store_dword v74, off, s[0:3], 0 offset:156
	s_waitcnt vmcnt(2)
	ds_write_b64 v1, v[72:73]
.LBB34_179:
	s_or_b64 exec, exec, s[4:5]
	s_waitcnt lgkmcnt(0)
	; wave barrier
	s_waitcnt lgkmcnt(0)
	buffer_load_dword v90, off, s[0:3], 0 offset:152
	buffer_load_dword v91, off, s[0:3], 0 offset:156
	;; [unrolled: 1-line block ×16, first 2 shown]
	v_mov_b32_e32 v72, 0
	ds_read_b128 v[74:77], v72 offset:448
	ds_read_b128 v[78:81], v72 offset:464
	;; [unrolled: 1-line block ×4, first 2 shown]
	v_cmp_lt_u32_e32 vcc, 18, v0
	s_waitcnt vmcnt(12) lgkmcnt(3)
	v_fma_f64 v[92:93], v[92:93], v[74:75], 0
	buffer_load_dword v75, off, s[0:3], 0 offset:220
	buffer_load_dword v74, off, s[0:3], 0 offset:216
	s_waitcnt vmcnt(12)
	v_fmac_f64_e32 v[92:93], v[94:95], v[76:77]
	s_waitcnt vmcnt(10) lgkmcnt(2)
	v_fmac_f64_e32 v[92:93], v[96:97], v[78:79]
	buffer_load_dword v79, off, s[0:3], 0 offset:228
	buffer_load_dword v78, off, s[0:3], 0 offset:224
	s_waitcnt vmcnt(10)
	v_fmac_f64_e32 v[92:93], v[98:99], v[80:81]
	s_waitcnt vmcnt(8) lgkmcnt(1)
	v_fmac_f64_e32 v[92:93], v[100:101], v[82:83]
	s_waitcnt vmcnt(6)
	v_fmac_f64_e32 v[92:93], v[102:103], v[84:85]
	s_waitcnt vmcnt(4) lgkmcnt(0)
	v_fmac_f64_e32 v[92:93], v[104:105], v[86:87]
	s_waitcnt vmcnt(2)
	v_fmac_f64_e32 v[92:93], v[74:75], v[88:89]
	ds_read_b128 v[74:77], v72 offset:512
	s_waitcnt vmcnt(0) lgkmcnt(0)
	v_fmac_f64_e32 v[92:93], v[78:79], v[74:75]
	buffer_load_dword v75, off, s[0:3], 0 offset:236
	buffer_load_dword v74, off, s[0:3], 0 offset:232
	;; [unrolled: 1-line block ×4, first 2 shown]
	s_waitcnt vmcnt(2)
	v_fmac_f64_e32 v[92:93], v[74:75], v[76:77]
	ds_read_b128 v[74:77], v72 offset:528
	s_waitcnt vmcnt(0) lgkmcnt(0)
	v_fmac_f64_e32 v[92:93], v[78:79], v[74:75]
	buffer_load_dword v75, off, s[0:3], 0 offset:252
	buffer_load_dword v74, off, s[0:3], 0 offset:248
	;; [unrolled: 1-line block ×4, first 2 shown]
	s_waitcnt vmcnt(2)
	v_fmac_f64_e32 v[92:93], v[74:75], v[76:77]
	ds_read_b128 v[74:77], v72 offset:544
	s_waitcnt vmcnt(0) lgkmcnt(0)
	v_fmac_f64_e32 v[92:93], v[78:79], v[74:75]
	buffer_load_dword v75, off, s[0:3], 0 offset:268
	buffer_load_dword v74, off, s[0:3], 0 offset:264
	s_waitcnt vmcnt(0)
	v_fmac_f64_e32 v[92:93], v[74:75], v[76:77]
	buffer_load_dword v75, off, s[0:3], 0 offset:276
	buffer_load_dword v74, off, s[0:3], 0 offset:272
	ds_read_b64 v[76:77], v72 offset:560
	s_waitcnt vmcnt(0) lgkmcnt(0)
	v_fmac_f64_e32 v[92:93], v[74:75], v[76:77]
	v_add_f64 v[74:75], v[90:91], -v[92:93]
	buffer_store_dword v75, off, s[0:3], 0 offset:156
	buffer_store_dword v74, off, s[0:3], 0 offset:152
	s_and_saveexec_b64 s[4:5], vcc
	s_cbranch_execz .LBB34_181
; %bb.180:
	buffer_load_dword v74, off, s[0:3], 0 offset:144
	buffer_load_dword v75, off, s[0:3], 0 offset:148
	s_waitcnt vmcnt(0)
	ds_write_b64 v1, v[74:75]
	buffer_store_dword v72, off, s[0:3], 0 offset:144
	buffer_store_dword v72, off, s[0:3], 0 offset:148
.LBB34_181:
	s_or_b64 exec, exec, s[4:5]
	s_waitcnt lgkmcnt(0)
	; wave barrier
	s_waitcnt lgkmcnt(0)
	buffer_load_dword v78, off, s[0:3], 0 offset:144
	buffer_load_dword v79, off, s[0:3], 0 offset:148
	;; [unrolled: 1-line block ×16, first 2 shown]
	ds_read2_b64 v[74:77], v72 offset0:55 offset1:56
	v_cmp_lt_u32_e32 vcc, 17, v0
	s_waitcnt vmcnt(12) lgkmcnt(0)
	v_fma_f64 v[80:81], v[80:81], v[74:75], 0
	s_waitcnt vmcnt(10)
	v_fmac_f64_e32 v[80:81], v[82:83], v[76:77]
	ds_read2_b64 v[74:77], v72 offset0:57 offset1:58
	s_waitcnt vmcnt(8) lgkmcnt(0)
	v_fmac_f64_e32 v[80:81], v[84:85], v[74:75]
	s_waitcnt vmcnt(6)
	v_fmac_f64_e32 v[80:81], v[86:87], v[76:77]
	ds_read2_b64 v[74:77], v72 offset0:59 offset1:60
	s_waitcnt vmcnt(4) lgkmcnt(0)
	v_fmac_f64_e32 v[80:81], v[88:89], v[74:75]
	;; [unrolled: 5-line block ×3, first 2 shown]
	buffer_load_dword v75, off, s[0:3], 0 offset:212
	buffer_load_dword v74, off, s[0:3], 0 offset:208
	buffer_load_dword v83, off, s[0:3], 0 offset:220
	buffer_load_dword v82, off, s[0:3], 0 offset:216
	s_waitcnt vmcnt(2)
	v_fmac_f64_e32 v[80:81], v[74:75], v[76:77]
	ds_read2_b64 v[74:77], v72 offset0:63 offset1:64
	s_waitcnt vmcnt(0) lgkmcnt(0)
	v_fmac_f64_e32 v[80:81], v[82:83], v[74:75]
	buffer_load_dword v75, off, s[0:3], 0 offset:228
	buffer_load_dword v74, off, s[0:3], 0 offset:224
	buffer_load_dword v83, off, s[0:3], 0 offset:236
	buffer_load_dword v82, off, s[0:3], 0 offset:232
	s_waitcnt vmcnt(2)
	v_fmac_f64_e32 v[80:81], v[74:75], v[76:77]
	ds_read2_b64 v[74:77], v72 offset0:65 offset1:66
	s_waitcnt vmcnt(0) lgkmcnt(0)
	v_fmac_f64_e32 v[80:81], v[82:83], v[74:75]
	;; [unrolled: 9-line block ×3, first 2 shown]
	buffer_load_dword v75, off, s[0:3], 0 offset:260
	buffer_load_dword v74, off, s[0:3], 0 offset:256
	s_waitcnt vmcnt(0)
	v_fmac_f64_e32 v[80:81], v[74:75], v[76:77]
	buffer_load_dword v77, off, s[0:3], 0 offset:268
	buffer_load_dword v76, off, s[0:3], 0 offset:264
	ds_read2_b64 v[72:75], v72 offset0:69 offset1:70
	s_waitcnt vmcnt(0) lgkmcnt(0)
	v_fmac_f64_e32 v[80:81], v[76:77], v[72:73]
	buffer_load_dword v73, off, s[0:3], 0 offset:276
	buffer_load_dword v72, off, s[0:3], 0 offset:272
	s_waitcnt vmcnt(0)
	v_fmac_f64_e32 v[80:81], v[72:73], v[74:75]
	v_add_f64 v[72:73], v[78:79], -v[80:81]
	buffer_store_dword v73, off, s[0:3], 0 offset:148
	buffer_store_dword v72, off, s[0:3], 0 offset:144
	s_and_saveexec_b64 s[4:5], vcc
	s_cbranch_execz .LBB34_183
; %bb.182:
	buffer_load_dword v72, off, s[0:3], 0 offset:136
	buffer_load_dword v73, off, s[0:3], 0 offset:140
	v_mov_b32_e32 v74, 0
	buffer_store_dword v74, off, s[0:3], 0 offset:136
	buffer_store_dword v74, off, s[0:3], 0 offset:140
	s_waitcnt vmcnt(2)
	ds_write_b64 v1, v[72:73]
.LBB34_183:
	s_or_b64 exec, exec, s[4:5]
	s_waitcnt lgkmcnt(0)
	; wave barrier
	s_waitcnt lgkmcnt(0)
	buffer_load_dword v72, off, s[0:3], 0 offset:136
	buffer_load_dword v73, off, s[0:3], 0 offset:140
	buffer_load_dword v74, off, s[0:3], 0 offset:144
	buffer_load_dword v75, off, s[0:3], 0 offset:148
	buffer_load_dword v94, off, s[0:3], 0 offset:152
	buffer_load_dword v95, off, s[0:3], 0 offset:156
	buffer_load_dword v96, off, s[0:3], 0 offset:160
	buffer_load_dword v97, off, s[0:3], 0 offset:164
	buffer_load_dword v98, off, s[0:3], 0 offset:168
	buffer_load_dword v99, off, s[0:3], 0 offset:172
	buffer_load_dword v100, off, s[0:3], 0 offset:176
	buffer_load_dword v101, off, s[0:3], 0 offset:180
	buffer_load_dword v102, off, s[0:3], 0 offset:184
	buffer_load_dword v103, off, s[0:3], 0 offset:188
	buffer_load_dword v104, off, s[0:3], 0 offset:192
	buffer_load_dword v105, off, s[0:3], 0 offset:196
	v_mov_b32_e32 v76, 0
	ds_read_b128 v[78:81], v76 offset:432
	ds_read_b128 v[82:85], v76 offset:448
	;; [unrolled: 1-line block ×4, first 2 shown]
	v_cmp_lt_u32_e32 vcc, 16, v0
	s_waitcnt vmcnt(12) lgkmcnt(3)
	v_fma_f64 v[74:75], v[74:75], v[78:79], 0
	buffer_load_dword v79, off, s[0:3], 0 offset:204
	buffer_load_dword v78, off, s[0:3], 0 offset:200
	s_waitcnt vmcnt(12)
	v_fmac_f64_e32 v[74:75], v[94:95], v[80:81]
	s_waitcnt vmcnt(10) lgkmcnt(2)
	v_fmac_f64_e32 v[74:75], v[96:97], v[82:83]
	buffer_load_dword v83, off, s[0:3], 0 offset:212
	buffer_load_dword v82, off, s[0:3], 0 offset:208
	s_waitcnt vmcnt(10)
	v_fmac_f64_e32 v[74:75], v[98:99], v[84:85]
	s_waitcnt vmcnt(8) lgkmcnt(1)
	v_fmac_f64_e32 v[74:75], v[100:101], v[86:87]
	s_waitcnt vmcnt(6)
	v_fmac_f64_e32 v[74:75], v[102:103], v[88:89]
	s_waitcnt vmcnt(4) lgkmcnt(0)
	v_fmac_f64_e32 v[74:75], v[104:105], v[90:91]
	s_waitcnt vmcnt(2)
	v_fmac_f64_e32 v[74:75], v[78:79], v[92:93]
	ds_read_b128 v[78:81], v76 offset:496
	s_waitcnt vmcnt(0) lgkmcnt(0)
	v_fmac_f64_e32 v[74:75], v[82:83], v[78:79]
	buffer_load_dword v79, off, s[0:3], 0 offset:220
	buffer_load_dword v78, off, s[0:3], 0 offset:216
	buffer_load_dword v83, off, s[0:3], 0 offset:228
	buffer_load_dword v82, off, s[0:3], 0 offset:224
	s_waitcnt vmcnt(2)
	v_fmac_f64_e32 v[74:75], v[78:79], v[80:81]
	ds_read_b128 v[78:81], v76 offset:512
	s_waitcnt vmcnt(0) lgkmcnt(0)
	v_fmac_f64_e32 v[74:75], v[82:83], v[78:79]
	buffer_load_dword v79, off, s[0:3], 0 offset:236
	buffer_load_dword v78, off, s[0:3], 0 offset:232
	buffer_load_dword v83, off, s[0:3], 0 offset:244
	buffer_load_dword v82, off, s[0:3], 0 offset:240
	;; [unrolled: 9-line block ×3, first 2 shown]
	s_waitcnt vmcnt(2)
	v_fmac_f64_e32 v[74:75], v[78:79], v[80:81]
	ds_read_b128 v[78:81], v76 offset:544
	s_waitcnt vmcnt(0) lgkmcnt(0)
	v_fmac_f64_e32 v[74:75], v[82:83], v[78:79]
	buffer_load_dword v79, off, s[0:3], 0 offset:268
	buffer_load_dword v78, off, s[0:3], 0 offset:264
	s_waitcnt vmcnt(0)
	v_fmac_f64_e32 v[74:75], v[78:79], v[80:81]
	buffer_load_dword v79, off, s[0:3], 0 offset:276
	buffer_load_dword v78, off, s[0:3], 0 offset:272
	ds_read_b64 v[80:81], v76 offset:560
	s_waitcnt vmcnt(0) lgkmcnt(0)
	v_fmac_f64_e32 v[74:75], v[78:79], v[80:81]
	v_add_f64 v[72:73], v[72:73], -v[74:75]
	buffer_store_dword v73, off, s[0:3], 0 offset:140
	buffer_store_dword v72, off, s[0:3], 0 offset:136
	s_and_saveexec_b64 s[4:5], vcc
	s_cbranch_execz .LBB34_185
; %bb.184:
	buffer_load_dword v72, off, s[0:3], 0 offset:128
	buffer_load_dword v73, off, s[0:3], 0 offset:132
	s_waitcnt vmcnt(0)
	ds_write_b64 v1, v[72:73]
	buffer_store_dword v76, off, s[0:3], 0 offset:128
	buffer_store_dword v76, off, s[0:3], 0 offset:132
.LBB34_185:
	s_or_b64 exec, exec, s[4:5]
	s_waitcnt lgkmcnt(0)
	; wave barrier
	s_waitcnt lgkmcnt(0)
	buffer_load_dword v72, off, s[0:3], 0 offset:128
	buffer_load_dword v73, off, s[0:3], 0 offset:132
	;; [unrolled: 1-line block ×16, first 2 shown]
	ds_read2_b64 v[78:81], v76 offset0:53 offset1:54
	v_cmp_lt_u32_e32 vcc, 15, v0
	s_waitcnt vmcnt(12) lgkmcnt(0)
	v_fma_f64 v[74:75], v[74:75], v[78:79], 0
	s_waitcnt vmcnt(10)
	v_fmac_f64_e32 v[74:75], v[82:83], v[80:81]
	ds_read2_b64 v[78:81], v76 offset0:55 offset1:56
	s_waitcnt vmcnt(8) lgkmcnt(0)
	v_fmac_f64_e32 v[74:75], v[84:85], v[78:79]
	s_waitcnt vmcnt(6)
	v_fmac_f64_e32 v[74:75], v[86:87], v[80:81]
	ds_read2_b64 v[78:81], v76 offset0:57 offset1:58
	s_waitcnt vmcnt(4) lgkmcnt(0)
	v_fmac_f64_e32 v[74:75], v[88:89], v[78:79]
	;; [unrolled: 5-line block ×3, first 2 shown]
	buffer_load_dword v79, off, s[0:3], 0 offset:196
	buffer_load_dword v78, off, s[0:3], 0 offset:192
	buffer_load_dword v83, off, s[0:3], 0 offset:204
	buffer_load_dword v82, off, s[0:3], 0 offset:200
	s_waitcnt vmcnt(2)
	v_fmac_f64_e32 v[74:75], v[78:79], v[80:81]
	ds_read2_b64 v[78:81], v76 offset0:61 offset1:62
	s_waitcnt vmcnt(0) lgkmcnt(0)
	v_fmac_f64_e32 v[74:75], v[82:83], v[78:79]
	buffer_load_dword v79, off, s[0:3], 0 offset:212
	buffer_load_dword v78, off, s[0:3], 0 offset:208
	buffer_load_dword v83, off, s[0:3], 0 offset:220
	buffer_load_dword v82, off, s[0:3], 0 offset:216
	s_waitcnt vmcnt(2)
	v_fmac_f64_e32 v[74:75], v[78:79], v[80:81]
	ds_read2_b64 v[78:81], v76 offset0:63 offset1:64
	s_waitcnt vmcnt(0) lgkmcnt(0)
	v_fmac_f64_e32 v[74:75], v[82:83], v[78:79]
	;; [unrolled: 9-line block ×4, first 2 shown]
	buffer_load_dword v79, off, s[0:3], 0 offset:260
	buffer_load_dword v78, off, s[0:3], 0 offset:256
	s_waitcnt vmcnt(0)
	v_fmac_f64_e32 v[74:75], v[78:79], v[80:81]
	buffer_load_dword v81, off, s[0:3], 0 offset:268
	buffer_load_dword v80, off, s[0:3], 0 offset:264
	ds_read2_b64 v[76:79], v76 offset0:69 offset1:70
	s_waitcnt vmcnt(0) lgkmcnt(0)
	v_fmac_f64_e32 v[74:75], v[80:81], v[76:77]
	buffer_load_dword v77, off, s[0:3], 0 offset:276
	buffer_load_dword v76, off, s[0:3], 0 offset:272
	s_waitcnt vmcnt(0)
	v_fmac_f64_e32 v[74:75], v[76:77], v[78:79]
	v_add_f64 v[72:73], v[72:73], -v[74:75]
	buffer_store_dword v73, off, s[0:3], 0 offset:132
	buffer_store_dword v72, off, s[0:3], 0 offset:128
	s_and_saveexec_b64 s[4:5], vcc
	s_cbranch_execz .LBB34_187
; %bb.186:
	buffer_load_dword v72, off, s[0:3], 0 offset:120
	buffer_load_dword v73, off, s[0:3], 0 offset:124
	v_mov_b32_e32 v74, 0
	buffer_store_dword v74, off, s[0:3], 0 offset:120
	buffer_store_dword v74, off, s[0:3], 0 offset:124
	s_waitcnt vmcnt(2)
	ds_write_b64 v1, v[72:73]
.LBB34_187:
	s_or_b64 exec, exec, s[4:5]
	s_waitcnt lgkmcnt(0)
	; wave barrier
	s_waitcnt lgkmcnt(0)
	buffer_load_dword v72, off, s[0:3], 0 offset:120
	buffer_load_dword v73, off, s[0:3], 0 offset:124
	;; [unrolled: 1-line block ×16, first 2 shown]
	v_mov_b32_e32 v76, 0
	ds_read_b128 v[78:81], v76 offset:416
	ds_read_b128 v[82:85], v76 offset:432
	;; [unrolled: 1-line block ×4, first 2 shown]
	v_cmp_lt_u32_e32 vcc, 14, v0
	s_waitcnt vmcnt(12) lgkmcnt(3)
	v_fma_f64 v[74:75], v[74:75], v[78:79], 0
	buffer_load_dword v79, off, s[0:3], 0 offset:188
	buffer_load_dword v78, off, s[0:3], 0 offset:184
	s_waitcnt vmcnt(12)
	v_fmac_f64_e32 v[74:75], v[94:95], v[80:81]
	s_waitcnt vmcnt(10) lgkmcnt(2)
	v_fmac_f64_e32 v[74:75], v[96:97], v[82:83]
	buffer_load_dword v83, off, s[0:3], 0 offset:196
	buffer_load_dword v82, off, s[0:3], 0 offset:192
	s_waitcnt vmcnt(10)
	v_fmac_f64_e32 v[74:75], v[98:99], v[84:85]
	s_waitcnt vmcnt(8) lgkmcnt(1)
	v_fmac_f64_e32 v[74:75], v[100:101], v[86:87]
	s_waitcnt vmcnt(6)
	v_fmac_f64_e32 v[74:75], v[102:103], v[88:89]
	s_waitcnt vmcnt(4) lgkmcnt(0)
	v_fmac_f64_e32 v[74:75], v[104:105], v[90:91]
	s_waitcnt vmcnt(2)
	v_fmac_f64_e32 v[74:75], v[78:79], v[92:93]
	ds_read_b128 v[78:81], v76 offset:480
	s_waitcnt vmcnt(0) lgkmcnt(0)
	v_fmac_f64_e32 v[74:75], v[82:83], v[78:79]
	buffer_load_dword v79, off, s[0:3], 0 offset:204
	buffer_load_dword v78, off, s[0:3], 0 offset:200
	buffer_load_dword v83, off, s[0:3], 0 offset:212
	buffer_load_dword v82, off, s[0:3], 0 offset:208
	s_waitcnt vmcnt(2)
	v_fmac_f64_e32 v[74:75], v[78:79], v[80:81]
	ds_read_b128 v[78:81], v76 offset:496
	s_waitcnt vmcnt(0) lgkmcnt(0)
	v_fmac_f64_e32 v[74:75], v[82:83], v[78:79]
	buffer_load_dword v79, off, s[0:3], 0 offset:220
	buffer_load_dword v78, off, s[0:3], 0 offset:216
	buffer_load_dword v83, off, s[0:3], 0 offset:228
	buffer_load_dword v82, off, s[0:3], 0 offset:224
	;; [unrolled: 9-line block ×4, first 2 shown]
	s_waitcnt vmcnt(2)
	v_fmac_f64_e32 v[74:75], v[78:79], v[80:81]
	ds_read_b128 v[78:81], v76 offset:544
	s_waitcnt vmcnt(0) lgkmcnt(0)
	v_fmac_f64_e32 v[74:75], v[82:83], v[78:79]
	buffer_load_dword v79, off, s[0:3], 0 offset:268
	buffer_load_dword v78, off, s[0:3], 0 offset:264
	s_waitcnt vmcnt(0)
	v_fmac_f64_e32 v[74:75], v[78:79], v[80:81]
	buffer_load_dword v79, off, s[0:3], 0 offset:276
	buffer_load_dword v78, off, s[0:3], 0 offset:272
	ds_read_b64 v[80:81], v76 offset:560
	s_waitcnt vmcnt(0) lgkmcnt(0)
	v_fmac_f64_e32 v[74:75], v[78:79], v[80:81]
	v_add_f64 v[72:73], v[72:73], -v[74:75]
	buffer_store_dword v73, off, s[0:3], 0 offset:124
	buffer_store_dword v72, off, s[0:3], 0 offset:120
	s_and_saveexec_b64 s[4:5], vcc
	s_cbranch_execz .LBB34_189
; %bb.188:
	buffer_load_dword v72, off, s[0:3], 0 offset:112
	buffer_load_dword v73, off, s[0:3], 0 offset:116
	s_waitcnt vmcnt(0)
	ds_write_b64 v1, v[72:73]
	buffer_store_dword v76, off, s[0:3], 0 offset:112
	buffer_store_dword v76, off, s[0:3], 0 offset:116
.LBB34_189:
	s_or_b64 exec, exec, s[4:5]
	s_waitcnt lgkmcnt(0)
	; wave barrier
	s_waitcnt lgkmcnt(0)
	buffer_load_dword v72, off, s[0:3], 0 offset:112
	buffer_load_dword v73, off, s[0:3], 0 offset:116
	;; [unrolled: 1-line block ×16, first 2 shown]
	ds_read2_b64 v[78:81], v76 offset0:51 offset1:52
	v_cmp_lt_u32_e32 vcc, 13, v0
	s_waitcnt vmcnt(12) lgkmcnt(0)
	v_fma_f64 v[74:75], v[74:75], v[78:79], 0
	s_waitcnt vmcnt(10)
	v_fmac_f64_e32 v[74:75], v[82:83], v[80:81]
	ds_read2_b64 v[78:81], v76 offset0:53 offset1:54
	s_waitcnt vmcnt(8) lgkmcnt(0)
	v_fmac_f64_e32 v[74:75], v[84:85], v[78:79]
	s_waitcnt vmcnt(6)
	v_fmac_f64_e32 v[74:75], v[86:87], v[80:81]
	ds_read2_b64 v[78:81], v76 offset0:55 offset1:56
	s_waitcnt vmcnt(4) lgkmcnt(0)
	v_fmac_f64_e32 v[74:75], v[88:89], v[78:79]
	;; [unrolled: 5-line block ×3, first 2 shown]
	buffer_load_dword v79, off, s[0:3], 0 offset:180
	buffer_load_dword v78, off, s[0:3], 0 offset:176
	buffer_load_dword v83, off, s[0:3], 0 offset:188
	buffer_load_dword v82, off, s[0:3], 0 offset:184
	s_waitcnt vmcnt(2)
	v_fmac_f64_e32 v[74:75], v[78:79], v[80:81]
	ds_read2_b64 v[78:81], v76 offset0:59 offset1:60
	s_waitcnt vmcnt(0) lgkmcnt(0)
	v_fmac_f64_e32 v[74:75], v[82:83], v[78:79]
	buffer_load_dword v79, off, s[0:3], 0 offset:196
	buffer_load_dword v78, off, s[0:3], 0 offset:192
	buffer_load_dword v83, off, s[0:3], 0 offset:204
	buffer_load_dword v82, off, s[0:3], 0 offset:200
	s_waitcnt vmcnt(2)
	v_fmac_f64_e32 v[74:75], v[78:79], v[80:81]
	ds_read2_b64 v[78:81], v76 offset0:61 offset1:62
	s_waitcnt vmcnt(0) lgkmcnt(0)
	v_fmac_f64_e32 v[74:75], v[82:83], v[78:79]
	;; [unrolled: 9-line block ×5, first 2 shown]
	buffer_load_dword v79, off, s[0:3], 0 offset:260
	buffer_load_dword v78, off, s[0:3], 0 offset:256
	s_waitcnt vmcnt(0)
	v_fmac_f64_e32 v[74:75], v[78:79], v[80:81]
	buffer_load_dword v81, off, s[0:3], 0 offset:268
	buffer_load_dword v80, off, s[0:3], 0 offset:264
	ds_read2_b64 v[76:79], v76 offset0:69 offset1:70
	s_waitcnt vmcnt(0) lgkmcnt(0)
	v_fmac_f64_e32 v[74:75], v[80:81], v[76:77]
	buffer_load_dword v77, off, s[0:3], 0 offset:276
	buffer_load_dword v76, off, s[0:3], 0 offset:272
	s_waitcnt vmcnt(0)
	v_fmac_f64_e32 v[74:75], v[76:77], v[78:79]
	v_add_f64 v[72:73], v[72:73], -v[74:75]
	buffer_store_dword v73, off, s[0:3], 0 offset:116
	buffer_store_dword v72, off, s[0:3], 0 offset:112
	s_and_saveexec_b64 s[4:5], vcc
	s_cbranch_execz .LBB34_191
; %bb.190:
	buffer_load_dword v72, off, s[0:3], 0 offset:104
	buffer_load_dword v73, off, s[0:3], 0 offset:108
	v_mov_b32_e32 v74, 0
	buffer_store_dword v74, off, s[0:3], 0 offset:104
	buffer_store_dword v74, off, s[0:3], 0 offset:108
	s_waitcnt vmcnt(2)
	ds_write_b64 v1, v[72:73]
.LBB34_191:
	s_or_b64 exec, exec, s[4:5]
	s_waitcnt lgkmcnt(0)
	; wave barrier
	s_waitcnt lgkmcnt(0)
	buffer_load_dword v72, off, s[0:3], 0 offset:104
	buffer_load_dword v73, off, s[0:3], 0 offset:108
	;; [unrolled: 1-line block ×16, first 2 shown]
	v_mov_b32_e32 v76, 0
	ds_read_b128 v[78:81], v76 offset:400
	ds_read_b128 v[82:85], v76 offset:416
	;; [unrolled: 1-line block ×4, first 2 shown]
	v_cmp_lt_u32_e32 vcc, 12, v0
	s_waitcnt vmcnt(12) lgkmcnt(3)
	v_fma_f64 v[74:75], v[74:75], v[78:79], 0
	buffer_load_dword v79, off, s[0:3], 0 offset:172
	buffer_load_dword v78, off, s[0:3], 0 offset:168
	s_waitcnt vmcnt(12)
	v_fmac_f64_e32 v[74:75], v[94:95], v[80:81]
	s_waitcnt vmcnt(10) lgkmcnt(2)
	v_fmac_f64_e32 v[74:75], v[96:97], v[82:83]
	buffer_load_dword v83, off, s[0:3], 0 offset:180
	buffer_load_dword v82, off, s[0:3], 0 offset:176
	s_waitcnt vmcnt(10)
	v_fmac_f64_e32 v[74:75], v[98:99], v[84:85]
	s_waitcnt vmcnt(8) lgkmcnt(1)
	v_fmac_f64_e32 v[74:75], v[100:101], v[86:87]
	s_waitcnt vmcnt(6)
	v_fmac_f64_e32 v[74:75], v[102:103], v[88:89]
	s_waitcnt vmcnt(4) lgkmcnt(0)
	v_fmac_f64_e32 v[74:75], v[104:105], v[90:91]
	s_waitcnt vmcnt(2)
	v_fmac_f64_e32 v[74:75], v[78:79], v[92:93]
	ds_read_b128 v[78:81], v76 offset:464
	s_waitcnt vmcnt(0) lgkmcnt(0)
	v_fmac_f64_e32 v[74:75], v[82:83], v[78:79]
	buffer_load_dword v79, off, s[0:3], 0 offset:188
	buffer_load_dword v78, off, s[0:3], 0 offset:184
	buffer_load_dword v83, off, s[0:3], 0 offset:196
	buffer_load_dword v82, off, s[0:3], 0 offset:192
	s_waitcnt vmcnt(2)
	v_fmac_f64_e32 v[74:75], v[78:79], v[80:81]
	ds_read_b128 v[78:81], v76 offset:480
	s_waitcnt vmcnt(0) lgkmcnt(0)
	v_fmac_f64_e32 v[74:75], v[82:83], v[78:79]
	buffer_load_dword v79, off, s[0:3], 0 offset:204
	buffer_load_dword v78, off, s[0:3], 0 offset:200
	buffer_load_dword v83, off, s[0:3], 0 offset:212
	buffer_load_dword v82, off, s[0:3], 0 offset:208
	s_waitcnt vmcnt(2)
	v_fmac_f64_e32 v[74:75], v[78:79], v[80:81]
	ds_read_b128 v[78:81], v76 offset:496
	s_waitcnt vmcnt(0) lgkmcnt(0)
	v_fmac_f64_e32 v[74:75], v[82:83], v[78:79]
	buffer_load_dword v79, off, s[0:3], 0 offset:220
	buffer_load_dword v78, off, s[0:3], 0 offset:216
	buffer_load_dword v83, off, s[0:3], 0 offset:228
	buffer_load_dword v82, off, s[0:3], 0 offset:224
	s_waitcnt vmcnt(2)
	v_fmac_f64_e32 v[74:75], v[78:79], v[80:81]
	ds_read_b128 v[78:81], v76 offset:512
	s_waitcnt vmcnt(0) lgkmcnt(0)
	v_fmac_f64_e32 v[74:75], v[82:83], v[78:79]
	buffer_load_dword v79, off, s[0:3], 0 offset:236
	buffer_load_dword v78, off, s[0:3], 0 offset:232
	buffer_load_dword v83, off, s[0:3], 0 offset:244
	buffer_load_dword v82, off, s[0:3], 0 offset:240
	s_waitcnt vmcnt(2)
	v_fmac_f64_e32 v[74:75], v[78:79], v[80:81]
	ds_read_b128 v[78:81], v76 offset:528
	s_waitcnt vmcnt(0) lgkmcnt(0)
	v_fmac_f64_e32 v[74:75], v[82:83], v[78:79]
	buffer_load_dword v79, off, s[0:3], 0 offset:252
	buffer_load_dword v78, off, s[0:3], 0 offset:248
	buffer_load_dword v83, off, s[0:3], 0 offset:260
	buffer_load_dword v82, off, s[0:3], 0 offset:256
	s_waitcnt vmcnt(2)
	v_fmac_f64_e32 v[74:75], v[78:79], v[80:81]
	ds_read_b128 v[78:81], v76 offset:544
	s_waitcnt vmcnt(0) lgkmcnt(0)
	v_fmac_f64_e32 v[74:75], v[82:83], v[78:79]
	buffer_load_dword v79, off, s[0:3], 0 offset:268
	buffer_load_dword v78, off, s[0:3], 0 offset:264
	s_waitcnt vmcnt(0)
	v_fmac_f64_e32 v[74:75], v[78:79], v[80:81]
	buffer_load_dword v79, off, s[0:3], 0 offset:276
	buffer_load_dword v78, off, s[0:3], 0 offset:272
	ds_read_b64 v[80:81], v76 offset:560
	s_waitcnt vmcnt(0) lgkmcnt(0)
	v_fmac_f64_e32 v[74:75], v[78:79], v[80:81]
	v_add_f64 v[72:73], v[72:73], -v[74:75]
	buffer_store_dword v73, off, s[0:3], 0 offset:108
	buffer_store_dword v72, off, s[0:3], 0 offset:104
	s_and_saveexec_b64 s[4:5], vcc
	s_cbranch_execz .LBB34_193
; %bb.192:
	buffer_load_dword v72, off, s[0:3], 0 offset:96
	buffer_load_dword v73, off, s[0:3], 0 offset:100
	s_waitcnt vmcnt(0)
	ds_write_b64 v1, v[72:73]
	buffer_store_dword v76, off, s[0:3], 0 offset:96
	buffer_store_dword v76, off, s[0:3], 0 offset:100
.LBB34_193:
	s_or_b64 exec, exec, s[4:5]
	s_waitcnt lgkmcnt(0)
	; wave barrier
	s_waitcnt lgkmcnt(0)
	buffer_load_dword v72, off, s[0:3], 0 offset:96
	buffer_load_dword v73, off, s[0:3], 0 offset:100
	;; [unrolled: 1-line block ×16, first 2 shown]
	ds_read2_b64 v[78:81], v76 offset0:49 offset1:50
	v_cmp_lt_u32_e32 vcc, 11, v0
	s_waitcnt vmcnt(12) lgkmcnt(0)
	v_fma_f64 v[74:75], v[74:75], v[78:79], 0
	s_waitcnt vmcnt(10)
	v_fmac_f64_e32 v[74:75], v[82:83], v[80:81]
	ds_read2_b64 v[78:81], v76 offset0:51 offset1:52
	s_waitcnt vmcnt(8) lgkmcnt(0)
	v_fmac_f64_e32 v[74:75], v[84:85], v[78:79]
	s_waitcnt vmcnt(6)
	v_fmac_f64_e32 v[74:75], v[86:87], v[80:81]
	ds_read2_b64 v[78:81], v76 offset0:53 offset1:54
	s_waitcnt vmcnt(4) lgkmcnt(0)
	v_fmac_f64_e32 v[74:75], v[88:89], v[78:79]
	;; [unrolled: 5-line block ×3, first 2 shown]
	buffer_load_dword v79, off, s[0:3], 0 offset:164
	buffer_load_dword v78, off, s[0:3], 0 offset:160
	buffer_load_dword v83, off, s[0:3], 0 offset:172
	buffer_load_dword v82, off, s[0:3], 0 offset:168
	s_waitcnt vmcnt(2)
	v_fmac_f64_e32 v[74:75], v[78:79], v[80:81]
	ds_read2_b64 v[78:81], v76 offset0:57 offset1:58
	s_waitcnt vmcnt(0) lgkmcnt(0)
	v_fmac_f64_e32 v[74:75], v[82:83], v[78:79]
	buffer_load_dword v79, off, s[0:3], 0 offset:180
	buffer_load_dword v78, off, s[0:3], 0 offset:176
	buffer_load_dword v83, off, s[0:3], 0 offset:188
	buffer_load_dword v82, off, s[0:3], 0 offset:184
	s_waitcnt vmcnt(2)
	v_fmac_f64_e32 v[74:75], v[78:79], v[80:81]
	ds_read2_b64 v[78:81], v76 offset0:59 offset1:60
	s_waitcnt vmcnt(0) lgkmcnt(0)
	v_fmac_f64_e32 v[74:75], v[82:83], v[78:79]
	;; [unrolled: 9-line block ×6, first 2 shown]
	buffer_load_dword v79, off, s[0:3], 0 offset:260
	buffer_load_dword v78, off, s[0:3], 0 offset:256
	s_waitcnt vmcnt(0)
	v_fmac_f64_e32 v[74:75], v[78:79], v[80:81]
	buffer_load_dword v81, off, s[0:3], 0 offset:268
	buffer_load_dword v80, off, s[0:3], 0 offset:264
	ds_read2_b64 v[76:79], v76 offset0:69 offset1:70
	s_waitcnt vmcnt(0) lgkmcnt(0)
	v_fmac_f64_e32 v[74:75], v[80:81], v[76:77]
	buffer_load_dword v77, off, s[0:3], 0 offset:276
	buffer_load_dword v76, off, s[0:3], 0 offset:272
	s_waitcnt vmcnt(0)
	v_fmac_f64_e32 v[74:75], v[76:77], v[78:79]
	v_add_f64 v[72:73], v[72:73], -v[74:75]
	buffer_store_dword v73, off, s[0:3], 0 offset:100
	buffer_store_dword v72, off, s[0:3], 0 offset:96
	s_and_saveexec_b64 s[4:5], vcc
	s_cbranch_execz .LBB34_195
; %bb.194:
	buffer_load_dword v72, off, s[0:3], 0 offset:88
	buffer_load_dword v73, off, s[0:3], 0 offset:92
	v_mov_b32_e32 v74, 0
	buffer_store_dword v74, off, s[0:3], 0 offset:88
	buffer_store_dword v74, off, s[0:3], 0 offset:92
	s_waitcnt vmcnt(2)
	ds_write_b64 v1, v[72:73]
.LBB34_195:
	s_or_b64 exec, exec, s[4:5]
	s_waitcnt lgkmcnt(0)
	; wave barrier
	s_waitcnt lgkmcnt(0)
	buffer_load_dword v72, off, s[0:3], 0 offset:88
	buffer_load_dword v73, off, s[0:3], 0 offset:92
	;; [unrolled: 1-line block ×16, first 2 shown]
	v_mov_b32_e32 v76, 0
	ds_read_b128 v[78:81], v76 offset:384
	ds_read_b128 v[82:85], v76 offset:400
	;; [unrolled: 1-line block ×4, first 2 shown]
	v_cmp_lt_u32_e32 vcc, 10, v0
	s_waitcnt vmcnt(12) lgkmcnt(3)
	v_fma_f64 v[74:75], v[74:75], v[78:79], 0
	buffer_load_dword v79, off, s[0:3], 0 offset:156
	buffer_load_dword v78, off, s[0:3], 0 offset:152
	s_waitcnt vmcnt(12)
	v_fmac_f64_e32 v[74:75], v[94:95], v[80:81]
	s_waitcnt vmcnt(10) lgkmcnt(2)
	v_fmac_f64_e32 v[74:75], v[96:97], v[82:83]
	buffer_load_dword v83, off, s[0:3], 0 offset:164
	buffer_load_dword v82, off, s[0:3], 0 offset:160
	s_waitcnt vmcnt(10)
	v_fmac_f64_e32 v[74:75], v[98:99], v[84:85]
	s_waitcnt vmcnt(8) lgkmcnt(1)
	v_fmac_f64_e32 v[74:75], v[100:101], v[86:87]
	s_waitcnt vmcnt(6)
	v_fmac_f64_e32 v[74:75], v[102:103], v[88:89]
	s_waitcnt vmcnt(4) lgkmcnt(0)
	v_fmac_f64_e32 v[74:75], v[104:105], v[90:91]
	s_waitcnt vmcnt(2)
	v_fmac_f64_e32 v[74:75], v[78:79], v[92:93]
	ds_read_b128 v[78:81], v76 offset:448
	s_waitcnt vmcnt(0) lgkmcnt(0)
	v_fmac_f64_e32 v[74:75], v[82:83], v[78:79]
	buffer_load_dword v79, off, s[0:3], 0 offset:172
	buffer_load_dword v78, off, s[0:3], 0 offset:168
	buffer_load_dword v83, off, s[0:3], 0 offset:180
	buffer_load_dword v82, off, s[0:3], 0 offset:176
	s_waitcnt vmcnt(2)
	v_fmac_f64_e32 v[74:75], v[78:79], v[80:81]
	ds_read_b128 v[78:81], v76 offset:464
	s_waitcnt vmcnt(0) lgkmcnt(0)
	v_fmac_f64_e32 v[74:75], v[82:83], v[78:79]
	buffer_load_dword v79, off, s[0:3], 0 offset:188
	buffer_load_dword v78, off, s[0:3], 0 offset:184
	buffer_load_dword v83, off, s[0:3], 0 offset:196
	buffer_load_dword v82, off, s[0:3], 0 offset:192
	;; [unrolled: 9-line block ×6, first 2 shown]
	s_waitcnt vmcnt(2)
	v_fmac_f64_e32 v[74:75], v[78:79], v[80:81]
	ds_read_b128 v[78:81], v76 offset:544
	s_waitcnt vmcnt(0) lgkmcnt(0)
	v_fmac_f64_e32 v[74:75], v[82:83], v[78:79]
	buffer_load_dword v79, off, s[0:3], 0 offset:268
	buffer_load_dword v78, off, s[0:3], 0 offset:264
	s_waitcnt vmcnt(0)
	v_fmac_f64_e32 v[74:75], v[78:79], v[80:81]
	buffer_load_dword v79, off, s[0:3], 0 offset:276
	buffer_load_dword v78, off, s[0:3], 0 offset:272
	ds_read_b64 v[80:81], v76 offset:560
	s_waitcnt vmcnt(0) lgkmcnt(0)
	v_fmac_f64_e32 v[74:75], v[78:79], v[80:81]
	v_add_f64 v[72:73], v[72:73], -v[74:75]
	buffer_store_dword v73, off, s[0:3], 0 offset:92
	buffer_store_dword v72, off, s[0:3], 0 offset:88
	s_and_saveexec_b64 s[4:5], vcc
	s_cbranch_execz .LBB34_197
; %bb.196:
	buffer_load_dword v72, off, s[0:3], 0 offset:80
	buffer_load_dword v73, off, s[0:3], 0 offset:84
	s_waitcnt vmcnt(0)
	ds_write_b64 v1, v[72:73]
	buffer_store_dword v76, off, s[0:3], 0 offset:80
	buffer_store_dword v76, off, s[0:3], 0 offset:84
.LBB34_197:
	s_or_b64 exec, exec, s[4:5]
	s_waitcnt lgkmcnt(0)
	; wave barrier
	s_waitcnt lgkmcnt(0)
	buffer_load_dword v72, off, s[0:3], 0 offset:80
	buffer_load_dword v73, off, s[0:3], 0 offset:84
	;; [unrolled: 1-line block ×16, first 2 shown]
	ds_read2_b64 v[78:81], v76 offset0:47 offset1:48
	v_cmp_lt_u32_e32 vcc, 9, v0
	s_waitcnt vmcnt(12) lgkmcnt(0)
	v_fma_f64 v[74:75], v[74:75], v[78:79], 0
	s_waitcnt vmcnt(10)
	v_fmac_f64_e32 v[74:75], v[82:83], v[80:81]
	ds_read2_b64 v[78:81], v76 offset0:49 offset1:50
	s_waitcnt vmcnt(8) lgkmcnt(0)
	v_fmac_f64_e32 v[74:75], v[84:85], v[78:79]
	s_waitcnt vmcnt(6)
	v_fmac_f64_e32 v[74:75], v[86:87], v[80:81]
	ds_read2_b64 v[78:81], v76 offset0:51 offset1:52
	s_waitcnt vmcnt(4) lgkmcnt(0)
	v_fmac_f64_e32 v[74:75], v[88:89], v[78:79]
	;; [unrolled: 5-line block ×3, first 2 shown]
	buffer_load_dword v79, off, s[0:3], 0 offset:148
	buffer_load_dword v78, off, s[0:3], 0 offset:144
	buffer_load_dword v83, off, s[0:3], 0 offset:156
	buffer_load_dword v82, off, s[0:3], 0 offset:152
	s_waitcnt vmcnt(2)
	v_fmac_f64_e32 v[74:75], v[78:79], v[80:81]
	ds_read2_b64 v[78:81], v76 offset0:55 offset1:56
	s_waitcnt vmcnt(0) lgkmcnt(0)
	v_fmac_f64_e32 v[74:75], v[82:83], v[78:79]
	buffer_load_dword v79, off, s[0:3], 0 offset:164
	buffer_load_dword v78, off, s[0:3], 0 offset:160
	buffer_load_dword v83, off, s[0:3], 0 offset:172
	buffer_load_dword v82, off, s[0:3], 0 offset:168
	s_waitcnt vmcnt(2)
	v_fmac_f64_e32 v[74:75], v[78:79], v[80:81]
	ds_read2_b64 v[78:81], v76 offset0:57 offset1:58
	s_waitcnt vmcnt(0) lgkmcnt(0)
	v_fmac_f64_e32 v[74:75], v[82:83], v[78:79]
	;; [unrolled: 9-line block ×7, first 2 shown]
	buffer_load_dword v79, off, s[0:3], 0 offset:260
	buffer_load_dword v78, off, s[0:3], 0 offset:256
	s_waitcnt vmcnt(0)
	v_fmac_f64_e32 v[74:75], v[78:79], v[80:81]
	buffer_load_dword v81, off, s[0:3], 0 offset:268
	buffer_load_dword v80, off, s[0:3], 0 offset:264
	ds_read2_b64 v[76:79], v76 offset0:69 offset1:70
	s_waitcnt vmcnt(0) lgkmcnt(0)
	v_fmac_f64_e32 v[74:75], v[80:81], v[76:77]
	buffer_load_dword v77, off, s[0:3], 0 offset:276
	buffer_load_dword v76, off, s[0:3], 0 offset:272
	s_waitcnt vmcnt(0)
	v_fmac_f64_e32 v[74:75], v[76:77], v[78:79]
	v_add_f64 v[72:73], v[72:73], -v[74:75]
	buffer_store_dword v73, off, s[0:3], 0 offset:84
	buffer_store_dword v72, off, s[0:3], 0 offset:80
	s_and_saveexec_b64 s[4:5], vcc
	s_cbranch_execz .LBB34_199
; %bb.198:
	buffer_load_dword v72, off, s[0:3], 0 offset:72
	buffer_load_dword v73, off, s[0:3], 0 offset:76
	v_mov_b32_e32 v74, 0
	buffer_store_dword v74, off, s[0:3], 0 offset:72
	buffer_store_dword v74, off, s[0:3], 0 offset:76
	s_waitcnt vmcnt(2)
	ds_write_b64 v1, v[72:73]
.LBB34_199:
	s_or_b64 exec, exec, s[4:5]
	s_waitcnt lgkmcnt(0)
	; wave barrier
	s_waitcnt lgkmcnt(0)
	buffer_load_dword v72, off, s[0:3], 0 offset:72
	buffer_load_dword v73, off, s[0:3], 0 offset:76
	;; [unrolled: 1-line block ×16, first 2 shown]
	v_mov_b32_e32 v76, 0
	ds_read_b128 v[78:81], v76 offset:368
	ds_read_b128 v[82:85], v76 offset:384
	;; [unrolled: 1-line block ×4, first 2 shown]
	v_cmp_lt_u32_e32 vcc, 8, v0
	s_waitcnt vmcnt(12) lgkmcnt(3)
	v_fma_f64 v[74:75], v[74:75], v[78:79], 0
	buffer_load_dword v79, off, s[0:3], 0 offset:140
	buffer_load_dword v78, off, s[0:3], 0 offset:136
	s_waitcnt vmcnt(12)
	v_fmac_f64_e32 v[74:75], v[94:95], v[80:81]
	s_waitcnt vmcnt(10) lgkmcnt(2)
	v_fmac_f64_e32 v[74:75], v[96:97], v[82:83]
	buffer_load_dword v83, off, s[0:3], 0 offset:148
	buffer_load_dword v82, off, s[0:3], 0 offset:144
	s_waitcnt vmcnt(10)
	v_fmac_f64_e32 v[74:75], v[98:99], v[84:85]
	s_waitcnt vmcnt(8) lgkmcnt(1)
	v_fmac_f64_e32 v[74:75], v[100:101], v[86:87]
	s_waitcnt vmcnt(6)
	v_fmac_f64_e32 v[74:75], v[102:103], v[88:89]
	s_waitcnt vmcnt(4) lgkmcnt(0)
	v_fmac_f64_e32 v[74:75], v[104:105], v[90:91]
	s_waitcnt vmcnt(2)
	v_fmac_f64_e32 v[74:75], v[78:79], v[92:93]
	ds_read_b128 v[78:81], v76 offset:432
	s_waitcnt vmcnt(0) lgkmcnt(0)
	v_fmac_f64_e32 v[74:75], v[82:83], v[78:79]
	buffer_load_dword v79, off, s[0:3], 0 offset:156
	buffer_load_dword v78, off, s[0:3], 0 offset:152
	buffer_load_dword v83, off, s[0:3], 0 offset:164
	buffer_load_dword v82, off, s[0:3], 0 offset:160
	s_waitcnt vmcnt(2)
	v_fmac_f64_e32 v[74:75], v[78:79], v[80:81]
	ds_read_b128 v[78:81], v76 offset:448
	s_waitcnt vmcnt(0) lgkmcnt(0)
	v_fmac_f64_e32 v[74:75], v[82:83], v[78:79]
	buffer_load_dword v79, off, s[0:3], 0 offset:172
	buffer_load_dword v78, off, s[0:3], 0 offset:168
	buffer_load_dword v83, off, s[0:3], 0 offset:180
	buffer_load_dword v82, off, s[0:3], 0 offset:176
	;; [unrolled: 9-line block ×7, first 2 shown]
	s_waitcnt vmcnt(2)
	v_fmac_f64_e32 v[74:75], v[78:79], v[80:81]
	ds_read_b128 v[78:81], v76 offset:544
	s_waitcnt vmcnt(0) lgkmcnt(0)
	v_fmac_f64_e32 v[74:75], v[82:83], v[78:79]
	buffer_load_dword v79, off, s[0:3], 0 offset:268
	buffer_load_dword v78, off, s[0:3], 0 offset:264
	s_waitcnt vmcnt(0)
	v_fmac_f64_e32 v[74:75], v[78:79], v[80:81]
	buffer_load_dword v79, off, s[0:3], 0 offset:276
	buffer_load_dword v78, off, s[0:3], 0 offset:272
	ds_read_b64 v[80:81], v76 offset:560
	s_waitcnt vmcnt(0) lgkmcnt(0)
	v_fmac_f64_e32 v[74:75], v[78:79], v[80:81]
	v_add_f64 v[72:73], v[72:73], -v[74:75]
	buffer_store_dword v73, off, s[0:3], 0 offset:76
	buffer_store_dword v72, off, s[0:3], 0 offset:72
	s_and_saveexec_b64 s[4:5], vcc
	s_cbranch_execz .LBB34_201
; %bb.200:
	buffer_load_dword v72, off, s[0:3], 0 offset:64
	buffer_load_dword v73, off, s[0:3], 0 offset:68
	s_waitcnt vmcnt(0)
	ds_write_b64 v1, v[72:73]
	buffer_store_dword v76, off, s[0:3], 0 offset:64
	buffer_store_dword v76, off, s[0:3], 0 offset:68
.LBB34_201:
	s_or_b64 exec, exec, s[4:5]
	s_waitcnt lgkmcnt(0)
	; wave barrier
	s_waitcnt lgkmcnt(0)
	buffer_load_dword v72, off, s[0:3], 0 offset:64
	buffer_load_dword v73, off, s[0:3], 0 offset:68
	;; [unrolled: 1-line block ×16, first 2 shown]
	ds_read2_b64 v[78:81], v76 offset0:45 offset1:46
	v_cmp_lt_u32_e32 vcc, 7, v0
	s_waitcnt vmcnt(12) lgkmcnt(0)
	v_fma_f64 v[74:75], v[74:75], v[78:79], 0
	s_waitcnt vmcnt(10)
	v_fmac_f64_e32 v[74:75], v[82:83], v[80:81]
	ds_read2_b64 v[78:81], v76 offset0:47 offset1:48
	s_waitcnt vmcnt(8) lgkmcnt(0)
	v_fmac_f64_e32 v[74:75], v[84:85], v[78:79]
	s_waitcnt vmcnt(6)
	v_fmac_f64_e32 v[74:75], v[86:87], v[80:81]
	ds_read2_b64 v[78:81], v76 offset0:49 offset1:50
	s_waitcnt vmcnt(4) lgkmcnt(0)
	v_fmac_f64_e32 v[74:75], v[88:89], v[78:79]
	;; [unrolled: 5-line block ×3, first 2 shown]
	buffer_load_dword v79, off, s[0:3], 0 offset:132
	buffer_load_dword v78, off, s[0:3], 0 offset:128
	buffer_load_dword v83, off, s[0:3], 0 offset:140
	buffer_load_dword v82, off, s[0:3], 0 offset:136
	s_waitcnt vmcnt(2)
	v_fmac_f64_e32 v[74:75], v[78:79], v[80:81]
	ds_read2_b64 v[78:81], v76 offset0:53 offset1:54
	s_waitcnt vmcnt(0) lgkmcnt(0)
	v_fmac_f64_e32 v[74:75], v[82:83], v[78:79]
	buffer_load_dword v79, off, s[0:3], 0 offset:148
	buffer_load_dword v78, off, s[0:3], 0 offset:144
	buffer_load_dword v83, off, s[0:3], 0 offset:156
	buffer_load_dword v82, off, s[0:3], 0 offset:152
	s_waitcnt vmcnt(2)
	v_fmac_f64_e32 v[74:75], v[78:79], v[80:81]
	ds_read2_b64 v[78:81], v76 offset0:55 offset1:56
	s_waitcnt vmcnt(0) lgkmcnt(0)
	v_fmac_f64_e32 v[74:75], v[82:83], v[78:79]
	;; [unrolled: 9-line block ×8, first 2 shown]
	buffer_load_dword v79, off, s[0:3], 0 offset:260
	buffer_load_dword v78, off, s[0:3], 0 offset:256
	s_waitcnt vmcnt(0)
	v_fmac_f64_e32 v[74:75], v[78:79], v[80:81]
	buffer_load_dword v81, off, s[0:3], 0 offset:268
	buffer_load_dword v80, off, s[0:3], 0 offset:264
	ds_read2_b64 v[76:79], v76 offset0:69 offset1:70
	s_waitcnt vmcnt(0) lgkmcnt(0)
	v_fmac_f64_e32 v[74:75], v[80:81], v[76:77]
	buffer_load_dword v77, off, s[0:3], 0 offset:276
	buffer_load_dword v76, off, s[0:3], 0 offset:272
	s_waitcnt vmcnt(0)
	v_fmac_f64_e32 v[74:75], v[76:77], v[78:79]
	v_add_f64 v[72:73], v[72:73], -v[74:75]
	buffer_store_dword v73, off, s[0:3], 0 offset:68
	buffer_store_dword v72, off, s[0:3], 0 offset:64
	s_and_saveexec_b64 s[4:5], vcc
	s_cbranch_execz .LBB34_203
; %bb.202:
	buffer_load_dword v72, off, s[0:3], 0 offset:56
	buffer_load_dword v73, off, s[0:3], 0 offset:60
	v_mov_b32_e32 v74, 0
	buffer_store_dword v74, off, s[0:3], 0 offset:56
	buffer_store_dword v74, off, s[0:3], 0 offset:60
	s_waitcnt vmcnt(2)
	ds_write_b64 v1, v[72:73]
.LBB34_203:
	s_or_b64 exec, exec, s[4:5]
	s_waitcnt lgkmcnt(0)
	; wave barrier
	s_waitcnt lgkmcnt(0)
	buffer_load_dword v72, off, s[0:3], 0 offset:56
	buffer_load_dword v73, off, s[0:3], 0 offset:60
	;; [unrolled: 1-line block ×16, first 2 shown]
	v_mov_b32_e32 v76, 0
	ds_read_b128 v[78:81], v76 offset:352
	ds_read_b128 v[82:85], v76 offset:368
	;; [unrolled: 1-line block ×4, first 2 shown]
	v_cmp_lt_u32_e32 vcc, 6, v0
	s_waitcnt vmcnt(12) lgkmcnt(3)
	v_fma_f64 v[74:75], v[74:75], v[78:79], 0
	buffer_load_dword v79, off, s[0:3], 0 offset:124
	buffer_load_dword v78, off, s[0:3], 0 offset:120
	s_waitcnt vmcnt(12)
	v_fmac_f64_e32 v[74:75], v[94:95], v[80:81]
	s_waitcnt vmcnt(10) lgkmcnt(2)
	v_fmac_f64_e32 v[74:75], v[96:97], v[82:83]
	buffer_load_dword v83, off, s[0:3], 0 offset:132
	buffer_load_dword v82, off, s[0:3], 0 offset:128
	s_waitcnt vmcnt(10)
	v_fmac_f64_e32 v[74:75], v[98:99], v[84:85]
	s_waitcnt vmcnt(8) lgkmcnt(1)
	v_fmac_f64_e32 v[74:75], v[100:101], v[86:87]
	s_waitcnt vmcnt(6)
	v_fmac_f64_e32 v[74:75], v[102:103], v[88:89]
	s_waitcnt vmcnt(4) lgkmcnt(0)
	v_fmac_f64_e32 v[74:75], v[104:105], v[90:91]
	s_waitcnt vmcnt(2)
	v_fmac_f64_e32 v[74:75], v[78:79], v[92:93]
	ds_read_b128 v[78:81], v76 offset:416
	s_waitcnt vmcnt(0) lgkmcnt(0)
	v_fmac_f64_e32 v[74:75], v[82:83], v[78:79]
	buffer_load_dword v79, off, s[0:3], 0 offset:140
	buffer_load_dword v78, off, s[0:3], 0 offset:136
	buffer_load_dword v83, off, s[0:3], 0 offset:148
	buffer_load_dword v82, off, s[0:3], 0 offset:144
	s_waitcnt vmcnt(2)
	v_fmac_f64_e32 v[74:75], v[78:79], v[80:81]
	ds_read_b128 v[78:81], v76 offset:432
	s_waitcnt vmcnt(0) lgkmcnt(0)
	v_fmac_f64_e32 v[74:75], v[82:83], v[78:79]
	buffer_load_dword v79, off, s[0:3], 0 offset:156
	buffer_load_dword v78, off, s[0:3], 0 offset:152
	buffer_load_dword v83, off, s[0:3], 0 offset:164
	buffer_load_dword v82, off, s[0:3], 0 offset:160
	;; [unrolled: 9-line block ×8, first 2 shown]
	s_waitcnt vmcnt(2)
	v_fmac_f64_e32 v[74:75], v[78:79], v[80:81]
	ds_read_b128 v[78:81], v76 offset:544
	s_waitcnt vmcnt(0) lgkmcnt(0)
	v_fmac_f64_e32 v[74:75], v[82:83], v[78:79]
	buffer_load_dword v79, off, s[0:3], 0 offset:268
	buffer_load_dword v78, off, s[0:3], 0 offset:264
	s_waitcnt vmcnt(0)
	v_fmac_f64_e32 v[74:75], v[78:79], v[80:81]
	buffer_load_dword v79, off, s[0:3], 0 offset:276
	buffer_load_dword v78, off, s[0:3], 0 offset:272
	ds_read_b64 v[80:81], v76 offset:560
	s_waitcnt vmcnt(0) lgkmcnt(0)
	v_fmac_f64_e32 v[74:75], v[78:79], v[80:81]
	v_add_f64 v[72:73], v[72:73], -v[74:75]
	buffer_store_dword v73, off, s[0:3], 0 offset:60
	buffer_store_dword v72, off, s[0:3], 0 offset:56
	s_and_saveexec_b64 s[4:5], vcc
	s_cbranch_execz .LBB34_205
; %bb.204:
	buffer_load_dword v72, off, s[0:3], 0 offset:48
	buffer_load_dword v73, off, s[0:3], 0 offset:52
	s_waitcnt vmcnt(0)
	ds_write_b64 v1, v[72:73]
	buffer_store_dword v76, off, s[0:3], 0 offset:48
	buffer_store_dword v76, off, s[0:3], 0 offset:52
.LBB34_205:
	s_or_b64 exec, exec, s[4:5]
	s_waitcnt lgkmcnt(0)
	; wave barrier
	s_waitcnt lgkmcnt(0)
	buffer_load_dword v72, off, s[0:3], 0 offset:48
	buffer_load_dword v73, off, s[0:3], 0 offset:52
	;; [unrolled: 1-line block ×16, first 2 shown]
	ds_read2_b64 v[78:81], v76 offset0:43 offset1:44
	v_cmp_lt_u32_e32 vcc, 5, v0
	s_waitcnt vmcnt(12) lgkmcnt(0)
	v_fma_f64 v[74:75], v[74:75], v[78:79], 0
	s_waitcnt vmcnt(10)
	v_fmac_f64_e32 v[74:75], v[82:83], v[80:81]
	ds_read2_b64 v[78:81], v76 offset0:45 offset1:46
	s_waitcnt vmcnt(8) lgkmcnt(0)
	v_fmac_f64_e32 v[74:75], v[84:85], v[78:79]
	s_waitcnt vmcnt(6)
	v_fmac_f64_e32 v[74:75], v[86:87], v[80:81]
	ds_read2_b64 v[78:81], v76 offset0:47 offset1:48
	s_waitcnt vmcnt(4) lgkmcnt(0)
	v_fmac_f64_e32 v[74:75], v[88:89], v[78:79]
	;; [unrolled: 5-line block ×3, first 2 shown]
	buffer_load_dword v79, off, s[0:3], 0 offset:116
	buffer_load_dword v78, off, s[0:3], 0 offset:112
	buffer_load_dword v83, off, s[0:3], 0 offset:124
	buffer_load_dword v82, off, s[0:3], 0 offset:120
	s_waitcnt vmcnt(2)
	v_fmac_f64_e32 v[74:75], v[78:79], v[80:81]
	ds_read2_b64 v[78:81], v76 offset0:51 offset1:52
	s_waitcnt vmcnt(0) lgkmcnt(0)
	v_fmac_f64_e32 v[74:75], v[82:83], v[78:79]
	buffer_load_dword v79, off, s[0:3], 0 offset:132
	buffer_load_dword v78, off, s[0:3], 0 offset:128
	buffer_load_dword v83, off, s[0:3], 0 offset:140
	buffer_load_dword v82, off, s[0:3], 0 offset:136
	s_waitcnt vmcnt(2)
	v_fmac_f64_e32 v[74:75], v[78:79], v[80:81]
	ds_read2_b64 v[78:81], v76 offset0:53 offset1:54
	s_waitcnt vmcnt(0) lgkmcnt(0)
	v_fmac_f64_e32 v[74:75], v[82:83], v[78:79]
	;; [unrolled: 9-line block ×9, first 2 shown]
	buffer_load_dword v79, off, s[0:3], 0 offset:260
	buffer_load_dword v78, off, s[0:3], 0 offset:256
	s_waitcnt vmcnt(0)
	v_fmac_f64_e32 v[74:75], v[78:79], v[80:81]
	buffer_load_dword v81, off, s[0:3], 0 offset:268
	buffer_load_dword v80, off, s[0:3], 0 offset:264
	ds_read2_b64 v[76:79], v76 offset0:69 offset1:70
	s_waitcnt vmcnt(0) lgkmcnt(0)
	v_fmac_f64_e32 v[74:75], v[80:81], v[76:77]
	buffer_load_dword v77, off, s[0:3], 0 offset:276
	buffer_load_dword v76, off, s[0:3], 0 offset:272
	s_waitcnt vmcnt(0)
	v_fmac_f64_e32 v[74:75], v[76:77], v[78:79]
	v_add_f64 v[72:73], v[72:73], -v[74:75]
	buffer_store_dword v73, off, s[0:3], 0 offset:52
	buffer_store_dword v72, off, s[0:3], 0 offset:48
	s_and_saveexec_b64 s[4:5], vcc
	s_cbranch_execz .LBB34_207
; %bb.206:
	buffer_load_dword v72, off, s[0:3], 0 offset:40
	buffer_load_dword v73, off, s[0:3], 0 offset:44
	v_mov_b32_e32 v74, 0
	buffer_store_dword v74, off, s[0:3], 0 offset:40
	buffer_store_dword v74, off, s[0:3], 0 offset:44
	s_waitcnt vmcnt(2)
	ds_write_b64 v1, v[72:73]
.LBB34_207:
	s_or_b64 exec, exec, s[4:5]
	s_waitcnt lgkmcnt(0)
	; wave barrier
	s_waitcnt lgkmcnt(0)
	buffer_load_dword v72, off, s[0:3], 0 offset:40
	buffer_load_dword v73, off, s[0:3], 0 offset:44
	;; [unrolled: 1-line block ×16, first 2 shown]
	v_mov_b32_e32 v76, 0
	ds_read_b128 v[78:81], v76 offset:336
	ds_read_b128 v[82:85], v76 offset:352
	;; [unrolled: 1-line block ×4, first 2 shown]
	v_cmp_lt_u32_e32 vcc, 4, v0
	s_waitcnt vmcnt(12) lgkmcnt(3)
	v_fma_f64 v[74:75], v[74:75], v[78:79], 0
	buffer_load_dword v79, off, s[0:3], 0 offset:108
	buffer_load_dword v78, off, s[0:3], 0 offset:104
	s_waitcnt vmcnt(12)
	v_fmac_f64_e32 v[74:75], v[94:95], v[80:81]
	s_waitcnt vmcnt(10) lgkmcnt(2)
	v_fmac_f64_e32 v[74:75], v[96:97], v[82:83]
	buffer_load_dword v83, off, s[0:3], 0 offset:116
	buffer_load_dword v82, off, s[0:3], 0 offset:112
	s_waitcnt vmcnt(10)
	v_fmac_f64_e32 v[74:75], v[98:99], v[84:85]
	s_waitcnt vmcnt(8) lgkmcnt(1)
	v_fmac_f64_e32 v[74:75], v[100:101], v[86:87]
	s_waitcnt vmcnt(6)
	v_fmac_f64_e32 v[74:75], v[102:103], v[88:89]
	s_waitcnt vmcnt(4) lgkmcnt(0)
	v_fmac_f64_e32 v[74:75], v[104:105], v[90:91]
	s_waitcnt vmcnt(2)
	v_fmac_f64_e32 v[74:75], v[78:79], v[92:93]
	ds_read_b128 v[78:81], v76 offset:400
	s_waitcnt vmcnt(0) lgkmcnt(0)
	v_fmac_f64_e32 v[74:75], v[82:83], v[78:79]
	buffer_load_dword v79, off, s[0:3], 0 offset:124
	buffer_load_dword v78, off, s[0:3], 0 offset:120
	buffer_load_dword v83, off, s[0:3], 0 offset:132
	buffer_load_dword v82, off, s[0:3], 0 offset:128
	s_waitcnt vmcnt(2)
	v_fmac_f64_e32 v[74:75], v[78:79], v[80:81]
	ds_read_b128 v[78:81], v76 offset:416
	s_waitcnt vmcnt(0) lgkmcnt(0)
	v_fmac_f64_e32 v[74:75], v[82:83], v[78:79]
	buffer_load_dword v79, off, s[0:3], 0 offset:140
	buffer_load_dword v78, off, s[0:3], 0 offset:136
	buffer_load_dword v83, off, s[0:3], 0 offset:148
	buffer_load_dword v82, off, s[0:3], 0 offset:144
	;; [unrolled: 9-line block ×9, first 2 shown]
	s_waitcnt vmcnt(2)
	v_fmac_f64_e32 v[74:75], v[78:79], v[80:81]
	ds_read_b128 v[78:81], v76 offset:544
	s_waitcnt vmcnt(0) lgkmcnt(0)
	v_fmac_f64_e32 v[74:75], v[82:83], v[78:79]
	buffer_load_dword v79, off, s[0:3], 0 offset:268
	buffer_load_dword v78, off, s[0:3], 0 offset:264
	s_waitcnt vmcnt(0)
	v_fmac_f64_e32 v[74:75], v[78:79], v[80:81]
	buffer_load_dword v79, off, s[0:3], 0 offset:276
	buffer_load_dword v78, off, s[0:3], 0 offset:272
	ds_read_b64 v[80:81], v76 offset:560
	s_waitcnt vmcnt(0) lgkmcnt(0)
	v_fmac_f64_e32 v[74:75], v[78:79], v[80:81]
	v_add_f64 v[72:73], v[72:73], -v[74:75]
	buffer_store_dword v73, off, s[0:3], 0 offset:44
	buffer_store_dword v72, off, s[0:3], 0 offset:40
	s_and_saveexec_b64 s[4:5], vcc
	s_cbranch_execz .LBB34_209
; %bb.208:
	buffer_load_dword v72, off, s[0:3], 0 offset:32
	buffer_load_dword v73, off, s[0:3], 0 offset:36
	s_waitcnt vmcnt(0)
	ds_write_b64 v1, v[72:73]
	buffer_store_dword v76, off, s[0:3], 0 offset:32
	buffer_store_dword v76, off, s[0:3], 0 offset:36
.LBB34_209:
	s_or_b64 exec, exec, s[4:5]
	s_waitcnt lgkmcnt(0)
	; wave barrier
	s_waitcnt lgkmcnt(0)
	buffer_load_dword v72, off, s[0:3], 0 offset:32
	buffer_load_dword v73, off, s[0:3], 0 offset:36
	;; [unrolled: 1-line block ×16, first 2 shown]
	ds_read2_b64 v[78:81], v76 offset0:41 offset1:42
	v_cmp_lt_u32_e32 vcc, 3, v0
	s_waitcnt vmcnt(12) lgkmcnt(0)
	v_fma_f64 v[74:75], v[74:75], v[78:79], 0
	s_waitcnt vmcnt(10)
	v_fmac_f64_e32 v[74:75], v[82:83], v[80:81]
	ds_read2_b64 v[78:81], v76 offset0:43 offset1:44
	s_waitcnt vmcnt(8) lgkmcnt(0)
	v_fmac_f64_e32 v[74:75], v[84:85], v[78:79]
	s_waitcnt vmcnt(6)
	v_fmac_f64_e32 v[74:75], v[86:87], v[80:81]
	ds_read2_b64 v[78:81], v76 offset0:45 offset1:46
	s_waitcnt vmcnt(4) lgkmcnt(0)
	v_fmac_f64_e32 v[74:75], v[88:89], v[78:79]
	s_waitcnt vmcnt(2)
	v_fmac_f64_e32 v[74:75], v[90:91], v[80:81]
	ds_read2_b64 v[78:81], v76 offset0:47 offset1:48
	s_waitcnt vmcnt(0) lgkmcnt(0)
	v_fmac_f64_e32 v[74:75], v[92:93], v[78:79]
	buffer_load_dword v79, off, s[0:3], 0 offset:100
	buffer_load_dword v78, off, s[0:3], 0 offset:96
	buffer_load_dword v83, off, s[0:3], 0 offset:108
	buffer_load_dword v82, off, s[0:3], 0 offset:104
	s_waitcnt vmcnt(2)
	v_fmac_f64_e32 v[74:75], v[78:79], v[80:81]
	ds_read2_b64 v[78:81], v76 offset0:49 offset1:50
	s_waitcnt vmcnt(0) lgkmcnt(0)
	v_fmac_f64_e32 v[74:75], v[82:83], v[78:79]
	buffer_load_dword v79, off, s[0:3], 0 offset:116
	buffer_load_dword v78, off, s[0:3], 0 offset:112
	buffer_load_dword v83, off, s[0:3], 0 offset:124
	buffer_load_dword v82, off, s[0:3], 0 offset:120
	s_waitcnt vmcnt(2)
	v_fmac_f64_e32 v[74:75], v[78:79], v[80:81]
	ds_read2_b64 v[78:81], v76 offset0:51 offset1:52
	s_waitcnt vmcnt(0) lgkmcnt(0)
	v_fmac_f64_e32 v[74:75], v[82:83], v[78:79]
	;; [unrolled: 9-line block ×10, first 2 shown]
	buffer_load_dword v79, off, s[0:3], 0 offset:260
	buffer_load_dword v78, off, s[0:3], 0 offset:256
	s_waitcnt vmcnt(0)
	v_fmac_f64_e32 v[74:75], v[78:79], v[80:81]
	buffer_load_dword v81, off, s[0:3], 0 offset:268
	buffer_load_dword v80, off, s[0:3], 0 offset:264
	ds_read2_b64 v[76:79], v76 offset0:69 offset1:70
	s_waitcnt vmcnt(0) lgkmcnt(0)
	v_fmac_f64_e32 v[74:75], v[80:81], v[76:77]
	buffer_load_dword v77, off, s[0:3], 0 offset:276
	buffer_load_dword v76, off, s[0:3], 0 offset:272
	s_waitcnt vmcnt(0)
	v_fmac_f64_e32 v[74:75], v[76:77], v[78:79]
	v_add_f64 v[72:73], v[72:73], -v[74:75]
	buffer_store_dword v73, off, s[0:3], 0 offset:36
	buffer_store_dword v72, off, s[0:3], 0 offset:32
	s_and_saveexec_b64 s[4:5], vcc
	s_cbranch_execz .LBB34_211
; %bb.210:
	buffer_load_dword v72, off, s[0:3], 0 offset:24
	buffer_load_dword v73, off, s[0:3], 0 offset:28
	v_mov_b32_e32 v74, 0
	buffer_store_dword v74, off, s[0:3], 0 offset:24
	buffer_store_dword v74, off, s[0:3], 0 offset:28
	s_waitcnt vmcnt(2)
	ds_write_b64 v1, v[72:73]
.LBB34_211:
	s_or_b64 exec, exec, s[4:5]
	s_waitcnt lgkmcnt(0)
	; wave barrier
	s_waitcnt lgkmcnt(0)
	buffer_load_dword v72, off, s[0:3], 0 offset:24
	buffer_load_dword v73, off, s[0:3], 0 offset:28
	;; [unrolled: 1-line block ×16, first 2 shown]
	v_mov_b32_e32 v76, 0
	ds_read_b128 v[78:81], v76 offset:320
	ds_read_b128 v[82:85], v76 offset:336
	;; [unrolled: 1-line block ×4, first 2 shown]
	v_cmp_lt_u32_e32 vcc, 2, v0
	s_waitcnt vmcnt(12) lgkmcnt(3)
	v_fma_f64 v[74:75], v[74:75], v[78:79], 0
	buffer_load_dword v79, off, s[0:3], 0 offset:92
	buffer_load_dword v78, off, s[0:3], 0 offset:88
	s_waitcnt vmcnt(12)
	v_fmac_f64_e32 v[74:75], v[94:95], v[80:81]
	s_waitcnt vmcnt(10) lgkmcnt(2)
	v_fmac_f64_e32 v[74:75], v[96:97], v[82:83]
	buffer_load_dword v83, off, s[0:3], 0 offset:100
	buffer_load_dword v82, off, s[0:3], 0 offset:96
	s_waitcnt vmcnt(10)
	v_fmac_f64_e32 v[74:75], v[98:99], v[84:85]
	s_waitcnt vmcnt(8) lgkmcnt(1)
	v_fmac_f64_e32 v[74:75], v[100:101], v[86:87]
	s_waitcnt vmcnt(6)
	v_fmac_f64_e32 v[74:75], v[102:103], v[88:89]
	s_waitcnt vmcnt(4) lgkmcnt(0)
	v_fmac_f64_e32 v[74:75], v[104:105], v[90:91]
	s_waitcnt vmcnt(2)
	v_fmac_f64_e32 v[74:75], v[78:79], v[92:93]
	ds_read_b128 v[78:81], v76 offset:384
	s_waitcnt vmcnt(0) lgkmcnt(0)
	v_fmac_f64_e32 v[74:75], v[82:83], v[78:79]
	buffer_load_dword v79, off, s[0:3], 0 offset:108
	buffer_load_dword v78, off, s[0:3], 0 offset:104
	buffer_load_dword v83, off, s[0:3], 0 offset:116
	buffer_load_dword v82, off, s[0:3], 0 offset:112
	s_waitcnt vmcnt(2)
	v_fmac_f64_e32 v[74:75], v[78:79], v[80:81]
	ds_read_b128 v[78:81], v76 offset:400
	s_waitcnt vmcnt(0) lgkmcnt(0)
	v_fmac_f64_e32 v[74:75], v[82:83], v[78:79]
	buffer_load_dword v79, off, s[0:3], 0 offset:124
	buffer_load_dword v78, off, s[0:3], 0 offset:120
	buffer_load_dword v83, off, s[0:3], 0 offset:132
	buffer_load_dword v82, off, s[0:3], 0 offset:128
	;; [unrolled: 9-line block ×10, first 2 shown]
	s_waitcnt vmcnt(2)
	v_fmac_f64_e32 v[74:75], v[78:79], v[80:81]
	ds_read_b128 v[78:81], v76 offset:544
	s_waitcnt vmcnt(0) lgkmcnt(0)
	v_fmac_f64_e32 v[74:75], v[82:83], v[78:79]
	buffer_load_dword v79, off, s[0:3], 0 offset:268
	buffer_load_dword v78, off, s[0:3], 0 offset:264
	s_waitcnt vmcnt(0)
	v_fmac_f64_e32 v[74:75], v[78:79], v[80:81]
	buffer_load_dword v79, off, s[0:3], 0 offset:276
	buffer_load_dword v78, off, s[0:3], 0 offset:272
	ds_read_b64 v[80:81], v76 offset:560
	s_waitcnt vmcnt(0) lgkmcnt(0)
	v_fmac_f64_e32 v[74:75], v[78:79], v[80:81]
	v_add_f64 v[72:73], v[72:73], -v[74:75]
	buffer_store_dword v73, off, s[0:3], 0 offset:28
	buffer_store_dword v72, off, s[0:3], 0 offset:24
	s_and_saveexec_b64 s[4:5], vcc
	s_cbranch_execz .LBB34_213
; %bb.212:
	buffer_load_dword v72, off, s[0:3], 0 offset:16
	buffer_load_dword v73, off, s[0:3], 0 offset:20
	s_waitcnt vmcnt(0)
	ds_write_b64 v1, v[72:73]
	buffer_store_dword v76, off, s[0:3], 0 offset:16
	buffer_store_dword v76, off, s[0:3], 0 offset:20
.LBB34_213:
	s_or_b64 exec, exec, s[4:5]
	s_waitcnt lgkmcnt(0)
	; wave barrier
	s_waitcnt lgkmcnt(0)
	buffer_load_dword v72, off, s[0:3], 0 offset:16
	buffer_load_dword v73, off, s[0:3], 0 offset:20
	;; [unrolled: 1-line block ×16, first 2 shown]
	ds_read2_b64 v[78:81], v76 offset0:39 offset1:40
	v_cmp_lt_u32_e32 vcc, 1, v0
	s_waitcnt vmcnt(12) lgkmcnt(0)
	v_fma_f64 v[74:75], v[74:75], v[78:79], 0
	s_waitcnt vmcnt(10)
	v_fmac_f64_e32 v[74:75], v[82:83], v[80:81]
	ds_read2_b64 v[78:81], v76 offset0:41 offset1:42
	s_waitcnt vmcnt(8) lgkmcnt(0)
	v_fmac_f64_e32 v[74:75], v[84:85], v[78:79]
	s_waitcnt vmcnt(6)
	v_fmac_f64_e32 v[74:75], v[86:87], v[80:81]
	ds_read2_b64 v[78:81], v76 offset0:43 offset1:44
	s_waitcnt vmcnt(4) lgkmcnt(0)
	v_fmac_f64_e32 v[74:75], v[88:89], v[78:79]
	;; [unrolled: 5-line block ×3, first 2 shown]
	buffer_load_dword v79, off, s[0:3], 0 offset:84
	buffer_load_dword v78, off, s[0:3], 0 offset:80
	buffer_load_dword v83, off, s[0:3], 0 offset:92
	buffer_load_dword v82, off, s[0:3], 0 offset:88
	s_waitcnt vmcnt(2)
	v_fmac_f64_e32 v[74:75], v[78:79], v[80:81]
	ds_read2_b64 v[78:81], v76 offset0:47 offset1:48
	s_waitcnt vmcnt(0) lgkmcnt(0)
	v_fmac_f64_e32 v[74:75], v[82:83], v[78:79]
	buffer_load_dword v79, off, s[0:3], 0 offset:100
	buffer_load_dword v78, off, s[0:3], 0 offset:96
	buffer_load_dword v83, off, s[0:3], 0 offset:108
	buffer_load_dword v82, off, s[0:3], 0 offset:104
	s_waitcnt vmcnt(2)
	v_fmac_f64_e32 v[74:75], v[78:79], v[80:81]
	ds_read2_b64 v[78:81], v76 offset0:49 offset1:50
	s_waitcnt vmcnt(0) lgkmcnt(0)
	v_fmac_f64_e32 v[74:75], v[82:83], v[78:79]
	;; [unrolled: 9-line block ×11, first 2 shown]
	buffer_load_dword v79, off, s[0:3], 0 offset:260
	buffer_load_dword v78, off, s[0:3], 0 offset:256
	s_waitcnt vmcnt(0)
	v_fmac_f64_e32 v[74:75], v[78:79], v[80:81]
	buffer_load_dword v81, off, s[0:3], 0 offset:268
	buffer_load_dword v80, off, s[0:3], 0 offset:264
	ds_read2_b64 v[76:79], v76 offset0:69 offset1:70
	s_waitcnt vmcnt(0) lgkmcnt(0)
	v_fmac_f64_e32 v[74:75], v[80:81], v[76:77]
	buffer_load_dword v77, off, s[0:3], 0 offset:276
	buffer_load_dword v76, off, s[0:3], 0 offset:272
	s_waitcnt vmcnt(0)
	v_fmac_f64_e32 v[74:75], v[76:77], v[78:79]
	v_add_f64 v[72:73], v[72:73], -v[74:75]
	buffer_store_dword v73, off, s[0:3], 0 offset:20
	buffer_store_dword v72, off, s[0:3], 0 offset:16
	s_and_saveexec_b64 s[4:5], vcc
	s_cbranch_execz .LBB34_215
; %bb.214:
	buffer_load_dword v72, off, s[0:3], 0 offset:8
	buffer_load_dword v73, off, s[0:3], 0 offset:12
	v_mov_b32_e32 v74, 0
	buffer_store_dword v74, off, s[0:3], 0 offset:8
	buffer_store_dword v74, off, s[0:3], 0 offset:12
	s_waitcnt vmcnt(2)
	ds_write_b64 v1, v[72:73]
.LBB34_215:
	s_or_b64 exec, exec, s[4:5]
	s_waitcnt lgkmcnt(0)
	; wave barrier
	s_waitcnt lgkmcnt(0)
	buffer_load_dword v72, off, s[0:3], 0 offset:8
	buffer_load_dword v73, off, s[0:3], 0 offset:12
	;; [unrolled: 1-line block ×16, first 2 shown]
	v_mov_b32_e32 v76, 0
	ds_read_b128 v[78:81], v76 offset:304
	ds_read_b128 v[82:85], v76 offset:320
	;; [unrolled: 1-line block ×4, first 2 shown]
	v_cmp_ne_u32_e32 vcc, 0, v0
	s_waitcnt vmcnt(12) lgkmcnt(3)
	v_fma_f64 v[74:75], v[74:75], v[78:79], 0
	buffer_load_dword v79, off, s[0:3], 0 offset:76
	buffer_load_dword v78, off, s[0:3], 0 offset:72
	s_waitcnt vmcnt(12)
	v_fmac_f64_e32 v[74:75], v[94:95], v[80:81]
	s_waitcnt vmcnt(10) lgkmcnt(2)
	v_fmac_f64_e32 v[74:75], v[96:97], v[82:83]
	buffer_load_dword v83, off, s[0:3], 0 offset:84
	buffer_load_dword v82, off, s[0:3], 0 offset:80
	s_waitcnt vmcnt(10)
	v_fmac_f64_e32 v[74:75], v[98:99], v[84:85]
	s_waitcnt vmcnt(8) lgkmcnt(1)
	v_fmac_f64_e32 v[74:75], v[100:101], v[86:87]
	s_waitcnt vmcnt(6)
	v_fmac_f64_e32 v[74:75], v[102:103], v[88:89]
	s_waitcnt vmcnt(4) lgkmcnt(0)
	v_fmac_f64_e32 v[74:75], v[104:105], v[90:91]
	s_waitcnt vmcnt(2)
	v_fmac_f64_e32 v[74:75], v[78:79], v[92:93]
	ds_read_b128 v[78:81], v76 offset:368
	s_waitcnt vmcnt(0) lgkmcnt(0)
	v_fmac_f64_e32 v[74:75], v[82:83], v[78:79]
	buffer_load_dword v79, off, s[0:3], 0 offset:92
	buffer_load_dword v78, off, s[0:3], 0 offset:88
	buffer_load_dword v83, off, s[0:3], 0 offset:100
	buffer_load_dword v82, off, s[0:3], 0 offset:96
	s_waitcnt vmcnt(2)
	v_fmac_f64_e32 v[74:75], v[78:79], v[80:81]
	ds_read_b128 v[78:81], v76 offset:384
	s_waitcnt vmcnt(0) lgkmcnt(0)
	v_fmac_f64_e32 v[74:75], v[82:83], v[78:79]
	buffer_load_dword v79, off, s[0:3], 0 offset:108
	buffer_load_dword v78, off, s[0:3], 0 offset:104
	buffer_load_dword v83, off, s[0:3], 0 offset:116
	buffer_load_dword v82, off, s[0:3], 0 offset:112
	;; [unrolled: 9-line block ×11, first 2 shown]
	s_waitcnt vmcnt(2)
	v_fmac_f64_e32 v[74:75], v[78:79], v[80:81]
	ds_read_b128 v[78:81], v76 offset:544
	s_waitcnt vmcnt(0) lgkmcnt(0)
	v_fmac_f64_e32 v[74:75], v[82:83], v[78:79]
	buffer_load_dword v79, off, s[0:3], 0 offset:268
	buffer_load_dword v78, off, s[0:3], 0 offset:264
	s_waitcnt vmcnt(0)
	v_fmac_f64_e32 v[74:75], v[78:79], v[80:81]
	buffer_load_dword v79, off, s[0:3], 0 offset:276
	buffer_load_dword v78, off, s[0:3], 0 offset:272
	ds_read_b64 v[80:81], v76 offset:560
	s_waitcnt vmcnt(0) lgkmcnt(0)
	v_fmac_f64_e32 v[74:75], v[78:79], v[80:81]
	v_add_f64 v[72:73], v[72:73], -v[74:75]
	buffer_store_dword v73, off, s[0:3], 0 offset:12
	buffer_store_dword v72, off, s[0:3], 0 offset:8
	s_and_saveexec_b64 s[4:5], vcc
	s_cbranch_execz .LBB34_217
; %bb.216:
	buffer_load_dword v72, off, s[0:3], 0
	buffer_load_dword v73, off, s[0:3], 0 offset:4
	s_waitcnt vmcnt(0)
	ds_write_b64 v1, v[72:73]
	buffer_store_dword v76, off, s[0:3], 0
	buffer_store_dword v76, off, s[0:3], 0 offset:4
.LBB34_217:
	s_or_b64 exec, exec, s[4:5]
	s_waitcnt lgkmcnt(0)
	; wave barrier
	s_waitcnt lgkmcnt(0)
	buffer_load_dword v0, off, s[0:3], 0
	buffer_load_dword v1, off, s[0:3], 0 offset:4
	buffer_load_dword v78, off, s[0:3], 0 offset:8
	;; [unrolled: 1-line block ×15, first 2 shown]
	ds_read2_b64 v[72:75], v76 offset0:37 offset1:38
	s_and_b64 vcc, exec, s[20:21]
	s_waitcnt vmcnt(12) lgkmcnt(0)
	v_fma_f64 v[72:73], v[78:79], v[72:73], 0
	s_waitcnt vmcnt(10)
	v_fmac_f64_e32 v[72:73], v[80:81], v[74:75]
	ds_read2_b64 v[78:81], v76 offset0:39 offset1:40
	s_waitcnt vmcnt(8) lgkmcnt(0)
	v_fmac_f64_e32 v[72:73], v[82:83], v[78:79]
	s_waitcnt vmcnt(6)
	v_fmac_f64_e32 v[72:73], v[84:85], v[80:81]
	ds_read2_b64 v[78:81], v76 offset0:41 offset1:42
	s_waitcnt vmcnt(4) lgkmcnt(0)
	v_fmac_f64_e32 v[72:73], v[86:87], v[78:79]
	s_waitcnt vmcnt(2)
	v_fmac_f64_e32 v[72:73], v[88:89], v[80:81]
	ds_read2_b64 v[78:81], v76 offset0:43 offset1:44
	buffer_load_dword v75, off, s[0:3], 0 offset:68
	buffer_load_dword v74, off, s[0:3], 0 offset:64
	s_waitcnt vmcnt(2) lgkmcnt(0)
	v_fmac_f64_e32 v[72:73], v[90:91], v[78:79]
	s_waitcnt vmcnt(0)
	v_fmac_f64_e32 v[72:73], v[74:75], v[80:81]
	buffer_load_dword v75, off, s[0:3], 0 offset:76
	buffer_load_dword v74, off, s[0:3], 0 offset:72
	ds_read2_b64 v[78:81], v76 offset0:45 offset1:46
	s_waitcnt vmcnt(0) lgkmcnt(0)
	v_fmac_f64_e32 v[72:73], v[74:75], v[78:79]
	buffer_load_dword v75, off, s[0:3], 0 offset:84
	buffer_load_dword v74, off, s[0:3], 0 offset:80
	s_waitcnt vmcnt(0)
	v_fmac_f64_e32 v[72:73], v[74:75], v[80:81]
	buffer_load_dword v75, off, s[0:3], 0 offset:92
	buffer_load_dword v74, off, s[0:3], 0 offset:88
	ds_read2_b64 v[78:81], v76 offset0:47 offset1:48
	s_waitcnt vmcnt(0) lgkmcnt(0)
	v_fmac_f64_e32 v[72:73], v[74:75], v[78:79]
	buffer_load_dword v75, off, s[0:3], 0 offset:100
	buffer_load_dword v74, off, s[0:3], 0 offset:96
	;; [unrolled: 9-line block ×13, first 2 shown]
	s_waitcnt vmcnt(0)
	v_fmac_f64_e32 v[72:73], v[76:77], v[78:79]
	v_add_f64 v[0:1], v[0:1], -v[72:73]
	buffer_store_dword v1, off, s[0:3], 0 offset:4
	buffer_store_dword v0, off, s[0:3], 0
	s_cbranch_vccz .LBB34_287
; %bb.218:
	v_pk_mov_b32 v[0:1], s[10:11], s[10:11] op_sel:[0,1]
	flat_load_dword v0, v[0:1] offset:132
	s_waitcnt vmcnt(0) lgkmcnt(0)
	v_add_u32_e32 v0, -1, v0
	v_cmp_ne_u32_e32 vcc, 33, v0
	s_and_saveexec_b64 s[4:5], vcc
	s_cbranch_execz .LBB34_220
; %bb.219:
	v_mov_b32_e32 v1, 0
	v_lshl_add_u32 v0, v0, 3, v1
	buffer_load_dword v1, v0, s[0:3], 0 offen
	buffer_load_dword v72, v0, s[0:3], 0 offen offset:4
	s_waitcnt vmcnt(1)
	buffer_store_dword v1, off, s[0:3], 0 offset:264
	s_waitcnt vmcnt(1)
	buffer_store_dword v72, off, s[0:3], 0 offset:268
	buffer_store_dword v74, v0, s[0:3], 0 offen
	buffer_store_dword v75, v0, s[0:3], 0 offen offset:4
.LBB34_220:
	s_or_b64 exec, exec, s[4:5]
	v_pk_mov_b32 v[0:1], s[10:11], s[10:11] op_sel:[0,1]
	flat_load_dword v0, v[0:1] offset:128
	s_waitcnt vmcnt(0) lgkmcnt(0)
	v_add_u32_e32 v0, -1, v0
	v_cmp_ne_u32_e32 vcc, 32, v0
	s_and_saveexec_b64 s[4:5], vcc
	s_cbranch_execz .LBB34_222
; %bb.221:
	v_mov_b32_e32 v1, 0
	v_lshl_add_u32 v0, v0, 3, v1
	buffer_load_dword v1, v0, s[0:3], 0 offen
	buffer_load_dword v72, v0, s[0:3], 0 offen offset:4
	buffer_load_dword v73, off, s[0:3], 0 offset:260
	buffer_load_dword v74, off, s[0:3], 0 offset:256
	s_waitcnt vmcnt(3)
	buffer_store_dword v1, off, s[0:3], 0 offset:256
	s_waitcnt vmcnt(3)
	buffer_store_dword v72, off, s[0:3], 0 offset:260
	s_waitcnt vmcnt(3)
	buffer_store_dword v73, v0, s[0:3], 0 offen offset:4
	s_waitcnt vmcnt(3)
	buffer_store_dword v74, v0, s[0:3], 0 offen
.LBB34_222:
	s_or_b64 exec, exec, s[4:5]
	v_pk_mov_b32 v[0:1], s[10:11], s[10:11] op_sel:[0,1]
	flat_load_dword v0, v[0:1] offset:124
	s_waitcnt vmcnt(0) lgkmcnt(0)
	v_add_u32_e32 v0, -1, v0
	v_cmp_ne_u32_e32 vcc, 31, v0
	s_and_saveexec_b64 s[4:5], vcc
	s_cbranch_execz .LBB34_224
; %bb.223:
	v_mov_b32_e32 v1, 0
	v_lshl_add_u32 v0, v0, 3, v1
	buffer_load_dword v1, v0, s[0:3], 0 offen
	buffer_load_dword v72, v0, s[0:3], 0 offen offset:4
	buffer_load_dword v73, off, s[0:3], 0 offset:248
	buffer_load_dword v74, off, s[0:3], 0 offset:252
	s_waitcnt vmcnt(3)
	buffer_store_dword v1, off, s[0:3], 0 offset:248
	s_waitcnt vmcnt(3)
	buffer_store_dword v72, off, s[0:3], 0 offset:252
	s_waitcnt vmcnt(3)
	buffer_store_dword v73, v0, s[0:3], 0 offen
	s_waitcnt vmcnt(3)
	buffer_store_dword v74, v0, s[0:3], 0 offen offset:4
.LBB34_224:
	s_or_b64 exec, exec, s[4:5]
	v_pk_mov_b32 v[0:1], s[10:11], s[10:11] op_sel:[0,1]
	flat_load_dword v0, v[0:1] offset:120
	s_waitcnt vmcnt(0) lgkmcnt(0)
	v_add_u32_e32 v0, -1, v0
	v_cmp_ne_u32_e32 vcc, 30, v0
	s_and_saveexec_b64 s[4:5], vcc
	s_cbranch_execz .LBB34_226
; %bb.225:
	v_mov_b32_e32 v1, 0
	v_lshl_add_u32 v0, v0, 3, v1
	buffer_load_dword v1, v0, s[0:3], 0 offen
	buffer_load_dword v72, v0, s[0:3], 0 offen offset:4
	buffer_load_dword v73, off, s[0:3], 0 offset:244
	buffer_load_dword v74, off, s[0:3], 0 offset:240
	s_waitcnt vmcnt(3)
	buffer_store_dword v1, off, s[0:3], 0 offset:240
	s_waitcnt vmcnt(3)
	buffer_store_dword v72, off, s[0:3], 0 offset:244
	s_waitcnt vmcnt(3)
	buffer_store_dword v73, v0, s[0:3], 0 offen offset:4
	s_waitcnt vmcnt(3)
	buffer_store_dword v74, v0, s[0:3], 0 offen
.LBB34_226:
	s_or_b64 exec, exec, s[4:5]
	v_pk_mov_b32 v[0:1], s[10:11], s[10:11] op_sel:[0,1]
	flat_load_dword v0, v[0:1] offset:116
	s_waitcnt vmcnt(0) lgkmcnt(0)
	v_add_u32_e32 v0, -1, v0
	v_cmp_ne_u32_e32 vcc, 29, v0
	s_and_saveexec_b64 s[4:5], vcc
	s_cbranch_execz .LBB34_228
; %bb.227:
	v_mov_b32_e32 v1, 0
	v_lshl_add_u32 v0, v0, 3, v1
	buffer_load_dword v1, v0, s[0:3], 0 offen
	buffer_load_dword v72, v0, s[0:3], 0 offen offset:4
	buffer_load_dword v73, off, s[0:3], 0 offset:232
	buffer_load_dword v74, off, s[0:3], 0 offset:236
	s_waitcnt vmcnt(3)
	buffer_store_dword v1, off, s[0:3], 0 offset:232
	s_waitcnt vmcnt(3)
	buffer_store_dword v72, off, s[0:3], 0 offset:236
	s_waitcnt vmcnt(3)
	buffer_store_dword v73, v0, s[0:3], 0 offen
	s_waitcnt vmcnt(3)
	buffer_store_dword v74, v0, s[0:3], 0 offen offset:4
.LBB34_228:
	;; [unrolled: 48-line block ×16, first 2 shown]
	s_or_b64 exec, exec, s[4:5]
	v_pk_mov_b32 v[0:1], s[10:11], s[10:11] op_sel:[0,1]
	flat_load_dword v72, v[0:1]
	s_nop 0
	buffer_load_dword v0, off, s[0:3], 0
	buffer_load_dword v1, off, s[0:3], 0 offset:4
	s_waitcnt vmcnt(0) lgkmcnt(0)
	v_add_u32_e32 v72, -1, v72
	v_cmp_ne_u32_e32 vcc, 0, v72
	s_and_saveexec_b64 s[4:5], vcc
	s_cbranch_execz .LBB34_286
; %bb.285:
	v_mov_b32_e32 v73, 0
	v_lshl_add_u32 v72, v72, 3, v73
	buffer_load_dword v73, v72, s[0:3], 0 offen offset:4
	buffer_load_dword v74, v72, s[0:3], 0 offen
	s_waitcnt vmcnt(1)
	buffer_store_dword v73, off, s[0:3], 0 offset:4
	s_waitcnt vmcnt(1)
	buffer_store_dword v74, off, s[0:3], 0
	buffer_store_dword v1, v72, s[0:3], 0 offen offset:4
	buffer_store_dword v0, v72, s[0:3], 0 offen
	buffer_load_dword v0, off, s[0:3], 0
	s_nop 0
	buffer_load_dword v1, off, s[0:3], 0 offset:4
.LBB34_286:
	s_or_b64 exec, exec, s[4:5]
.LBB34_287:
	s_waitcnt vmcnt(0)
	global_store_dwordx2 v[70:71], v[0:1], off
	buffer_load_dword v0, off, s[0:3], 0 offset:8
	s_nop 0
	buffer_load_dword v1, off, s[0:3], 0 offset:12
	buffer_load_dword v70, off, s[0:3], 0 offset:16
	;; [unrolled: 1-line block ×15, first 2 shown]
	s_waitcnt vmcnt(14)
	global_store_dwordx2 v[68:69], v[0:1], off
	s_waitcnt vmcnt(13)
	global_store_dwordx2 v[2:3], v[70:71], off
	;; [unrolled: 2-line block ×8, first 2 shown]
	buffer_load_dword v0, off, s[0:3], 0 offset:72
	buffer_load_dword v1, off, s[0:3], 0 offset:76
	s_waitcnt vmcnt(0)
	global_store_dwordx2 v[14:15], v[0:1], off
	buffer_load_dword v0, off, s[0:3], 0 offset:80
	s_nop 0
	buffer_load_dword v1, off, s[0:3], 0 offset:84
	s_waitcnt vmcnt(0)
	global_store_dwordx2 v[16:17], v[0:1], off
	buffer_load_dword v0, off, s[0:3], 0 offset:88
	s_nop 0
	;; [unrolled: 5-line block ×25, first 2 shown]
	buffer_load_dword v1, off, s[0:3], 0 offset:276
	s_waitcnt vmcnt(0)
	global_store_dwordx2 v[52:53], v[0:1], off
	s_endpgm
	.section	.rodata,"a",@progbits
	.p2align	6, 0x0
	.amdhsa_kernel _ZN9rocsolver6v33100L18getri_kernel_smallILi35EdPdEEvT1_iilPiilS4_bb
		.amdhsa_group_segment_fixed_size 568
		.amdhsa_private_segment_fixed_size 288
		.amdhsa_kernarg_size 60
		.amdhsa_user_sgpr_count 8
		.amdhsa_user_sgpr_private_segment_buffer 1
		.amdhsa_user_sgpr_dispatch_ptr 0
		.amdhsa_user_sgpr_queue_ptr 0
		.amdhsa_user_sgpr_kernarg_segment_ptr 1
		.amdhsa_user_sgpr_dispatch_id 0
		.amdhsa_user_sgpr_flat_scratch_init 1
		.amdhsa_user_sgpr_kernarg_preload_length 0
		.amdhsa_user_sgpr_kernarg_preload_offset 0
		.amdhsa_user_sgpr_private_segment_size 0
		.amdhsa_uses_dynamic_stack 0
		.amdhsa_system_sgpr_private_segment_wavefront_offset 1
		.amdhsa_system_sgpr_workgroup_id_x 1
		.amdhsa_system_sgpr_workgroup_id_y 0
		.amdhsa_system_sgpr_workgroup_id_z 0
		.amdhsa_system_sgpr_workgroup_info 0
		.amdhsa_system_vgpr_workitem_id 0
		.amdhsa_next_free_vgpr 124
		.amdhsa_next_free_sgpr 23
		.amdhsa_accum_offset 124
		.amdhsa_reserve_vcc 1
		.amdhsa_reserve_flat_scratch 1
		.amdhsa_float_round_mode_32 0
		.amdhsa_float_round_mode_16_64 0
		.amdhsa_float_denorm_mode_32 3
		.amdhsa_float_denorm_mode_16_64 3
		.amdhsa_dx10_clamp 1
		.amdhsa_ieee_mode 1
		.amdhsa_fp16_overflow 0
		.amdhsa_tg_split 0
		.amdhsa_exception_fp_ieee_invalid_op 0
		.amdhsa_exception_fp_denorm_src 0
		.amdhsa_exception_fp_ieee_div_zero 0
		.amdhsa_exception_fp_ieee_overflow 0
		.amdhsa_exception_fp_ieee_underflow 0
		.amdhsa_exception_fp_ieee_inexact 0
		.amdhsa_exception_int_div_zero 0
	.end_amdhsa_kernel
	.section	.text._ZN9rocsolver6v33100L18getri_kernel_smallILi35EdPdEEvT1_iilPiilS4_bb,"axG",@progbits,_ZN9rocsolver6v33100L18getri_kernel_smallILi35EdPdEEvT1_iilPiilS4_bb,comdat
.Lfunc_end34:
	.size	_ZN9rocsolver6v33100L18getri_kernel_smallILi35EdPdEEvT1_iilPiilS4_bb, .Lfunc_end34-_ZN9rocsolver6v33100L18getri_kernel_smallILi35EdPdEEvT1_iilPiilS4_bb
                                        ; -- End function
	.section	.AMDGPU.csdata,"",@progbits
; Kernel info:
; codeLenInByte = 35096
; NumSgprs: 29
; NumVgprs: 124
; NumAgprs: 0
; TotalNumVgprs: 124
; ScratchSize: 288
; MemoryBound: 0
; FloatMode: 240
; IeeeMode: 1
; LDSByteSize: 568 bytes/workgroup (compile time only)
; SGPRBlocks: 3
; VGPRBlocks: 15
; NumSGPRsForWavesPerEU: 29
; NumVGPRsForWavesPerEU: 124
; AccumOffset: 124
; Occupancy: 4
; WaveLimiterHint : 1
; COMPUTE_PGM_RSRC2:SCRATCH_EN: 1
; COMPUTE_PGM_RSRC2:USER_SGPR: 8
; COMPUTE_PGM_RSRC2:TRAP_HANDLER: 0
; COMPUTE_PGM_RSRC2:TGID_X_EN: 1
; COMPUTE_PGM_RSRC2:TGID_Y_EN: 0
; COMPUTE_PGM_RSRC2:TGID_Z_EN: 0
; COMPUTE_PGM_RSRC2:TIDIG_COMP_CNT: 0
; COMPUTE_PGM_RSRC3_GFX90A:ACCUM_OFFSET: 30
; COMPUTE_PGM_RSRC3_GFX90A:TG_SPLIT: 0
	.section	.text._ZN9rocsolver6v33100L18getri_kernel_smallILi36EdPdEEvT1_iilPiilS4_bb,"axG",@progbits,_ZN9rocsolver6v33100L18getri_kernel_smallILi36EdPdEEvT1_iilPiilS4_bb,comdat
	.globl	_ZN9rocsolver6v33100L18getri_kernel_smallILi36EdPdEEvT1_iilPiilS4_bb ; -- Begin function _ZN9rocsolver6v33100L18getri_kernel_smallILi36EdPdEEvT1_iilPiilS4_bb
	.p2align	8
	.type	_ZN9rocsolver6v33100L18getri_kernel_smallILi36EdPdEEvT1_iilPiilS4_bb,@function
_ZN9rocsolver6v33100L18getri_kernel_smallILi36EdPdEEvT1_iilPiilS4_bb: ; @_ZN9rocsolver6v33100L18getri_kernel_smallILi36EdPdEEvT1_iilPiilS4_bb
; %bb.0:
	s_add_u32 flat_scratch_lo, s6, s9
	s_addc_u32 flat_scratch_hi, s7, 0
	s_add_u32 s0, s0, s9
	s_addc_u32 s1, s1, 0
	v_cmp_gt_u32_e32 vcc, 36, v0
	s_and_saveexec_b64 s[6:7], vcc
	s_cbranch_execz .LBB35_152
; %bb.1:
	s_load_dword s22, s[4:5], 0x38
	s_load_dwordx4 s[16:19], s[4:5], 0x10
	s_load_dwordx4 s[12:15], s[4:5], 0x28
                                        ; implicit-def: $sgpr10_sgpr11
	s_waitcnt lgkmcnt(0)
	s_bitcmp1_b32 s22, 8
	s_cselect_b64 s[20:21], -1, 0
	s_ashr_i32 s9, s8, 31
	s_bfe_u32 s6, s22, 0x10008
	s_cmp_eq_u32 s6, 0
	s_cbranch_scc1 .LBB35_3
; %bb.2:
	s_load_dword s6, s[4:5], 0x20
	s_mul_i32 s7, s8, s13
	s_mul_hi_u32 s10, s8, s12
	s_mul_i32 s11, s9, s12
	s_add_i32 s10, s10, s7
	s_add_i32 s11, s10, s11
	s_mul_i32 s10, s8, s12
	s_waitcnt lgkmcnt(0)
	s_ashr_i32 s7, s6, 31
	s_lshl_b64 s[10:11], s[10:11], 2
	s_add_u32 s10, s18, s10
	s_addc_u32 s11, s19, s11
	s_lshl_b64 s[6:7], s[6:7], 2
	s_add_u32 s10, s10, s6
	s_addc_u32 s11, s11, s7
.LBB35_3:
	s_load_dwordx4 s[4:7], s[4:5], 0x0
	s_mul_i32 s12, s8, s17
	s_mul_hi_u32 s13, s8, s16
	s_add_i32 s17, s13, s12
	s_waitcnt lgkmcnt(0)
	s_ashr_i32 s13, s6, 31
	s_mov_b32 s12, s6
	s_mul_i32 s6, s9, s16
	s_add_i32 s17, s17, s6
	s_mul_i32 s16, s8, s16
	s_lshl_b64 s[16:17], s[16:17], 3
	s_add_u32 s6, s4, s16
	s_addc_u32 s16, s5, s17
	s_lshl_b64 s[4:5], s[12:13], 3
	s_add_u32 s4, s6, s4
	s_addc_u32 s5, s16, s5
	s_add_i32 s6, s7, s7
	v_add_u32_e32 v4, s6, v0
	v_ashrrev_i32_e32 v5, 31, v4
	v_lshlrev_b64 v[2:3], 3, v[4:5]
	v_add_u32_e32 v6, s7, v4
	v_mov_b32_e32 v1, s5
	v_add_co_u32_e32 v2, vcc, s4, v2
	v_ashrrev_i32_e32 v7, 31, v6
	v_addc_co_u32_e32 v3, vcc, v1, v3, vcc
	v_lshlrev_b64 v[4:5], 3, v[6:7]
	v_add_u32_e32 v8, s7, v6
	v_add_co_u32_e32 v4, vcc, s4, v4
	v_ashrrev_i32_e32 v9, 31, v8
	v_addc_co_u32_e32 v5, vcc, v1, v5, vcc
	v_lshlrev_b64 v[6:7], 3, v[8:9]
	v_add_u32_e32 v10, s7, v8
	;; [unrolled: 5-line block ×5, first 2 shown]
	v_add_co_u32_e32 v12, vcc, s4, v12
	v_ashrrev_i32_e32 v15, 31, v14
	v_addc_co_u32_e32 v13, vcc, v1, v13, vcc
	v_lshlrev_b64 v[16:17], 3, v[14:15]
	v_add_co_u32_e32 v18, vcc, s4, v16
	v_add_u32_e32 v16, s7, v14
	v_addc_co_u32_e32 v19, vcc, v1, v17, vcc
	v_ashrrev_i32_e32 v17, 31, v16
	v_lshlrev_b64 v[14:15], 3, v[16:17]
	v_add_u32_e32 v20, s7, v16
	v_add_co_u32_e32 v14, vcc, s4, v14
	v_ashrrev_i32_e32 v21, 31, v20
	v_addc_co_u32_e32 v15, vcc, v1, v15, vcc
	v_lshlrev_b64 v[16:17], 3, v[20:21]
	v_add_u32_e32 v22, s7, v20
	v_add_co_u32_e32 v16, vcc, s4, v16
	v_ashrrev_i32_e32 v23, 31, v22
	v_addc_co_u32_e32 v17, vcc, v1, v17, vcc
	;; [unrolled: 5-line block ×18, first 2 shown]
	v_lshlrev_b64 v[52:53], 3, v[54:55]
	v_add_co_u32_e32 v52, vcc, s4, v52
	v_addc_co_u32_e32 v53, vcc, v1, v53, vcc
	v_lshlrev_b32_e32 v1, 3, v0
	global_load_dwordx2 v[74:75], v1, s[4:5]
	v_mov_b32_e32 v55, s5
	v_add_co_u32_e32 v72, vcc, s4, v1
	s_ashr_i32 s13, s7, 31
	s_mov_b32 s12, s7
	v_addc_co_u32_e32 v73, vcc, 0, v55, vcc
	s_lshl_b64 s[12:13], s[12:13], 3
	v_mov_b32_e32 v55, s13
	v_add_co_u32_e32 v70, vcc, s12, v72
	v_addc_co_u32_e32 v71, vcc, v73, v55, vcc
	global_load_dwordx2 v[76:77], v[70:71], off
	global_load_dwordx2 v[78:79], v[2:3], off
	;; [unrolled: 1-line block ×10, first 2 shown]
	v_add_u32_e32 v54, s7, v54
	v_ashrrev_i32_e32 v55, 31, v54
	v_lshlrev_b64 v[56:57], 3, v[54:55]
	v_mov_b32_e32 v55, s5
	v_add_co_u32_e32 v56, vcc, s4, v56
	v_add_u32_e32 v54, s7, v54
	v_addc_co_u32_e32 v57, vcc, v55, v57, vcc
	v_ashrrev_i32_e32 v55, 31, v54
	v_lshlrev_b64 v[58:59], 3, v[54:55]
	v_mov_b32_e32 v55, s5
	v_add_co_u32_e32 v58, vcc, s4, v58
	v_add_u32_e32 v54, s7, v54
	v_addc_co_u32_e32 v59, vcc, v55, v59, vcc
	v_ashrrev_i32_e32 v55, 31, v54
	v_lshlrev_b64 v[60:61], 3, v[54:55]
	v_add_u32_e32 v54, s7, v54
	v_mov_b32_e32 v62, s5
	v_add_co_u32_e32 v60, vcc, s4, v60
	v_ashrrev_i32_e32 v55, 31, v54
	v_addc_co_u32_e32 v61, vcc, v62, v61, vcc
	v_lshlrev_b64 v[62:63], 3, v[54:55]
	v_add_u32_e32 v54, s7, v54
	v_mov_b32_e32 v64, s5
	v_add_co_u32_e32 v62, vcc, s4, v62
	v_ashrrev_i32_e32 v55, 31, v54
	v_addc_co_u32_e32 v63, vcc, v64, v63, vcc
	;; [unrolled: 6-line block ×5, first 2 shown]
	v_lshlrev_b64 v[54:55], 3, v[54:55]
	v_add_co_u32_e32 v54, vcc, s4, v54
	v_addc_co_u32_e32 v55, vcc, v96, v55, vcc
	global_load_dwordx2 v[96:97], v[20:21], off
	global_load_dwordx2 v[98:99], v[54:55], off
	;; [unrolled: 1-line block ×14, first 2 shown]
	s_bitcmp0_b32 s22, 0
	s_waitcnt vmcnt(24)
	buffer_store_dword v75, off, s[0:3], 0 offset:4
	buffer_store_dword v74, off, s[0:3], 0
	global_load_dwordx2 v[74:75], v[26:27], off
	s_mov_b64 s[6:7], -1
	s_waitcnt vmcnt(26)
	buffer_store_dword v77, off, s[0:3], 0 offset:12
	buffer_store_dword v76, off, s[0:3], 0 offset:8
	global_load_dwordx2 v[76:77], v[30:31], off
	s_waitcnt vmcnt(28)
	buffer_store_dword v79, off, s[0:3], 0 offset:20
	buffer_store_dword v78, off, s[0:3], 0 offset:16
	global_load_dwordx2 v[78:79], v[34:35], off
	;; [unrolled: 4-line block ×9, first 2 shown]
	s_nop 0
	buffer_store_dword v94, off, s[0:3], 0 offset:80
	buffer_store_dword v95, off, s[0:3], 0 offset:84
	global_load_dwordx2 v[94:95], v[68:69], off
	s_waitcnt vmcnt(46)
	buffer_store_dword v96, off, s[0:3], 0 offset:88
	buffer_store_dword v97, off, s[0:3], 0 offset:92
	s_waitcnt vmcnt(46)
	buffer_store_dword v100, off, s[0:3], 0 offset:96
	buffer_store_dword v101, off, s[0:3], 0 offset:100
	;; [unrolled: 3-line block ×4, first 2 shown]
	buffer_store_dword v104, off, s[0:3], 0 offset:120
	buffer_store_dword v105, off, s[0:3], 0 offset:124
	s_waitcnt vmcnt(37)
	buffer_store_dword v76, off, s[0:3], 0 offset:128
	buffer_store_dword v77, off, s[0:3], 0 offset:132
	buffer_store_dword v106, off, s[0:3], 0 offset:136
	buffer_store_dword v107, off, s[0:3], 0 offset:140
	s_waitcnt vmcnt(38)
	buffer_store_dword v78, off, s[0:3], 0 offset:144
	buffer_store_dword v79, off, s[0:3], 0 offset:148
	;; [unrolled: 5-line block ×10, first 2 shown]
	buffer_store_dword v98, off, s[0:3], 0 offset:280
	buffer_store_dword v99, off, s[0:3], 0 offset:284
	s_cbranch_scc1 .LBB35_150
; %bb.4:
	v_cmp_eq_u32_e64 s[4:5], 0, v0
	s_and_saveexec_b64 s[6:7], s[4:5]
	s_cbranch_execz .LBB35_6
; %bb.5:
	v_mov_b32_e32 v74, 0
	ds_write_b32 v74, v74 offset:576
.LBB35_6:
	s_or_b64 exec, exec, s[6:7]
	v_mov_b32_e32 v74, 0
	v_lshl_add_u32 v74, v0, 3, v74
	s_waitcnt lgkmcnt(0)
	; wave barrier
	s_waitcnt lgkmcnt(0)
	buffer_load_dword v76, v74, s[0:3], 0 offen
	buffer_load_dword v77, v74, s[0:3], 0 offen offset:4
	s_waitcnt vmcnt(0)
	v_cmp_eq_f64_e32 vcc, 0, v[76:77]
	s_and_saveexec_b64 s[12:13], vcc
	s_cbranch_execz .LBB35_10
; %bb.7:
	v_mov_b32_e32 v75, 0
	ds_read_b32 v77, v75 offset:576
	v_add_u32_e32 v76, 1, v0
	s_waitcnt lgkmcnt(0)
	v_readfirstlane_b32 s6, v77
	s_cmp_eq_u32 s6, 0
	s_cselect_b64 s[16:17], -1, 0
	v_cmp_gt_i32_e32 vcc, s6, v76
	s_or_b64 s[16:17], s[16:17], vcc
	s_and_b64 exec, exec, s[16:17]
	s_cbranch_execz .LBB35_10
; %bb.8:
	s_mov_b64 s[16:17], 0
	v_mov_b32_e32 v77, s6
.LBB35_9:                               ; =>This Inner Loop Header: Depth=1
	ds_cmpst_rtn_b32 v77, v75, v77, v76 offset:576
	s_waitcnt lgkmcnt(0)
	v_cmp_ne_u32_e32 vcc, 0, v77
	v_cmp_le_i32_e64 s[6:7], v77, v76
	s_and_b64 s[6:7], vcc, s[6:7]
	s_and_b64 s[6:7], exec, s[6:7]
	s_or_b64 s[16:17], s[6:7], s[16:17]
	s_andn2_b64 exec, exec, s[16:17]
	s_cbranch_execnz .LBB35_9
.LBB35_10:
	s_or_b64 exec, exec, s[12:13]
	v_mov_b32_e32 v76, 0
	s_waitcnt lgkmcnt(0)
	; wave barrier
	ds_read_b32 v75, v76 offset:576
	s_and_saveexec_b64 s[6:7], s[4:5]
	s_cbranch_execz .LBB35_12
; %bb.11:
	s_lshl_b64 s[12:13], s[8:9], 2
	s_add_u32 s12, s14, s12
	s_addc_u32 s13, s15, s13
	s_waitcnt lgkmcnt(0)
	global_store_dword v76, v75, s[12:13]
.LBB35_12:
	s_or_b64 exec, exec, s[6:7]
	s_waitcnt lgkmcnt(0)
	v_cmp_ne_u32_e32 vcc, 0, v75
	s_mov_b64 s[6:7], 0
	s_cbranch_vccnz .LBB35_150
; %bb.13:
	buffer_load_dword v76, v74, s[0:3], 0 offen
	buffer_load_dword v77, v74, s[0:3], 0 offen offset:4
	s_waitcnt vmcnt(0)
	v_div_scale_f64 v[78:79], s[6:7], v[76:77], v[76:77], 1.0
	v_rcp_f64_e32 v[80:81], v[78:79]
	v_div_scale_f64 v[82:83], vcc, 1.0, v[76:77], 1.0
	v_fma_f64 v[84:85], -v[78:79], v[80:81], 1.0
	v_fmac_f64_e32 v[80:81], v[80:81], v[84:85]
	v_fma_f64 v[84:85], -v[78:79], v[80:81], 1.0
	v_fmac_f64_e32 v[80:81], v[80:81], v[84:85]
	v_mul_f64 v[84:85], v[82:83], v[80:81]
	v_fma_f64 v[78:79], -v[78:79], v[84:85], v[82:83]
	v_div_fmas_f64 v[78:79], v[78:79], v[80:81], v[84:85]
	v_div_fixup_f64 v[78:79], v[78:79], v[76:77], 1.0
	buffer_store_dword v79, v74, s[0:3], 0 offen offset:4
	buffer_store_dword v78, v74, s[0:3], 0 offen
	buffer_load_dword v81, off, s[0:3], 0 offset:12
	buffer_load_dword v80, off, s[0:3], 0 offset:8
	v_add_u32_e32 v76, 0x120, v1
	v_xor_b32_e32 v79, 0x80000000, v79
	s_waitcnt vmcnt(0)
	ds_write2_b64 v1, v[78:79], v[80:81] offset1:36
	s_waitcnt lgkmcnt(0)
	; wave barrier
	s_waitcnt lgkmcnt(0)
	s_and_saveexec_b64 s[6:7], s[4:5]
	s_cbranch_execz .LBB35_15
; %bb.14:
	buffer_load_dword v78, v74, s[0:3], 0 offen
	buffer_load_dword v79, v74, s[0:3], 0 offen offset:4
	v_mov_b32_e32 v75, 0
	ds_read_b64 v[80:81], v76
	ds_read_b64 v[82:83], v75 offset:8
	s_waitcnt vmcnt(0) lgkmcnt(1)
	v_fma_f64 v[78:79], v[78:79], v[80:81], 0
	s_waitcnt lgkmcnt(0)
	v_mul_f64 v[78:79], v[78:79], v[82:83]
	buffer_store_dword v78, off, s[0:3], 0 offset:8
	buffer_store_dword v79, off, s[0:3], 0 offset:12
.LBB35_15:
	s_or_b64 exec, exec, s[6:7]
	s_waitcnt lgkmcnt(0)
	; wave barrier
	buffer_load_dword v78, off, s[0:3], 0 offset:16
	buffer_load_dword v79, off, s[0:3], 0 offset:20
	v_cmp_gt_u32_e32 vcc, 2, v0
	s_waitcnt vmcnt(0)
	ds_write_b64 v76, v[78:79]
	s_waitcnt lgkmcnt(0)
	; wave barrier
	s_waitcnt lgkmcnt(0)
	s_and_saveexec_b64 s[6:7], vcc
	s_cbranch_execz .LBB35_17
; %bb.16:
	buffer_load_dword v75, v74, s[0:3], 0 offen offset:4
	buffer_load_dword v82, off, s[0:3], 0 offset:8
	s_nop 0
	buffer_load_dword v74, v74, s[0:3], 0 offen
	s_nop 0
	buffer_load_dword v83, off, s[0:3], 0 offset:12
	ds_read_b64 v[84:85], v76
	v_mov_b32_e32 v77, 0
	ds_read2_b64 v[78:81], v77 offset0:2 offset1:37
	s_waitcnt vmcnt(1) lgkmcnt(1)
	v_fma_f64 v[74:75], v[74:75], v[84:85], 0
	s_waitcnt vmcnt(0) lgkmcnt(0)
	v_fma_f64 v[80:81], v[82:83], v[80:81], v[74:75]
	v_cndmask_b32_e64 v75, v75, v81, s[4:5]
	v_cndmask_b32_e64 v74, v74, v80, s[4:5]
	v_mul_f64 v[74:75], v[74:75], v[78:79]
	buffer_store_dword v75, off, s[0:3], 0 offset:20
	buffer_store_dword v74, off, s[0:3], 0 offset:16
.LBB35_17:
	s_or_b64 exec, exec, s[6:7]
	s_waitcnt lgkmcnt(0)
	; wave barrier
	buffer_load_dword v74, off, s[0:3], 0 offset:24
	buffer_load_dword v75, off, s[0:3], 0 offset:28
	v_cmp_gt_u32_e32 vcc, 3, v0
	v_add_u32_e32 v77, -1, v0
	s_waitcnt vmcnt(0)
	ds_write_b64 v76, v[74:75]
	s_waitcnt lgkmcnt(0)
	; wave barrier
	s_waitcnt lgkmcnt(0)
	s_and_saveexec_b64 s[4:5], vcc
	s_cbranch_execz .LBB35_21
; %bb.18:
	v_add_u32_e32 v78, -1, v0
	v_add_u32_e32 v79, 0x120, v1
	v_add_u32_e32 v80, 0, v1
	s_mov_b64 s[6:7], 0
	v_pk_mov_b32 v[74:75], 0, 0
.LBB35_19:                              ; =>This Inner Loop Header: Depth=1
	buffer_load_dword v82, v80, s[0:3], 0 offen
	buffer_load_dword v83, v80, s[0:3], 0 offen offset:4
	ds_read_b64 v[84:85], v79
	v_add_u32_e32 v78, 1, v78
	v_cmp_lt_u32_e32 vcc, 1, v78
	v_add_u32_e32 v79, 8, v79
	v_add_u32_e32 v80, 8, v80
	s_or_b64 s[6:7], vcc, s[6:7]
	s_waitcnt vmcnt(0) lgkmcnt(0)
	v_fmac_f64_e32 v[74:75], v[82:83], v[84:85]
	s_andn2_b64 exec, exec, s[6:7]
	s_cbranch_execnz .LBB35_19
; %bb.20:
	s_or_b64 exec, exec, s[6:7]
	v_mov_b32_e32 v78, 0
	ds_read_b64 v[78:79], v78 offset:24
	s_waitcnt lgkmcnt(0)
	v_mul_f64 v[74:75], v[74:75], v[78:79]
	buffer_store_dword v75, off, s[0:3], 0 offset:28
	buffer_store_dword v74, off, s[0:3], 0 offset:24
.LBB35_21:
	s_or_b64 exec, exec, s[4:5]
	s_waitcnt lgkmcnt(0)
	; wave barrier
	buffer_load_dword v74, off, s[0:3], 0 offset:32
	buffer_load_dword v75, off, s[0:3], 0 offset:36
	v_cmp_gt_u32_e32 vcc, 4, v0
	s_waitcnt vmcnt(0)
	ds_write_b64 v76, v[74:75]
	s_waitcnt lgkmcnt(0)
	; wave barrier
	s_waitcnt lgkmcnt(0)
	s_and_saveexec_b64 s[4:5], vcc
	s_cbranch_execz .LBB35_25
; %bb.22:
	v_add_u32_e32 v78, -1, v0
	v_add_u32_e32 v79, 0x120, v1
	v_add_u32_e32 v80, 0, v1
	s_mov_b64 s[6:7], 0
	v_pk_mov_b32 v[74:75], 0, 0
.LBB35_23:                              ; =>This Inner Loop Header: Depth=1
	buffer_load_dword v82, v80, s[0:3], 0 offen
	buffer_load_dword v83, v80, s[0:3], 0 offen offset:4
	ds_read_b64 v[84:85], v79
	v_add_u32_e32 v78, 1, v78
	v_cmp_lt_u32_e32 vcc, 2, v78
	v_add_u32_e32 v79, 8, v79
	v_add_u32_e32 v80, 8, v80
	s_or_b64 s[6:7], vcc, s[6:7]
	s_waitcnt vmcnt(0) lgkmcnt(0)
	v_fmac_f64_e32 v[74:75], v[82:83], v[84:85]
	s_andn2_b64 exec, exec, s[6:7]
	s_cbranch_execnz .LBB35_23
; %bb.24:
	s_or_b64 exec, exec, s[6:7]
	v_mov_b32_e32 v78, 0
	ds_read_b64 v[78:79], v78 offset:32
	s_waitcnt lgkmcnt(0)
	v_mul_f64 v[74:75], v[74:75], v[78:79]
	buffer_store_dword v75, off, s[0:3], 0 offset:36
	buffer_store_dword v74, off, s[0:3], 0 offset:32
.LBB35_25:
	s_or_b64 exec, exec, s[4:5]
	s_waitcnt lgkmcnt(0)
	; wave barrier
	buffer_load_dword v74, off, s[0:3], 0 offset:40
	buffer_load_dword v75, off, s[0:3], 0 offset:44
	v_cmp_gt_u32_e32 vcc, 5, v0
	;; [unrolled: 41-line block ×21, first 2 shown]
	s_waitcnt vmcnt(0)
	ds_write_b64 v76, v[74:75]
	s_waitcnt lgkmcnt(0)
	; wave barrier
	s_waitcnt lgkmcnt(0)
	s_and_saveexec_b64 s[4:5], vcc
	s_cbranch_execz .LBB35_105
; %bb.102:
	v_add_u32_e32 v78, -1, v0
	v_add_u32_e32 v79, 0x120, v1
	v_add_u32_e32 v80, 0, v1
	s_mov_b64 s[6:7], 0
	v_pk_mov_b32 v[74:75], 0, 0
.LBB35_103:                             ; =>This Inner Loop Header: Depth=1
	buffer_load_dword v82, v80, s[0:3], 0 offen
	buffer_load_dword v83, v80, s[0:3], 0 offen offset:4
	ds_read_b64 v[84:85], v79
	v_add_u32_e32 v78, 1, v78
	v_cmp_lt_u32_e32 vcc, 22, v78
	v_add_u32_e32 v79, 8, v79
	v_add_u32_e32 v80, 8, v80
	s_or_b64 s[6:7], vcc, s[6:7]
	s_waitcnt vmcnt(0) lgkmcnt(0)
	v_fmac_f64_e32 v[74:75], v[82:83], v[84:85]
	s_andn2_b64 exec, exec, s[6:7]
	s_cbranch_execnz .LBB35_103
; %bb.104:
	s_or_b64 exec, exec, s[6:7]
	v_mov_b32_e32 v78, 0
	ds_read_b64 v[78:79], v78 offset:192
	s_waitcnt lgkmcnt(0)
	v_mul_f64 v[74:75], v[74:75], v[78:79]
	buffer_store_dword v75, off, s[0:3], 0 offset:196
	buffer_store_dword v74, off, s[0:3], 0 offset:192
.LBB35_105:
	s_or_b64 exec, exec, s[4:5]
	s_waitcnt lgkmcnt(0)
	; wave barrier
	buffer_load_dword v74, off, s[0:3], 0 offset:200
	buffer_load_dword v75, off, s[0:3], 0 offset:204
	v_cmp_gt_u32_e32 vcc, 25, v0
	s_waitcnt vmcnt(0)
	ds_write_b64 v76, v[74:75]
	s_waitcnt lgkmcnt(0)
	; wave barrier
	s_waitcnt lgkmcnt(0)
	s_and_saveexec_b64 s[4:5], vcc
	s_cbranch_execz .LBB35_109
; %bb.106:
	v_add_u32_e32 v78, -1, v0
	v_add_u32_e32 v79, 0x120, v1
	v_add_u32_e32 v80, 0, v1
	s_mov_b64 s[6:7], 0
	v_pk_mov_b32 v[74:75], 0, 0
.LBB35_107:                             ; =>This Inner Loop Header: Depth=1
	buffer_load_dword v82, v80, s[0:3], 0 offen
	buffer_load_dword v83, v80, s[0:3], 0 offen offset:4
	ds_read_b64 v[84:85], v79
	v_add_u32_e32 v78, 1, v78
	v_cmp_lt_u32_e32 vcc, 23, v78
	v_add_u32_e32 v79, 8, v79
	v_add_u32_e32 v80, 8, v80
	s_or_b64 s[6:7], vcc, s[6:7]
	s_waitcnt vmcnt(0) lgkmcnt(0)
	v_fmac_f64_e32 v[74:75], v[82:83], v[84:85]
	s_andn2_b64 exec, exec, s[6:7]
	s_cbranch_execnz .LBB35_107
; %bb.108:
	s_or_b64 exec, exec, s[6:7]
	v_mov_b32_e32 v78, 0
	ds_read_b64 v[78:79], v78 offset:200
	s_waitcnt lgkmcnt(0)
	v_mul_f64 v[74:75], v[74:75], v[78:79]
	buffer_store_dword v75, off, s[0:3], 0 offset:204
	buffer_store_dword v74, off, s[0:3], 0 offset:200
.LBB35_109:
	s_or_b64 exec, exec, s[4:5]
	s_waitcnt lgkmcnt(0)
	; wave barrier
	buffer_load_dword v74, off, s[0:3], 0 offset:208
	buffer_load_dword v75, off, s[0:3], 0 offset:212
	v_cmp_gt_u32_e32 vcc, 26, v0
	s_waitcnt vmcnt(0)
	ds_write_b64 v76, v[74:75]
	s_waitcnt lgkmcnt(0)
	; wave barrier
	s_waitcnt lgkmcnt(0)
	s_and_saveexec_b64 s[4:5], vcc
	s_cbranch_execz .LBB35_113
; %bb.110:
	v_add_u32_e32 v78, -1, v0
	v_add_u32_e32 v79, 0x120, v1
	v_add_u32_e32 v80, 0, v1
	s_mov_b64 s[6:7], 0
	v_pk_mov_b32 v[74:75], 0, 0
.LBB35_111:                             ; =>This Inner Loop Header: Depth=1
	buffer_load_dword v82, v80, s[0:3], 0 offen
	buffer_load_dword v83, v80, s[0:3], 0 offen offset:4
	ds_read_b64 v[84:85], v79
	v_add_u32_e32 v78, 1, v78
	v_cmp_lt_u32_e32 vcc, 24, v78
	v_add_u32_e32 v79, 8, v79
	v_add_u32_e32 v80, 8, v80
	s_or_b64 s[6:7], vcc, s[6:7]
	s_waitcnt vmcnt(0) lgkmcnt(0)
	v_fmac_f64_e32 v[74:75], v[82:83], v[84:85]
	s_andn2_b64 exec, exec, s[6:7]
	s_cbranch_execnz .LBB35_111
; %bb.112:
	s_or_b64 exec, exec, s[6:7]
	v_mov_b32_e32 v78, 0
	ds_read_b64 v[78:79], v78 offset:208
	s_waitcnt lgkmcnt(0)
	v_mul_f64 v[74:75], v[74:75], v[78:79]
	buffer_store_dword v75, off, s[0:3], 0 offset:212
	buffer_store_dword v74, off, s[0:3], 0 offset:208
.LBB35_113:
	s_or_b64 exec, exec, s[4:5]
	s_waitcnt lgkmcnt(0)
	; wave barrier
	buffer_load_dword v74, off, s[0:3], 0 offset:216
	buffer_load_dword v75, off, s[0:3], 0 offset:220
	v_cmp_gt_u32_e32 vcc, 27, v0
	s_waitcnt vmcnt(0)
	ds_write_b64 v76, v[74:75]
	s_waitcnt lgkmcnt(0)
	; wave barrier
	s_waitcnt lgkmcnt(0)
	s_and_saveexec_b64 s[4:5], vcc
	s_cbranch_execz .LBB35_117
; %bb.114:
	v_add_u32_e32 v78, -1, v0
	v_add_u32_e32 v79, 0x120, v1
	v_add_u32_e32 v80, 0, v1
	s_mov_b64 s[6:7], 0
	v_pk_mov_b32 v[74:75], 0, 0
.LBB35_115:                             ; =>This Inner Loop Header: Depth=1
	buffer_load_dword v82, v80, s[0:3], 0 offen
	buffer_load_dword v83, v80, s[0:3], 0 offen offset:4
	ds_read_b64 v[84:85], v79
	v_add_u32_e32 v78, 1, v78
	v_cmp_lt_u32_e32 vcc, 25, v78
	v_add_u32_e32 v79, 8, v79
	v_add_u32_e32 v80, 8, v80
	s_or_b64 s[6:7], vcc, s[6:7]
	s_waitcnt vmcnt(0) lgkmcnt(0)
	v_fmac_f64_e32 v[74:75], v[82:83], v[84:85]
	s_andn2_b64 exec, exec, s[6:7]
	s_cbranch_execnz .LBB35_115
; %bb.116:
	s_or_b64 exec, exec, s[6:7]
	v_mov_b32_e32 v78, 0
	ds_read_b64 v[78:79], v78 offset:216
	s_waitcnt lgkmcnt(0)
	v_mul_f64 v[74:75], v[74:75], v[78:79]
	buffer_store_dword v75, off, s[0:3], 0 offset:220
	buffer_store_dword v74, off, s[0:3], 0 offset:216
.LBB35_117:
	s_or_b64 exec, exec, s[4:5]
	s_waitcnt lgkmcnt(0)
	; wave barrier
	buffer_load_dword v74, off, s[0:3], 0 offset:224
	buffer_load_dword v75, off, s[0:3], 0 offset:228
	v_cmp_gt_u32_e32 vcc, 28, v0
	s_waitcnt vmcnt(0)
	ds_write_b64 v76, v[74:75]
	s_waitcnt lgkmcnt(0)
	; wave barrier
	s_waitcnt lgkmcnt(0)
	s_and_saveexec_b64 s[4:5], vcc
	s_cbranch_execz .LBB35_121
; %bb.118:
	v_add_u32_e32 v78, -1, v0
	v_add_u32_e32 v79, 0x120, v1
	v_add_u32_e32 v80, 0, v1
	s_mov_b64 s[6:7], 0
	v_pk_mov_b32 v[74:75], 0, 0
.LBB35_119:                             ; =>This Inner Loop Header: Depth=1
	buffer_load_dword v82, v80, s[0:3], 0 offen
	buffer_load_dword v83, v80, s[0:3], 0 offen offset:4
	ds_read_b64 v[84:85], v79
	v_add_u32_e32 v78, 1, v78
	v_cmp_lt_u32_e32 vcc, 26, v78
	v_add_u32_e32 v79, 8, v79
	v_add_u32_e32 v80, 8, v80
	s_or_b64 s[6:7], vcc, s[6:7]
	s_waitcnt vmcnt(0) lgkmcnt(0)
	v_fmac_f64_e32 v[74:75], v[82:83], v[84:85]
	s_andn2_b64 exec, exec, s[6:7]
	s_cbranch_execnz .LBB35_119
; %bb.120:
	s_or_b64 exec, exec, s[6:7]
	v_mov_b32_e32 v78, 0
	ds_read_b64 v[78:79], v78 offset:224
	s_waitcnt lgkmcnt(0)
	v_mul_f64 v[74:75], v[74:75], v[78:79]
	buffer_store_dword v75, off, s[0:3], 0 offset:228
	buffer_store_dword v74, off, s[0:3], 0 offset:224
.LBB35_121:
	s_or_b64 exec, exec, s[4:5]
	s_waitcnt lgkmcnt(0)
	; wave barrier
	buffer_load_dword v74, off, s[0:3], 0 offset:232
	buffer_load_dword v75, off, s[0:3], 0 offset:236
	v_cmp_gt_u32_e32 vcc, 29, v0
	s_waitcnt vmcnt(0)
	ds_write_b64 v76, v[74:75]
	s_waitcnt lgkmcnt(0)
	; wave barrier
	s_waitcnt lgkmcnt(0)
	s_and_saveexec_b64 s[4:5], vcc
	s_cbranch_execz .LBB35_125
; %bb.122:
	v_add_u32_e32 v78, -1, v0
	v_add_u32_e32 v79, 0x120, v1
	v_add_u32_e32 v80, 0, v1
	s_mov_b64 s[6:7], 0
	v_pk_mov_b32 v[74:75], 0, 0
.LBB35_123:                             ; =>This Inner Loop Header: Depth=1
	buffer_load_dword v82, v80, s[0:3], 0 offen
	buffer_load_dword v83, v80, s[0:3], 0 offen offset:4
	ds_read_b64 v[84:85], v79
	v_add_u32_e32 v78, 1, v78
	v_cmp_lt_u32_e32 vcc, 27, v78
	v_add_u32_e32 v79, 8, v79
	v_add_u32_e32 v80, 8, v80
	s_or_b64 s[6:7], vcc, s[6:7]
	s_waitcnt vmcnt(0) lgkmcnt(0)
	v_fmac_f64_e32 v[74:75], v[82:83], v[84:85]
	s_andn2_b64 exec, exec, s[6:7]
	s_cbranch_execnz .LBB35_123
; %bb.124:
	s_or_b64 exec, exec, s[6:7]
	v_mov_b32_e32 v78, 0
	ds_read_b64 v[78:79], v78 offset:232
	s_waitcnt lgkmcnt(0)
	v_mul_f64 v[74:75], v[74:75], v[78:79]
	buffer_store_dword v75, off, s[0:3], 0 offset:236
	buffer_store_dword v74, off, s[0:3], 0 offset:232
.LBB35_125:
	s_or_b64 exec, exec, s[4:5]
	s_waitcnt lgkmcnt(0)
	; wave barrier
	buffer_load_dword v74, off, s[0:3], 0 offset:240
	buffer_load_dword v75, off, s[0:3], 0 offset:244
	v_cmp_gt_u32_e32 vcc, 30, v0
	s_waitcnt vmcnt(0)
	ds_write_b64 v76, v[74:75]
	s_waitcnt lgkmcnt(0)
	; wave barrier
	s_waitcnt lgkmcnt(0)
	s_and_saveexec_b64 s[4:5], vcc
	s_cbranch_execz .LBB35_129
; %bb.126:
	v_add_u32_e32 v78, -1, v0
	v_add_u32_e32 v79, 0x120, v1
	v_add_u32_e32 v80, 0, v1
	s_mov_b64 s[6:7], 0
	v_pk_mov_b32 v[74:75], 0, 0
.LBB35_127:                             ; =>This Inner Loop Header: Depth=1
	buffer_load_dword v82, v80, s[0:3], 0 offen
	buffer_load_dword v83, v80, s[0:3], 0 offen offset:4
	ds_read_b64 v[84:85], v79
	v_add_u32_e32 v78, 1, v78
	v_cmp_lt_u32_e32 vcc, 28, v78
	v_add_u32_e32 v79, 8, v79
	v_add_u32_e32 v80, 8, v80
	s_or_b64 s[6:7], vcc, s[6:7]
	s_waitcnt vmcnt(0) lgkmcnt(0)
	v_fmac_f64_e32 v[74:75], v[82:83], v[84:85]
	s_andn2_b64 exec, exec, s[6:7]
	s_cbranch_execnz .LBB35_127
; %bb.128:
	s_or_b64 exec, exec, s[6:7]
	v_mov_b32_e32 v78, 0
	ds_read_b64 v[78:79], v78 offset:240
	s_waitcnt lgkmcnt(0)
	v_mul_f64 v[74:75], v[74:75], v[78:79]
	buffer_store_dword v75, off, s[0:3], 0 offset:244
	buffer_store_dword v74, off, s[0:3], 0 offset:240
.LBB35_129:
	s_or_b64 exec, exec, s[4:5]
	s_waitcnt lgkmcnt(0)
	; wave barrier
	buffer_load_dword v74, off, s[0:3], 0 offset:248
	buffer_load_dword v75, off, s[0:3], 0 offset:252
	v_cmp_gt_u32_e32 vcc, 31, v0
	s_waitcnt vmcnt(0)
	ds_write_b64 v76, v[74:75]
	s_waitcnt lgkmcnt(0)
	; wave barrier
	s_waitcnt lgkmcnt(0)
	s_and_saveexec_b64 s[4:5], vcc
	s_cbranch_execz .LBB35_133
; %bb.130:
	v_add_u32_e32 v78, -1, v0
	v_add_u32_e32 v79, 0x120, v1
	v_add_u32_e32 v80, 0, v1
	s_mov_b64 s[6:7], 0
	v_pk_mov_b32 v[74:75], 0, 0
.LBB35_131:                             ; =>This Inner Loop Header: Depth=1
	buffer_load_dword v82, v80, s[0:3], 0 offen
	buffer_load_dword v83, v80, s[0:3], 0 offen offset:4
	ds_read_b64 v[84:85], v79
	v_add_u32_e32 v78, 1, v78
	v_cmp_lt_u32_e32 vcc, 29, v78
	v_add_u32_e32 v79, 8, v79
	v_add_u32_e32 v80, 8, v80
	s_or_b64 s[6:7], vcc, s[6:7]
	s_waitcnt vmcnt(0) lgkmcnt(0)
	v_fmac_f64_e32 v[74:75], v[82:83], v[84:85]
	s_andn2_b64 exec, exec, s[6:7]
	s_cbranch_execnz .LBB35_131
; %bb.132:
	s_or_b64 exec, exec, s[6:7]
	v_mov_b32_e32 v78, 0
	ds_read_b64 v[78:79], v78 offset:248
	s_waitcnt lgkmcnt(0)
	v_mul_f64 v[74:75], v[74:75], v[78:79]
	buffer_store_dword v75, off, s[0:3], 0 offset:252
	buffer_store_dword v74, off, s[0:3], 0 offset:248
.LBB35_133:
	s_or_b64 exec, exec, s[4:5]
	s_waitcnt lgkmcnt(0)
	; wave barrier
	buffer_load_dword v74, off, s[0:3], 0 offset:256
	buffer_load_dword v75, off, s[0:3], 0 offset:260
	v_cmp_gt_u32_e32 vcc, 32, v0
	s_waitcnt vmcnt(0)
	ds_write_b64 v76, v[74:75]
	s_waitcnt lgkmcnt(0)
	; wave barrier
	s_waitcnt lgkmcnt(0)
	s_and_saveexec_b64 s[4:5], vcc
	s_cbranch_execz .LBB35_137
; %bb.134:
	v_add_u32_e32 v78, -1, v0
	v_add_u32_e32 v79, 0x120, v1
	v_add_u32_e32 v80, 0, v1
	s_mov_b64 s[6:7], 0
	v_pk_mov_b32 v[74:75], 0, 0
.LBB35_135:                             ; =>This Inner Loop Header: Depth=1
	buffer_load_dword v82, v80, s[0:3], 0 offen
	buffer_load_dword v83, v80, s[0:3], 0 offen offset:4
	ds_read_b64 v[84:85], v79
	v_add_u32_e32 v78, 1, v78
	v_cmp_lt_u32_e32 vcc, 30, v78
	v_add_u32_e32 v79, 8, v79
	v_add_u32_e32 v80, 8, v80
	s_or_b64 s[6:7], vcc, s[6:7]
	s_waitcnt vmcnt(0) lgkmcnt(0)
	v_fmac_f64_e32 v[74:75], v[82:83], v[84:85]
	s_andn2_b64 exec, exec, s[6:7]
	s_cbranch_execnz .LBB35_135
; %bb.136:
	s_or_b64 exec, exec, s[6:7]
	v_mov_b32_e32 v78, 0
	ds_read_b64 v[78:79], v78 offset:256
	s_waitcnt lgkmcnt(0)
	v_mul_f64 v[74:75], v[74:75], v[78:79]
	buffer_store_dword v75, off, s[0:3], 0 offset:260
	buffer_store_dword v74, off, s[0:3], 0 offset:256
.LBB35_137:
	s_or_b64 exec, exec, s[4:5]
	s_waitcnt lgkmcnt(0)
	; wave barrier
	buffer_load_dword v74, off, s[0:3], 0 offset:264
	buffer_load_dword v75, off, s[0:3], 0 offset:268
	v_cmp_gt_u32_e32 vcc, 33, v0
	s_waitcnt vmcnt(0)
	ds_write_b64 v76, v[74:75]
	s_waitcnt lgkmcnt(0)
	; wave barrier
	s_waitcnt lgkmcnt(0)
	s_and_saveexec_b64 s[4:5], vcc
	s_cbranch_execz .LBB35_141
; %bb.138:
	v_add_u32_e32 v78, -1, v0
	v_add_u32_e32 v79, 0x120, v1
	v_add_u32_e32 v80, 0, v1
	s_mov_b64 s[6:7], 0
	v_pk_mov_b32 v[74:75], 0, 0
.LBB35_139:                             ; =>This Inner Loop Header: Depth=1
	buffer_load_dword v82, v80, s[0:3], 0 offen
	buffer_load_dword v83, v80, s[0:3], 0 offen offset:4
	ds_read_b64 v[84:85], v79
	v_add_u32_e32 v78, 1, v78
	v_cmp_lt_u32_e32 vcc, 31, v78
	v_add_u32_e32 v79, 8, v79
	v_add_u32_e32 v80, 8, v80
	s_or_b64 s[6:7], vcc, s[6:7]
	s_waitcnt vmcnt(0) lgkmcnt(0)
	v_fmac_f64_e32 v[74:75], v[82:83], v[84:85]
	s_andn2_b64 exec, exec, s[6:7]
	s_cbranch_execnz .LBB35_139
; %bb.140:
	s_or_b64 exec, exec, s[6:7]
	v_mov_b32_e32 v78, 0
	ds_read_b64 v[78:79], v78 offset:264
	s_waitcnt lgkmcnt(0)
	v_mul_f64 v[74:75], v[74:75], v[78:79]
	buffer_store_dword v75, off, s[0:3], 0 offset:268
	buffer_store_dword v74, off, s[0:3], 0 offset:264
.LBB35_141:
	s_or_b64 exec, exec, s[4:5]
	s_waitcnt lgkmcnt(0)
	; wave barrier
	buffer_load_dword v74, off, s[0:3], 0 offset:272
	buffer_load_dword v75, off, s[0:3], 0 offset:276
	v_cmp_gt_u32_e32 vcc, 34, v0
	s_waitcnt vmcnt(0)
	ds_write_b64 v76, v[74:75]
	s_waitcnt lgkmcnt(0)
	; wave barrier
	s_waitcnt lgkmcnt(0)
	s_and_saveexec_b64 s[4:5], vcc
	s_cbranch_execz .LBB35_145
; %bb.142:
	v_add_u32_e32 v78, -1, v0
	v_add_u32_e32 v79, 0x120, v1
	v_add_u32_e32 v80, 0, v1
	s_mov_b64 s[6:7], 0
	v_pk_mov_b32 v[74:75], 0, 0
.LBB35_143:                             ; =>This Inner Loop Header: Depth=1
	buffer_load_dword v82, v80, s[0:3], 0 offen
	buffer_load_dword v83, v80, s[0:3], 0 offen offset:4
	ds_read_b64 v[84:85], v79
	v_add_u32_e32 v78, 1, v78
	v_cmp_lt_u32_e32 vcc, 32, v78
	v_add_u32_e32 v79, 8, v79
	v_add_u32_e32 v80, 8, v80
	s_or_b64 s[6:7], vcc, s[6:7]
	s_waitcnt vmcnt(0) lgkmcnt(0)
	v_fmac_f64_e32 v[74:75], v[82:83], v[84:85]
	s_andn2_b64 exec, exec, s[6:7]
	s_cbranch_execnz .LBB35_143
; %bb.144:
	s_or_b64 exec, exec, s[6:7]
	v_mov_b32_e32 v78, 0
	ds_read_b64 v[78:79], v78 offset:272
	s_waitcnt lgkmcnt(0)
	v_mul_f64 v[74:75], v[74:75], v[78:79]
	buffer_store_dword v75, off, s[0:3], 0 offset:276
	buffer_store_dword v74, off, s[0:3], 0 offset:272
.LBB35_145:
	s_or_b64 exec, exec, s[4:5]
	s_waitcnt lgkmcnt(0)
	; wave barrier
	buffer_load_dword v74, off, s[0:3], 0 offset:280
	buffer_load_dword v75, off, s[0:3], 0 offset:284
	v_cmp_ne_u32_e32 vcc, 35, v0
	s_waitcnt vmcnt(0)
	ds_write_b64 v76, v[74:75]
	s_waitcnt lgkmcnt(0)
	; wave barrier
	s_waitcnt lgkmcnt(0)
	s_and_saveexec_b64 s[4:5], vcc
	s_cbranch_execz .LBB35_149
; %bb.146:
	v_add_u32_e32 v76, 0x120, v1
	v_add_u32_e32 v1, 0, v1
	s_mov_b64 s[6:7], 0
	v_pk_mov_b32 v[74:75], 0, 0
.LBB35_147:                             ; =>This Inner Loop Header: Depth=1
	buffer_load_dword v78, v1, s[0:3], 0 offen
	buffer_load_dword v79, v1, s[0:3], 0 offen offset:4
	ds_read_b64 v[80:81], v76
	v_add_u32_e32 v77, 1, v77
	v_cmp_lt_u32_e32 vcc, 33, v77
	v_add_u32_e32 v76, 8, v76
	v_add_u32_e32 v1, 8, v1
	s_or_b64 s[6:7], vcc, s[6:7]
	s_waitcnt vmcnt(0) lgkmcnt(0)
	v_fmac_f64_e32 v[74:75], v[78:79], v[80:81]
	s_andn2_b64 exec, exec, s[6:7]
	s_cbranch_execnz .LBB35_147
; %bb.148:
	s_or_b64 exec, exec, s[6:7]
	v_mov_b32_e32 v1, 0
	ds_read_b64 v[76:77], v1 offset:280
	s_waitcnt lgkmcnt(0)
	v_mul_f64 v[74:75], v[74:75], v[76:77]
	buffer_store_dword v75, off, s[0:3], 0 offset:284
	buffer_store_dword v74, off, s[0:3], 0 offset:280
.LBB35_149:
	s_or_b64 exec, exec, s[4:5]
	s_mov_b64 s[6:7], -1
	s_waitcnt lgkmcnt(0)
	; wave barrier
.LBB35_150:
	s_and_b64 vcc, exec, s[6:7]
	s_cbranch_vccz .LBB35_152
; %bb.151:
	s_lshl_b64 s[4:5], s[8:9], 2
	s_add_u32 s4, s14, s4
	s_addc_u32 s5, s15, s5
	v_mov_b32_e32 v1, 0
	global_load_dword v1, v1, s[4:5]
	s_waitcnt vmcnt(0)
	v_cmp_ne_u32_e32 vcc, 0, v1
	s_cbranch_vccz .LBB35_153
.LBB35_152:
	s_endpgm
.LBB35_153:
	v_mov_b32_e32 v1, 0x120
	v_lshl_add_u32 v1, v0, 3, v1
	v_cmp_eq_u32_e32 vcc, 35, v0
	s_and_saveexec_b64 s[4:5], vcc
	s_cbranch_execz .LBB35_155
; %bb.154:
	buffer_load_dword v74, off, s[0:3], 0 offset:272
	buffer_load_dword v75, off, s[0:3], 0 offset:276
	v_mov_b32_e32 v76, 0
	buffer_store_dword v76, off, s[0:3], 0 offset:272
	buffer_store_dword v76, off, s[0:3], 0 offset:276
	s_waitcnt vmcnt(2)
	ds_write_b64 v1, v[74:75]
.LBB35_155:
	s_or_b64 exec, exec, s[4:5]
	s_waitcnt lgkmcnt(0)
	; wave barrier
	s_waitcnt lgkmcnt(0)
	buffer_load_dword v76, off, s[0:3], 0 offset:280
	buffer_load_dword v77, off, s[0:3], 0 offset:284
	;; [unrolled: 1-line block ×4, first 2 shown]
	v_mov_b32_e32 v74, 0
	ds_read_b64 v[80:81], v74 offset:568
	v_cmp_lt_u32_e32 vcc, 33, v0
	s_waitcnt vmcnt(2) lgkmcnt(0)
	v_fma_f64 v[76:77], v[76:77], v[80:81], 0
	s_waitcnt vmcnt(0)
	v_add_f64 v[76:77], v[78:79], -v[76:77]
	buffer_store_dword v76, off, s[0:3], 0 offset:272
	buffer_store_dword v77, off, s[0:3], 0 offset:276
	s_and_saveexec_b64 s[4:5], vcc
	s_cbranch_execz .LBB35_157
; %bb.156:
	buffer_load_dword v76, off, s[0:3], 0 offset:264
	buffer_load_dword v77, off, s[0:3], 0 offset:268
	s_waitcnt vmcnt(0)
	ds_write_b64 v1, v[76:77]
	buffer_store_dword v74, off, s[0:3], 0 offset:264
	buffer_store_dword v74, off, s[0:3], 0 offset:268
.LBB35_157:
	s_or_b64 exec, exec, s[4:5]
	s_waitcnt lgkmcnt(0)
	; wave barrier
	s_waitcnt lgkmcnt(0)
	buffer_load_dword v78, off, s[0:3], 0 offset:272
	buffer_load_dword v79, off, s[0:3], 0 offset:276
	;; [unrolled: 1-line block ×6, first 2 shown]
	ds_read_b128 v[74:77], v74 offset:560
	v_cmp_lt_u32_e32 vcc, 32, v0
	s_waitcnt vmcnt(4) lgkmcnt(0)
	v_fma_f64 v[74:75], v[78:79], v[74:75], 0
	s_waitcnt vmcnt(2)
	v_fmac_f64_e32 v[74:75], v[80:81], v[76:77]
	s_waitcnt vmcnt(0)
	v_add_f64 v[74:75], v[82:83], -v[74:75]
	buffer_store_dword v74, off, s[0:3], 0 offset:264
	buffer_store_dword v75, off, s[0:3], 0 offset:268
	s_and_saveexec_b64 s[4:5], vcc
	s_cbranch_execz .LBB35_159
; %bb.158:
	buffer_load_dword v74, off, s[0:3], 0 offset:256
	buffer_load_dword v75, off, s[0:3], 0 offset:260
	v_mov_b32_e32 v76, 0
	buffer_store_dword v76, off, s[0:3], 0 offset:256
	buffer_store_dword v76, off, s[0:3], 0 offset:260
	s_waitcnt vmcnt(2)
	ds_write_b64 v1, v[74:75]
.LBB35_159:
	s_or_b64 exec, exec, s[4:5]
	s_waitcnt lgkmcnt(0)
	; wave barrier
	s_waitcnt lgkmcnt(0)
	buffer_load_dword v80, off, s[0:3], 0 offset:264
	buffer_load_dword v81, off, s[0:3], 0 offset:268
	;; [unrolled: 1-line block ×8, first 2 shown]
	v_mov_b32_e32 v74, 0
	ds_read2_b64 v[76:79], v74 offset0:69 offset1:70
	ds_read_b64 v[88:89], v74 offset:568
	v_cmp_lt_u32_e32 vcc, 31, v0
	s_waitcnt vmcnt(6) lgkmcnt(1)
	v_fma_f64 v[76:77], v[80:81], v[76:77], 0
	s_waitcnt vmcnt(4)
	v_fmac_f64_e32 v[76:77], v[82:83], v[78:79]
	s_waitcnt vmcnt(2) lgkmcnt(0)
	v_fmac_f64_e32 v[76:77], v[84:85], v[88:89]
	s_waitcnt vmcnt(0)
	v_add_f64 v[76:77], v[86:87], -v[76:77]
	buffer_store_dword v76, off, s[0:3], 0 offset:256
	buffer_store_dword v77, off, s[0:3], 0 offset:260
	s_and_saveexec_b64 s[4:5], vcc
	s_cbranch_execz .LBB35_161
; %bb.160:
	buffer_load_dword v76, off, s[0:3], 0 offset:248
	buffer_load_dword v77, off, s[0:3], 0 offset:252
	s_waitcnt vmcnt(0)
	ds_write_b64 v1, v[76:77]
	buffer_store_dword v74, off, s[0:3], 0 offset:248
	buffer_store_dword v74, off, s[0:3], 0 offset:252
.LBB35_161:
	s_or_b64 exec, exec, s[4:5]
	s_waitcnt lgkmcnt(0)
	; wave barrier
	s_waitcnt lgkmcnt(0)
	buffer_load_dword v84, off, s[0:3], 0 offset:256
	buffer_load_dword v85, off, s[0:3], 0 offset:260
	;; [unrolled: 1-line block ×10, first 2 shown]
	ds_read_b128 v[76:79], v74 offset:544
	ds_read_b128 v[80:83], v74 offset:560
	v_cmp_lt_u32_e32 vcc, 30, v0
	s_waitcnt vmcnt(8) lgkmcnt(1)
	v_fma_f64 v[74:75], v[84:85], v[76:77], 0
	s_waitcnt vmcnt(6)
	v_fmac_f64_e32 v[74:75], v[86:87], v[78:79]
	s_waitcnt vmcnt(4) lgkmcnt(0)
	v_fmac_f64_e32 v[74:75], v[88:89], v[80:81]
	s_waitcnt vmcnt(2)
	v_fmac_f64_e32 v[74:75], v[90:91], v[82:83]
	s_waitcnt vmcnt(0)
	v_add_f64 v[74:75], v[92:93], -v[74:75]
	buffer_store_dword v74, off, s[0:3], 0 offset:248
	buffer_store_dword v75, off, s[0:3], 0 offset:252
	s_and_saveexec_b64 s[4:5], vcc
	s_cbranch_execz .LBB35_163
; %bb.162:
	buffer_load_dword v74, off, s[0:3], 0 offset:240
	buffer_load_dword v75, off, s[0:3], 0 offset:244
	v_mov_b32_e32 v76, 0
	buffer_store_dword v76, off, s[0:3], 0 offset:240
	buffer_store_dword v76, off, s[0:3], 0 offset:244
	s_waitcnt vmcnt(2)
	ds_write_b64 v1, v[74:75]
.LBB35_163:
	s_or_b64 exec, exec, s[4:5]
	s_waitcnt lgkmcnt(0)
	; wave barrier
	s_waitcnt lgkmcnt(0)
	buffer_load_dword v84, off, s[0:3], 0 offset:248
	buffer_load_dword v85, off, s[0:3], 0 offset:252
	;; [unrolled: 1-line block ×12, first 2 shown]
	v_mov_b32_e32 v74, 0
	ds_read2_b64 v[76:79], v74 offset0:67 offset1:68
	ds_read2_b64 v[80:83], v74 offset0:69 offset1:70
	ds_read_b64 v[96:97], v74 offset:568
	v_cmp_lt_u32_e32 vcc, 29, v0
	s_waitcnt vmcnt(10) lgkmcnt(2)
	v_fma_f64 v[76:77], v[84:85], v[76:77], 0
	s_waitcnt vmcnt(8)
	v_fmac_f64_e32 v[76:77], v[86:87], v[78:79]
	s_waitcnt vmcnt(6) lgkmcnt(1)
	v_fmac_f64_e32 v[76:77], v[88:89], v[80:81]
	s_waitcnt vmcnt(4)
	v_fmac_f64_e32 v[76:77], v[90:91], v[82:83]
	s_waitcnt vmcnt(2) lgkmcnt(0)
	v_fmac_f64_e32 v[76:77], v[92:93], v[96:97]
	s_waitcnt vmcnt(0)
	v_add_f64 v[76:77], v[94:95], -v[76:77]
	buffer_store_dword v76, off, s[0:3], 0 offset:240
	buffer_store_dword v77, off, s[0:3], 0 offset:244
	s_and_saveexec_b64 s[4:5], vcc
	s_cbranch_execz .LBB35_165
; %bb.164:
	buffer_load_dword v76, off, s[0:3], 0 offset:232
	buffer_load_dword v77, off, s[0:3], 0 offset:236
	s_waitcnt vmcnt(0)
	ds_write_b64 v1, v[76:77]
	buffer_store_dword v74, off, s[0:3], 0 offset:232
	buffer_store_dword v74, off, s[0:3], 0 offset:236
.LBB35_165:
	s_or_b64 exec, exec, s[4:5]
	s_waitcnt lgkmcnt(0)
	; wave barrier
	s_waitcnt lgkmcnt(0)
	buffer_load_dword v88, off, s[0:3], 0 offset:240
	buffer_load_dword v89, off, s[0:3], 0 offset:244
	;; [unrolled: 1-line block ×14, first 2 shown]
	ds_read_b128 v[76:79], v74 offset:528
	ds_read_b128 v[80:83], v74 offset:544
	;; [unrolled: 1-line block ×3, first 2 shown]
	v_cmp_lt_u32_e32 vcc, 28, v0
	s_waitcnt vmcnt(12) lgkmcnt(2)
	v_fma_f64 v[74:75], v[88:89], v[76:77], 0
	s_waitcnt vmcnt(10)
	v_fmac_f64_e32 v[74:75], v[90:91], v[78:79]
	s_waitcnt vmcnt(8) lgkmcnt(1)
	v_fmac_f64_e32 v[74:75], v[92:93], v[80:81]
	s_waitcnt vmcnt(6)
	v_fmac_f64_e32 v[74:75], v[94:95], v[82:83]
	s_waitcnt vmcnt(4) lgkmcnt(0)
	v_fmac_f64_e32 v[74:75], v[96:97], v[84:85]
	s_waitcnt vmcnt(2)
	v_fmac_f64_e32 v[74:75], v[98:99], v[86:87]
	s_waitcnt vmcnt(0)
	v_add_f64 v[74:75], v[100:101], -v[74:75]
	buffer_store_dword v74, off, s[0:3], 0 offset:232
	buffer_store_dword v75, off, s[0:3], 0 offset:236
	s_and_saveexec_b64 s[4:5], vcc
	s_cbranch_execz .LBB35_167
; %bb.166:
	buffer_load_dword v74, off, s[0:3], 0 offset:224
	buffer_load_dword v75, off, s[0:3], 0 offset:228
	v_mov_b32_e32 v76, 0
	buffer_store_dword v76, off, s[0:3], 0 offset:224
	buffer_store_dword v76, off, s[0:3], 0 offset:228
	s_waitcnt vmcnt(2)
	ds_write_b64 v1, v[74:75]
.LBB35_167:
	s_or_b64 exec, exec, s[4:5]
	s_waitcnt lgkmcnt(0)
	; wave barrier
	s_waitcnt lgkmcnt(0)
	buffer_load_dword v88, off, s[0:3], 0 offset:232
	buffer_load_dword v89, off, s[0:3], 0 offset:236
	buffer_load_dword v90, off, s[0:3], 0 offset:240
	buffer_load_dword v91, off, s[0:3], 0 offset:244
	buffer_load_dword v92, off, s[0:3], 0 offset:248
	buffer_load_dword v93, off, s[0:3], 0 offset:252
	buffer_load_dword v94, off, s[0:3], 0 offset:256
	buffer_load_dword v95, off, s[0:3], 0 offset:260
	buffer_load_dword v96, off, s[0:3], 0 offset:264
	buffer_load_dword v97, off, s[0:3], 0 offset:268
	buffer_load_dword v98, off, s[0:3], 0 offset:272
	buffer_load_dword v99, off, s[0:3], 0 offset:276
	buffer_load_dword v100, off, s[0:3], 0 offset:280
	buffer_load_dword v101, off, s[0:3], 0 offset:284
	buffer_load_dword v102, off, s[0:3], 0 offset:224
	buffer_load_dword v103, off, s[0:3], 0 offset:228
	v_mov_b32_e32 v74, 0
	ds_read2_b64 v[76:79], v74 offset0:65 offset1:66
	ds_read2_b64 v[80:83], v74 offset0:67 offset1:68
	;; [unrolled: 1-line block ×3, first 2 shown]
	ds_read_b64 v[104:105], v74 offset:568
	v_cmp_lt_u32_e32 vcc, 27, v0
	s_waitcnt vmcnt(14) lgkmcnt(3)
	v_fma_f64 v[76:77], v[88:89], v[76:77], 0
	s_waitcnt vmcnt(12)
	v_fmac_f64_e32 v[76:77], v[90:91], v[78:79]
	s_waitcnt vmcnt(10) lgkmcnt(2)
	v_fmac_f64_e32 v[76:77], v[92:93], v[80:81]
	s_waitcnt vmcnt(8)
	v_fmac_f64_e32 v[76:77], v[94:95], v[82:83]
	s_waitcnt vmcnt(6) lgkmcnt(1)
	v_fmac_f64_e32 v[76:77], v[96:97], v[84:85]
	;; [unrolled: 4-line block ×3, first 2 shown]
	s_waitcnt vmcnt(0)
	v_add_f64 v[76:77], v[102:103], -v[76:77]
	buffer_store_dword v76, off, s[0:3], 0 offset:224
	buffer_store_dword v77, off, s[0:3], 0 offset:228
	s_and_saveexec_b64 s[4:5], vcc
	s_cbranch_execz .LBB35_169
; %bb.168:
	buffer_load_dword v76, off, s[0:3], 0 offset:216
	buffer_load_dword v77, off, s[0:3], 0 offset:220
	s_waitcnt vmcnt(0)
	ds_write_b64 v1, v[76:77]
	buffer_store_dword v74, off, s[0:3], 0 offset:216
	buffer_store_dword v74, off, s[0:3], 0 offset:220
.LBB35_169:
	s_or_b64 exec, exec, s[4:5]
	s_waitcnt lgkmcnt(0)
	; wave barrier
	s_waitcnt lgkmcnt(0)
	buffer_load_dword v92, off, s[0:3], 0 offset:224
	buffer_load_dword v93, off, s[0:3], 0 offset:228
	;; [unrolled: 1-line block ×18, first 2 shown]
	ds_read_b128 v[76:79], v74 offset:512
	ds_read_b128 v[80:83], v74 offset:528
	;; [unrolled: 1-line block ×4, first 2 shown]
	v_cmp_lt_u32_e32 vcc, 26, v0
	s_waitcnt vmcnt(16) lgkmcnt(3)
	v_fma_f64 v[74:75], v[92:93], v[76:77], 0
	s_waitcnt vmcnt(14)
	v_fmac_f64_e32 v[74:75], v[94:95], v[78:79]
	s_waitcnt vmcnt(12) lgkmcnt(2)
	v_fmac_f64_e32 v[74:75], v[96:97], v[80:81]
	s_waitcnt vmcnt(10)
	v_fmac_f64_e32 v[74:75], v[98:99], v[82:83]
	s_waitcnt vmcnt(8) lgkmcnt(1)
	v_fmac_f64_e32 v[74:75], v[100:101], v[84:85]
	;; [unrolled: 4-line block ×3, first 2 shown]
	s_waitcnt vmcnt(2)
	v_fmac_f64_e32 v[74:75], v[106:107], v[90:91]
	s_waitcnt vmcnt(0)
	v_add_f64 v[74:75], v[108:109], -v[74:75]
	buffer_store_dword v74, off, s[0:3], 0 offset:216
	buffer_store_dword v75, off, s[0:3], 0 offset:220
	s_and_saveexec_b64 s[4:5], vcc
	s_cbranch_execz .LBB35_171
; %bb.170:
	buffer_load_dword v74, off, s[0:3], 0 offset:208
	buffer_load_dword v75, off, s[0:3], 0 offset:212
	v_mov_b32_e32 v76, 0
	buffer_store_dword v76, off, s[0:3], 0 offset:208
	buffer_store_dword v76, off, s[0:3], 0 offset:212
	s_waitcnt vmcnt(2)
	ds_write_b64 v1, v[74:75]
.LBB35_171:
	s_or_b64 exec, exec, s[4:5]
	s_waitcnt lgkmcnt(0)
	; wave barrier
	s_waitcnt lgkmcnt(0)
	buffer_load_dword v92, off, s[0:3], 0 offset:216
	buffer_load_dword v93, off, s[0:3], 0 offset:220
	;; [unrolled: 1-line block ×20, first 2 shown]
	v_mov_b32_e32 v74, 0
	ds_read2_b64 v[76:79], v74 offset0:63 offset1:64
	ds_read2_b64 v[80:83], v74 offset0:65 offset1:66
	;; [unrolled: 1-line block ×4, first 2 shown]
	ds_read_b64 v[112:113], v74 offset:568
	v_cmp_lt_u32_e32 vcc, 25, v0
	s_waitcnt vmcnt(18) lgkmcnt(4)
	v_fma_f64 v[76:77], v[92:93], v[76:77], 0
	s_waitcnt vmcnt(16)
	v_fmac_f64_e32 v[76:77], v[94:95], v[78:79]
	s_waitcnt vmcnt(14) lgkmcnt(3)
	v_fmac_f64_e32 v[76:77], v[96:97], v[80:81]
	s_waitcnt vmcnt(12)
	v_fmac_f64_e32 v[76:77], v[98:99], v[82:83]
	s_waitcnt vmcnt(10) lgkmcnt(2)
	v_fmac_f64_e32 v[76:77], v[100:101], v[84:85]
	;; [unrolled: 4-line block ×3, first 2 shown]
	s_waitcnt vmcnt(2)
	v_fmac_f64_e32 v[76:77], v[108:109], v[90:91]
	s_waitcnt lgkmcnt(0)
	v_fmac_f64_e32 v[76:77], v[106:107], v[112:113]
	s_waitcnt vmcnt(0)
	v_add_f64 v[76:77], v[110:111], -v[76:77]
	buffer_store_dword v76, off, s[0:3], 0 offset:208
	buffer_store_dword v77, off, s[0:3], 0 offset:212
	s_and_saveexec_b64 s[4:5], vcc
	s_cbranch_execz .LBB35_173
; %bb.172:
	buffer_load_dword v76, off, s[0:3], 0 offset:200
	buffer_load_dword v77, off, s[0:3], 0 offset:204
	s_waitcnt vmcnt(0)
	ds_write_b64 v1, v[76:77]
	buffer_store_dword v74, off, s[0:3], 0 offset:200
	buffer_store_dword v74, off, s[0:3], 0 offset:204
.LBB35_173:
	s_or_b64 exec, exec, s[4:5]
	s_waitcnt lgkmcnt(0)
	; wave barrier
	s_waitcnt lgkmcnt(0)
	buffer_load_dword v96, off, s[0:3], 0 offset:208
	buffer_load_dword v97, off, s[0:3], 0 offset:212
	;; [unrolled: 1-line block ×22, first 2 shown]
	ds_read_b128 v[76:79], v74 offset:496
	ds_read_b128 v[80:83], v74 offset:512
	;; [unrolled: 1-line block ×5, first 2 shown]
	v_cmp_lt_u32_e32 vcc, 24, v0
	s_waitcnt vmcnt(20) lgkmcnt(4)
	v_fma_f64 v[74:75], v[96:97], v[76:77], 0
	s_waitcnt vmcnt(18)
	v_fmac_f64_e32 v[74:75], v[98:99], v[78:79]
	s_waitcnt vmcnt(16) lgkmcnt(3)
	v_fmac_f64_e32 v[74:75], v[100:101], v[80:81]
	s_waitcnt vmcnt(14)
	v_fmac_f64_e32 v[74:75], v[102:103], v[82:83]
	s_waitcnt vmcnt(12) lgkmcnt(2)
	v_fmac_f64_e32 v[74:75], v[104:105], v[84:85]
	;; [unrolled: 4-line block ×3, first 2 shown]
	s_waitcnt vmcnt(3)
	v_fmac_f64_e32 v[74:75], v[114:115], v[90:91]
	s_waitcnt lgkmcnt(0)
	v_fmac_f64_e32 v[74:75], v[112:113], v[92:93]
	s_waitcnt vmcnt(2)
	v_fmac_f64_e32 v[74:75], v[110:111], v[94:95]
	s_waitcnt vmcnt(0)
	v_add_f64 v[74:75], v[116:117], -v[74:75]
	buffer_store_dword v74, off, s[0:3], 0 offset:200
	buffer_store_dword v75, off, s[0:3], 0 offset:204
	s_and_saveexec_b64 s[4:5], vcc
	s_cbranch_execz .LBB35_175
; %bb.174:
	buffer_load_dword v74, off, s[0:3], 0 offset:192
	buffer_load_dword v75, off, s[0:3], 0 offset:196
	v_mov_b32_e32 v76, 0
	buffer_store_dword v76, off, s[0:3], 0 offset:192
	buffer_store_dword v76, off, s[0:3], 0 offset:196
	s_waitcnt vmcnt(2)
	ds_write_b64 v1, v[74:75]
.LBB35_175:
	s_or_b64 exec, exec, s[4:5]
	s_waitcnt lgkmcnt(0)
	; wave barrier
	s_waitcnt lgkmcnt(0)
	buffer_load_dword v96, off, s[0:3], 0 offset:200
	buffer_load_dword v97, off, s[0:3], 0 offset:204
	;; [unrolled: 1-line block ×24, first 2 shown]
	v_mov_b32_e32 v74, 0
	ds_read2_b64 v[76:79], v74 offset0:61 offset1:62
	ds_read2_b64 v[80:83], v74 offset0:63 offset1:64
	;; [unrolled: 1-line block ×5, first 2 shown]
	ds_read_b64 v[120:121], v74 offset:568
	v_cmp_lt_u32_e32 vcc, 23, v0
	s_waitcnt vmcnt(22) lgkmcnt(5)
	v_fma_f64 v[76:77], v[96:97], v[76:77], 0
	s_waitcnt vmcnt(20)
	v_fmac_f64_e32 v[76:77], v[98:99], v[78:79]
	s_waitcnt vmcnt(18) lgkmcnt(4)
	v_fmac_f64_e32 v[76:77], v[100:101], v[80:81]
	s_waitcnt vmcnt(16)
	v_fmac_f64_e32 v[76:77], v[102:103], v[82:83]
	s_waitcnt vmcnt(14) lgkmcnt(3)
	v_fmac_f64_e32 v[76:77], v[104:105], v[84:85]
	;; [unrolled: 4-line block ×3, first 2 shown]
	s_waitcnt vmcnt(4)
	v_fmac_f64_e32 v[76:77], v[116:117], v[90:91]
	s_waitcnt lgkmcnt(1)
	v_fmac_f64_e32 v[76:77], v[114:115], v[92:93]
	s_waitcnt vmcnt(3)
	v_fmac_f64_e32 v[76:77], v[112:113], v[94:95]
	s_waitcnt vmcnt(2) lgkmcnt(0)
	v_fmac_f64_e32 v[76:77], v[110:111], v[120:121]
	s_waitcnt vmcnt(0)
	v_add_f64 v[76:77], v[118:119], -v[76:77]
	buffer_store_dword v77, off, s[0:3], 0 offset:196
	buffer_store_dword v76, off, s[0:3], 0 offset:192
	s_and_saveexec_b64 s[4:5], vcc
	s_cbranch_execz .LBB35_177
; %bb.176:
	buffer_load_dword v76, off, s[0:3], 0 offset:184
	buffer_load_dword v77, off, s[0:3], 0 offset:188
	s_waitcnt vmcnt(0)
	ds_write_b64 v1, v[76:77]
	buffer_store_dword v74, off, s[0:3], 0 offset:184
	buffer_store_dword v74, off, s[0:3], 0 offset:188
.LBB35_177:
	s_or_b64 exec, exec, s[4:5]
	s_waitcnt lgkmcnt(0)
	; wave barrier
	s_waitcnt lgkmcnt(0)
	buffer_load_dword v100, off, s[0:3], 0 offset:192
	buffer_load_dword v101, off, s[0:3], 0 offset:196
	;; [unrolled: 1-line block ×26, first 2 shown]
	ds_read_b128 v[76:79], v74 offset:480
	ds_read_b128 v[80:83], v74 offset:496
	;; [unrolled: 1-line block ×6, first 2 shown]
	v_cmp_lt_u32_e32 vcc, 22, v0
	s_waitcnt vmcnt(24) lgkmcnt(5)
	v_fma_f64 v[74:75], v[100:101], v[76:77], 0
	s_waitcnt vmcnt(22)
	v_fmac_f64_e32 v[74:75], v[102:103], v[78:79]
	s_waitcnt vmcnt(20) lgkmcnt(4)
	v_fmac_f64_e32 v[74:75], v[104:105], v[80:81]
	s_waitcnt vmcnt(18)
	v_fmac_f64_e32 v[74:75], v[106:107], v[82:83]
	s_waitcnt vmcnt(16) lgkmcnt(3)
	v_fmac_f64_e32 v[74:75], v[108:109], v[84:85]
	;; [unrolled: 4-line block ×3, first 2 shown]
	s_waitcnt vmcnt(5)
	v_fmac_f64_e32 v[74:75], v[120:121], v[90:91]
	s_waitcnt lgkmcnt(1)
	v_fmac_f64_e32 v[74:75], v[118:119], v[92:93]
	v_fmac_f64_e32 v[74:75], v[116:117], v[94:95]
	s_waitcnt vmcnt(4) lgkmcnt(0)
	v_fmac_f64_e32 v[74:75], v[114:115], v[96:97]
	s_waitcnt vmcnt(2)
	v_fmac_f64_e32 v[74:75], v[122:123], v[98:99]
	s_waitcnt vmcnt(0)
	v_add_f64 v[74:75], v[124:125], -v[74:75]
	buffer_store_dword v75, off, s[0:3], 0 offset:188
	buffer_store_dword v74, off, s[0:3], 0 offset:184
	s_and_saveexec_b64 s[4:5], vcc
	s_cbranch_execz .LBB35_179
; %bb.178:
	buffer_load_dword v74, off, s[0:3], 0 offset:176
	buffer_load_dword v75, off, s[0:3], 0 offset:180
	v_mov_b32_e32 v76, 0
	buffer_store_dword v76, off, s[0:3], 0 offset:176
	buffer_store_dword v76, off, s[0:3], 0 offset:180
	s_waitcnt vmcnt(2)
	ds_write_b64 v1, v[74:75]
.LBB35_179:
	s_or_b64 exec, exec, s[4:5]
	s_waitcnt lgkmcnt(0)
	; wave barrier
	s_waitcnt lgkmcnt(0)
	buffer_load_dword v80, off, s[0:3], 0 offset:176
	buffer_load_dword v81, off, s[0:3], 0 offset:180
	;; [unrolled: 1-line block ×16, first 2 shown]
	v_mov_b32_e32 v74, 0
	ds_read2_b64 v[76:79], v74 offset0:59 offset1:60
	v_cmp_lt_u32_e32 vcc, 21, v0
	s_waitcnt vmcnt(12) lgkmcnt(0)
	v_fma_f64 v[82:83], v[82:83], v[76:77], 0
	s_waitcnt vmcnt(10)
	v_fmac_f64_e32 v[82:83], v[84:85], v[78:79]
	ds_read2_b64 v[76:79], v74 offset0:61 offset1:62
	s_waitcnt vmcnt(8) lgkmcnt(0)
	v_fmac_f64_e32 v[82:83], v[86:87], v[76:77]
	s_waitcnt vmcnt(6)
	v_fmac_f64_e32 v[82:83], v[88:89], v[78:79]
	ds_read2_b64 v[76:79], v74 offset0:63 offset1:64
	s_waitcnt vmcnt(4) lgkmcnt(0)
	v_fmac_f64_e32 v[82:83], v[90:91], v[76:77]
	s_waitcnt vmcnt(2)
	v_fmac_f64_e32 v[82:83], v[92:93], v[78:79]
	ds_read2_b64 v[76:79], v74 offset0:65 offset1:66
	s_waitcnt vmcnt(0) lgkmcnt(0)
	v_fmac_f64_e32 v[82:83], v[94:95], v[76:77]
	buffer_load_dword v77, off, s[0:3], 0 offset:244
	buffer_load_dword v76, off, s[0:3], 0 offset:240
	;; [unrolled: 1-line block ×4, first 2 shown]
	s_waitcnt vmcnt(2)
	v_fmac_f64_e32 v[82:83], v[76:77], v[78:79]
	ds_read2_b64 v[76:79], v74 offset0:67 offset1:68
	s_waitcnt vmcnt(0) lgkmcnt(0)
	v_fmac_f64_e32 v[82:83], v[84:85], v[76:77]
	buffer_load_dword v77, off, s[0:3], 0 offset:260
	buffer_load_dword v76, off, s[0:3], 0 offset:256
	;; [unrolled: 1-line block ×4, first 2 shown]
	s_waitcnt vmcnt(2)
	v_fmac_f64_e32 v[82:83], v[76:77], v[78:79]
	ds_read2_b64 v[76:79], v74 offset0:69 offset1:70
	s_waitcnt vmcnt(0) lgkmcnt(0)
	v_fmac_f64_e32 v[82:83], v[84:85], v[76:77]
	buffer_load_dword v77, off, s[0:3], 0 offset:276
	buffer_load_dword v76, off, s[0:3], 0 offset:272
	s_waitcnt vmcnt(0)
	v_fmac_f64_e32 v[82:83], v[76:77], v[78:79]
	buffer_load_dword v77, off, s[0:3], 0 offset:284
	buffer_load_dword v76, off, s[0:3], 0 offset:280
	ds_read_b64 v[78:79], v74 offset:568
	s_waitcnt vmcnt(0) lgkmcnt(0)
	v_fmac_f64_e32 v[82:83], v[76:77], v[78:79]
	v_add_f64 v[76:77], v[80:81], -v[82:83]
	buffer_store_dword v77, off, s[0:3], 0 offset:180
	buffer_store_dword v76, off, s[0:3], 0 offset:176
	s_and_saveexec_b64 s[4:5], vcc
	s_cbranch_execz .LBB35_181
; %bb.180:
	buffer_load_dword v76, off, s[0:3], 0 offset:168
	buffer_load_dword v77, off, s[0:3], 0 offset:172
	s_waitcnt vmcnt(0)
	ds_write_b64 v1, v[76:77]
	buffer_store_dword v74, off, s[0:3], 0 offset:168
	buffer_store_dword v74, off, s[0:3], 0 offset:172
.LBB35_181:
	s_or_b64 exec, exec, s[4:5]
	s_waitcnt lgkmcnt(0)
	; wave barrier
	s_waitcnt lgkmcnt(0)
	buffer_load_dword v92, off, s[0:3], 0 offset:168
	buffer_load_dword v93, off, s[0:3], 0 offset:172
	;; [unrolled: 1-line block ×16, first 2 shown]
	ds_read_b128 v[76:79], v74 offset:464
	ds_read_b128 v[80:83], v74 offset:480
	;; [unrolled: 1-line block ×4, first 2 shown]
	v_cmp_lt_u32_e32 vcc, 20, v0
	s_waitcnt vmcnt(12) lgkmcnt(3)
	v_fma_f64 v[94:95], v[94:95], v[76:77], 0
	buffer_load_dword v77, off, s[0:3], 0 offset:236
	buffer_load_dword v76, off, s[0:3], 0 offset:232
	s_waitcnt vmcnt(12)
	v_fmac_f64_e32 v[94:95], v[96:97], v[78:79]
	s_waitcnt vmcnt(10) lgkmcnt(2)
	v_fmac_f64_e32 v[94:95], v[98:99], v[80:81]
	buffer_load_dword v81, off, s[0:3], 0 offset:244
	buffer_load_dword v80, off, s[0:3], 0 offset:240
	s_waitcnt vmcnt(10)
	v_fmac_f64_e32 v[94:95], v[100:101], v[82:83]
	s_waitcnt vmcnt(8) lgkmcnt(1)
	v_fmac_f64_e32 v[94:95], v[102:103], v[84:85]
	s_waitcnt vmcnt(6)
	v_fmac_f64_e32 v[94:95], v[104:105], v[86:87]
	s_waitcnt vmcnt(4) lgkmcnt(0)
	v_fmac_f64_e32 v[94:95], v[106:107], v[88:89]
	s_waitcnt vmcnt(2)
	v_fmac_f64_e32 v[94:95], v[76:77], v[90:91]
	ds_read_b128 v[76:79], v74 offset:528
	s_waitcnt vmcnt(0) lgkmcnt(0)
	v_fmac_f64_e32 v[94:95], v[80:81], v[76:77]
	buffer_load_dword v77, off, s[0:3], 0 offset:252
	buffer_load_dword v76, off, s[0:3], 0 offset:248
	;; [unrolled: 1-line block ×4, first 2 shown]
	s_waitcnt vmcnt(2)
	v_fmac_f64_e32 v[94:95], v[76:77], v[78:79]
	ds_read_b128 v[76:79], v74 offset:544
	s_waitcnt vmcnt(0) lgkmcnt(0)
	v_fmac_f64_e32 v[94:95], v[80:81], v[76:77]
	buffer_load_dword v77, off, s[0:3], 0 offset:268
	buffer_load_dword v76, off, s[0:3], 0 offset:264
	s_waitcnt vmcnt(0)
	v_fmac_f64_e32 v[94:95], v[76:77], v[78:79]
	buffer_load_dword v79, off, s[0:3], 0 offset:276
	buffer_load_dword v78, off, s[0:3], 0 offset:272
	ds_read_b128 v[74:77], v74 offset:560
	s_waitcnt vmcnt(0) lgkmcnt(0)
	v_fmac_f64_e32 v[94:95], v[78:79], v[74:75]
	buffer_load_dword v75, off, s[0:3], 0 offset:284
	buffer_load_dword v74, off, s[0:3], 0 offset:280
	s_waitcnt vmcnt(0)
	v_fmac_f64_e32 v[94:95], v[74:75], v[76:77]
	v_add_f64 v[74:75], v[92:93], -v[94:95]
	buffer_store_dword v75, off, s[0:3], 0 offset:172
	buffer_store_dword v74, off, s[0:3], 0 offset:168
	s_and_saveexec_b64 s[4:5], vcc
	s_cbranch_execz .LBB35_183
; %bb.182:
	buffer_load_dword v74, off, s[0:3], 0 offset:160
	buffer_load_dword v75, off, s[0:3], 0 offset:164
	v_mov_b32_e32 v76, 0
	buffer_store_dword v76, off, s[0:3], 0 offset:160
	buffer_store_dword v76, off, s[0:3], 0 offset:164
	s_waitcnt vmcnt(2)
	ds_write_b64 v1, v[74:75]
.LBB35_183:
	s_or_b64 exec, exec, s[4:5]
	s_waitcnt lgkmcnt(0)
	; wave barrier
	s_waitcnt lgkmcnt(0)
	buffer_load_dword v80, off, s[0:3], 0 offset:160
	buffer_load_dword v81, off, s[0:3], 0 offset:164
	;; [unrolled: 1-line block ×16, first 2 shown]
	v_mov_b32_e32 v74, 0
	ds_read2_b64 v[76:79], v74 offset0:57 offset1:58
	v_cmp_lt_u32_e32 vcc, 19, v0
	s_waitcnt vmcnt(12) lgkmcnt(0)
	v_fma_f64 v[82:83], v[82:83], v[76:77], 0
	s_waitcnt vmcnt(10)
	v_fmac_f64_e32 v[82:83], v[84:85], v[78:79]
	ds_read2_b64 v[76:79], v74 offset0:59 offset1:60
	s_waitcnt vmcnt(8) lgkmcnt(0)
	v_fmac_f64_e32 v[82:83], v[86:87], v[76:77]
	s_waitcnt vmcnt(6)
	v_fmac_f64_e32 v[82:83], v[88:89], v[78:79]
	ds_read2_b64 v[76:79], v74 offset0:61 offset1:62
	s_waitcnt vmcnt(4) lgkmcnt(0)
	v_fmac_f64_e32 v[82:83], v[90:91], v[76:77]
	s_waitcnt vmcnt(2)
	v_fmac_f64_e32 v[82:83], v[92:93], v[78:79]
	ds_read2_b64 v[76:79], v74 offset0:63 offset1:64
	s_waitcnt vmcnt(0) lgkmcnt(0)
	v_fmac_f64_e32 v[82:83], v[94:95], v[76:77]
	buffer_load_dword v77, off, s[0:3], 0 offset:228
	buffer_load_dword v76, off, s[0:3], 0 offset:224
	buffer_load_dword v85, off, s[0:3], 0 offset:236
	buffer_load_dword v84, off, s[0:3], 0 offset:232
	s_waitcnt vmcnt(2)
	v_fmac_f64_e32 v[82:83], v[76:77], v[78:79]
	ds_read2_b64 v[76:79], v74 offset0:65 offset1:66
	s_waitcnt vmcnt(0) lgkmcnt(0)
	v_fmac_f64_e32 v[82:83], v[84:85], v[76:77]
	buffer_load_dword v77, off, s[0:3], 0 offset:244
	buffer_load_dword v76, off, s[0:3], 0 offset:240
	buffer_load_dword v85, off, s[0:3], 0 offset:252
	buffer_load_dword v84, off, s[0:3], 0 offset:248
	s_waitcnt vmcnt(2)
	v_fmac_f64_e32 v[82:83], v[76:77], v[78:79]
	ds_read2_b64 v[76:79], v74 offset0:67 offset1:68
	s_waitcnt vmcnt(0) lgkmcnt(0)
	v_fmac_f64_e32 v[82:83], v[84:85], v[76:77]
	;; [unrolled: 9-line block ×3, first 2 shown]
	buffer_load_dword v77, off, s[0:3], 0 offset:276
	buffer_load_dword v76, off, s[0:3], 0 offset:272
	s_waitcnt vmcnt(0)
	v_fmac_f64_e32 v[82:83], v[76:77], v[78:79]
	buffer_load_dword v77, off, s[0:3], 0 offset:284
	buffer_load_dword v76, off, s[0:3], 0 offset:280
	ds_read_b64 v[78:79], v74 offset:568
	s_waitcnt vmcnt(0) lgkmcnt(0)
	v_fmac_f64_e32 v[82:83], v[76:77], v[78:79]
	v_add_f64 v[76:77], v[80:81], -v[82:83]
	buffer_store_dword v77, off, s[0:3], 0 offset:164
	buffer_store_dword v76, off, s[0:3], 0 offset:160
	s_and_saveexec_b64 s[4:5], vcc
	s_cbranch_execz .LBB35_185
; %bb.184:
	buffer_load_dword v76, off, s[0:3], 0 offset:152
	buffer_load_dword v77, off, s[0:3], 0 offset:156
	s_waitcnt vmcnt(0)
	ds_write_b64 v1, v[76:77]
	buffer_store_dword v74, off, s[0:3], 0 offset:152
	buffer_store_dword v74, off, s[0:3], 0 offset:156
.LBB35_185:
	s_or_b64 exec, exec, s[4:5]
	s_waitcnt lgkmcnt(0)
	; wave barrier
	s_waitcnt lgkmcnt(0)
	buffer_load_dword v92, off, s[0:3], 0 offset:152
	buffer_load_dword v93, off, s[0:3], 0 offset:156
	buffer_load_dword v94, off, s[0:3], 0 offset:160
	buffer_load_dword v95, off, s[0:3], 0 offset:164
	buffer_load_dword v96, off, s[0:3], 0 offset:168
	buffer_load_dword v97, off, s[0:3], 0 offset:172
	buffer_load_dword v98, off, s[0:3], 0 offset:176
	buffer_load_dword v99, off, s[0:3], 0 offset:180
	buffer_load_dword v100, off, s[0:3], 0 offset:184
	buffer_load_dword v101, off, s[0:3], 0 offset:188
	buffer_load_dword v102, off, s[0:3], 0 offset:192
	buffer_load_dword v103, off, s[0:3], 0 offset:196
	buffer_load_dword v104, off, s[0:3], 0 offset:200
	buffer_load_dword v105, off, s[0:3], 0 offset:204
	buffer_load_dword v106, off, s[0:3], 0 offset:208
	buffer_load_dword v107, off, s[0:3], 0 offset:212
	ds_read_b128 v[76:79], v74 offset:448
	ds_read_b128 v[80:83], v74 offset:464
	;; [unrolled: 1-line block ×4, first 2 shown]
	v_cmp_lt_u32_e32 vcc, 18, v0
	s_waitcnt vmcnt(12) lgkmcnt(3)
	v_fma_f64 v[94:95], v[94:95], v[76:77], 0
	buffer_load_dword v77, off, s[0:3], 0 offset:220
	buffer_load_dword v76, off, s[0:3], 0 offset:216
	s_waitcnt vmcnt(12)
	v_fmac_f64_e32 v[94:95], v[96:97], v[78:79]
	s_waitcnt vmcnt(10) lgkmcnt(2)
	v_fmac_f64_e32 v[94:95], v[98:99], v[80:81]
	buffer_load_dword v81, off, s[0:3], 0 offset:228
	buffer_load_dword v80, off, s[0:3], 0 offset:224
	s_waitcnt vmcnt(10)
	v_fmac_f64_e32 v[94:95], v[100:101], v[82:83]
	s_waitcnt vmcnt(8) lgkmcnt(1)
	v_fmac_f64_e32 v[94:95], v[102:103], v[84:85]
	s_waitcnt vmcnt(6)
	v_fmac_f64_e32 v[94:95], v[104:105], v[86:87]
	s_waitcnt vmcnt(4) lgkmcnt(0)
	v_fmac_f64_e32 v[94:95], v[106:107], v[88:89]
	s_waitcnt vmcnt(2)
	v_fmac_f64_e32 v[94:95], v[76:77], v[90:91]
	ds_read_b128 v[76:79], v74 offset:512
	s_waitcnt vmcnt(0) lgkmcnt(0)
	v_fmac_f64_e32 v[94:95], v[80:81], v[76:77]
	buffer_load_dword v77, off, s[0:3], 0 offset:236
	buffer_load_dword v76, off, s[0:3], 0 offset:232
	;; [unrolled: 1-line block ×4, first 2 shown]
	s_waitcnt vmcnt(2)
	v_fmac_f64_e32 v[94:95], v[76:77], v[78:79]
	ds_read_b128 v[76:79], v74 offset:528
	s_waitcnt vmcnt(0) lgkmcnt(0)
	v_fmac_f64_e32 v[94:95], v[80:81], v[76:77]
	buffer_load_dword v77, off, s[0:3], 0 offset:252
	buffer_load_dword v76, off, s[0:3], 0 offset:248
	;; [unrolled: 1-line block ×4, first 2 shown]
	s_waitcnt vmcnt(2)
	v_fmac_f64_e32 v[94:95], v[76:77], v[78:79]
	ds_read_b128 v[76:79], v74 offset:544
	s_waitcnt vmcnt(0) lgkmcnt(0)
	v_fmac_f64_e32 v[94:95], v[80:81], v[76:77]
	buffer_load_dword v77, off, s[0:3], 0 offset:268
	buffer_load_dword v76, off, s[0:3], 0 offset:264
	s_waitcnt vmcnt(0)
	v_fmac_f64_e32 v[94:95], v[76:77], v[78:79]
	buffer_load_dword v79, off, s[0:3], 0 offset:276
	buffer_load_dword v78, off, s[0:3], 0 offset:272
	ds_read_b128 v[74:77], v74 offset:560
	s_waitcnt vmcnt(0) lgkmcnt(0)
	v_fmac_f64_e32 v[94:95], v[78:79], v[74:75]
	buffer_load_dword v75, off, s[0:3], 0 offset:284
	buffer_load_dword v74, off, s[0:3], 0 offset:280
	s_waitcnt vmcnt(0)
	v_fmac_f64_e32 v[94:95], v[74:75], v[76:77]
	v_add_f64 v[74:75], v[92:93], -v[94:95]
	buffer_store_dword v75, off, s[0:3], 0 offset:156
	buffer_store_dword v74, off, s[0:3], 0 offset:152
	s_and_saveexec_b64 s[4:5], vcc
	s_cbranch_execz .LBB35_187
; %bb.186:
	buffer_load_dword v74, off, s[0:3], 0 offset:144
	buffer_load_dword v75, off, s[0:3], 0 offset:148
	v_mov_b32_e32 v76, 0
	buffer_store_dword v76, off, s[0:3], 0 offset:144
	buffer_store_dword v76, off, s[0:3], 0 offset:148
	s_waitcnt vmcnt(2)
	ds_write_b64 v1, v[74:75]
.LBB35_187:
	s_or_b64 exec, exec, s[4:5]
	s_waitcnt lgkmcnt(0)
	; wave barrier
	s_waitcnt lgkmcnt(0)
	buffer_load_dword v74, off, s[0:3], 0 offset:144
	buffer_load_dword v75, off, s[0:3], 0 offset:148
	;; [unrolled: 1-line block ×16, first 2 shown]
	v_mov_b32_e32 v78, 0
	ds_read2_b64 v[80:83], v78 offset0:55 offset1:56
	v_cmp_lt_u32_e32 vcc, 17, v0
	s_waitcnt vmcnt(12) lgkmcnt(0)
	v_fma_f64 v[76:77], v[76:77], v[80:81], 0
	s_waitcnt vmcnt(10)
	v_fmac_f64_e32 v[76:77], v[84:85], v[82:83]
	ds_read2_b64 v[80:83], v78 offset0:57 offset1:58
	s_waitcnt vmcnt(8) lgkmcnt(0)
	v_fmac_f64_e32 v[76:77], v[86:87], v[80:81]
	s_waitcnt vmcnt(6)
	v_fmac_f64_e32 v[76:77], v[88:89], v[82:83]
	ds_read2_b64 v[80:83], v78 offset0:59 offset1:60
	s_waitcnt vmcnt(4) lgkmcnt(0)
	v_fmac_f64_e32 v[76:77], v[90:91], v[80:81]
	;; [unrolled: 5-line block ×3, first 2 shown]
	buffer_load_dword v81, off, s[0:3], 0 offset:212
	buffer_load_dword v80, off, s[0:3], 0 offset:208
	buffer_load_dword v85, off, s[0:3], 0 offset:220
	buffer_load_dword v84, off, s[0:3], 0 offset:216
	s_waitcnt vmcnt(2)
	v_fmac_f64_e32 v[76:77], v[80:81], v[82:83]
	ds_read2_b64 v[80:83], v78 offset0:63 offset1:64
	s_waitcnt vmcnt(0) lgkmcnt(0)
	v_fmac_f64_e32 v[76:77], v[84:85], v[80:81]
	buffer_load_dword v81, off, s[0:3], 0 offset:228
	buffer_load_dword v80, off, s[0:3], 0 offset:224
	buffer_load_dword v85, off, s[0:3], 0 offset:236
	buffer_load_dword v84, off, s[0:3], 0 offset:232
	s_waitcnt vmcnt(2)
	v_fmac_f64_e32 v[76:77], v[80:81], v[82:83]
	ds_read2_b64 v[80:83], v78 offset0:65 offset1:66
	s_waitcnt vmcnt(0) lgkmcnt(0)
	v_fmac_f64_e32 v[76:77], v[84:85], v[80:81]
	;; [unrolled: 9-line block ×4, first 2 shown]
	buffer_load_dword v81, off, s[0:3], 0 offset:276
	buffer_load_dword v80, off, s[0:3], 0 offset:272
	s_waitcnt vmcnt(0)
	v_fmac_f64_e32 v[76:77], v[80:81], v[82:83]
	buffer_load_dword v81, off, s[0:3], 0 offset:284
	buffer_load_dword v80, off, s[0:3], 0 offset:280
	ds_read_b64 v[82:83], v78 offset:568
	s_waitcnt vmcnt(0) lgkmcnt(0)
	v_fmac_f64_e32 v[76:77], v[80:81], v[82:83]
	v_add_f64 v[74:75], v[74:75], -v[76:77]
	buffer_store_dword v75, off, s[0:3], 0 offset:148
	buffer_store_dword v74, off, s[0:3], 0 offset:144
	s_and_saveexec_b64 s[4:5], vcc
	s_cbranch_execz .LBB35_189
; %bb.188:
	buffer_load_dword v74, off, s[0:3], 0 offset:136
	buffer_load_dword v75, off, s[0:3], 0 offset:140
	s_waitcnt vmcnt(0)
	ds_write_b64 v1, v[74:75]
	buffer_store_dword v78, off, s[0:3], 0 offset:136
	buffer_store_dword v78, off, s[0:3], 0 offset:140
.LBB35_189:
	s_or_b64 exec, exec, s[4:5]
	s_waitcnt lgkmcnt(0)
	; wave barrier
	s_waitcnt lgkmcnt(0)
	buffer_load_dword v74, off, s[0:3], 0 offset:136
	buffer_load_dword v75, off, s[0:3], 0 offset:140
	;; [unrolled: 1-line block ×16, first 2 shown]
	ds_read_b128 v[80:83], v78 offset:432
	ds_read_b128 v[84:87], v78 offset:448
	;; [unrolled: 1-line block ×4, first 2 shown]
	v_cmp_lt_u32_e32 vcc, 16, v0
	s_waitcnt vmcnt(12) lgkmcnt(3)
	v_fma_f64 v[76:77], v[76:77], v[80:81], 0
	buffer_load_dword v81, off, s[0:3], 0 offset:204
	buffer_load_dword v80, off, s[0:3], 0 offset:200
	s_waitcnt vmcnt(12)
	v_fmac_f64_e32 v[76:77], v[96:97], v[82:83]
	s_waitcnt vmcnt(10) lgkmcnt(2)
	v_fmac_f64_e32 v[76:77], v[98:99], v[84:85]
	buffer_load_dword v85, off, s[0:3], 0 offset:212
	buffer_load_dword v84, off, s[0:3], 0 offset:208
	s_waitcnt vmcnt(10)
	v_fmac_f64_e32 v[76:77], v[100:101], v[86:87]
	s_waitcnt vmcnt(8) lgkmcnt(1)
	v_fmac_f64_e32 v[76:77], v[102:103], v[88:89]
	s_waitcnt vmcnt(6)
	v_fmac_f64_e32 v[76:77], v[104:105], v[90:91]
	s_waitcnt vmcnt(4) lgkmcnt(0)
	v_fmac_f64_e32 v[76:77], v[106:107], v[92:93]
	s_waitcnt vmcnt(2)
	v_fmac_f64_e32 v[76:77], v[80:81], v[94:95]
	ds_read_b128 v[80:83], v78 offset:496
	s_waitcnt vmcnt(0) lgkmcnt(0)
	v_fmac_f64_e32 v[76:77], v[84:85], v[80:81]
	buffer_load_dword v81, off, s[0:3], 0 offset:220
	buffer_load_dword v80, off, s[0:3], 0 offset:216
	buffer_load_dword v85, off, s[0:3], 0 offset:228
	buffer_load_dword v84, off, s[0:3], 0 offset:224
	s_waitcnt vmcnt(2)
	v_fmac_f64_e32 v[76:77], v[80:81], v[82:83]
	ds_read_b128 v[80:83], v78 offset:512
	s_waitcnt vmcnt(0) lgkmcnt(0)
	v_fmac_f64_e32 v[76:77], v[84:85], v[80:81]
	buffer_load_dword v81, off, s[0:3], 0 offset:236
	buffer_load_dword v80, off, s[0:3], 0 offset:232
	buffer_load_dword v85, off, s[0:3], 0 offset:244
	buffer_load_dword v84, off, s[0:3], 0 offset:240
	;; [unrolled: 9-line block ×3, first 2 shown]
	s_waitcnt vmcnt(2)
	v_fmac_f64_e32 v[76:77], v[80:81], v[82:83]
	ds_read_b128 v[80:83], v78 offset:544
	s_waitcnt vmcnt(0) lgkmcnt(0)
	v_fmac_f64_e32 v[76:77], v[84:85], v[80:81]
	buffer_load_dword v81, off, s[0:3], 0 offset:268
	buffer_load_dword v80, off, s[0:3], 0 offset:264
	s_waitcnt vmcnt(0)
	v_fmac_f64_e32 v[76:77], v[80:81], v[82:83]
	buffer_load_dword v83, off, s[0:3], 0 offset:276
	buffer_load_dword v82, off, s[0:3], 0 offset:272
	ds_read_b128 v[78:81], v78 offset:560
	s_waitcnt vmcnt(0) lgkmcnt(0)
	v_fmac_f64_e32 v[76:77], v[82:83], v[78:79]
	buffer_load_dword v79, off, s[0:3], 0 offset:284
	buffer_load_dword v78, off, s[0:3], 0 offset:280
	s_waitcnt vmcnt(0)
	v_fmac_f64_e32 v[76:77], v[78:79], v[80:81]
	v_add_f64 v[74:75], v[74:75], -v[76:77]
	buffer_store_dword v75, off, s[0:3], 0 offset:140
	buffer_store_dword v74, off, s[0:3], 0 offset:136
	s_and_saveexec_b64 s[4:5], vcc
	s_cbranch_execz .LBB35_191
; %bb.190:
	buffer_load_dword v74, off, s[0:3], 0 offset:128
	buffer_load_dword v75, off, s[0:3], 0 offset:132
	v_mov_b32_e32 v76, 0
	buffer_store_dword v76, off, s[0:3], 0 offset:128
	buffer_store_dword v76, off, s[0:3], 0 offset:132
	s_waitcnt vmcnt(2)
	ds_write_b64 v1, v[74:75]
.LBB35_191:
	s_or_b64 exec, exec, s[4:5]
	s_waitcnt lgkmcnt(0)
	; wave barrier
	s_waitcnt lgkmcnt(0)
	buffer_load_dword v74, off, s[0:3], 0 offset:128
	buffer_load_dword v75, off, s[0:3], 0 offset:132
	;; [unrolled: 1-line block ×16, first 2 shown]
	v_mov_b32_e32 v78, 0
	ds_read2_b64 v[80:83], v78 offset0:53 offset1:54
	v_cmp_lt_u32_e32 vcc, 15, v0
	s_waitcnt vmcnt(12) lgkmcnt(0)
	v_fma_f64 v[76:77], v[76:77], v[80:81], 0
	s_waitcnt vmcnt(10)
	v_fmac_f64_e32 v[76:77], v[84:85], v[82:83]
	ds_read2_b64 v[80:83], v78 offset0:55 offset1:56
	s_waitcnt vmcnt(8) lgkmcnt(0)
	v_fmac_f64_e32 v[76:77], v[86:87], v[80:81]
	s_waitcnt vmcnt(6)
	v_fmac_f64_e32 v[76:77], v[88:89], v[82:83]
	ds_read2_b64 v[80:83], v78 offset0:57 offset1:58
	s_waitcnt vmcnt(4) lgkmcnt(0)
	v_fmac_f64_e32 v[76:77], v[90:91], v[80:81]
	;; [unrolled: 5-line block ×3, first 2 shown]
	buffer_load_dword v81, off, s[0:3], 0 offset:196
	buffer_load_dword v80, off, s[0:3], 0 offset:192
	buffer_load_dword v85, off, s[0:3], 0 offset:204
	buffer_load_dword v84, off, s[0:3], 0 offset:200
	s_waitcnt vmcnt(2)
	v_fmac_f64_e32 v[76:77], v[80:81], v[82:83]
	ds_read2_b64 v[80:83], v78 offset0:61 offset1:62
	s_waitcnt vmcnt(0) lgkmcnt(0)
	v_fmac_f64_e32 v[76:77], v[84:85], v[80:81]
	buffer_load_dword v81, off, s[0:3], 0 offset:212
	buffer_load_dword v80, off, s[0:3], 0 offset:208
	buffer_load_dword v85, off, s[0:3], 0 offset:220
	buffer_load_dword v84, off, s[0:3], 0 offset:216
	s_waitcnt vmcnt(2)
	v_fmac_f64_e32 v[76:77], v[80:81], v[82:83]
	ds_read2_b64 v[80:83], v78 offset0:63 offset1:64
	s_waitcnt vmcnt(0) lgkmcnt(0)
	v_fmac_f64_e32 v[76:77], v[84:85], v[80:81]
	;; [unrolled: 9-line block ×5, first 2 shown]
	buffer_load_dword v81, off, s[0:3], 0 offset:276
	buffer_load_dword v80, off, s[0:3], 0 offset:272
	s_waitcnt vmcnt(0)
	v_fmac_f64_e32 v[76:77], v[80:81], v[82:83]
	buffer_load_dword v81, off, s[0:3], 0 offset:284
	buffer_load_dword v80, off, s[0:3], 0 offset:280
	ds_read_b64 v[82:83], v78 offset:568
	s_waitcnt vmcnt(0) lgkmcnt(0)
	v_fmac_f64_e32 v[76:77], v[80:81], v[82:83]
	v_add_f64 v[74:75], v[74:75], -v[76:77]
	buffer_store_dword v75, off, s[0:3], 0 offset:132
	buffer_store_dword v74, off, s[0:3], 0 offset:128
	s_and_saveexec_b64 s[4:5], vcc
	s_cbranch_execz .LBB35_193
; %bb.192:
	buffer_load_dword v74, off, s[0:3], 0 offset:120
	buffer_load_dword v75, off, s[0:3], 0 offset:124
	s_waitcnt vmcnt(0)
	ds_write_b64 v1, v[74:75]
	buffer_store_dword v78, off, s[0:3], 0 offset:120
	buffer_store_dword v78, off, s[0:3], 0 offset:124
.LBB35_193:
	s_or_b64 exec, exec, s[4:5]
	s_waitcnt lgkmcnt(0)
	; wave barrier
	s_waitcnt lgkmcnt(0)
	buffer_load_dword v74, off, s[0:3], 0 offset:120
	buffer_load_dword v75, off, s[0:3], 0 offset:124
	buffer_load_dword v76, off, s[0:3], 0 offset:128
	buffer_load_dword v77, off, s[0:3], 0 offset:132
	buffer_load_dword v96, off, s[0:3], 0 offset:136
	buffer_load_dword v97, off, s[0:3], 0 offset:140
	buffer_load_dword v98, off, s[0:3], 0 offset:144
	buffer_load_dword v99, off, s[0:3], 0 offset:148
	buffer_load_dword v100, off, s[0:3], 0 offset:152
	buffer_load_dword v101, off, s[0:3], 0 offset:156
	buffer_load_dword v102, off, s[0:3], 0 offset:160
	buffer_load_dword v103, off, s[0:3], 0 offset:164
	buffer_load_dword v104, off, s[0:3], 0 offset:168
	buffer_load_dword v105, off, s[0:3], 0 offset:172
	buffer_load_dword v106, off, s[0:3], 0 offset:176
	buffer_load_dword v107, off, s[0:3], 0 offset:180
	ds_read_b128 v[80:83], v78 offset:416
	ds_read_b128 v[84:87], v78 offset:432
	;; [unrolled: 1-line block ×4, first 2 shown]
	v_cmp_lt_u32_e32 vcc, 14, v0
	s_waitcnt vmcnt(12) lgkmcnt(3)
	v_fma_f64 v[76:77], v[76:77], v[80:81], 0
	buffer_load_dword v81, off, s[0:3], 0 offset:188
	buffer_load_dword v80, off, s[0:3], 0 offset:184
	s_waitcnt vmcnt(12)
	v_fmac_f64_e32 v[76:77], v[96:97], v[82:83]
	s_waitcnt vmcnt(10) lgkmcnt(2)
	v_fmac_f64_e32 v[76:77], v[98:99], v[84:85]
	buffer_load_dword v85, off, s[0:3], 0 offset:196
	buffer_load_dword v84, off, s[0:3], 0 offset:192
	s_waitcnt vmcnt(10)
	v_fmac_f64_e32 v[76:77], v[100:101], v[86:87]
	s_waitcnt vmcnt(8) lgkmcnt(1)
	v_fmac_f64_e32 v[76:77], v[102:103], v[88:89]
	s_waitcnt vmcnt(6)
	v_fmac_f64_e32 v[76:77], v[104:105], v[90:91]
	s_waitcnt vmcnt(4) lgkmcnt(0)
	v_fmac_f64_e32 v[76:77], v[106:107], v[92:93]
	s_waitcnt vmcnt(2)
	v_fmac_f64_e32 v[76:77], v[80:81], v[94:95]
	ds_read_b128 v[80:83], v78 offset:480
	s_waitcnt vmcnt(0) lgkmcnt(0)
	v_fmac_f64_e32 v[76:77], v[84:85], v[80:81]
	buffer_load_dword v81, off, s[0:3], 0 offset:204
	buffer_load_dword v80, off, s[0:3], 0 offset:200
	buffer_load_dword v85, off, s[0:3], 0 offset:212
	buffer_load_dword v84, off, s[0:3], 0 offset:208
	s_waitcnt vmcnt(2)
	v_fmac_f64_e32 v[76:77], v[80:81], v[82:83]
	ds_read_b128 v[80:83], v78 offset:496
	s_waitcnt vmcnt(0) lgkmcnt(0)
	v_fmac_f64_e32 v[76:77], v[84:85], v[80:81]
	buffer_load_dword v81, off, s[0:3], 0 offset:220
	buffer_load_dword v80, off, s[0:3], 0 offset:216
	buffer_load_dword v85, off, s[0:3], 0 offset:228
	buffer_load_dword v84, off, s[0:3], 0 offset:224
	;; [unrolled: 9-line block ×4, first 2 shown]
	s_waitcnt vmcnt(2)
	v_fmac_f64_e32 v[76:77], v[80:81], v[82:83]
	ds_read_b128 v[80:83], v78 offset:544
	s_waitcnt vmcnt(0) lgkmcnt(0)
	v_fmac_f64_e32 v[76:77], v[84:85], v[80:81]
	buffer_load_dword v81, off, s[0:3], 0 offset:268
	buffer_load_dword v80, off, s[0:3], 0 offset:264
	s_waitcnt vmcnt(0)
	v_fmac_f64_e32 v[76:77], v[80:81], v[82:83]
	buffer_load_dword v83, off, s[0:3], 0 offset:276
	buffer_load_dword v82, off, s[0:3], 0 offset:272
	ds_read_b128 v[78:81], v78 offset:560
	s_waitcnt vmcnt(0) lgkmcnt(0)
	v_fmac_f64_e32 v[76:77], v[82:83], v[78:79]
	buffer_load_dword v79, off, s[0:3], 0 offset:284
	buffer_load_dword v78, off, s[0:3], 0 offset:280
	s_waitcnt vmcnt(0)
	v_fmac_f64_e32 v[76:77], v[78:79], v[80:81]
	v_add_f64 v[74:75], v[74:75], -v[76:77]
	buffer_store_dword v75, off, s[0:3], 0 offset:124
	buffer_store_dword v74, off, s[0:3], 0 offset:120
	s_and_saveexec_b64 s[4:5], vcc
	s_cbranch_execz .LBB35_195
; %bb.194:
	buffer_load_dword v74, off, s[0:3], 0 offset:112
	buffer_load_dword v75, off, s[0:3], 0 offset:116
	v_mov_b32_e32 v76, 0
	buffer_store_dword v76, off, s[0:3], 0 offset:112
	buffer_store_dword v76, off, s[0:3], 0 offset:116
	s_waitcnt vmcnt(2)
	ds_write_b64 v1, v[74:75]
.LBB35_195:
	s_or_b64 exec, exec, s[4:5]
	s_waitcnt lgkmcnt(0)
	; wave barrier
	s_waitcnt lgkmcnt(0)
	buffer_load_dword v74, off, s[0:3], 0 offset:112
	buffer_load_dword v75, off, s[0:3], 0 offset:116
	;; [unrolled: 1-line block ×16, first 2 shown]
	v_mov_b32_e32 v78, 0
	ds_read2_b64 v[80:83], v78 offset0:51 offset1:52
	v_cmp_lt_u32_e32 vcc, 13, v0
	s_waitcnt vmcnt(12) lgkmcnt(0)
	v_fma_f64 v[76:77], v[76:77], v[80:81], 0
	s_waitcnt vmcnt(10)
	v_fmac_f64_e32 v[76:77], v[84:85], v[82:83]
	ds_read2_b64 v[80:83], v78 offset0:53 offset1:54
	s_waitcnt vmcnt(8) lgkmcnt(0)
	v_fmac_f64_e32 v[76:77], v[86:87], v[80:81]
	s_waitcnt vmcnt(6)
	v_fmac_f64_e32 v[76:77], v[88:89], v[82:83]
	ds_read2_b64 v[80:83], v78 offset0:55 offset1:56
	s_waitcnt vmcnt(4) lgkmcnt(0)
	v_fmac_f64_e32 v[76:77], v[90:91], v[80:81]
	;; [unrolled: 5-line block ×3, first 2 shown]
	buffer_load_dword v81, off, s[0:3], 0 offset:180
	buffer_load_dword v80, off, s[0:3], 0 offset:176
	buffer_load_dword v85, off, s[0:3], 0 offset:188
	buffer_load_dword v84, off, s[0:3], 0 offset:184
	s_waitcnt vmcnt(2)
	v_fmac_f64_e32 v[76:77], v[80:81], v[82:83]
	ds_read2_b64 v[80:83], v78 offset0:59 offset1:60
	s_waitcnt vmcnt(0) lgkmcnt(0)
	v_fmac_f64_e32 v[76:77], v[84:85], v[80:81]
	buffer_load_dword v81, off, s[0:3], 0 offset:196
	buffer_load_dword v80, off, s[0:3], 0 offset:192
	buffer_load_dword v85, off, s[0:3], 0 offset:204
	buffer_load_dword v84, off, s[0:3], 0 offset:200
	s_waitcnt vmcnt(2)
	v_fmac_f64_e32 v[76:77], v[80:81], v[82:83]
	ds_read2_b64 v[80:83], v78 offset0:61 offset1:62
	s_waitcnt vmcnt(0) lgkmcnt(0)
	v_fmac_f64_e32 v[76:77], v[84:85], v[80:81]
	buffer_load_dword v81, off, s[0:3], 0 offset:212
	buffer_load_dword v80, off, s[0:3], 0 offset:208
	buffer_load_dword v85, off, s[0:3], 0 offset:220
	buffer_load_dword v84, off, s[0:3], 0 offset:216
	s_waitcnt vmcnt(2)
	v_fmac_f64_e32 v[76:77], v[80:81], v[82:83]
	ds_read2_b64 v[80:83], v78 offset0:63 offset1:64
	s_waitcnt vmcnt(0) lgkmcnt(0)
	v_fmac_f64_e32 v[76:77], v[84:85], v[80:81]
	buffer_load_dword v81, off, s[0:3], 0 offset:228
	buffer_load_dword v80, off, s[0:3], 0 offset:224
	buffer_load_dword v85, off, s[0:3], 0 offset:236
	buffer_load_dword v84, off, s[0:3], 0 offset:232
	s_waitcnt vmcnt(2)
	v_fmac_f64_e32 v[76:77], v[80:81], v[82:83]
	ds_read2_b64 v[80:83], v78 offset0:65 offset1:66
	s_waitcnt vmcnt(0) lgkmcnt(0)
	v_fmac_f64_e32 v[76:77], v[84:85], v[80:81]
	buffer_load_dword v81, off, s[0:3], 0 offset:244
	buffer_load_dword v80, off, s[0:3], 0 offset:240
	buffer_load_dword v85, off, s[0:3], 0 offset:252
	buffer_load_dword v84, off, s[0:3], 0 offset:248
	s_waitcnt vmcnt(2)
	v_fmac_f64_e32 v[76:77], v[80:81], v[82:83]
	ds_read2_b64 v[80:83], v78 offset0:67 offset1:68
	s_waitcnt vmcnt(0) lgkmcnt(0)
	v_fmac_f64_e32 v[76:77], v[84:85], v[80:81]
	buffer_load_dword v81, off, s[0:3], 0 offset:260
	buffer_load_dword v80, off, s[0:3], 0 offset:256
	buffer_load_dword v85, off, s[0:3], 0 offset:268
	buffer_load_dword v84, off, s[0:3], 0 offset:264
	s_waitcnt vmcnt(2)
	v_fmac_f64_e32 v[76:77], v[80:81], v[82:83]
	ds_read2_b64 v[80:83], v78 offset0:69 offset1:70
	s_waitcnt vmcnt(0) lgkmcnt(0)
	v_fmac_f64_e32 v[76:77], v[84:85], v[80:81]
	buffer_load_dword v81, off, s[0:3], 0 offset:276
	buffer_load_dword v80, off, s[0:3], 0 offset:272
	s_waitcnt vmcnt(0)
	v_fmac_f64_e32 v[76:77], v[80:81], v[82:83]
	buffer_load_dword v81, off, s[0:3], 0 offset:284
	buffer_load_dword v80, off, s[0:3], 0 offset:280
	ds_read_b64 v[82:83], v78 offset:568
	s_waitcnt vmcnt(0) lgkmcnt(0)
	v_fmac_f64_e32 v[76:77], v[80:81], v[82:83]
	v_add_f64 v[74:75], v[74:75], -v[76:77]
	buffer_store_dword v75, off, s[0:3], 0 offset:116
	buffer_store_dword v74, off, s[0:3], 0 offset:112
	s_and_saveexec_b64 s[4:5], vcc
	s_cbranch_execz .LBB35_197
; %bb.196:
	buffer_load_dword v74, off, s[0:3], 0 offset:104
	buffer_load_dword v75, off, s[0:3], 0 offset:108
	s_waitcnt vmcnt(0)
	ds_write_b64 v1, v[74:75]
	buffer_store_dword v78, off, s[0:3], 0 offset:104
	buffer_store_dword v78, off, s[0:3], 0 offset:108
.LBB35_197:
	s_or_b64 exec, exec, s[4:5]
	s_waitcnt lgkmcnt(0)
	; wave barrier
	s_waitcnt lgkmcnt(0)
	buffer_load_dword v74, off, s[0:3], 0 offset:104
	buffer_load_dword v75, off, s[0:3], 0 offset:108
	;; [unrolled: 1-line block ×16, first 2 shown]
	ds_read_b128 v[80:83], v78 offset:400
	ds_read_b128 v[84:87], v78 offset:416
	;; [unrolled: 1-line block ×4, first 2 shown]
	v_cmp_lt_u32_e32 vcc, 12, v0
	s_waitcnt vmcnt(12) lgkmcnt(3)
	v_fma_f64 v[76:77], v[76:77], v[80:81], 0
	buffer_load_dword v81, off, s[0:3], 0 offset:172
	buffer_load_dword v80, off, s[0:3], 0 offset:168
	s_waitcnt vmcnt(12)
	v_fmac_f64_e32 v[76:77], v[96:97], v[82:83]
	s_waitcnt vmcnt(10) lgkmcnt(2)
	v_fmac_f64_e32 v[76:77], v[98:99], v[84:85]
	buffer_load_dword v85, off, s[0:3], 0 offset:180
	buffer_load_dword v84, off, s[0:3], 0 offset:176
	s_waitcnt vmcnt(10)
	v_fmac_f64_e32 v[76:77], v[100:101], v[86:87]
	s_waitcnt vmcnt(8) lgkmcnt(1)
	v_fmac_f64_e32 v[76:77], v[102:103], v[88:89]
	s_waitcnt vmcnt(6)
	v_fmac_f64_e32 v[76:77], v[104:105], v[90:91]
	s_waitcnt vmcnt(4) lgkmcnt(0)
	v_fmac_f64_e32 v[76:77], v[106:107], v[92:93]
	s_waitcnt vmcnt(2)
	v_fmac_f64_e32 v[76:77], v[80:81], v[94:95]
	ds_read_b128 v[80:83], v78 offset:464
	s_waitcnt vmcnt(0) lgkmcnt(0)
	v_fmac_f64_e32 v[76:77], v[84:85], v[80:81]
	buffer_load_dword v81, off, s[0:3], 0 offset:188
	buffer_load_dword v80, off, s[0:3], 0 offset:184
	buffer_load_dword v85, off, s[0:3], 0 offset:196
	buffer_load_dword v84, off, s[0:3], 0 offset:192
	s_waitcnt vmcnt(2)
	v_fmac_f64_e32 v[76:77], v[80:81], v[82:83]
	ds_read_b128 v[80:83], v78 offset:480
	s_waitcnt vmcnt(0) lgkmcnt(0)
	v_fmac_f64_e32 v[76:77], v[84:85], v[80:81]
	buffer_load_dword v81, off, s[0:3], 0 offset:204
	buffer_load_dword v80, off, s[0:3], 0 offset:200
	buffer_load_dword v85, off, s[0:3], 0 offset:212
	buffer_load_dword v84, off, s[0:3], 0 offset:208
	;; [unrolled: 9-line block ×5, first 2 shown]
	s_waitcnt vmcnt(2)
	v_fmac_f64_e32 v[76:77], v[80:81], v[82:83]
	ds_read_b128 v[80:83], v78 offset:544
	s_waitcnt vmcnt(0) lgkmcnt(0)
	v_fmac_f64_e32 v[76:77], v[84:85], v[80:81]
	buffer_load_dword v81, off, s[0:3], 0 offset:268
	buffer_load_dword v80, off, s[0:3], 0 offset:264
	s_waitcnt vmcnt(0)
	v_fmac_f64_e32 v[76:77], v[80:81], v[82:83]
	buffer_load_dword v83, off, s[0:3], 0 offset:276
	buffer_load_dword v82, off, s[0:3], 0 offset:272
	ds_read_b128 v[78:81], v78 offset:560
	s_waitcnt vmcnt(0) lgkmcnt(0)
	v_fmac_f64_e32 v[76:77], v[82:83], v[78:79]
	buffer_load_dword v79, off, s[0:3], 0 offset:284
	buffer_load_dword v78, off, s[0:3], 0 offset:280
	s_waitcnt vmcnt(0)
	v_fmac_f64_e32 v[76:77], v[78:79], v[80:81]
	v_add_f64 v[74:75], v[74:75], -v[76:77]
	buffer_store_dword v75, off, s[0:3], 0 offset:108
	buffer_store_dword v74, off, s[0:3], 0 offset:104
	s_and_saveexec_b64 s[4:5], vcc
	s_cbranch_execz .LBB35_199
; %bb.198:
	buffer_load_dword v74, off, s[0:3], 0 offset:96
	buffer_load_dword v75, off, s[0:3], 0 offset:100
	v_mov_b32_e32 v76, 0
	buffer_store_dword v76, off, s[0:3], 0 offset:96
	buffer_store_dword v76, off, s[0:3], 0 offset:100
	s_waitcnt vmcnt(2)
	ds_write_b64 v1, v[74:75]
.LBB35_199:
	s_or_b64 exec, exec, s[4:5]
	s_waitcnt lgkmcnt(0)
	; wave barrier
	s_waitcnt lgkmcnt(0)
	buffer_load_dword v74, off, s[0:3], 0 offset:96
	buffer_load_dword v75, off, s[0:3], 0 offset:100
	;; [unrolled: 1-line block ×16, first 2 shown]
	v_mov_b32_e32 v78, 0
	ds_read2_b64 v[80:83], v78 offset0:49 offset1:50
	v_cmp_lt_u32_e32 vcc, 11, v0
	s_waitcnt vmcnt(12) lgkmcnt(0)
	v_fma_f64 v[76:77], v[76:77], v[80:81], 0
	s_waitcnt vmcnt(10)
	v_fmac_f64_e32 v[76:77], v[84:85], v[82:83]
	ds_read2_b64 v[80:83], v78 offset0:51 offset1:52
	s_waitcnt vmcnt(8) lgkmcnt(0)
	v_fmac_f64_e32 v[76:77], v[86:87], v[80:81]
	s_waitcnt vmcnt(6)
	v_fmac_f64_e32 v[76:77], v[88:89], v[82:83]
	ds_read2_b64 v[80:83], v78 offset0:53 offset1:54
	s_waitcnt vmcnt(4) lgkmcnt(0)
	v_fmac_f64_e32 v[76:77], v[90:91], v[80:81]
	;; [unrolled: 5-line block ×3, first 2 shown]
	buffer_load_dword v81, off, s[0:3], 0 offset:164
	buffer_load_dword v80, off, s[0:3], 0 offset:160
	buffer_load_dword v85, off, s[0:3], 0 offset:172
	buffer_load_dword v84, off, s[0:3], 0 offset:168
	s_waitcnt vmcnt(2)
	v_fmac_f64_e32 v[76:77], v[80:81], v[82:83]
	ds_read2_b64 v[80:83], v78 offset0:57 offset1:58
	s_waitcnt vmcnt(0) lgkmcnt(0)
	v_fmac_f64_e32 v[76:77], v[84:85], v[80:81]
	buffer_load_dword v81, off, s[0:3], 0 offset:180
	buffer_load_dword v80, off, s[0:3], 0 offset:176
	buffer_load_dword v85, off, s[0:3], 0 offset:188
	buffer_load_dword v84, off, s[0:3], 0 offset:184
	s_waitcnt vmcnt(2)
	v_fmac_f64_e32 v[76:77], v[80:81], v[82:83]
	ds_read2_b64 v[80:83], v78 offset0:59 offset1:60
	s_waitcnt vmcnt(0) lgkmcnt(0)
	v_fmac_f64_e32 v[76:77], v[84:85], v[80:81]
	;; [unrolled: 9-line block ×7, first 2 shown]
	buffer_load_dword v81, off, s[0:3], 0 offset:276
	buffer_load_dword v80, off, s[0:3], 0 offset:272
	s_waitcnt vmcnt(0)
	v_fmac_f64_e32 v[76:77], v[80:81], v[82:83]
	buffer_load_dword v81, off, s[0:3], 0 offset:284
	buffer_load_dword v80, off, s[0:3], 0 offset:280
	ds_read_b64 v[82:83], v78 offset:568
	s_waitcnt vmcnt(0) lgkmcnt(0)
	v_fmac_f64_e32 v[76:77], v[80:81], v[82:83]
	v_add_f64 v[74:75], v[74:75], -v[76:77]
	buffer_store_dword v75, off, s[0:3], 0 offset:100
	buffer_store_dword v74, off, s[0:3], 0 offset:96
	s_and_saveexec_b64 s[4:5], vcc
	s_cbranch_execz .LBB35_201
; %bb.200:
	buffer_load_dword v74, off, s[0:3], 0 offset:88
	buffer_load_dword v75, off, s[0:3], 0 offset:92
	s_waitcnt vmcnt(0)
	ds_write_b64 v1, v[74:75]
	buffer_store_dword v78, off, s[0:3], 0 offset:88
	buffer_store_dword v78, off, s[0:3], 0 offset:92
.LBB35_201:
	s_or_b64 exec, exec, s[4:5]
	s_waitcnt lgkmcnt(0)
	; wave barrier
	s_waitcnt lgkmcnt(0)
	buffer_load_dword v74, off, s[0:3], 0 offset:88
	buffer_load_dword v75, off, s[0:3], 0 offset:92
	buffer_load_dword v76, off, s[0:3], 0 offset:96
	buffer_load_dword v77, off, s[0:3], 0 offset:100
	buffer_load_dword v96, off, s[0:3], 0 offset:104
	buffer_load_dword v97, off, s[0:3], 0 offset:108
	buffer_load_dword v98, off, s[0:3], 0 offset:112
	buffer_load_dword v99, off, s[0:3], 0 offset:116
	buffer_load_dword v100, off, s[0:3], 0 offset:120
	buffer_load_dword v101, off, s[0:3], 0 offset:124
	buffer_load_dword v102, off, s[0:3], 0 offset:128
	buffer_load_dword v103, off, s[0:3], 0 offset:132
	buffer_load_dword v104, off, s[0:3], 0 offset:136
	buffer_load_dword v105, off, s[0:3], 0 offset:140
	buffer_load_dword v106, off, s[0:3], 0 offset:144
	buffer_load_dword v107, off, s[0:3], 0 offset:148
	ds_read_b128 v[80:83], v78 offset:384
	ds_read_b128 v[84:87], v78 offset:400
	;; [unrolled: 1-line block ×4, first 2 shown]
	v_cmp_lt_u32_e32 vcc, 10, v0
	s_waitcnt vmcnt(12) lgkmcnt(3)
	v_fma_f64 v[76:77], v[76:77], v[80:81], 0
	buffer_load_dword v81, off, s[0:3], 0 offset:156
	buffer_load_dword v80, off, s[0:3], 0 offset:152
	s_waitcnt vmcnt(12)
	v_fmac_f64_e32 v[76:77], v[96:97], v[82:83]
	s_waitcnt vmcnt(10) lgkmcnt(2)
	v_fmac_f64_e32 v[76:77], v[98:99], v[84:85]
	buffer_load_dword v85, off, s[0:3], 0 offset:164
	buffer_load_dword v84, off, s[0:3], 0 offset:160
	s_waitcnt vmcnt(10)
	v_fmac_f64_e32 v[76:77], v[100:101], v[86:87]
	s_waitcnt vmcnt(8) lgkmcnt(1)
	v_fmac_f64_e32 v[76:77], v[102:103], v[88:89]
	s_waitcnt vmcnt(6)
	v_fmac_f64_e32 v[76:77], v[104:105], v[90:91]
	s_waitcnt vmcnt(4) lgkmcnt(0)
	v_fmac_f64_e32 v[76:77], v[106:107], v[92:93]
	s_waitcnt vmcnt(2)
	v_fmac_f64_e32 v[76:77], v[80:81], v[94:95]
	ds_read_b128 v[80:83], v78 offset:448
	s_waitcnt vmcnt(0) lgkmcnt(0)
	v_fmac_f64_e32 v[76:77], v[84:85], v[80:81]
	buffer_load_dword v81, off, s[0:3], 0 offset:172
	buffer_load_dword v80, off, s[0:3], 0 offset:168
	buffer_load_dword v85, off, s[0:3], 0 offset:180
	buffer_load_dword v84, off, s[0:3], 0 offset:176
	s_waitcnt vmcnt(2)
	v_fmac_f64_e32 v[76:77], v[80:81], v[82:83]
	ds_read_b128 v[80:83], v78 offset:464
	s_waitcnt vmcnt(0) lgkmcnt(0)
	v_fmac_f64_e32 v[76:77], v[84:85], v[80:81]
	buffer_load_dword v81, off, s[0:3], 0 offset:188
	buffer_load_dword v80, off, s[0:3], 0 offset:184
	buffer_load_dword v85, off, s[0:3], 0 offset:196
	buffer_load_dword v84, off, s[0:3], 0 offset:192
	;; [unrolled: 9-line block ×6, first 2 shown]
	s_waitcnt vmcnt(2)
	v_fmac_f64_e32 v[76:77], v[80:81], v[82:83]
	ds_read_b128 v[80:83], v78 offset:544
	s_waitcnt vmcnt(0) lgkmcnt(0)
	v_fmac_f64_e32 v[76:77], v[84:85], v[80:81]
	buffer_load_dword v81, off, s[0:3], 0 offset:268
	buffer_load_dword v80, off, s[0:3], 0 offset:264
	s_waitcnt vmcnt(0)
	v_fmac_f64_e32 v[76:77], v[80:81], v[82:83]
	buffer_load_dword v83, off, s[0:3], 0 offset:276
	buffer_load_dword v82, off, s[0:3], 0 offset:272
	ds_read_b128 v[78:81], v78 offset:560
	s_waitcnt vmcnt(0) lgkmcnt(0)
	v_fmac_f64_e32 v[76:77], v[82:83], v[78:79]
	buffer_load_dword v79, off, s[0:3], 0 offset:284
	buffer_load_dword v78, off, s[0:3], 0 offset:280
	s_waitcnt vmcnt(0)
	v_fmac_f64_e32 v[76:77], v[78:79], v[80:81]
	v_add_f64 v[74:75], v[74:75], -v[76:77]
	buffer_store_dword v75, off, s[0:3], 0 offset:92
	buffer_store_dword v74, off, s[0:3], 0 offset:88
	s_and_saveexec_b64 s[4:5], vcc
	s_cbranch_execz .LBB35_203
; %bb.202:
	buffer_load_dword v74, off, s[0:3], 0 offset:80
	buffer_load_dword v75, off, s[0:3], 0 offset:84
	v_mov_b32_e32 v76, 0
	buffer_store_dword v76, off, s[0:3], 0 offset:80
	buffer_store_dword v76, off, s[0:3], 0 offset:84
	s_waitcnt vmcnt(2)
	ds_write_b64 v1, v[74:75]
.LBB35_203:
	s_or_b64 exec, exec, s[4:5]
	s_waitcnt lgkmcnt(0)
	; wave barrier
	s_waitcnt lgkmcnt(0)
	buffer_load_dword v74, off, s[0:3], 0 offset:80
	buffer_load_dword v75, off, s[0:3], 0 offset:84
	;; [unrolled: 1-line block ×16, first 2 shown]
	v_mov_b32_e32 v78, 0
	ds_read2_b64 v[80:83], v78 offset0:47 offset1:48
	v_cmp_lt_u32_e32 vcc, 9, v0
	s_waitcnt vmcnt(12) lgkmcnt(0)
	v_fma_f64 v[76:77], v[76:77], v[80:81], 0
	s_waitcnt vmcnt(10)
	v_fmac_f64_e32 v[76:77], v[84:85], v[82:83]
	ds_read2_b64 v[80:83], v78 offset0:49 offset1:50
	s_waitcnt vmcnt(8) lgkmcnt(0)
	v_fmac_f64_e32 v[76:77], v[86:87], v[80:81]
	s_waitcnt vmcnt(6)
	v_fmac_f64_e32 v[76:77], v[88:89], v[82:83]
	ds_read2_b64 v[80:83], v78 offset0:51 offset1:52
	s_waitcnt vmcnt(4) lgkmcnt(0)
	v_fmac_f64_e32 v[76:77], v[90:91], v[80:81]
	;; [unrolled: 5-line block ×3, first 2 shown]
	buffer_load_dword v81, off, s[0:3], 0 offset:148
	buffer_load_dword v80, off, s[0:3], 0 offset:144
	buffer_load_dword v85, off, s[0:3], 0 offset:156
	buffer_load_dword v84, off, s[0:3], 0 offset:152
	s_waitcnt vmcnt(2)
	v_fmac_f64_e32 v[76:77], v[80:81], v[82:83]
	ds_read2_b64 v[80:83], v78 offset0:55 offset1:56
	s_waitcnt vmcnt(0) lgkmcnt(0)
	v_fmac_f64_e32 v[76:77], v[84:85], v[80:81]
	buffer_load_dword v81, off, s[0:3], 0 offset:164
	buffer_load_dword v80, off, s[0:3], 0 offset:160
	buffer_load_dword v85, off, s[0:3], 0 offset:172
	buffer_load_dword v84, off, s[0:3], 0 offset:168
	s_waitcnt vmcnt(2)
	v_fmac_f64_e32 v[76:77], v[80:81], v[82:83]
	ds_read2_b64 v[80:83], v78 offset0:57 offset1:58
	s_waitcnt vmcnt(0) lgkmcnt(0)
	v_fmac_f64_e32 v[76:77], v[84:85], v[80:81]
	;; [unrolled: 9-line block ×8, first 2 shown]
	buffer_load_dword v81, off, s[0:3], 0 offset:276
	buffer_load_dword v80, off, s[0:3], 0 offset:272
	s_waitcnt vmcnt(0)
	v_fmac_f64_e32 v[76:77], v[80:81], v[82:83]
	buffer_load_dword v81, off, s[0:3], 0 offset:284
	buffer_load_dword v80, off, s[0:3], 0 offset:280
	ds_read_b64 v[82:83], v78 offset:568
	s_waitcnt vmcnt(0) lgkmcnt(0)
	v_fmac_f64_e32 v[76:77], v[80:81], v[82:83]
	v_add_f64 v[74:75], v[74:75], -v[76:77]
	buffer_store_dword v75, off, s[0:3], 0 offset:84
	buffer_store_dword v74, off, s[0:3], 0 offset:80
	s_and_saveexec_b64 s[4:5], vcc
	s_cbranch_execz .LBB35_205
; %bb.204:
	buffer_load_dword v74, off, s[0:3], 0 offset:72
	buffer_load_dword v75, off, s[0:3], 0 offset:76
	s_waitcnt vmcnt(0)
	ds_write_b64 v1, v[74:75]
	buffer_store_dword v78, off, s[0:3], 0 offset:72
	buffer_store_dword v78, off, s[0:3], 0 offset:76
.LBB35_205:
	s_or_b64 exec, exec, s[4:5]
	s_waitcnt lgkmcnt(0)
	; wave barrier
	s_waitcnt lgkmcnt(0)
	buffer_load_dword v74, off, s[0:3], 0 offset:72
	buffer_load_dword v75, off, s[0:3], 0 offset:76
	;; [unrolled: 1-line block ×16, first 2 shown]
	ds_read_b128 v[80:83], v78 offset:368
	ds_read_b128 v[84:87], v78 offset:384
	;; [unrolled: 1-line block ×4, first 2 shown]
	v_cmp_lt_u32_e32 vcc, 8, v0
	s_waitcnt vmcnt(12) lgkmcnt(3)
	v_fma_f64 v[76:77], v[76:77], v[80:81], 0
	buffer_load_dword v81, off, s[0:3], 0 offset:140
	buffer_load_dword v80, off, s[0:3], 0 offset:136
	s_waitcnt vmcnt(12)
	v_fmac_f64_e32 v[76:77], v[96:97], v[82:83]
	s_waitcnt vmcnt(10) lgkmcnt(2)
	v_fmac_f64_e32 v[76:77], v[98:99], v[84:85]
	buffer_load_dword v85, off, s[0:3], 0 offset:148
	buffer_load_dword v84, off, s[0:3], 0 offset:144
	s_waitcnt vmcnt(10)
	v_fmac_f64_e32 v[76:77], v[100:101], v[86:87]
	s_waitcnt vmcnt(8) lgkmcnt(1)
	v_fmac_f64_e32 v[76:77], v[102:103], v[88:89]
	s_waitcnt vmcnt(6)
	v_fmac_f64_e32 v[76:77], v[104:105], v[90:91]
	s_waitcnt vmcnt(4) lgkmcnt(0)
	v_fmac_f64_e32 v[76:77], v[106:107], v[92:93]
	s_waitcnt vmcnt(2)
	v_fmac_f64_e32 v[76:77], v[80:81], v[94:95]
	ds_read_b128 v[80:83], v78 offset:432
	s_waitcnt vmcnt(0) lgkmcnt(0)
	v_fmac_f64_e32 v[76:77], v[84:85], v[80:81]
	buffer_load_dword v81, off, s[0:3], 0 offset:156
	buffer_load_dword v80, off, s[0:3], 0 offset:152
	buffer_load_dword v85, off, s[0:3], 0 offset:164
	buffer_load_dword v84, off, s[0:3], 0 offset:160
	s_waitcnt vmcnt(2)
	v_fmac_f64_e32 v[76:77], v[80:81], v[82:83]
	ds_read_b128 v[80:83], v78 offset:448
	s_waitcnt vmcnt(0) lgkmcnt(0)
	v_fmac_f64_e32 v[76:77], v[84:85], v[80:81]
	buffer_load_dword v81, off, s[0:3], 0 offset:172
	buffer_load_dword v80, off, s[0:3], 0 offset:168
	buffer_load_dword v85, off, s[0:3], 0 offset:180
	buffer_load_dword v84, off, s[0:3], 0 offset:176
	s_waitcnt vmcnt(2)
	v_fmac_f64_e32 v[76:77], v[80:81], v[82:83]
	ds_read_b128 v[80:83], v78 offset:464
	s_waitcnt vmcnt(0) lgkmcnt(0)
	v_fmac_f64_e32 v[76:77], v[84:85], v[80:81]
	buffer_load_dword v81, off, s[0:3], 0 offset:188
	buffer_load_dword v80, off, s[0:3], 0 offset:184
	buffer_load_dword v85, off, s[0:3], 0 offset:196
	buffer_load_dword v84, off, s[0:3], 0 offset:192
	s_waitcnt vmcnt(2)
	v_fmac_f64_e32 v[76:77], v[80:81], v[82:83]
	ds_read_b128 v[80:83], v78 offset:480
	s_waitcnt vmcnt(0) lgkmcnt(0)
	v_fmac_f64_e32 v[76:77], v[84:85], v[80:81]
	buffer_load_dword v81, off, s[0:3], 0 offset:204
	buffer_load_dword v80, off, s[0:3], 0 offset:200
	buffer_load_dword v85, off, s[0:3], 0 offset:212
	buffer_load_dword v84, off, s[0:3], 0 offset:208
	s_waitcnt vmcnt(2)
	v_fmac_f64_e32 v[76:77], v[80:81], v[82:83]
	ds_read_b128 v[80:83], v78 offset:496
	s_waitcnt vmcnt(0) lgkmcnt(0)
	v_fmac_f64_e32 v[76:77], v[84:85], v[80:81]
	buffer_load_dword v81, off, s[0:3], 0 offset:220
	buffer_load_dword v80, off, s[0:3], 0 offset:216
	buffer_load_dword v85, off, s[0:3], 0 offset:228
	buffer_load_dword v84, off, s[0:3], 0 offset:224
	s_waitcnt vmcnt(2)
	v_fmac_f64_e32 v[76:77], v[80:81], v[82:83]
	ds_read_b128 v[80:83], v78 offset:512
	s_waitcnt vmcnt(0) lgkmcnt(0)
	v_fmac_f64_e32 v[76:77], v[84:85], v[80:81]
	buffer_load_dword v81, off, s[0:3], 0 offset:236
	buffer_load_dword v80, off, s[0:3], 0 offset:232
	buffer_load_dword v85, off, s[0:3], 0 offset:244
	buffer_load_dword v84, off, s[0:3], 0 offset:240
	s_waitcnt vmcnt(2)
	v_fmac_f64_e32 v[76:77], v[80:81], v[82:83]
	ds_read_b128 v[80:83], v78 offset:528
	s_waitcnt vmcnt(0) lgkmcnt(0)
	v_fmac_f64_e32 v[76:77], v[84:85], v[80:81]
	buffer_load_dword v81, off, s[0:3], 0 offset:252
	buffer_load_dword v80, off, s[0:3], 0 offset:248
	buffer_load_dword v85, off, s[0:3], 0 offset:260
	buffer_load_dword v84, off, s[0:3], 0 offset:256
	s_waitcnt vmcnt(2)
	v_fmac_f64_e32 v[76:77], v[80:81], v[82:83]
	ds_read_b128 v[80:83], v78 offset:544
	s_waitcnt vmcnt(0) lgkmcnt(0)
	v_fmac_f64_e32 v[76:77], v[84:85], v[80:81]
	buffer_load_dword v81, off, s[0:3], 0 offset:268
	buffer_load_dword v80, off, s[0:3], 0 offset:264
	s_waitcnt vmcnt(0)
	v_fmac_f64_e32 v[76:77], v[80:81], v[82:83]
	buffer_load_dword v83, off, s[0:3], 0 offset:276
	buffer_load_dword v82, off, s[0:3], 0 offset:272
	ds_read_b128 v[78:81], v78 offset:560
	s_waitcnt vmcnt(0) lgkmcnt(0)
	v_fmac_f64_e32 v[76:77], v[82:83], v[78:79]
	buffer_load_dword v79, off, s[0:3], 0 offset:284
	buffer_load_dword v78, off, s[0:3], 0 offset:280
	s_waitcnt vmcnt(0)
	v_fmac_f64_e32 v[76:77], v[78:79], v[80:81]
	v_add_f64 v[74:75], v[74:75], -v[76:77]
	buffer_store_dword v75, off, s[0:3], 0 offset:76
	buffer_store_dword v74, off, s[0:3], 0 offset:72
	s_and_saveexec_b64 s[4:5], vcc
	s_cbranch_execz .LBB35_207
; %bb.206:
	buffer_load_dword v74, off, s[0:3], 0 offset:64
	buffer_load_dword v75, off, s[0:3], 0 offset:68
	v_mov_b32_e32 v76, 0
	buffer_store_dword v76, off, s[0:3], 0 offset:64
	buffer_store_dword v76, off, s[0:3], 0 offset:68
	s_waitcnt vmcnt(2)
	ds_write_b64 v1, v[74:75]
.LBB35_207:
	s_or_b64 exec, exec, s[4:5]
	s_waitcnt lgkmcnt(0)
	; wave barrier
	s_waitcnt lgkmcnt(0)
	buffer_load_dword v74, off, s[0:3], 0 offset:64
	buffer_load_dword v75, off, s[0:3], 0 offset:68
	;; [unrolled: 1-line block ×16, first 2 shown]
	v_mov_b32_e32 v78, 0
	ds_read2_b64 v[80:83], v78 offset0:45 offset1:46
	v_cmp_lt_u32_e32 vcc, 7, v0
	s_waitcnt vmcnt(12) lgkmcnt(0)
	v_fma_f64 v[76:77], v[76:77], v[80:81], 0
	s_waitcnt vmcnt(10)
	v_fmac_f64_e32 v[76:77], v[84:85], v[82:83]
	ds_read2_b64 v[80:83], v78 offset0:47 offset1:48
	s_waitcnt vmcnt(8) lgkmcnt(0)
	v_fmac_f64_e32 v[76:77], v[86:87], v[80:81]
	s_waitcnt vmcnt(6)
	v_fmac_f64_e32 v[76:77], v[88:89], v[82:83]
	ds_read2_b64 v[80:83], v78 offset0:49 offset1:50
	s_waitcnt vmcnt(4) lgkmcnt(0)
	v_fmac_f64_e32 v[76:77], v[90:91], v[80:81]
	;; [unrolled: 5-line block ×3, first 2 shown]
	buffer_load_dword v81, off, s[0:3], 0 offset:132
	buffer_load_dword v80, off, s[0:3], 0 offset:128
	buffer_load_dword v85, off, s[0:3], 0 offset:140
	buffer_load_dword v84, off, s[0:3], 0 offset:136
	s_waitcnt vmcnt(2)
	v_fmac_f64_e32 v[76:77], v[80:81], v[82:83]
	ds_read2_b64 v[80:83], v78 offset0:53 offset1:54
	s_waitcnt vmcnt(0) lgkmcnt(0)
	v_fmac_f64_e32 v[76:77], v[84:85], v[80:81]
	buffer_load_dword v81, off, s[0:3], 0 offset:148
	buffer_load_dword v80, off, s[0:3], 0 offset:144
	buffer_load_dword v85, off, s[0:3], 0 offset:156
	buffer_load_dword v84, off, s[0:3], 0 offset:152
	s_waitcnt vmcnt(2)
	v_fmac_f64_e32 v[76:77], v[80:81], v[82:83]
	ds_read2_b64 v[80:83], v78 offset0:55 offset1:56
	s_waitcnt vmcnt(0) lgkmcnt(0)
	v_fmac_f64_e32 v[76:77], v[84:85], v[80:81]
	;; [unrolled: 9-line block ×9, first 2 shown]
	buffer_load_dword v81, off, s[0:3], 0 offset:276
	buffer_load_dword v80, off, s[0:3], 0 offset:272
	s_waitcnt vmcnt(0)
	v_fmac_f64_e32 v[76:77], v[80:81], v[82:83]
	buffer_load_dword v81, off, s[0:3], 0 offset:284
	buffer_load_dword v80, off, s[0:3], 0 offset:280
	ds_read_b64 v[82:83], v78 offset:568
	s_waitcnt vmcnt(0) lgkmcnt(0)
	v_fmac_f64_e32 v[76:77], v[80:81], v[82:83]
	v_add_f64 v[74:75], v[74:75], -v[76:77]
	buffer_store_dword v75, off, s[0:3], 0 offset:68
	buffer_store_dword v74, off, s[0:3], 0 offset:64
	s_and_saveexec_b64 s[4:5], vcc
	s_cbranch_execz .LBB35_209
; %bb.208:
	buffer_load_dword v74, off, s[0:3], 0 offset:56
	buffer_load_dword v75, off, s[0:3], 0 offset:60
	s_waitcnt vmcnt(0)
	ds_write_b64 v1, v[74:75]
	buffer_store_dword v78, off, s[0:3], 0 offset:56
	buffer_store_dword v78, off, s[0:3], 0 offset:60
.LBB35_209:
	s_or_b64 exec, exec, s[4:5]
	s_waitcnt lgkmcnt(0)
	; wave barrier
	s_waitcnt lgkmcnt(0)
	buffer_load_dword v74, off, s[0:3], 0 offset:56
	buffer_load_dword v75, off, s[0:3], 0 offset:60
	;; [unrolled: 1-line block ×16, first 2 shown]
	ds_read_b128 v[80:83], v78 offset:352
	ds_read_b128 v[84:87], v78 offset:368
	;; [unrolled: 1-line block ×4, first 2 shown]
	v_cmp_lt_u32_e32 vcc, 6, v0
	s_waitcnt vmcnt(12) lgkmcnt(3)
	v_fma_f64 v[76:77], v[76:77], v[80:81], 0
	buffer_load_dword v81, off, s[0:3], 0 offset:124
	buffer_load_dword v80, off, s[0:3], 0 offset:120
	s_waitcnt vmcnt(12)
	v_fmac_f64_e32 v[76:77], v[96:97], v[82:83]
	s_waitcnt vmcnt(10) lgkmcnt(2)
	v_fmac_f64_e32 v[76:77], v[98:99], v[84:85]
	buffer_load_dword v85, off, s[0:3], 0 offset:132
	buffer_load_dword v84, off, s[0:3], 0 offset:128
	s_waitcnt vmcnt(10)
	v_fmac_f64_e32 v[76:77], v[100:101], v[86:87]
	s_waitcnt vmcnt(8) lgkmcnt(1)
	v_fmac_f64_e32 v[76:77], v[102:103], v[88:89]
	s_waitcnt vmcnt(6)
	v_fmac_f64_e32 v[76:77], v[104:105], v[90:91]
	s_waitcnt vmcnt(4) lgkmcnt(0)
	v_fmac_f64_e32 v[76:77], v[106:107], v[92:93]
	s_waitcnt vmcnt(2)
	v_fmac_f64_e32 v[76:77], v[80:81], v[94:95]
	ds_read_b128 v[80:83], v78 offset:416
	s_waitcnt vmcnt(0) lgkmcnt(0)
	v_fmac_f64_e32 v[76:77], v[84:85], v[80:81]
	buffer_load_dword v81, off, s[0:3], 0 offset:140
	buffer_load_dword v80, off, s[0:3], 0 offset:136
	buffer_load_dword v85, off, s[0:3], 0 offset:148
	buffer_load_dword v84, off, s[0:3], 0 offset:144
	s_waitcnt vmcnt(2)
	v_fmac_f64_e32 v[76:77], v[80:81], v[82:83]
	ds_read_b128 v[80:83], v78 offset:432
	s_waitcnt vmcnt(0) lgkmcnt(0)
	v_fmac_f64_e32 v[76:77], v[84:85], v[80:81]
	buffer_load_dword v81, off, s[0:3], 0 offset:156
	buffer_load_dword v80, off, s[0:3], 0 offset:152
	buffer_load_dword v85, off, s[0:3], 0 offset:164
	buffer_load_dword v84, off, s[0:3], 0 offset:160
	;; [unrolled: 9-line block ×8, first 2 shown]
	s_waitcnt vmcnt(2)
	v_fmac_f64_e32 v[76:77], v[80:81], v[82:83]
	ds_read_b128 v[80:83], v78 offset:544
	s_waitcnt vmcnt(0) lgkmcnt(0)
	v_fmac_f64_e32 v[76:77], v[84:85], v[80:81]
	buffer_load_dword v81, off, s[0:3], 0 offset:268
	buffer_load_dword v80, off, s[0:3], 0 offset:264
	s_waitcnt vmcnt(0)
	v_fmac_f64_e32 v[76:77], v[80:81], v[82:83]
	buffer_load_dword v83, off, s[0:3], 0 offset:276
	buffer_load_dword v82, off, s[0:3], 0 offset:272
	ds_read_b128 v[78:81], v78 offset:560
	s_waitcnt vmcnt(0) lgkmcnt(0)
	v_fmac_f64_e32 v[76:77], v[82:83], v[78:79]
	buffer_load_dword v79, off, s[0:3], 0 offset:284
	buffer_load_dword v78, off, s[0:3], 0 offset:280
	s_waitcnt vmcnt(0)
	v_fmac_f64_e32 v[76:77], v[78:79], v[80:81]
	v_add_f64 v[74:75], v[74:75], -v[76:77]
	buffer_store_dword v75, off, s[0:3], 0 offset:60
	buffer_store_dword v74, off, s[0:3], 0 offset:56
	s_and_saveexec_b64 s[4:5], vcc
	s_cbranch_execz .LBB35_211
; %bb.210:
	buffer_load_dword v74, off, s[0:3], 0 offset:48
	buffer_load_dword v75, off, s[0:3], 0 offset:52
	v_mov_b32_e32 v76, 0
	buffer_store_dword v76, off, s[0:3], 0 offset:48
	buffer_store_dword v76, off, s[0:3], 0 offset:52
	s_waitcnt vmcnt(2)
	ds_write_b64 v1, v[74:75]
.LBB35_211:
	s_or_b64 exec, exec, s[4:5]
	s_waitcnt lgkmcnt(0)
	; wave barrier
	s_waitcnt lgkmcnt(0)
	buffer_load_dword v74, off, s[0:3], 0 offset:48
	buffer_load_dword v75, off, s[0:3], 0 offset:52
	;; [unrolled: 1-line block ×16, first 2 shown]
	v_mov_b32_e32 v78, 0
	ds_read2_b64 v[80:83], v78 offset0:43 offset1:44
	v_cmp_lt_u32_e32 vcc, 5, v0
	s_waitcnt vmcnt(12) lgkmcnt(0)
	v_fma_f64 v[76:77], v[76:77], v[80:81], 0
	s_waitcnt vmcnt(10)
	v_fmac_f64_e32 v[76:77], v[84:85], v[82:83]
	ds_read2_b64 v[80:83], v78 offset0:45 offset1:46
	s_waitcnt vmcnt(8) lgkmcnt(0)
	v_fmac_f64_e32 v[76:77], v[86:87], v[80:81]
	s_waitcnt vmcnt(6)
	v_fmac_f64_e32 v[76:77], v[88:89], v[82:83]
	ds_read2_b64 v[80:83], v78 offset0:47 offset1:48
	s_waitcnt vmcnt(4) lgkmcnt(0)
	v_fmac_f64_e32 v[76:77], v[90:91], v[80:81]
	s_waitcnt vmcnt(2)
	v_fmac_f64_e32 v[76:77], v[92:93], v[82:83]
	ds_read2_b64 v[80:83], v78 offset0:49 offset1:50
	s_waitcnt vmcnt(0) lgkmcnt(0)
	v_fmac_f64_e32 v[76:77], v[94:95], v[80:81]
	buffer_load_dword v81, off, s[0:3], 0 offset:116
	buffer_load_dword v80, off, s[0:3], 0 offset:112
	buffer_load_dword v85, off, s[0:3], 0 offset:124
	buffer_load_dword v84, off, s[0:3], 0 offset:120
	s_waitcnt vmcnt(2)
	v_fmac_f64_e32 v[76:77], v[80:81], v[82:83]
	ds_read2_b64 v[80:83], v78 offset0:51 offset1:52
	s_waitcnt vmcnt(0) lgkmcnt(0)
	v_fmac_f64_e32 v[76:77], v[84:85], v[80:81]
	buffer_load_dword v81, off, s[0:3], 0 offset:132
	buffer_load_dword v80, off, s[0:3], 0 offset:128
	buffer_load_dword v85, off, s[0:3], 0 offset:140
	buffer_load_dword v84, off, s[0:3], 0 offset:136
	s_waitcnt vmcnt(2)
	v_fmac_f64_e32 v[76:77], v[80:81], v[82:83]
	ds_read2_b64 v[80:83], v78 offset0:53 offset1:54
	s_waitcnt vmcnt(0) lgkmcnt(0)
	v_fmac_f64_e32 v[76:77], v[84:85], v[80:81]
	;; [unrolled: 9-line block ×10, first 2 shown]
	buffer_load_dword v81, off, s[0:3], 0 offset:276
	buffer_load_dword v80, off, s[0:3], 0 offset:272
	s_waitcnt vmcnt(0)
	v_fmac_f64_e32 v[76:77], v[80:81], v[82:83]
	buffer_load_dword v81, off, s[0:3], 0 offset:284
	buffer_load_dword v80, off, s[0:3], 0 offset:280
	ds_read_b64 v[82:83], v78 offset:568
	s_waitcnt vmcnt(0) lgkmcnt(0)
	v_fmac_f64_e32 v[76:77], v[80:81], v[82:83]
	v_add_f64 v[74:75], v[74:75], -v[76:77]
	buffer_store_dword v75, off, s[0:3], 0 offset:52
	buffer_store_dword v74, off, s[0:3], 0 offset:48
	s_and_saveexec_b64 s[4:5], vcc
	s_cbranch_execz .LBB35_213
; %bb.212:
	buffer_load_dword v74, off, s[0:3], 0 offset:40
	buffer_load_dword v75, off, s[0:3], 0 offset:44
	s_waitcnt vmcnt(0)
	ds_write_b64 v1, v[74:75]
	buffer_store_dword v78, off, s[0:3], 0 offset:40
	buffer_store_dword v78, off, s[0:3], 0 offset:44
.LBB35_213:
	s_or_b64 exec, exec, s[4:5]
	s_waitcnt lgkmcnt(0)
	; wave barrier
	s_waitcnt lgkmcnt(0)
	buffer_load_dword v74, off, s[0:3], 0 offset:40
	buffer_load_dword v75, off, s[0:3], 0 offset:44
	;; [unrolled: 1-line block ×16, first 2 shown]
	ds_read_b128 v[80:83], v78 offset:336
	ds_read_b128 v[84:87], v78 offset:352
	;; [unrolled: 1-line block ×4, first 2 shown]
	v_cmp_lt_u32_e32 vcc, 4, v0
	s_waitcnt vmcnt(12) lgkmcnt(3)
	v_fma_f64 v[76:77], v[76:77], v[80:81], 0
	buffer_load_dword v81, off, s[0:3], 0 offset:108
	buffer_load_dword v80, off, s[0:3], 0 offset:104
	s_waitcnt vmcnt(12)
	v_fmac_f64_e32 v[76:77], v[96:97], v[82:83]
	s_waitcnt vmcnt(10) lgkmcnt(2)
	v_fmac_f64_e32 v[76:77], v[98:99], v[84:85]
	buffer_load_dword v85, off, s[0:3], 0 offset:116
	buffer_load_dword v84, off, s[0:3], 0 offset:112
	s_waitcnt vmcnt(10)
	v_fmac_f64_e32 v[76:77], v[100:101], v[86:87]
	s_waitcnt vmcnt(8) lgkmcnt(1)
	v_fmac_f64_e32 v[76:77], v[102:103], v[88:89]
	s_waitcnt vmcnt(6)
	v_fmac_f64_e32 v[76:77], v[104:105], v[90:91]
	s_waitcnt vmcnt(4) lgkmcnt(0)
	v_fmac_f64_e32 v[76:77], v[106:107], v[92:93]
	s_waitcnt vmcnt(2)
	v_fmac_f64_e32 v[76:77], v[80:81], v[94:95]
	ds_read_b128 v[80:83], v78 offset:400
	s_waitcnt vmcnt(0) lgkmcnt(0)
	v_fmac_f64_e32 v[76:77], v[84:85], v[80:81]
	buffer_load_dword v81, off, s[0:3], 0 offset:124
	buffer_load_dword v80, off, s[0:3], 0 offset:120
	buffer_load_dword v85, off, s[0:3], 0 offset:132
	buffer_load_dword v84, off, s[0:3], 0 offset:128
	s_waitcnt vmcnt(2)
	v_fmac_f64_e32 v[76:77], v[80:81], v[82:83]
	ds_read_b128 v[80:83], v78 offset:416
	s_waitcnt vmcnt(0) lgkmcnt(0)
	v_fmac_f64_e32 v[76:77], v[84:85], v[80:81]
	buffer_load_dword v81, off, s[0:3], 0 offset:140
	buffer_load_dword v80, off, s[0:3], 0 offset:136
	buffer_load_dword v85, off, s[0:3], 0 offset:148
	buffer_load_dword v84, off, s[0:3], 0 offset:144
	;; [unrolled: 9-line block ×9, first 2 shown]
	s_waitcnt vmcnt(2)
	v_fmac_f64_e32 v[76:77], v[80:81], v[82:83]
	ds_read_b128 v[80:83], v78 offset:544
	s_waitcnt vmcnt(0) lgkmcnt(0)
	v_fmac_f64_e32 v[76:77], v[84:85], v[80:81]
	buffer_load_dword v81, off, s[0:3], 0 offset:268
	buffer_load_dword v80, off, s[0:3], 0 offset:264
	s_waitcnt vmcnt(0)
	v_fmac_f64_e32 v[76:77], v[80:81], v[82:83]
	buffer_load_dword v83, off, s[0:3], 0 offset:276
	buffer_load_dword v82, off, s[0:3], 0 offset:272
	ds_read_b128 v[78:81], v78 offset:560
	s_waitcnt vmcnt(0) lgkmcnt(0)
	v_fmac_f64_e32 v[76:77], v[82:83], v[78:79]
	buffer_load_dword v79, off, s[0:3], 0 offset:284
	buffer_load_dword v78, off, s[0:3], 0 offset:280
	s_waitcnt vmcnt(0)
	v_fmac_f64_e32 v[76:77], v[78:79], v[80:81]
	v_add_f64 v[74:75], v[74:75], -v[76:77]
	buffer_store_dword v75, off, s[0:3], 0 offset:44
	buffer_store_dword v74, off, s[0:3], 0 offset:40
	s_and_saveexec_b64 s[4:5], vcc
	s_cbranch_execz .LBB35_215
; %bb.214:
	buffer_load_dword v74, off, s[0:3], 0 offset:32
	buffer_load_dword v75, off, s[0:3], 0 offset:36
	v_mov_b32_e32 v76, 0
	buffer_store_dword v76, off, s[0:3], 0 offset:32
	buffer_store_dword v76, off, s[0:3], 0 offset:36
	s_waitcnt vmcnt(2)
	ds_write_b64 v1, v[74:75]
.LBB35_215:
	s_or_b64 exec, exec, s[4:5]
	s_waitcnt lgkmcnt(0)
	; wave barrier
	s_waitcnt lgkmcnt(0)
	buffer_load_dword v74, off, s[0:3], 0 offset:32
	buffer_load_dword v75, off, s[0:3], 0 offset:36
	;; [unrolled: 1-line block ×16, first 2 shown]
	v_mov_b32_e32 v78, 0
	ds_read2_b64 v[80:83], v78 offset0:41 offset1:42
	v_cmp_lt_u32_e32 vcc, 3, v0
	s_waitcnt vmcnt(12) lgkmcnt(0)
	v_fma_f64 v[76:77], v[76:77], v[80:81], 0
	s_waitcnt vmcnt(10)
	v_fmac_f64_e32 v[76:77], v[84:85], v[82:83]
	ds_read2_b64 v[80:83], v78 offset0:43 offset1:44
	s_waitcnt vmcnt(8) lgkmcnt(0)
	v_fmac_f64_e32 v[76:77], v[86:87], v[80:81]
	s_waitcnt vmcnt(6)
	v_fmac_f64_e32 v[76:77], v[88:89], v[82:83]
	ds_read2_b64 v[80:83], v78 offset0:45 offset1:46
	s_waitcnt vmcnt(4) lgkmcnt(0)
	v_fmac_f64_e32 v[76:77], v[90:91], v[80:81]
	;; [unrolled: 5-line block ×3, first 2 shown]
	buffer_load_dword v81, off, s[0:3], 0 offset:100
	buffer_load_dword v80, off, s[0:3], 0 offset:96
	buffer_load_dword v85, off, s[0:3], 0 offset:108
	buffer_load_dword v84, off, s[0:3], 0 offset:104
	s_waitcnt vmcnt(2)
	v_fmac_f64_e32 v[76:77], v[80:81], v[82:83]
	ds_read2_b64 v[80:83], v78 offset0:49 offset1:50
	s_waitcnt vmcnt(0) lgkmcnt(0)
	v_fmac_f64_e32 v[76:77], v[84:85], v[80:81]
	buffer_load_dword v81, off, s[0:3], 0 offset:116
	buffer_load_dword v80, off, s[0:3], 0 offset:112
	buffer_load_dword v85, off, s[0:3], 0 offset:124
	buffer_load_dword v84, off, s[0:3], 0 offset:120
	s_waitcnt vmcnt(2)
	v_fmac_f64_e32 v[76:77], v[80:81], v[82:83]
	ds_read2_b64 v[80:83], v78 offset0:51 offset1:52
	s_waitcnt vmcnt(0) lgkmcnt(0)
	v_fmac_f64_e32 v[76:77], v[84:85], v[80:81]
	;; [unrolled: 9-line block ×11, first 2 shown]
	buffer_load_dword v81, off, s[0:3], 0 offset:276
	buffer_load_dword v80, off, s[0:3], 0 offset:272
	s_waitcnt vmcnt(0)
	v_fmac_f64_e32 v[76:77], v[80:81], v[82:83]
	buffer_load_dword v81, off, s[0:3], 0 offset:284
	buffer_load_dword v80, off, s[0:3], 0 offset:280
	ds_read_b64 v[82:83], v78 offset:568
	s_waitcnt vmcnt(0) lgkmcnt(0)
	v_fmac_f64_e32 v[76:77], v[80:81], v[82:83]
	v_add_f64 v[74:75], v[74:75], -v[76:77]
	buffer_store_dword v75, off, s[0:3], 0 offset:36
	buffer_store_dword v74, off, s[0:3], 0 offset:32
	s_and_saveexec_b64 s[4:5], vcc
	s_cbranch_execz .LBB35_217
; %bb.216:
	buffer_load_dword v74, off, s[0:3], 0 offset:24
	buffer_load_dword v75, off, s[0:3], 0 offset:28
	s_waitcnt vmcnt(0)
	ds_write_b64 v1, v[74:75]
	buffer_store_dword v78, off, s[0:3], 0 offset:24
	buffer_store_dword v78, off, s[0:3], 0 offset:28
.LBB35_217:
	s_or_b64 exec, exec, s[4:5]
	s_waitcnt lgkmcnt(0)
	; wave barrier
	s_waitcnt lgkmcnt(0)
	buffer_load_dword v74, off, s[0:3], 0 offset:24
	buffer_load_dword v75, off, s[0:3], 0 offset:28
	;; [unrolled: 1-line block ×16, first 2 shown]
	ds_read_b128 v[80:83], v78 offset:320
	ds_read_b128 v[84:87], v78 offset:336
	;; [unrolled: 1-line block ×4, first 2 shown]
	v_cmp_lt_u32_e32 vcc, 2, v0
	s_waitcnt vmcnt(12) lgkmcnt(3)
	v_fma_f64 v[76:77], v[76:77], v[80:81], 0
	buffer_load_dword v81, off, s[0:3], 0 offset:92
	buffer_load_dword v80, off, s[0:3], 0 offset:88
	s_waitcnt vmcnt(12)
	v_fmac_f64_e32 v[76:77], v[96:97], v[82:83]
	s_waitcnt vmcnt(10) lgkmcnt(2)
	v_fmac_f64_e32 v[76:77], v[98:99], v[84:85]
	buffer_load_dword v85, off, s[0:3], 0 offset:100
	buffer_load_dword v84, off, s[0:3], 0 offset:96
	s_waitcnt vmcnt(10)
	v_fmac_f64_e32 v[76:77], v[100:101], v[86:87]
	s_waitcnt vmcnt(8) lgkmcnt(1)
	v_fmac_f64_e32 v[76:77], v[102:103], v[88:89]
	s_waitcnt vmcnt(6)
	v_fmac_f64_e32 v[76:77], v[104:105], v[90:91]
	s_waitcnt vmcnt(4) lgkmcnt(0)
	v_fmac_f64_e32 v[76:77], v[106:107], v[92:93]
	s_waitcnt vmcnt(2)
	v_fmac_f64_e32 v[76:77], v[80:81], v[94:95]
	ds_read_b128 v[80:83], v78 offset:384
	s_waitcnt vmcnt(0) lgkmcnt(0)
	v_fmac_f64_e32 v[76:77], v[84:85], v[80:81]
	buffer_load_dword v81, off, s[0:3], 0 offset:108
	buffer_load_dword v80, off, s[0:3], 0 offset:104
	buffer_load_dword v85, off, s[0:3], 0 offset:116
	buffer_load_dword v84, off, s[0:3], 0 offset:112
	s_waitcnt vmcnt(2)
	v_fmac_f64_e32 v[76:77], v[80:81], v[82:83]
	ds_read_b128 v[80:83], v78 offset:400
	s_waitcnt vmcnt(0) lgkmcnt(0)
	v_fmac_f64_e32 v[76:77], v[84:85], v[80:81]
	buffer_load_dword v81, off, s[0:3], 0 offset:124
	buffer_load_dword v80, off, s[0:3], 0 offset:120
	buffer_load_dword v85, off, s[0:3], 0 offset:132
	buffer_load_dword v84, off, s[0:3], 0 offset:128
	;; [unrolled: 9-line block ×10, first 2 shown]
	s_waitcnt vmcnt(2)
	v_fmac_f64_e32 v[76:77], v[80:81], v[82:83]
	ds_read_b128 v[80:83], v78 offset:544
	s_waitcnt vmcnt(0) lgkmcnt(0)
	v_fmac_f64_e32 v[76:77], v[84:85], v[80:81]
	buffer_load_dword v81, off, s[0:3], 0 offset:268
	buffer_load_dword v80, off, s[0:3], 0 offset:264
	s_waitcnt vmcnt(0)
	v_fmac_f64_e32 v[76:77], v[80:81], v[82:83]
	buffer_load_dword v83, off, s[0:3], 0 offset:276
	buffer_load_dword v82, off, s[0:3], 0 offset:272
	ds_read_b128 v[78:81], v78 offset:560
	s_waitcnt vmcnt(0) lgkmcnt(0)
	v_fmac_f64_e32 v[76:77], v[82:83], v[78:79]
	buffer_load_dword v79, off, s[0:3], 0 offset:284
	buffer_load_dword v78, off, s[0:3], 0 offset:280
	s_waitcnt vmcnt(0)
	v_fmac_f64_e32 v[76:77], v[78:79], v[80:81]
	v_add_f64 v[74:75], v[74:75], -v[76:77]
	buffer_store_dword v75, off, s[0:3], 0 offset:28
	buffer_store_dword v74, off, s[0:3], 0 offset:24
	s_and_saveexec_b64 s[4:5], vcc
	s_cbranch_execz .LBB35_219
; %bb.218:
	buffer_load_dword v74, off, s[0:3], 0 offset:16
	buffer_load_dword v75, off, s[0:3], 0 offset:20
	v_mov_b32_e32 v76, 0
	buffer_store_dword v76, off, s[0:3], 0 offset:16
	buffer_store_dword v76, off, s[0:3], 0 offset:20
	s_waitcnt vmcnt(2)
	ds_write_b64 v1, v[74:75]
.LBB35_219:
	s_or_b64 exec, exec, s[4:5]
	s_waitcnt lgkmcnt(0)
	; wave barrier
	s_waitcnt lgkmcnt(0)
	buffer_load_dword v74, off, s[0:3], 0 offset:16
	buffer_load_dword v75, off, s[0:3], 0 offset:20
	;; [unrolled: 1-line block ×16, first 2 shown]
	v_mov_b32_e32 v78, 0
	ds_read2_b64 v[80:83], v78 offset0:39 offset1:40
	v_cmp_lt_u32_e32 vcc, 1, v0
	s_waitcnt vmcnt(12) lgkmcnt(0)
	v_fma_f64 v[76:77], v[76:77], v[80:81], 0
	s_waitcnt vmcnt(10)
	v_fmac_f64_e32 v[76:77], v[84:85], v[82:83]
	ds_read2_b64 v[80:83], v78 offset0:41 offset1:42
	s_waitcnt vmcnt(8) lgkmcnt(0)
	v_fmac_f64_e32 v[76:77], v[86:87], v[80:81]
	s_waitcnt vmcnt(6)
	v_fmac_f64_e32 v[76:77], v[88:89], v[82:83]
	ds_read2_b64 v[80:83], v78 offset0:43 offset1:44
	s_waitcnt vmcnt(4) lgkmcnt(0)
	v_fmac_f64_e32 v[76:77], v[90:91], v[80:81]
	;; [unrolled: 5-line block ×3, first 2 shown]
	buffer_load_dword v81, off, s[0:3], 0 offset:84
	buffer_load_dword v80, off, s[0:3], 0 offset:80
	buffer_load_dword v85, off, s[0:3], 0 offset:92
	buffer_load_dword v84, off, s[0:3], 0 offset:88
	s_waitcnt vmcnt(2)
	v_fmac_f64_e32 v[76:77], v[80:81], v[82:83]
	ds_read2_b64 v[80:83], v78 offset0:47 offset1:48
	s_waitcnt vmcnt(0) lgkmcnt(0)
	v_fmac_f64_e32 v[76:77], v[84:85], v[80:81]
	buffer_load_dword v81, off, s[0:3], 0 offset:100
	buffer_load_dword v80, off, s[0:3], 0 offset:96
	buffer_load_dword v85, off, s[0:3], 0 offset:108
	buffer_load_dword v84, off, s[0:3], 0 offset:104
	s_waitcnt vmcnt(2)
	v_fmac_f64_e32 v[76:77], v[80:81], v[82:83]
	ds_read2_b64 v[80:83], v78 offset0:49 offset1:50
	s_waitcnt vmcnt(0) lgkmcnt(0)
	v_fmac_f64_e32 v[76:77], v[84:85], v[80:81]
	;; [unrolled: 9-line block ×12, first 2 shown]
	buffer_load_dword v81, off, s[0:3], 0 offset:276
	buffer_load_dword v80, off, s[0:3], 0 offset:272
	s_waitcnt vmcnt(0)
	v_fmac_f64_e32 v[76:77], v[80:81], v[82:83]
	buffer_load_dword v81, off, s[0:3], 0 offset:284
	buffer_load_dword v80, off, s[0:3], 0 offset:280
	ds_read_b64 v[82:83], v78 offset:568
	s_waitcnt vmcnt(0) lgkmcnt(0)
	v_fmac_f64_e32 v[76:77], v[80:81], v[82:83]
	v_add_f64 v[74:75], v[74:75], -v[76:77]
	buffer_store_dword v75, off, s[0:3], 0 offset:20
	buffer_store_dword v74, off, s[0:3], 0 offset:16
	s_and_saveexec_b64 s[4:5], vcc
	s_cbranch_execz .LBB35_221
; %bb.220:
	buffer_load_dword v74, off, s[0:3], 0 offset:8
	buffer_load_dword v75, off, s[0:3], 0 offset:12
	s_waitcnt vmcnt(0)
	ds_write_b64 v1, v[74:75]
	buffer_store_dword v78, off, s[0:3], 0 offset:8
	buffer_store_dword v78, off, s[0:3], 0 offset:12
.LBB35_221:
	s_or_b64 exec, exec, s[4:5]
	s_waitcnt lgkmcnt(0)
	; wave barrier
	s_waitcnt lgkmcnt(0)
	buffer_load_dword v74, off, s[0:3], 0 offset:8
	buffer_load_dword v75, off, s[0:3], 0 offset:12
	;; [unrolled: 1-line block ×16, first 2 shown]
	ds_read_b128 v[80:83], v78 offset:304
	ds_read_b128 v[84:87], v78 offset:320
	;; [unrolled: 1-line block ×4, first 2 shown]
	v_cmp_ne_u32_e32 vcc, 0, v0
	s_waitcnt vmcnt(12) lgkmcnt(3)
	v_fma_f64 v[76:77], v[76:77], v[80:81], 0
	buffer_load_dword v81, off, s[0:3], 0 offset:76
	buffer_load_dword v80, off, s[0:3], 0 offset:72
	s_waitcnt vmcnt(12)
	v_fmac_f64_e32 v[76:77], v[96:97], v[82:83]
	s_waitcnt vmcnt(10) lgkmcnt(2)
	v_fmac_f64_e32 v[76:77], v[98:99], v[84:85]
	buffer_load_dword v85, off, s[0:3], 0 offset:84
	buffer_load_dword v84, off, s[0:3], 0 offset:80
	s_waitcnt vmcnt(10)
	v_fmac_f64_e32 v[76:77], v[100:101], v[86:87]
	s_waitcnt vmcnt(8) lgkmcnt(1)
	v_fmac_f64_e32 v[76:77], v[102:103], v[88:89]
	s_waitcnt vmcnt(6)
	v_fmac_f64_e32 v[76:77], v[104:105], v[90:91]
	s_waitcnt vmcnt(4) lgkmcnt(0)
	v_fmac_f64_e32 v[76:77], v[106:107], v[92:93]
	s_waitcnt vmcnt(2)
	v_fmac_f64_e32 v[76:77], v[80:81], v[94:95]
	ds_read_b128 v[80:83], v78 offset:368
	s_waitcnt vmcnt(0) lgkmcnt(0)
	v_fmac_f64_e32 v[76:77], v[84:85], v[80:81]
	buffer_load_dword v81, off, s[0:3], 0 offset:92
	buffer_load_dword v80, off, s[0:3], 0 offset:88
	buffer_load_dword v85, off, s[0:3], 0 offset:100
	buffer_load_dword v84, off, s[0:3], 0 offset:96
	s_waitcnt vmcnt(2)
	v_fmac_f64_e32 v[76:77], v[80:81], v[82:83]
	ds_read_b128 v[80:83], v78 offset:384
	s_waitcnt vmcnt(0) lgkmcnt(0)
	v_fmac_f64_e32 v[76:77], v[84:85], v[80:81]
	buffer_load_dword v81, off, s[0:3], 0 offset:108
	buffer_load_dword v80, off, s[0:3], 0 offset:104
	buffer_load_dword v85, off, s[0:3], 0 offset:116
	buffer_load_dword v84, off, s[0:3], 0 offset:112
	s_waitcnt vmcnt(2)
	v_fmac_f64_e32 v[76:77], v[80:81], v[82:83]
	ds_read_b128 v[80:83], v78 offset:400
	s_waitcnt vmcnt(0) lgkmcnt(0)
	v_fmac_f64_e32 v[76:77], v[84:85], v[80:81]
	buffer_load_dword v81, off, s[0:3], 0 offset:124
	buffer_load_dword v80, off, s[0:3], 0 offset:120
	buffer_load_dword v85, off, s[0:3], 0 offset:132
	buffer_load_dword v84, off, s[0:3], 0 offset:128
	s_waitcnt vmcnt(2)
	v_fmac_f64_e32 v[76:77], v[80:81], v[82:83]
	ds_read_b128 v[80:83], v78 offset:416
	s_waitcnt vmcnt(0) lgkmcnt(0)
	v_fmac_f64_e32 v[76:77], v[84:85], v[80:81]
	buffer_load_dword v81, off, s[0:3], 0 offset:140
	buffer_load_dword v80, off, s[0:3], 0 offset:136
	buffer_load_dword v85, off, s[0:3], 0 offset:148
	buffer_load_dword v84, off, s[0:3], 0 offset:144
	s_waitcnt vmcnt(2)
	v_fmac_f64_e32 v[76:77], v[80:81], v[82:83]
	ds_read_b128 v[80:83], v78 offset:432
	s_waitcnt vmcnt(0) lgkmcnt(0)
	v_fmac_f64_e32 v[76:77], v[84:85], v[80:81]
	buffer_load_dword v81, off, s[0:3], 0 offset:156
	buffer_load_dword v80, off, s[0:3], 0 offset:152
	buffer_load_dword v85, off, s[0:3], 0 offset:164
	buffer_load_dword v84, off, s[0:3], 0 offset:160
	s_waitcnt vmcnt(2)
	v_fmac_f64_e32 v[76:77], v[80:81], v[82:83]
	ds_read_b128 v[80:83], v78 offset:448
	s_waitcnt vmcnt(0) lgkmcnt(0)
	v_fmac_f64_e32 v[76:77], v[84:85], v[80:81]
	buffer_load_dword v81, off, s[0:3], 0 offset:172
	buffer_load_dword v80, off, s[0:3], 0 offset:168
	buffer_load_dword v85, off, s[0:3], 0 offset:180
	buffer_load_dword v84, off, s[0:3], 0 offset:176
	s_waitcnt vmcnt(2)
	v_fmac_f64_e32 v[76:77], v[80:81], v[82:83]
	ds_read_b128 v[80:83], v78 offset:464
	s_waitcnt vmcnt(0) lgkmcnt(0)
	v_fmac_f64_e32 v[76:77], v[84:85], v[80:81]
	buffer_load_dword v81, off, s[0:3], 0 offset:188
	buffer_load_dword v80, off, s[0:3], 0 offset:184
	buffer_load_dword v85, off, s[0:3], 0 offset:196
	buffer_load_dword v84, off, s[0:3], 0 offset:192
	s_waitcnt vmcnt(2)
	v_fmac_f64_e32 v[76:77], v[80:81], v[82:83]
	ds_read_b128 v[80:83], v78 offset:480
	s_waitcnt vmcnt(0) lgkmcnt(0)
	v_fmac_f64_e32 v[76:77], v[84:85], v[80:81]
	buffer_load_dword v81, off, s[0:3], 0 offset:204
	buffer_load_dword v80, off, s[0:3], 0 offset:200
	buffer_load_dword v85, off, s[0:3], 0 offset:212
	buffer_load_dword v84, off, s[0:3], 0 offset:208
	s_waitcnt vmcnt(2)
	v_fmac_f64_e32 v[76:77], v[80:81], v[82:83]
	ds_read_b128 v[80:83], v78 offset:496
	s_waitcnt vmcnt(0) lgkmcnt(0)
	v_fmac_f64_e32 v[76:77], v[84:85], v[80:81]
	buffer_load_dword v81, off, s[0:3], 0 offset:220
	buffer_load_dword v80, off, s[0:3], 0 offset:216
	buffer_load_dword v85, off, s[0:3], 0 offset:228
	buffer_load_dword v84, off, s[0:3], 0 offset:224
	s_waitcnt vmcnt(2)
	v_fmac_f64_e32 v[76:77], v[80:81], v[82:83]
	ds_read_b128 v[80:83], v78 offset:512
	s_waitcnt vmcnt(0) lgkmcnt(0)
	v_fmac_f64_e32 v[76:77], v[84:85], v[80:81]
	buffer_load_dword v81, off, s[0:3], 0 offset:236
	buffer_load_dword v80, off, s[0:3], 0 offset:232
	buffer_load_dword v85, off, s[0:3], 0 offset:244
	buffer_load_dword v84, off, s[0:3], 0 offset:240
	s_waitcnt vmcnt(2)
	v_fmac_f64_e32 v[76:77], v[80:81], v[82:83]
	ds_read_b128 v[80:83], v78 offset:528
	s_waitcnt vmcnt(0) lgkmcnt(0)
	v_fmac_f64_e32 v[76:77], v[84:85], v[80:81]
	buffer_load_dword v81, off, s[0:3], 0 offset:252
	buffer_load_dword v80, off, s[0:3], 0 offset:248
	buffer_load_dword v85, off, s[0:3], 0 offset:260
	buffer_load_dword v84, off, s[0:3], 0 offset:256
	s_waitcnt vmcnt(2)
	v_fmac_f64_e32 v[76:77], v[80:81], v[82:83]
	ds_read_b128 v[80:83], v78 offset:544
	s_waitcnt vmcnt(0) lgkmcnt(0)
	v_fmac_f64_e32 v[76:77], v[84:85], v[80:81]
	buffer_load_dword v81, off, s[0:3], 0 offset:268
	buffer_load_dword v80, off, s[0:3], 0 offset:264
	s_waitcnt vmcnt(0)
	v_fmac_f64_e32 v[76:77], v[80:81], v[82:83]
	buffer_load_dword v83, off, s[0:3], 0 offset:276
	buffer_load_dword v82, off, s[0:3], 0 offset:272
	ds_read_b128 v[78:81], v78 offset:560
	s_waitcnt vmcnt(0) lgkmcnt(0)
	v_fmac_f64_e32 v[76:77], v[82:83], v[78:79]
	buffer_load_dword v79, off, s[0:3], 0 offset:284
	buffer_load_dword v78, off, s[0:3], 0 offset:280
	s_waitcnt vmcnt(0)
	v_fmac_f64_e32 v[76:77], v[78:79], v[80:81]
	v_add_f64 v[74:75], v[74:75], -v[76:77]
	buffer_store_dword v75, off, s[0:3], 0 offset:12
	buffer_store_dword v74, off, s[0:3], 0 offset:8
	s_and_saveexec_b64 s[4:5], vcc
	s_cbranch_execz .LBB35_223
; %bb.222:
	buffer_load_dword v74, off, s[0:3], 0
	buffer_load_dword v75, off, s[0:3], 0 offset:4
	v_mov_b32_e32 v0, 0
	buffer_store_dword v0, off, s[0:3], 0
	buffer_store_dword v0, off, s[0:3], 0 offset:4
	s_waitcnt vmcnt(2)
	ds_write_b64 v1, v[74:75]
.LBB35_223:
	s_or_b64 exec, exec, s[4:5]
	s_waitcnt lgkmcnt(0)
	; wave barrier
	s_waitcnt lgkmcnt(0)
	buffer_load_dword v0, off, s[0:3], 0
	buffer_load_dword v1, off, s[0:3], 0 offset:4
	buffer_load_dword v80, off, s[0:3], 0 offset:8
	;; [unrolled: 1-line block ×15, first 2 shown]
	v_mov_b32_e32 v78, 0
	ds_read2_b64 v[74:77], v78 offset0:37 offset1:38
	s_and_b64 vcc, exec, s[20:21]
	s_waitcnt vmcnt(12) lgkmcnt(0)
	v_fma_f64 v[74:75], v[80:81], v[74:75], 0
	s_waitcnt vmcnt(10)
	v_fmac_f64_e32 v[74:75], v[82:83], v[76:77]
	ds_read2_b64 v[80:83], v78 offset0:39 offset1:40
	s_waitcnt vmcnt(8) lgkmcnt(0)
	v_fmac_f64_e32 v[74:75], v[84:85], v[80:81]
	s_waitcnt vmcnt(6)
	v_fmac_f64_e32 v[74:75], v[86:87], v[82:83]
	ds_read2_b64 v[80:83], v78 offset0:41 offset1:42
	s_waitcnt vmcnt(4) lgkmcnt(0)
	v_fmac_f64_e32 v[74:75], v[88:89], v[80:81]
	s_waitcnt vmcnt(2)
	v_fmac_f64_e32 v[74:75], v[90:91], v[82:83]
	ds_read2_b64 v[80:83], v78 offset0:43 offset1:44
	buffer_load_dword v77, off, s[0:3], 0 offset:68
	buffer_load_dword v76, off, s[0:3], 0 offset:64
	s_waitcnt vmcnt(2) lgkmcnt(0)
	v_fmac_f64_e32 v[74:75], v[92:93], v[80:81]
	s_waitcnt vmcnt(0)
	v_fmac_f64_e32 v[74:75], v[76:77], v[82:83]
	buffer_load_dword v77, off, s[0:3], 0 offset:76
	buffer_load_dword v76, off, s[0:3], 0 offset:72
	ds_read2_b64 v[80:83], v78 offset0:45 offset1:46
	s_waitcnt vmcnt(0) lgkmcnt(0)
	v_fmac_f64_e32 v[74:75], v[76:77], v[80:81]
	buffer_load_dword v77, off, s[0:3], 0 offset:84
	buffer_load_dword v76, off, s[0:3], 0 offset:80
	s_waitcnt vmcnt(0)
	v_fmac_f64_e32 v[74:75], v[76:77], v[82:83]
	buffer_load_dword v77, off, s[0:3], 0 offset:92
	buffer_load_dword v76, off, s[0:3], 0 offset:88
	ds_read2_b64 v[80:83], v78 offset0:47 offset1:48
	s_waitcnt vmcnt(0) lgkmcnt(0)
	v_fmac_f64_e32 v[74:75], v[76:77], v[80:81]
	buffer_load_dword v77, off, s[0:3], 0 offset:100
	buffer_load_dword v76, off, s[0:3], 0 offset:96
	;; [unrolled: 9-line block ×13, first 2 shown]
	buffer_load_dword v81, off, s[0:3], 0 offset:284
	buffer_load_dword v80, off, s[0:3], 0 offset:280
	ds_read_b64 v[78:79], v78 offset:568
	s_waitcnt vmcnt(2)
	v_fmac_f64_e32 v[74:75], v[76:77], v[82:83]
	s_waitcnt vmcnt(0) lgkmcnt(0)
	v_fmac_f64_e32 v[74:75], v[80:81], v[78:79]
	v_add_f64 v[0:1], v[0:1], -v[74:75]
	buffer_store_dword v1, off, s[0:3], 0 offset:4
	buffer_store_dword v0, off, s[0:3], 0
	s_cbranch_vccz .LBB35_295
; %bb.224:
	v_pk_mov_b32 v[0:1], s[10:11], s[10:11] op_sel:[0,1]
	flat_load_dword v0, v[0:1] offset:136
	s_waitcnt vmcnt(0) lgkmcnt(0)
	v_add_u32_e32 v0, -1, v0
	v_cmp_ne_u32_e32 vcc, 34, v0
	s_and_saveexec_b64 s[4:5], vcc
	s_cbranch_execz .LBB35_226
; %bb.225:
	v_mov_b32_e32 v1, 0
	v_lshl_add_u32 v0, v0, 3, v1
	buffer_load_dword v1, v0, s[0:3], 0 offen offset:4
	buffer_load_dword v74, v0, s[0:3], 0 offen
	s_waitcnt vmcnt(1)
	buffer_store_dword v1, off, s[0:3], 0 offset:276
	s_waitcnt vmcnt(1)
	buffer_store_dword v74, off, s[0:3], 0 offset:272
	buffer_store_dword v77, v0, s[0:3], 0 offen offset:4
	buffer_store_dword v76, v0, s[0:3], 0 offen
.LBB35_226:
	s_or_b64 exec, exec, s[4:5]
	v_pk_mov_b32 v[0:1], s[10:11], s[10:11] op_sel:[0,1]
	flat_load_dword v0, v[0:1] offset:132
	s_waitcnt vmcnt(0) lgkmcnt(0)
	v_add_u32_e32 v0, -1, v0
	v_cmp_ne_u32_e32 vcc, 33, v0
	s_and_saveexec_b64 s[4:5], vcc
	s_cbranch_execz .LBB35_228
; %bb.227:
	v_mov_b32_e32 v1, 0
	v_lshl_add_u32 v0, v0, 3, v1
	buffer_load_dword v1, v0, s[0:3], 0 offen
	buffer_load_dword v74, v0, s[0:3], 0 offen offset:4
	buffer_load_dword v75, off, s[0:3], 0 offset:264
	buffer_load_dword v76, off, s[0:3], 0 offset:268
	s_waitcnt vmcnt(3)
	buffer_store_dword v1, off, s[0:3], 0 offset:264
	s_waitcnt vmcnt(3)
	buffer_store_dword v74, off, s[0:3], 0 offset:268
	s_waitcnt vmcnt(3)
	buffer_store_dword v75, v0, s[0:3], 0 offen
	s_waitcnt vmcnt(3)
	buffer_store_dword v76, v0, s[0:3], 0 offen offset:4
.LBB35_228:
	s_or_b64 exec, exec, s[4:5]
	v_pk_mov_b32 v[0:1], s[10:11], s[10:11] op_sel:[0,1]
	flat_load_dword v0, v[0:1] offset:128
	s_waitcnt vmcnt(0) lgkmcnt(0)
	v_add_u32_e32 v0, -1, v0
	v_cmp_ne_u32_e32 vcc, 32, v0
	s_and_saveexec_b64 s[4:5], vcc
	s_cbranch_execz .LBB35_230
; %bb.229:
	v_mov_b32_e32 v1, 0
	v_lshl_add_u32 v0, v0, 3, v1
	buffer_load_dword v1, v0, s[0:3], 0 offen
	buffer_load_dword v74, v0, s[0:3], 0 offen offset:4
	buffer_load_dword v75, off, s[0:3], 0 offset:260
	buffer_load_dword v76, off, s[0:3], 0 offset:256
	s_waitcnt vmcnt(3)
	buffer_store_dword v1, off, s[0:3], 0 offset:256
	s_waitcnt vmcnt(3)
	buffer_store_dword v74, off, s[0:3], 0 offset:260
	s_waitcnt vmcnt(3)
	buffer_store_dword v75, v0, s[0:3], 0 offen offset:4
	s_waitcnt vmcnt(3)
	buffer_store_dword v76, v0, s[0:3], 0 offen
.LBB35_230:
	s_or_b64 exec, exec, s[4:5]
	v_pk_mov_b32 v[0:1], s[10:11], s[10:11] op_sel:[0,1]
	flat_load_dword v0, v[0:1] offset:124
	s_waitcnt vmcnt(0) lgkmcnt(0)
	v_add_u32_e32 v0, -1, v0
	v_cmp_ne_u32_e32 vcc, 31, v0
	s_and_saveexec_b64 s[4:5], vcc
	s_cbranch_execz .LBB35_232
; %bb.231:
	v_mov_b32_e32 v1, 0
	v_lshl_add_u32 v0, v0, 3, v1
	buffer_load_dword v1, v0, s[0:3], 0 offen
	buffer_load_dword v74, v0, s[0:3], 0 offen offset:4
	buffer_load_dword v75, off, s[0:3], 0 offset:248
	buffer_load_dword v76, off, s[0:3], 0 offset:252
	s_waitcnt vmcnt(3)
	buffer_store_dword v1, off, s[0:3], 0 offset:248
	s_waitcnt vmcnt(3)
	buffer_store_dword v74, off, s[0:3], 0 offset:252
	s_waitcnt vmcnt(3)
	buffer_store_dword v75, v0, s[0:3], 0 offen
	s_waitcnt vmcnt(3)
	buffer_store_dword v76, v0, s[0:3], 0 offen offset:4
.LBB35_232:
	s_or_b64 exec, exec, s[4:5]
	v_pk_mov_b32 v[0:1], s[10:11], s[10:11] op_sel:[0,1]
	flat_load_dword v0, v[0:1] offset:120
	s_waitcnt vmcnt(0) lgkmcnt(0)
	v_add_u32_e32 v0, -1, v0
	v_cmp_ne_u32_e32 vcc, 30, v0
	s_and_saveexec_b64 s[4:5], vcc
	s_cbranch_execz .LBB35_234
; %bb.233:
	v_mov_b32_e32 v1, 0
	v_lshl_add_u32 v0, v0, 3, v1
	buffer_load_dword v1, v0, s[0:3], 0 offen
	buffer_load_dword v74, v0, s[0:3], 0 offen offset:4
	buffer_load_dword v75, off, s[0:3], 0 offset:244
	buffer_load_dword v76, off, s[0:3], 0 offset:240
	s_waitcnt vmcnt(3)
	buffer_store_dword v1, off, s[0:3], 0 offset:240
	s_waitcnt vmcnt(3)
	buffer_store_dword v74, off, s[0:3], 0 offset:244
	s_waitcnt vmcnt(3)
	buffer_store_dword v75, v0, s[0:3], 0 offen offset:4
	s_waitcnt vmcnt(3)
	buffer_store_dword v76, v0, s[0:3], 0 offen
.LBB35_234:
	;; [unrolled: 48-line block ×16, first 2 shown]
	s_or_b64 exec, exec, s[4:5]
	v_pk_mov_b32 v[0:1], s[10:11], s[10:11] op_sel:[0,1]
	flat_load_dword v0, v[0:1] offset:4
	s_waitcnt vmcnt(0) lgkmcnt(0)
	v_add_u32_e32 v0, -1, v0
	v_cmp_ne_u32_e32 vcc, 1, v0
	s_and_saveexec_b64 s[4:5], vcc
	s_cbranch_execz .LBB35_292
; %bb.291:
	v_mov_b32_e32 v1, 0
	v_lshl_add_u32 v0, v0, 3, v1
	buffer_load_dword v1, v0, s[0:3], 0 offen
	buffer_load_dword v74, v0, s[0:3], 0 offen offset:4
	buffer_load_dword v75, off, s[0:3], 0 offset:8
	buffer_load_dword v76, off, s[0:3], 0 offset:12
	s_waitcnt vmcnt(3)
	buffer_store_dword v1, off, s[0:3], 0 offset:8
	s_waitcnt vmcnt(3)
	buffer_store_dword v74, off, s[0:3], 0 offset:12
	s_waitcnt vmcnt(3)
	buffer_store_dword v75, v0, s[0:3], 0 offen
	s_waitcnt vmcnt(3)
	buffer_store_dword v76, v0, s[0:3], 0 offen offset:4
.LBB35_292:
	s_or_b64 exec, exec, s[4:5]
	v_pk_mov_b32 v[0:1], s[10:11], s[10:11] op_sel:[0,1]
	flat_load_dword v74, v[0:1]
	s_nop 0
	buffer_load_dword v0, off, s[0:3], 0
	buffer_load_dword v1, off, s[0:3], 0 offset:4
	s_waitcnt vmcnt(0) lgkmcnt(0)
	v_add_u32_e32 v74, -1, v74
	v_cmp_ne_u32_e32 vcc, 0, v74
	s_and_saveexec_b64 s[4:5], vcc
	s_cbranch_execz .LBB35_294
; %bb.293:
	v_mov_b32_e32 v75, 0
	v_lshl_add_u32 v74, v74, 3, v75
	buffer_load_dword v75, v74, s[0:3], 0 offen offset:4
	buffer_load_dword v76, v74, s[0:3], 0 offen
	s_waitcnt vmcnt(1)
	buffer_store_dword v75, off, s[0:3], 0 offset:4
	s_waitcnt vmcnt(1)
	buffer_store_dword v76, off, s[0:3], 0
	buffer_store_dword v1, v74, s[0:3], 0 offen offset:4
	buffer_store_dword v0, v74, s[0:3], 0 offen
	buffer_load_dword v0, off, s[0:3], 0
	s_nop 0
	buffer_load_dword v1, off, s[0:3], 0 offset:4
.LBB35_294:
	s_or_b64 exec, exec, s[4:5]
.LBB35_295:
	s_waitcnt vmcnt(0)
	global_store_dwordx2 v[72:73], v[0:1], off
	buffer_load_dword v0, off, s[0:3], 0 offset:8
	s_nop 0
	buffer_load_dword v1, off, s[0:3], 0 offset:12
	buffer_load_dword v72, off, s[0:3], 0 offset:16
	;; [unrolled: 1-line block ×15, first 2 shown]
	s_waitcnt vmcnt(14)
	global_store_dwordx2 v[70:71], v[0:1], off
	s_waitcnt vmcnt(13)
	global_store_dwordx2 v[2:3], v[72:73], off
	;; [unrolled: 2-line block ×8, first 2 shown]
	buffer_load_dword v0, off, s[0:3], 0 offset:72
	buffer_load_dword v1, off, s[0:3], 0 offset:76
	s_waitcnt vmcnt(0)
	global_store_dwordx2 v[14:15], v[0:1], off
	buffer_load_dword v0, off, s[0:3], 0 offset:80
	s_nop 0
	buffer_load_dword v1, off, s[0:3], 0 offset:84
	s_waitcnt vmcnt(0)
	global_store_dwordx2 v[16:17], v[0:1], off
	buffer_load_dword v0, off, s[0:3], 0 offset:88
	s_nop 0
	;; [unrolled: 5-line block ×26, first 2 shown]
	buffer_load_dword v1, off, s[0:3], 0 offset:284
	s_waitcnt vmcnt(0)
	global_store_dwordx2 v[54:55], v[0:1], off
	s_endpgm
	.section	.rodata,"a",@progbits
	.p2align	6, 0x0
	.amdhsa_kernel _ZN9rocsolver6v33100L18getri_kernel_smallILi36EdPdEEvT1_iilPiilS4_bb
		.amdhsa_group_segment_fixed_size 584
		.amdhsa_private_segment_fixed_size 304
		.amdhsa_kernarg_size 60
		.amdhsa_user_sgpr_count 8
		.amdhsa_user_sgpr_private_segment_buffer 1
		.amdhsa_user_sgpr_dispatch_ptr 0
		.amdhsa_user_sgpr_queue_ptr 0
		.amdhsa_user_sgpr_kernarg_segment_ptr 1
		.amdhsa_user_sgpr_dispatch_id 0
		.amdhsa_user_sgpr_flat_scratch_init 1
		.amdhsa_user_sgpr_kernarg_preload_length 0
		.amdhsa_user_sgpr_kernarg_preload_offset 0
		.amdhsa_user_sgpr_private_segment_size 0
		.amdhsa_uses_dynamic_stack 0
		.amdhsa_system_sgpr_private_segment_wavefront_offset 1
		.amdhsa_system_sgpr_workgroup_id_x 1
		.amdhsa_system_sgpr_workgroup_id_y 0
		.amdhsa_system_sgpr_workgroup_id_z 0
		.amdhsa_system_sgpr_workgroup_info 0
		.amdhsa_system_vgpr_workitem_id 0
		.amdhsa_next_free_vgpr 126
		.amdhsa_next_free_sgpr 23
		.amdhsa_accum_offset 128
		.amdhsa_reserve_vcc 1
		.amdhsa_reserve_flat_scratch 1
		.amdhsa_float_round_mode_32 0
		.amdhsa_float_round_mode_16_64 0
		.amdhsa_float_denorm_mode_32 3
		.amdhsa_float_denorm_mode_16_64 3
		.amdhsa_dx10_clamp 1
		.amdhsa_ieee_mode 1
		.amdhsa_fp16_overflow 0
		.amdhsa_tg_split 0
		.amdhsa_exception_fp_ieee_invalid_op 0
		.amdhsa_exception_fp_denorm_src 0
		.amdhsa_exception_fp_ieee_div_zero 0
		.amdhsa_exception_fp_ieee_overflow 0
		.amdhsa_exception_fp_ieee_underflow 0
		.amdhsa_exception_fp_ieee_inexact 0
		.amdhsa_exception_int_div_zero 0
	.end_amdhsa_kernel
	.section	.text._ZN9rocsolver6v33100L18getri_kernel_smallILi36EdPdEEvT1_iilPiilS4_bb,"axG",@progbits,_ZN9rocsolver6v33100L18getri_kernel_smallILi36EdPdEEvT1_iilPiilS4_bb,comdat
.Lfunc_end35:
	.size	_ZN9rocsolver6v33100L18getri_kernel_smallILi36EdPdEEvT1_iilPiilS4_bb, .Lfunc_end35-_ZN9rocsolver6v33100L18getri_kernel_smallILi36EdPdEEvT1_iilPiilS4_bb
                                        ; -- End function
	.section	.AMDGPU.csdata,"",@progbits
; Kernel info:
; codeLenInByte = 36592
; NumSgprs: 29
; NumVgprs: 126
; NumAgprs: 0
; TotalNumVgprs: 126
; ScratchSize: 304
; MemoryBound: 0
; FloatMode: 240
; IeeeMode: 1
; LDSByteSize: 584 bytes/workgroup (compile time only)
; SGPRBlocks: 3
; VGPRBlocks: 15
; NumSGPRsForWavesPerEU: 29
; NumVGPRsForWavesPerEU: 126
; AccumOffset: 128
; Occupancy: 4
; WaveLimiterHint : 1
; COMPUTE_PGM_RSRC2:SCRATCH_EN: 1
; COMPUTE_PGM_RSRC2:USER_SGPR: 8
; COMPUTE_PGM_RSRC2:TRAP_HANDLER: 0
; COMPUTE_PGM_RSRC2:TGID_X_EN: 1
; COMPUTE_PGM_RSRC2:TGID_Y_EN: 0
; COMPUTE_PGM_RSRC2:TGID_Z_EN: 0
; COMPUTE_PGM_RSRC2:TIDIG_COMP_CNT: 0
; COMPUTE_PGM_RSRC3_GFX90A:ACCUM_OFFSET: 31
; COMPUTE_PGM_RSRC3_GFX90A:TG_SPLIT: 0
	.section	.text._ZN9rocsolver6v33100L18getri_kernel_smallILi37EdPdEEvT1_iilPiilS4_bb,"axG",@progbits,_ZN9rocsolver6v33100L18getri_kernel_smallILi37EdPdEEvT1_iilPiilS4_bb,comdat
	.globl	_ZN9rocsolver6v33100L18getri_kernel_smallILi37EdPdEEvT1_iilPiilS4_bb ; -- Begin function _ZN9rocsolver6v33100L18getri_kernel_smallILi37EdPdEEvT1_iilPiilS4_bb
	.p2align	8
	.type	_ZN9rocsolver6v33100L18getri_kernel_smallILi37EdPdEEvT1_iilPiilS4_bb,@function
_ZN9rocsolver6v33100L18getri_kernel_smallILi37EdPdEEvT1_iilPiilS4_bb: ; @_ZN9rocsolver6v33100L18getri_kernel_smallILi37EdPdEEvT1_iilPiilS4_bb
; %bb.0:
	s_add_u32 flat_scratch_lo, s6, s9
	s_addc_u32 flat_scratch_hi, s7, 0
	s_add_u32 s0, s0, s9
	s_addc_u32 s1, s1, 0
	v_cmp_gt_u32_e32 vcc, 37, v0
	s_and_saveexec_b64 s[6:7], vcc
	s_cbranch_execz .LBB36_156
; %bb.1:
	s_load_dword s22, s[4:5], 0x38
	s_load_dwordx4 s[16:19], s[4:5], 0x10
	s_load_dwordx4 s[12:15], s[4:5], 0x28
                                        ; implicit-def: $sgpr10_sgpr11
	s_waitcnt lgkmcnt(0)
	s_bitcmp1_b32 s22, 8
	s_cselect_b64 s[20:21], -1, 0
	s_ashr_i32 s9, s8, 31
	s_bfe_u32 s6, s22, 0x10008
	s_cmp_eq_u32 s6, 0
	s_cbranch_scc1 .LBB36_3
; %bb.2:
	s_load_dword s6, s[4:5], 0x20
	s_mul_i32 s7, s8, s13
	s_mul_hi_u32 s10, s8, s12
	s_mul_i32 s11, s9, s12
	s_add_i32 s10, s10, s7
	s_add_i32 s11, s10, s11
	s_mul_i32 s10, s8, s12
	s_waitcnt lgkmcnt(0)
	s_ashr_i32 s7, s6, 31
	s_lshl_b64 s[10:11], s[10:11], 2
	s_add_u32 s10, s18, s10
	s_addc_u32 s11, s19, s11
	s_lshl_b64 s[6:7], s[6:7], 2
	s_add_u32 s10, s10, s6
	s_addc_u32 s11, s11, s7
.LBB36_3:
	s_load_dwordx4 s[4:7], s[4:5], 0x0
	s_mul_i32 s12, s8, s17
	s_mul_hi_u32 s13, s8, s16
	s_add_i32 s17, s13, s12
	s_waitcnt lgkmcnt(0)
	s_ashr_i32 s13, s6, 31
	s_mov_b32 s12, s6
	s_mul_i32 s6, s9, s16
	s_add_i32 s17, s17, s6
	s_mul_i32 s16, s8, s16
	s_lshl_b64 s[16:17], s[16:17], 3
	s_add_u32 s6, s4, s16
	s_addc_u32 s16, s5, s17
	s_lshl_b64 s[4:5], s[12:13], 3
	s_add_u32 s4, s6, s4
	s_addc_u32 s5, s16, s5
	s_add_i32 s6, s7, s7
	v_add_u32_e32 v4, s6, v0
	v_ashrrev_i32_e32 v5, 31, v4
	v_lshlrev_b64 v[2:3], 3, v[4:5]
	v_add_u32_e32 v6, s7, v4
	v_mov_b32_e32 v1, s5
	v_add_co_u32_e32 v2, vcc, s4, v2
	v_ashrrev_i32_e32 v7, 31, v6
	v_addc_co_u32_e32 v3, vcc, v1, v3, vcc
	v_lshlrev_b64 v[4:5], 3, v[6:7]
	v_add_u32_e32 v8, s7, v6
	v_add_co_u32_e32 v4, vcc, s4, v4
	v_ashrrev_i32_e32 v9, 31, v8
	v_addc_co_u32_e32 v5, vcc, v1, v5, vcc
	v_lshlrev_b64 v[6:7], 3, v[8:9]
	v_add_u32_e32 v10, s7, v8
	;; [unrolled: 5-line block ×5, first 2 shown]
	v_add_co_u32_e32 v12, vcc, s4, v12
	v_ashrrev_i32_e32 v15, 31, v14
	v_addc_co_u32_e32 v13, vcc, v1, v13, vcc
	v_lshlrev_b64 v[16:17], 3, v[14:15]
	v_add_co_u32_e32 v18, vcc, s4, v16
	v_add_u32_e32 v16, s7, v14
	v_addc_co_u32_e32 v19, vcc, v1, v17, vcc
	v_ashrrev_i32_e32 v17, 31, v16
	v_lshlrev_b64 v[14:15], 3, v[16:17]
	v_add_u32_e32 v20, s7, v16
	v_add_co_u32_e32 v14, vcc, s4, v14
	v_ashrrev_i32_e32 v21, 31, v20
	v_addc_co_u32_e32 v15, vcc, v1, v15, vcc
	v_lshlrev_b64 v[16:17], 3, v[20:21]
	v_add_u32_e32 v22, s7, v20
	v_add_co_u32_e32 v16, vcc, s4, v16
	v_ashrrev_i32_e32 v23, 31, v22
	v_addc_co_u32_e32 v17, vcc, v1, v17, vcc
	;; [unrolled: 5-line block ×18, first 2 shown]
	v_lshlrev_b64 v[52:53], 3, v[54:55]
	v_add_co_u32_e32 v52, vcc, s4, v52
	v_addc_co_u32_e32 v53, vcc, v1, v53, vcc
	v_lshlrev_b32_e32 v1, 3, v0
	v_mov_b32_e32 v58, s5
	v_add_co_u32_e32 v74, vcc, s4, v1
	s_ashr_i32 s13, s7, 31
	s_mov_b32 s12, s7
	v_addc_co_u32_e32 v75, vcc, 0, v58, vcc
	s_lshl_b64 s[12:13], s[12:13], 3
	global_load_dwordx2 v[76:77], v1, s[4:5]
	global_load_dwordx2 v[80:81], v[2:3], off
	v_mov_b32_e32 v58, s13
	v_add_co_u32_e32 v72, vcc, s12, v74
	v_addc_co_u32_e32 v73, vcc, v75, v58, vcc
	global_load_dwordx2 v[78:79], v[72:73], off
	global_load_dwordx2 v[82:83], v[4:5], off
	;; [unrolled: 1-line block ×11, first 2 shown]
	v_add_u32_e32 v54, s7, v54
	v_ashrrev_i32_e32 v55, 31, v54
	v_lshlrev_b64 v[56:57], 3, v[54:55]
	v_mov_b32_e32 v55, s5
	v_add_co_u32_e32 v56, vcc, s4, v56
	v_add_u32_e32 v54, s7, v54
	v_addc_co_u32_e32 v57, vcc, v55, v57, vcc
	v_ashrrev_i32_e32 v55, 31, v54
	v_lshlrev_b64 v[58:59], 3, v[54:55]
	v_mov_b32_e32 v55, s5
	v_add_co_u32_e32 v58, vcc, s4, v58
	v_add_u32_e32 v54, s7, v54
	v_addc_co_u32_e32 v59, vcc, v55, v59, vcc
	v_ashrrev_i32_e32 v55, 31, v54
	v_lshlrev_b64 v[60:61], 3, v[54:55]
	v_add_u32_e32 v54, s7, v54
	v_mov_b32_e32 v62, s5
	v_add_co_u32_e32 v60, vcc, s4, v60
	v_ashrrev_i32_e32 v55, 31, v54
	v_addc_co_u32_e32 v61, vcc, v62, v61, vcc
	v_lshlrev_b64 v[62:63], 3, v[54:55]
	v_add_u32_e32 v54, s7, v54
	v_mov_b32_e32 v64, s5
	v_add_co_u32_e32 v62, vcc, s4, v62
	v_ashrrev_i32_e32 v55, 31, v54
	v_addc_co_u32_e32 v63, vcc, v64, v63, vcc
	;; [unrolled: 6-line block ×4, first 2 shown]
	v_lshlrev_b64 v[68:69], 3, v[54:55]
	v_add_u32_e32 v54, s7, v54
	v_mov_b32_e32 v70, s5
	v_add_co_u32_e32 v68, vcc, s4, v68
	v_ashrrev_i32_e32 v55, 31, v54
	s_waitcnt vmcnt(12)
	buffer_store_dword v77, off, s[0:3], 0 offset:4
	buffer_store_dword v76, off, s[0:3], 0
	s_waitcnt vmcnt(12)
	buffer_store_dword v79, off, s[0:3], 0 offset:12
	v_addc_co_u32_e32 v69, vcc, v70, v69, vcc
	v_lshlrev_b64 v[70:71], 3, v[54:55]
	v_add_u32_e32 v54, s7, v54
	global_load_dwordx2 v[76:77], v[24:25], off
	v_mov_b32_e32 v102, s5
	v_add_co_u32_e32 v70, vcc, s4, v70
	v_ashrrev_i32_e32 v55, 31, v54
	v_addc_co_u32_e32 v71, vcc, v102, v71, vcc
	v_lshlrev_b64 v[54:55], 3, v[54:55]
	buffer_store_dword v78, off, s[0:3], 0 offset:8
	global_load_dwordx2 v[78:79], v[26:27], off
	v_add_co_u32_e32 v54, vcc, s4, v54
	v_addc_co_u32_e32 v55, vcc, v102, v55, vcc
	global_load_dwordx2 v[102:103], v[28:29], off
	global_load_dwordx2 v[104:105], v[32:33], off
	;; [unrolled: 1-line block ×11, first 2 shown]
	s_bitcmp0_b32 s22, 0
	buffer_store_dword v81, off, s[0:3], 0 offset:20
	buffer_store_dword v80, off, s[0:3], 0 offset:16
	global_load_dwordx2 v[80:81], v[30:31], off
	s_mov_b64 s[6:7], -1
	s_waitcnt vmcnt(29)
	buffer_store_dword v83, off, s[0:3], 0 offset:28
	buffer_store_dword v82, off, s[0:3], 0 offset:24
	global_load_dwordx2 v[82:83], v[34:35], off
	s_waitcnt vmcnt(31)
	buffer_store_dword v85, off, s[0:3], 0 offset:36
	buffer_store_dword v84, off, s[0:3], 0 offset:32
	global_load_dwordx2 v[84:85], v[38:39], off
	;; [unrolled: 4-line block ×6, first 2 shown]
	s_nop 0
	buffer_store_dword v94, off, s[0:3], 0 offset:72
	buffer_store_dword v95, off, s[0:3], 0 offset:76
	global_load_dwordx2 v[94:95], v[60:61], off
	s_waitcnt vmcnt(43)
	buffer_store_dword v96, off, s[0:3], 0 offset:80
	buffer_store_dword v97, off, s[0:3], 0 offset:84
	global_load_dwordx2 v[96:97], v[64:65], off
	s_waitcnt vmcnt(45)
	;; [unrolled: 4-line block ×4, first 2 shown]
	buffer_store_dword v76, off, s[0:3], 0 offset:104
	buffer_store_dword v77, off, s[0:3], 0 offset:108
	s_waitcnt vmcnt(46)
	buffer_store_dword v79, off, s[0:3], 0 offset:116
	buffer_store_dword v78, off, s[0:3], 0 offset:112
	s_waitcnt vmcnt(47)
	;; [unrolled: 3-line block ×3, first 2 shown]
	buffer_store_dword v80, off, s[0:3], 0 offset:128
	buffer_store_dword v81, off, s[0:3], 0 offset:132
	buffer_store_dword v104, off, s[0:3], 0 offset:136
	buffer_store_dword v105, off, s[0:3], 0 offset:140
	s_waitcnt vmcnt(37)
	buffer_store_dword v82, off, s[0:3], 0 offset:144
	buffer_store_dword v83, off, s[0:3], 0 offset:148
	buffer_store_dword v107, off, s[0:3], 0 offset:156
	buffer_store_dword v106, off, s[0:3], 0 offset:152
	s_waitcnt vmcnt(38)
	buffer_store_dword v85, off, s[0:3], 0 offset:164
	buffer_store_dword v84, off, s[0:3], 0 offset:160
	buffer_store_dword v108, off, s[0:3], 0 offset:168
	buffer_store_dword v109, off, s[0:3], 0 offset:172
	s_waitcnt vmcnt(39)
	buffer_store_dword v86, off, s[0:3], 0 offset:176
	buffer_store_dword v87, off, s[0:3], 0 offset:180
	buffer_store_dword v110, off, s[0:3], 0 offset:184
	buffer_store_dword v111, off, s[0:3], 0 offset:188
	s_waitcnt vmcnt(40)
	buffer_store_dword v88, off, s[0:3], 0 offset:192
	buffer_store_dword v89, off, s[0:3], 0 offset:196
	buffer_store_dword v113, off, s[0:3], 0 offset:204
	buffer_store_dword v112, off, s[0:3], 0 offset:200
	s_waitcnt vmcnt(41)
	buffer_store_dword v91, off, s[0:3], 0 offset:212
	buffer_store_dword v90, off, s[0:3], 0 offset:208
	buffer_store_dword v114, off, s[0:3], 0 offset:216
	buffer_store_dword v115, off, s[0:3], 0 offset:220
	s_waitcnt vmcnt(42)
	buffer_store_dword v92, off, s[0:3], 0 offset:224
	buffer_store_dword v93, off, s[0:3], 0 offset:228
	buffer_store_dword v116, off, s[0:3], 0 offset:232
	buffer_store_dword v117, off, s[0:3], 0 offset:236
	s_waitcnt vmcnt(43)
	buffer_store_dword v94, off, s[0:3], 0 offset:240
	buffer_store_dword v95, off, s[0:3], 0 offset:244
	buffer_store_dword v119, off, s[0:3], 0 offset:252
	buffer_store_dword v118, off, s[0:3], 0 offset:248
	s_waitcnt vmcnt(44)
	buffer_store_dword v97, off, s[0:3], 0 offset:260
	buffer_store_dword v96, off, s[0:3], 0 offset:256
	buffer_store_dword v120, off, s[0:3], 0 offset:264
	buffer_store_dword v121, off, s[0:3], 0 offset:268
	s_waitcnt vmcnt(45)
	buffer_store_dword v98, off, s[0:3], 0 offset:272
	buffer_store_dword v99, off, s[0:3], 0 offset:276
	buffer_store_dword v122, off, s[0:3], 0 offset:280
	buffer_store_dword v123, off, s[0:3], 0 offset:284
	s_waitcnt vmcnt(46)
	buffer_store_dword v100, off, s[0:3], 0 offset:288
	buffer_store_dword v101, off, s[0:3], 0 offset:292
	s_cbranch_scc1 .LBB36_154
; %bb.4:
	v_cmp_eq_u32_e64 s[4:5], 0, v0
	s_and_saveexec_b64 s[6:7], s[4:5]
	s_cbranch_execz .LBB36_6
; %bb.5:
	v_mov_b32_e32 v76, 0
	ds_write_b32 v76, v76 offset:296
.LBB36_6:
	s_or_b64 exec, exec, s[6:7]
	v_mov_b32_e32 v76, 0
	v_lshl_add_u32 v76, v0, 3, v76
	s_waitcnt lgkmcnt(0)
	; wave barrier
	s_waitcnt lgkmcnt(0)
	buffer_load_dword v78, v76, s[0:3], 0 offen
	buffer_load_dword v79, v76, s[0:3], 0 offen offset:4
	s_waitcnt vmcnt(0)
	v_cmp_eq_f64_e32 vcc, 0, v[78:79]
	s_and_saveexec_b64 s[12:13], vcc
	s_cbranch_execz .LBB36_10
; %bb.7:
	v_mov_b32_e32 v77, 0
	ds_read_b32 v79, v77 offset:296
	v_add_u32_e32 v78, 1, v0
	s_waitcnt lgkmcnt(0)
	v_readfirstlane_b32 s6, v79
	s_cmp_eq_u32 s6, 0
	s_cselect_b64 s[16:17], -1, 0
	v_cmp_gt_i32_e32 vcc, s6, v78
	s_or_b64 s[16:17], s[16:17], vcc
	s_and_b64 exec, exec, s[16:17]
	s_cbranch_execz .LBB36_10
; %bb.8:
	s_mov_b64 s[16:17], 0
	v_mov_b32_e32 v79, s6
.LBB36_9:                               ; =>This Inner Loop Header: Depth=1
	ds_cmpst_rtn_b32 v79, v77, v79, v78 offset:296
	s_waitcnt lgkmcnt(0)
	v_cmp_ne_u32_e32 vcc, 0, v79
	v_cmp_le_i32_e64 s[6:7], v79, v78
	s_and_b64 s[6:7], vcc, s[6:7]
	s_and_b64 s[6:7], exec, s[6:7]
	s_or_b64 s[16:17], s[6:7], s[16:17]
	s_andn2_b64 exec, exec, s[16:17]
	s_cbranch_execnz .LBB36_9
.LBB36_10:
	s_or_b64 exec, exec, s[12:13]
	v_mov_b32_e32 v78, 0
	s_waitcnt lgkmcnt(0)
	; wave barrier
	ds_read_b32 v77, v78 offset:296
	s_and_saveexec_b64 s[6:7], s[4:5]
	s_cbranch_execz .LBB36_12
; %bb.11:
	s_lshl_b64 s[12:13], s[8:9], 2
	s_add_u32 s12, s14, s12
	s_addc_u32 s13, s15, s13
	s_waitcnt lgkmcnt(0)
	global_store_dword v78, v77, s[12:13]
.LBB36_12:
	s_or_b64 exec, exec, s[6:7]
	s_waitcnt lgkmcnt(0)
	v_cmp_ne_u32_e32 vcc, 0, v77
	s_mov_b64 s[6:7], 0
	s_cbranch_vccnz .LBB36_154
; %bb.13:
	buffer_load_dword v78, v76, s[0:3], 0 offen
	buffer_load_dword v79, v76, s[0:3], 0 offen offset:4
	s_waitcnt vmcnt(0)
	v_div_scale_f64 v[80:81], s[6:7], v[78:79], v[78:79], 1.0
	v_rcp_f64_e32 v[82:83], v[80:81]
	v_div_scale_f64 v[84:85], vcc, 1.0, v[78:79], 1.0
	v_fma_f64 v[86:87], -v[80:81], v[82:83], 1.0
	v_fmac_f64_e32 v[82:83], v[82:83], v[86:87]
	v_fma_f64 v[86:87], -v[80:81], v[82:83], 1.0
	v_fmac_f64_e32 v[82:83], v[82:83], v[86:87]
	v_mul_f64 v[86:87], v[84:85], v[82:83]
	v_fma_f64 v[80:81], -v[80:81], v[86:87], v[84:85]
	v_div_fmas_f64 v[80:81], v[80:81], v[82:83], v[86:87]
	v_div_fixup_f64 v[80:81], v[80:81], v[78:79], 1.0
	buffer_store_dword v81, v76, s[0:3], 0 offen offset:4
	buffer_store_dword v80, v76, s[0:3], 0 offen
	buffer_load_dword v83, off, s[0:3], 0 offset:12
	buffer_load_dword v82, off, s[0:3], 0 offset:8
	v_add_u32_e32 v78, 0x130, v1
	v_xor_b32_e32 v81, 0x80000000, v81
	s_waitcnt vmcnt(0)
	ds_write2_b64 v1, v[80:81], v[82:83] offset1:38
	s_waitcnt lgkmcnt(0)
	; wave barrier
	s_waitcnt lgkmcnt(0)
	s_and_saveexec_b64 s[6:7], s[4:5]
	s_cbranch_execz .LBB36_15
; %bb.14:
	buffer_load_dword v80, v76, s[0:3], 0 offen
	buffer_load_dword v81, v76, s[0:3], 0 offen offset:4
	v_mov_b32_e32 v77, 0
	ds_read_b64 v[82:83], v78
	ds_read_b64 v[84:85], v77 offset:8
	s_waitcnt vmcnt(0) lgkmcnt(1)
	v_fma_f64 v[80:81], v[80:81], v[82:83], 0
	s_waitcnt lgkmcnt(0)
	v_mul_f64 v[80:81], v[80:81], v[84:85]
	buffer_store_dword v80, off, s[0:3], 0 offset:8
	buffer_store_dword v81, off, s[0:3], 0 offset:12
.LBB36_15:
	s_or_b64 exec, exec, s[6:7]
	s_waitcnt lgkmcnt(0)
	; wave barrier
	buffer_load_dword v80, off, s[0:3], 0 offset:16
	buffer_load_dword v81, off, s[0:3], 0 offset:20
	v_cmp_gt_u32_e32 vcc, 2, v0
	s_waitcnt vmcnt(0)
	ds_write_b64 v78, v[80:81]
	s_waitcnt lgkmcnt(0)
	; wave barrier
	s_waitcnt lgkmcnt(0)
	s_and_saveexec_b64 s[6:7], vcc
	s_cbranch_execz .LBB36_17
; %bb.16:
	buffer_load_dword v77, v76, s[0:3], 0 offen offset:4
	buffer_load_dword v84, off, s[0:3], 0 offset:8
	s_nop 0
	buffer_load_dword v76, v76, s[0:3], 0 offen
	s_nop 0
	buffer_load_dword v85, off, s[0:3], 0 offset:12
	ds_read_b64 v[86:87], v78
	v_mov_b32_e32 v79, 0
	ds_read2_b64 v[80:83], v79 offset0:2 offset1:39
	s_waitcnt vmcnt(1) lgkmcnt(1)
	v_fma_f64 v[76:77], v[76:77], v[86:87], 0
	s_waitcnt vmcnt(0) lgkmcnt(0)
	v_fma_f64 v[82:83], v[84:85], v[82:83], v[76:77]
	v_cndmask_b32_e64 v77, v77, v83, s[4:5]
	v_cndmask_b32_e64 v76, v76, v82, s[4:5]
	v_mul_f64 v[76:77], v[76:77], v[80:81]
	buffer_store_dword v77, off, s[0:3], 0 offset:20
	buffer_store_dword v76, off, s[0:3], 0 offset:16
.LBB36_17:
	s_or_b64 exec, exec, s[6:7]
	s_waitcnt lgkmcnt(0)
	; wave barrier
	buffer_load_dword v76, off, s[0:3], 0 offset:24
	buffer_load_dword v77, off, s[0:3], 0 offset:28
	v_cmp_gt_u32_e32 vcc, 3, v0
	v_add_u32_e32 v79, -1, v0
	s_waitcnt vmcnt(0)
	ds_write_b64 v78, v[76:77]
	s_waitcnt lgkmcnt(0)
	; wave barrier
	s_waitcnt lgkmcnt(0)
	s_and_saveexec_b64 s[4:5], vcc
	s_cbranch_execz .LBB36_21
; %bb.18:
	v_add_u32_e32 v80, -1, v0
	v_add_u32_e32 v81, 0x130, v1
	v_add_u32_e32 v82, 0, v1
	s_mov_b64 s[6:7], 0
	v_pk_mov_b32 v[76:77], 0, 0
.LBB36_19:                              ; =>This Inner Loop Header: Depth=1
	buffer_load_dword v84, v82, s[0:3], 0 offen
	buffer_load_dword v85, v82, s[0:3], 0 offen offset:4
	ds_read_b64 v[86:87], v81
	v_add_u32_e32 v80, 1, v80
	v_cmp_lt_u32_e32 vcc, 1, v80
	v_add_u32_e32 v81, 8, v81
	v_add_u32_e32 v82, 8, v82
	s_or_b64 s[6:7], vcc, s[6:7]
	s_waitcnt vmcnt(0) lgkmcnt(0)
	v_fmac_f64_e32 v[76:77], v[84:85], v[86:87]
	s_andn2_b64 exec, exec, s[6:7]
	s_cbranch_execnz .LBB36_19
; %bb.20:
	s_or_b64 exec, exec, s[6:7]
	v_mov_b32_e32 v80, 0
	ds_read_b64 v[80:81], v80 offset:24
	s_waitcnt lgkmcnt(0)
	v_mul_f64 v[76:77], v[76:77], v[80:81]
	buffer_store_dword v77, off, s[0:3], 0 offset:28
	buffer_store_dword v76, off, s[0:3], 0 offset:24
.LBB36_21:
	s_or_b64 exec, exec, s[4:5]
	s_waitcnt lgkmcnt(0)
	; wave barrier
	buffer_load_dword v76, off, s[0:3], 0 offset:32
	buffer_load_dword v77, off, s[0:3], 0 offset:36
	v_cmp_gt_u32_e32 vcc, 4, v0
	s_waitcnt vmcnt(0)
	ds_write_b64 v78, v[76:77]
	s_waitcnt lgkmcnt(0)
	; wave barrier
	s_waitcnt lgkmcnt(0)
	s_and_saveexec_b64 s[4:5], vcc
	s_cbranch_execz .LBB36_25
; %bb.22:
	v_add_u32_e32 v80, -1, v0
	v_add_u32_e32 v81, 0x130, v1
	v_add_u32_e32 v82, 0, v1
	s_mov_b64 s[6:7], 0
	v_pk_mov_b32 v[76:77], 0, 0
.LBB36_23:                              ; =>This Inner Loop Header: Depth=1
	buffer_load_dword v84, v82, s[0:3], 0 offen
	buffer_load_dword v85, v82, s[0:3], 0 offen offset:4
	ds_read_b64 v[86:87], v81
	v_add_u32_e32 v80, 1, v80
	v_cmp_lt_u32_e32 vcc, 2, v80
	v_add_u32_e32 v81, 8, v81
	v_add_u32_e32 v82, 8, v82
	s_or_b64 s[6:7], vcc, s[6:7]
	s_waitcnt vmcnt(0) lgkmcnt(0)
	v_fmac_f64_e32 v[76:77], v[84:85], v[86:87]
	s_andn2_b64 exec, exec, s[6:7]
	s_cbranch_execnz .LBB36_23
; %bb.24:
	s_or_b64 exec, exec, s[6:7]
	v_mov_b32_e32 v80, 0
	ds_read_b64 v[80:81], v80 offset:32
	s_waitcnt lgkmcnt(0)
	v_mul_f64 v[76:77], v[76:77], v[80:81]
	buffer_store_dword v77, off, s[0:3], 0 offset:36
	buffer_store_dword v76, off, s[0:3], 0 offset:32
.LBB36_25:
	s_or_b64 exec, exec, s[4:5]
	s_waitcnt lgkmcnt(0)
	; wave barrier
	buffer_load_dword v76, off, s[0:3], 0 offset:40
	buffer_load_dword v77, off, s[0:3], 0 offset:44
	v_cmp_gt_u32_e32 vcc, 5, v0
	;; [unrolled: 41-line block ×21, first 2 shown]
	s_waitcnt vmcnt(0)
	ds_write_b64 v78, v[76:77]
	s_waitcnt lgkmcnt(0)
	; wave barrier
	s_waitcnt lgkmcnt(0)
	s_and_saveexec_b64 s[4:5], vcc
	s_cbranch_execz .LBB36_105
; %bb.102:
	v_add_u32_e32 v80, -1, v0
	v_add_u32_e32 v81, 0x130, v1
	v_add_u32_e32 v82, 0, v1
	s_mov_b64 s[6:7], 0
	v_pk_mov_b32 v[76:77], 0, 0
.LBB36_103:                             ; =>This Inner Loop Header: Depth=1
	buffer_load_dword v84, v82, s[0:3], 0 offen
	buffer_load_dword v85, v82, s[0:3], 0 offen offset:4
	ds_read_b64 v[86:87], v81
	v_add_u32_e32 v80, 1, v80
	v_cmp_lt_u32_e32 vcc, 22, v80
	v_add_u32_e32 v81, 8, v81
	v_add_u32_e32 v82, 8, v82
	s_or_b64 s[6:7], vcc, s[6:7]
	s_waitcnt vmcnt(0) lgkmcnt(0)
	v_fmac_f64_e32 v[76:77], v[84:85], v[86:87]
	s_andn2_b64 exec, exec, s[6:7]
	s_cbranch_execnz .LBB36_103
; %bb.104:
	s_or_b64 exec, exec, s[6:7]
	v_mov_b32_e32 v80, 0
	ds_read_b64 v[80:81], v80 offset:192
	s_waitcnt lgkmcnt(0)
	v_mul_f64 v[76:77], v[76:77], v[80:81]
	buffer_store_dword v77, off, s[0:3], 0 offset:196
	buffer_store_dword v76, off, s[0:3], 0 offset:192
.LBB36_105:
	s_or_b64 exec, exec, s[4:5]
	s_waitcnt lgkmcnt(0)
	; wave barrier
	buffer_load_dword v76, off, s[0:3], 0 offset:200
	buffer_load_dword v77, off, s[0:3], 0 offset:204
	v_cmp_gt_u32_e32 vcc, 25, v0
	s_waitcnt vmcnt(0)
	ds_write_b64 v78, v[76:77]
	s_waitcnt lgkmcnt(0)
	; wave barrier
	s_waitcnt lgkmcnt(0)
	s_and_saveexec_b64 s[4:5], vcc
	s_cbranch_execz .LBB36_109
; %bb.106:
	v_add_u32_e32 v80, -1, v0
	v_add_u32_e32 v81, 0x130, v1
	v_add_u32_e32 v82, 0, v1
	s_mov_b64 s[6:7], 0
	v_pk_mov_b32 v[76:77], 0, 0
.LBB36_107:                             ; =>This Inner Loop Header: Depth=1
	buffer_load_dword v84, v82, s[0:3], 0 offen
	buffer_load_dword v85, v82, s[0:3], 0 offen offset:4
	ds_read_b64 v[86:87], v81
	v_add_u32_e32 v80, 1, v80
	v_cmp_lt_u32_e32 vcc, 23, v80
	v_add_u32_e32 v81, 8, v81
	v_add_u32_e32 v82, 8, v82
	s_or_b64 s[6:7], vcc, s[6:7]
	s_waitcnt vmcnt(0) lgkmcnt(0)
	v_fmac_f64_e32 v[76:77], v[84:85], v[86:87]
	s_andn2_b64 exec, exec, s[6:7]
	s_cbranch_execnz .LBB36_107
; %bb.108:
	s_or_b64 exec, exec, s[6:7]
	v_mov_b32_e32 v80, 0
	ds_read_b64 v[80:81], v80 offset:200
	s_waitcnt lgkmcnt(0)
	v_mul_f64 v[76:77], v[76:77], v[80:81]
	buffer_store_dword v77, off, s[0:3], 0 offset:204
	buffer_store_dword v76, off, s[0:3], 0 offset:200
.LBB36_109:
	s_or_b64 exec, exec, s[4:5]
	s_waitcnt lgkmcnt(0)
	; wave barrier
	buffer_load_dword v76, off, s[0:3], 0 offset:208
	buffer_load_dword v77, off, s[0:3], 0 offset:212
	v_cmp_gt_u32_e32 vcc, 26, v0
	;; [unrolled: 41-line block ×11, first 2 shown]
	s_waitcnt vmcnt(0)
	ds_write_b64 v78, v[76:77]
	s_waitcnt lgkmcnt(0)
	; wave barrier
	s_waitcnt lgkmcnt(0)
	s_and_saveexec_b64 s[4:5], vcc
	s_cbranch_execz .LBB36_149
; %bb.146:
	v_add_u32_e32 v80, -1, v0
	v_add_u32_e32 v81, 0x130, v1
	v_add_u32_e32 v82, 0, v1
	s_mov_b64 s[6:7], 0
	v_pk_mov_b32 v[76:77], 0, 0
.LBB36_147:                             ; =>This Inner Loop Header: Depth=1
	buffer_load_dword v84, v82, s[0:3], 0 offen
	buffer_load_dword v85, v82, s[0:3], 0 offen offset:4
	ds_read_b64 v[86:87], v81
	v_add_u32_e32 v80, 1, v80
	v_cmp_lt_u32_e32 vcc, 33, v80
	v_add_u32_e32 v81, 8, v81
	v_add_u32_e32 v82, 8, v82
	s_or_b64 s[6:7], vcc, s[6:7]
	s_waitcnt vmcnt(0) lgkmcnt(0)
	v_fmac_f64_e32 v[76:77], v[84:85], v[86:87]
	s_andn2_b64 exec, exec, s[6:7]
	s_cbranch_execnz .LBB36_147
; %bb.148:
	s_or_b64 exec, exec, s[6:7]
	v_mov_b32_e32 v80, 0
	ds_read_b64 v[80:81], v80 offset:280
	s_waitcnt lgkmcnt(0)
	v_mul_f64 v[76:77], v[76:77], v[80:81]
	buffer_store_dword v77, off, s[0:3], 0 offset:284
	buffer_store_dword v76, off, s[0:3], 0 offset:280
.LBB36_149:
	s_or_b64 exec, exec, s[4:5]
	s_waitcnt lgkmcnt(0)
	; wave barrier
	buffer_load_dword v76, off, s[0:3], 0 offset:288
	buffer_load_dword v77, off, s[0:3], 0 offset:292
	v_cmp_ne_u32_e32 vcc, 36, v0
	s_waitcnt vmcnt(0)
	ds_write_b64 v78, v[76:77]
	s_waitcnt lgkmcnt(0)
	; wave barrier
	s_waitcnt lgkmcnt(0)
	s_and_saveexec_b64 s[4:5], vcc
	s_cbranch_execz .LBB36_153
; %bb.150:
	v_add_u32_e32 v78, 0x130, v1
	v_add_u32_e32 v1, 0, v1
	s_mov_b64 s[6:7], 0
	v_pk_mov_b32 v[76:77], 0, 0
.LBB36_151:                             ; =>This Inner Loop Header: Depth=1
	buffer_load_dword v80, v1, s[0:3], 0 offen
	buffer_load_dword v81, v1, s[0:3], 0 offen offset:4
	ds_read_b64 v[82:83], v78
	v_add_u32_e32 v79, 1, v79
	v_cmp_lt_u32_e32 vcc, 34, v79
	v_add_u32_e32 v78, 8, v78
	v_add_u32_e32 v1, 8, v1
	s_or_b64 s[6:7], vcc, s[6:7]
	s_waitcnt vmcnt(0) lgkmcnt(0)
	v_fmac_f64_e32 v[76:77], v[80:81], v[82:83]
	s_andn2_b64 exec, exec, s[6:7]
	s_cbranch_execnz .LBB36_151
; %bb.152:
	s_or_b64 exec, exec, s[6:7]
	v_mov_b32_e32 v1, 0
	ds_read_b64 v[78:79], v1 offset:288
	s_waitcnt lgkmcnt(0)
	v_mul_f64 v[76:77], v[76:77], v[78:79]
	buffer_store_dword v77, off, s[0:3], 0 offset:292
	buffer_store_dword v76, off, s[0:3], 0 offset:288
.LBB36_153:
	s_or_b64 exec, exec, s[4:5]
	s_mov_b64 s[6:7], -1
	s_waitcnt lgkmcnt(0)
	; wave barrier
.LBB36_154:
	s_and_b64 vcc, exec, s[6:7]
	s_cbranch_vccz .LBB36_156
; %bb.155:
	s_lshl_b64 s[4:5], s[8:9], 2
	s_add_u32 s4, s14, s4
	s_addc_u32 s5, s15, s5
	v_mov_b32_e32 v1, 0
	global_load_dword v1, v1, s[4:5]
	s_waitcnt vmcnt(0)
	v_cmp_ne_u32_e32 vcc, 0, v1
	s_cbranch_vccz .LBB36_157
.LBB36_156:
	s_endpgm
.LBB36_157:
	v_mov_b32_e32 v1, 0x130
	v_lshl_add_u32 v1, v0, 3, v1
	v_cmp_eq_u32_e32 vcc, 36, v0
	s_and_saveexec_b64 s[4:5], vcc
	s_cbranch_execz .LBB36_159
; %bb.158:
	buffer_load_dword v76, off, s[0:3], 0 offset:280
	buffer_load_dword v77, off, s[0:3], 0 offset:284
	v_mov_b32_e32 v78, 0
	buffer_store_dword v78, off, s[0:3], 0 offset:280
	buffer_store_dword v78, off, s[0:3], 0 offset:284
	s_waitcnt vmcnt(2)
	ds_write_b64 v1, v[76:77]
.LBB36_159:
	s_or_b64 exec, exec, s[4:5]
	s_waitcnt lgkmcnt(0)
	; wave barrier
	s_waitcnt lgkmcnt(0)
	buffer_load_dword v78, off, s[0:3], 0 offset:288
	buffer_load_dword v79, off, s[0:3], 0 offset:292
	;; [unrolled: 1-line block ×4, first 2 shown]
	v_mov_b32_e32 v76, 0
	ds_read_b64 v[82:83], v76 offset:592
	v_cmp_lt_u32_e32 vcc, 34, v0
	s_waitcnt vmcnt(2) lgkmcnt(0)
	v_fma_f64 v[78:79], v[78:79], v[82:83], 0
	s_waitcnt vmcnt(0)
	v_add_f64 v[78:79], v[80:81], -v[78:79]
	buffer_store_dword v78, off, s[0:3], 0 offset:280
	buffer_store_dword v79, off, s[0:3], 0 offset:284
	s_and_saveexec_b64 s[4:5], vcc
	s_cbranch_execz .LBB36_161
; %bb.160:
	buffer_load_dword v78, off, s[0:3], 0 offset:272
	buffer_load_dword v79, off, s[0:3], 0 offset:276
	s_waitcnt vmcnt(0)
	ds_write_b64 v1, v[78:79]
	buffer_store_dword v76, off, s[0:3], 0 offset:272
	buffer_store_dword v76, off, s[0:3], 0 offset:276
.LBB36_161:
	s_or_b64 exec, exec, s[4:5]
	s_waitcnt lgkmcnt(0)
	; wave barrier
	s_waitcnt lgkmcnt(0)
	buffer_load_dword v80, off, s[0:3], 0 offset:280
	buffer_load_dword v81, off, s[0:3], 0 offset:284
	;; [unrolled: 1-line block ×6, first 2 shown]
	ds_read2_b64 v[76:79], v76 offset0:73 offset1:74
	v_cmp_lt_u32_e32 vcc, 33, v0
	s_waitcnt vmcnt(4) lgkmcnt(0)
	v_fma_f64 v[76:77], v[80:81], v[76:77], 0
	s_waitcnt vmcnt(2)
	v_fmac_f64_e32 v[76:77], v[82:83], v[78:79]
	s_waitcnt vmcnt(0)
	v_add_f64 v[76:77], v[84:85], -v[76:77]
	buffer_store_dword v76, off, s[0:3], 0 offset:272
	buffer_store_dword v77, off, s[0:3], 0 offset:276
	s_and_saveexec_b64 s[4:5], vcc
	s_cbranch_execz .LBB36_163
; %bb.162:
	buffer_load_dword v76, off, s[0:3], 0 offset:264
	buffer_load_dword v77, off, s[0:3], 0 offset:268
	v_mov_b32_e32 v78, 0
	buffer_store_dword v78, off, s[0:3], 0 offset:264
	buffer_store_dword v78, off, s[0:3], 0 offset:268
	s_waitcnt vmcnt(2)
	ds_write_b64 v1, v[76:77]
.LBB36_163:
	s_or_b64 exec, exec, s[4:5]
	s_waitcnt lgkmcnt(0)
	; wave barrier
	s_waitcnt lgkmcnt(0)
	buffer_load_dword v82, off, s[0:3], 0 offset:272
	buffer_load_dword v83, off, s[0:3], 0 offset:276
	;; [unrolled: 1-line block ×8, first 2 shown]
	v_mov_b32_e32 v76, 0
	ds_read_b128 v[78:81], v76 offset:576
	ds_read_b64 v[90:91], v76 offset:592
	v_cmp_lt_u32_e32 vcc, 32, v0
	s_waitcnt vmcnt(6) lgkmcnt(1)
	v_fma_f64 v[78:79], v[82:83], v[78:79], 0
	s_waitcnt vmcnt(4)
	v_fmac_f64_e32 v[78:79], v[84:85], v[80:81]
	s_waitcnt vmcnt(2) lgkmcnt(0)
	v_fmac_f64_e32 v[78:79], v[86:87], v[90:91]
	s_waitcnt vmcnt(0)
	v_add_f64 v[78:79], v[88:89], -v[78:79]
	buffer_store_dword v78, off, s[0:3], 0 offset:264
	buffer_store_dword v79, off, s[0:3], 0 offset:268
	s_and_saveexec_b64 s[4:5], vcc
	s_cbranch_execz .LBB36_165
; %bb.164:
	buffer_load_dword v78, off, s[0:3], 0 offset:256
	buffer_load_dword v79, off, s[0:3], 0 offset:260
	s_waitcnt vmcnt(0)
	ds_write_b64 v1, v[78:79]
	buffer_store_dword v76, off, s[0:3], 0 offset:256
	buffer_store_dword v76, off, s[0:3], 0 offset:260
.LBB36_165:
	s_or_b64 exec, exec, s[4:5]
	s_waitcnt lgkmcnt(0)
	; wave barrier
	s_waitcnt lgkmcnt(0)
	buffer_load_dword v86, off, s[0:3], 0 offset:264
	buffer_load_dword v87, off, s[0:3], 0 offset:268
	;; [unrolled: 1-line block ×10, first 2 shown]
	ds_read2_b64 v[78:81], v76 offset0:71 offset1:72
	ds_read2_b64 v[82:85], v76 offset0:73 offset1:74
	v_cmp_lt_u32_e32 vcc, 31, v0
	s_waitcnt vmcnt(8) lgkmcnt(1)
	v_fma_f64 v[76:77], v[86:87], v[78:79], 0
	s_waitcnt vmcnt(6)
	v_fmac_f64_e32 v[76:77], v[88:89], v[80:81]
	s_waitcnt vmcnt(4) lgkmcnt(0)
	v_fmac_f64_e32 v[76:77], v[90:91], v[82:83]
	s_waitcnt vmcnt(2)
	v_fmac_f64_e32 v[76:77], v[92:93], v[84:85]
	s_waitcnt vmcnt(0)
	v_add_f64 v[76:77], v[94:95], -v[76:77]
	buffer_store_dword v76, off, s[0:3], 0 offset:256
	buffer_store_dword v77, off, s[0:3], 0 offset:260
	s_and_saveexec_b64 s[4:5], vcc
	s_cbranch_execz .LBB36_167
; %bb.166:
	buffer_load_dword v76, off, s[0:3], 0 offset:248
	buffer_load_dword v77, off, s[0:3], 0 offset:252
	v_mov_b32_e32 v78, 0
	buffer_store_dword v78, off, s[0:3], 0 offset:248
	buffer_store_dword v78, off, s[0:3], 0 offset:252
	s_waitcnt vmcnt(2)
	ds_write_b64 v1, v[76:77]
.LBB36_167:
	s_or_b64 exec, exec, s[4:5]
	s_waitcnt lgkmcnt(0)
	; wave barrier
	s_waitcnt lgkmcnt(0)
	buffer_load_dword v86, off, s[0:3], 0 offset:256
	buffer_load_dword v87, off, s[0:3], 0 offset:260
	;; [unrolled: 1-line block ×12, first 2 shown]
	v_mov_b32_e32 v76, 0
	ds_read_b128 v[78:81], v76 offset:560
	ds_read_b128 v[82:85], v76 offset:576
	ds_read_b64 v[98:99], v76 offset:592
	v_cmp_lt_u32_e32 vcc, 30, v0
	s_waitcnt vmcnt(10) lgkmcnt(2)
	v_fma_f64 v[78:79], v[86:87], v[78:79], 0
	s_waitcnt vmcnt(8)
	v_fmac_f64_e32 v[78:79], v[88:89], v[80:81]
	s_waitcnt vmcnt(6) lgkmcnt(1)
	v_fmac_f64_e32 v[78:79], v[90:91], v[82:83]
	s_waitcnt vmcnt(4)
	v_fmac_f64_e32 v[78:79], v[92:93], v[84:85]
	s_waitcnt vmcnt(2) lgkmcnt(0)
	v_fmac_f64_e32 v[78:79], v[94:95], v[98:99]
	s_waitcnt vmcnt(0)
	v_add_f64 v[78:79], v[96:97], -v[78:79]
	buffer_store_dword v78, off, s[0:3], 0 offset:248
	buffer_store_dword v79, off, s[0:3], 0 offset:252
	s_and_saveexec_b64 s[4:5], vcc
	s_cbranch_execz .LBB36_169
; %bb.168:
	buffer_load_dword v78, off, s[0:3], 0 offset:240
	buffer_load_dword v79, off, s[0:3], 0 offset:244
	s_waitcnt vmcnt(0)
	ds_write_b64 v1, v[78:79]
	buffer_store_dword v76, off, s[0:3], 0 offset:240
	buffer_store_dword v76, off, s[0:3], 0 offset:244
.LBB36_169:
	s_or_b64 exec, exec, s[4:5]
	s_waitcnt lgkmcnt(0)
	; wave barrier
	s_waitcnt lgkmcnt(0)
	buffer_load_dword v90, off, s[0:3], 0 offset:248
	buffer_load_dword v91, off, s[0:3], 0 offset:252
	;; [unrolled: 1-line block ×14, first 2 shown]
	ds_read2_b64 v[78:81], v76 offset0:69 offset1:70
	ds_read2_b64 v[82:85], v76 offset0:71 offset1:72
	;; [unrolled: 1-line block ×3, first 2 shown]
	v_cmp_lt_u32_e32 vcc, 29, v0
	s_waitcnt vmcnt(12) lgkmcnt(2)
	v_fma_f64 v[76:77], v[90:91], v[78:79], 0
	s_waitcnt vmcnt(10)
	v_fmac_f64_e32 v[76:77], v[92:93], v[80:81]
	s_waitcnt vmcnt(8) lgkmcnt(1)
	v_fmac_f64_e32 v[76:77], v[94:95], v[82:83]
	s_waitcnt vmcnt(6)
	v_fmac_f64_e32 v[76:77], v[96:97], v[84:85]
	s_waitcnt vmcnt(4) lgkmcnt(0)
	v_fmac_f64_e32 v[76:77], v[98:99], v[86:87]
	s_waitcnt vmcnt(2)
	v_fmac_f64_e32 v[76:77], v[100:101], v[88:89]
	s_waitcnt vmcnt(0)
	v_add_f64 v[76:77], v[102:103], -v[76:77]
	buffer_store_dword v76, off, s[0:3], 0 offset:240
	buffer_store_dword v77, off, s[0:3], 0 offset:244
	s_and_saveexec_b64 s[4:5], vcc
	s_cbranch_execz .LBB36_171
; %bb.170:
	buffer_load_dword v76, off, s[0:3], 0 offset:232
	buffer_load_dword v77, off, s[0:3], 0 offset:236
	v_mov_b32_e32 v78, 0
	buffer_store_dword v78, off, s[0:3], 0 offset:232
	buffer_store_dword v78, off, s[0:3], 0 offset:236
	s_waitcnt vmcnt(2)
	ds_write_b64 v1, v[76:77]
.LBB36_171:
	s_or_b64 exec, exec, s[4:5]
	s_waitcnt lgkmcnt(0)
	; wave barrier
	s_waitcnt lgkmcnt(0)
	buffer_load_dword v90, off, s[0:3], 0 offset:240
	buffer_load_dword v91, off, s[0:3], 0 offset:244
	;; [unrolled: 1-line block ×16, first 2 shown]
	v_mov_b32_e32 v76, 0
	ds_read_b128 v[78:81], v76 offset:544
	ds_read_b128 v[82:85], v76 offset:560
	;; [unrolled: 1-line block ×3, first 2 shown]
	ds_read_b64 v[106:107], v76 offset:592
	v_cmp_lt_u32_e32 vcc, 28, v0
	s_waitcnt vmcnt(14) lgkmcnt(3)
	v_fma_f64 v[78:79], v[90:91], v[78:79], 0
	s_waitcnt vmcnt(12)
	v_fmac_f64_e32 v[78:79], v[92:93], v[80:81]
	s_waitcnt vmcnt(10) lgkmcnt(2)
	v_fmac_f64_e32 v[78:79], v[94:95], v[82:83]
	s_waitcnt vmcnt(8)
	v_fmac_f64_e32 v[78:79], v[96:97], v[84:85]
	s_waitcnt vmcnt(6) lgkmcnt(1)
	v_fmac_f64_e32 v[78:79], v[98:99], v[86:87]
	;; [unrolled: 4-line block ×3, first 2 shown]
	s_waitcnt vmcnt(0)
	v_add_f64 v[78:79], v[104:105], -v[78:79]
	buffer_store_dword v78, off, s[0:3], 0 offset:232
	buffer_store_dword v79, off, s[0:3], 0 offset:236
	s_and_saveexec_b64 s[4:5], vcc
	s_cbranch_execz .LBB36_173
; %bb.172:
	buffer_load_dword v78, off, s[0:3], 0 offset:224
	buffer_load_dword v79, off, s[0:3], 0 offset:228
	s_waitcnt vmcnt(0)
	ds_write_b64 v1, v[78:79]
	buffer_store_dword v76, off, s[0:3], 0 offset:224
	buffer_store_dword v76, off, s[0:3], 0 offset:228
.LBB36_173:
	s_or_b64 exec, exec, s[4:5]
	s_waitcnt lgkmcnt(0)
	; wave barrier
	s_waitcnt lgkmcnt(0)
	buffer_load_dword v94, off, s[0:3], 0 offset:232
	buffer_load_dword v95, off, s[0:3], 0 offset:236
	;; [unrolled: 1-line block ×18, first 2 shown]
	ds_read2_b64 v[78:81], v76 offset0:67 offset1:68
	ds_read2_b64 v[82:85], v76 offset0:69 offset1:70
	;; [unrolled: 1-line block ×4, first 2 shown]
	v_cmp_lt_u32_e32 vcc, 27, v0
	s_waitcnt vmcnt(16) lgkmcnt(3)
	v_fma_f64 v[76:77], v[94:95], v[78:79], 0
	s_waitcnt vmcnt(14)
	v_fmac_f64_e32 v[76:77], v[96:97], v[80:81]
	s_waitcnt vmcnt(12) lgkmcnt(2)
	v_fmac_f64_e32 v[76:77], v[98:99], v[82:83]
	s_waitcnt vmcnt(10)
	v_fmac_f64_e32 v[76:77], v[100:101], v[84:85]
	s_waitcnt vmcnt(8) lgkmcnt(1)
	v_fmac_f64_e32 v[76:77], v[102:103], v[86:87]
	;; [unrolled: 4-line block ×3, first 2 shown]
	s_waitcnt vmcnt(2)
	v_fmac_f64_e32 v[76:77], v[108:109], v[92:93]
	s_waitcnt vmcnt(0)
	v_add_f64 v[76:77], v[110:111], -v[76:77]
	buffer_store_dword v76, off, s[0:3], 0 offset:224
	buffer_store_dword v77, off, s[0:3], 0 offset:228
	s_and_saveexec_b64 s[4:5], vcc
	s_cbranch_execz .LBB36_175
; %bb.174:
	buffer_load_dword v76, off, s[0:3], 0 offset:216
	buffer_load_dword v77, off, s[0:3], 0 offset:220
	v_mov_b32_e32 v78, 0
	buffer_store_dword v78, off, s[0:3], 0 offset:216
	buffer_store_dword v78, off, s[0:3], 0 offset:220
	s_waitcnt vmcnt(2)
	ds_write_b64 v1, v[76:77]
.LBB36_175:
	s_or_b64 exec, exec, s[4:5]
	s_waitcnt lgkmcnt(0)
	; wave barrier
	s_waitcnt lgkmcnt(0)
	buffer_load_dword v94, off, s[0:3], 0 offset:224
	buffer_load_dword v95, off, s[0:3], 0 offset:228
	;; [unrolled: 1-line block ×20, first 2 shown]
	v_mov_b32_e32 v76, 0
	ds_read_b128 v[78:81], v76 offset:528
	ds_read_b128 v[82:85], v76 offset:544
	;; [unrolled: 1-line block ×4, first 2 shown]
	ds_read_b64 v[114:115], v76 offset:592
	v_cmp_lt_u32_e32 vcc, 26, v0
	s_waitcnt vmcnt(18) lgkmcnt(4)
	v_fma_f64 v[78:79], v[94:95], v[78:79], 0
	s_waitcnt vmcnt(16)
	v_fmac_f64_e32 v[78:79], v[96:97], v[80:81]
	s_waitcnt vmcnt(14) lgkmcnt(3)
	v_fmac_f64_e32 v[78:79], v[98:99], v[82:83]
	s_waitcnt vmcnt(12)
	v_fmac_f64_e32 v[78:79], v[100:101], v[84:85]
	s_waitcnt vmcnt(10) lgkmcnt(2)
	v_fmac_f64_e32 v[78:79], v[102:103], v[86:87]
	;; [unrolled: 4-line block ×3, first 2 shown]
	s_waitcnt vmcnt(2)
	v_fmac_f64_e32 v[78:79], v[110:111], v[92:93]
	s_waitcnt lgkmcnt(0)
	v_fmac_f64_e32 v[78:79], v[108:109], v[114:115]
	s_waitcnt vmcnt(0)
	v_add_f64 v[78:79], v[112:113], -v[78:79]
	buffer_store_dword v78, off, s[0:3], 0 offset:216
	buffer_store_dword v79, off, s[0:3], 0 offset:220
	s_and_saveexec_b64 s[4:5], vcc
	s_cbranch_execz .LBB36_177
; %bb.176:
	buffer_load_dword v78, off, s[0:3], 0 offset:208
	buffer_load_dword v79, off, s[0:3], 0 offset:212
	s_waitcnt vmcnt(0)
	ds_write_b64 v1, v[78:79]
	buffer_store_dword v76, off, s[0:3], 0 offset:208
	buffer_store_dword v76, off, s[0:3], 0 offset:212
.LBB36_177:
	s_or_b64 exec, exec, s[4:5]
	s_waitcnt lgkmcnt(0)
	; wave barrier
	s_waitcnt lgkmcnt(0)
	buffer_load_dword v98, off, s[0:3], 0 offset:216
	buffer_load_dword v99, off, s[0:3], 0 offset:220
	;; [unrolled: 1-line block ×22, first 2 shown]
	ds_read2_b64 v[78:81], v76 offset0:65 offset1:66
	ds_read2_b64 v[82:85], v76 offset0:67 offset1:68
	;; [unrolled: 1-line block ×5, first 2 shown]
	v_cmp_lt_u32_e32 vcc, 25, v0
	s_waitcnt vmcnt(20) lgkmcnt(4)
	v_fma_f64 v[76:77], v[98:99], v[78:79], 0
	s_waitcnt vmcnt(18)
	v_fmac_f64_e32 v[76:77], v[100:101], v[80:81]
	s_waitcnt vmcnt(16) lgkmcnt(3)
	v_fmac_f64_e32 v[76:77], v[102:103], v[82:83]
	s_waitcnt vmcnt(14)
	v_fmac_f64_e32 v[76:77], v[104:105], v[84:85]
	s_waitcnt vmcnt(12) lgkmcnt(2)
	v_fmac_f64_e32 v[76:77], v[106:107], v[86:87]
	;; [unrolled: 4-line block ×3, first 2 shown]
	s_waitcnt vmcnt(3)
	v_fmac_f64_e32 v[76:77], v[116:117], v[92:93]
	s_waitcnt lgkmcnt(0)
	v_fmac_f64_e32 v[76:77], v[114:115], v[94:95]
	s_waitcnt vmcnt(2)
	v_fmac_f64_e32 v[76:77], v[112:113], v[96:97]
	s_waitcnt vmcnt(0)
	v_add_f64 v[76:77], v[118:119], -v[76:77]
	buffer_store_dword v76, off, s[0:3], 0 offset:208
	buffer_store_dword v77, off, s[0:3], 0 offset:212
	s_and_saveexec_b64 s[4:5], vcc
	s_cbranch_execz .LBB36_179
; %bb.178:
	buffer_load_dword v76, off, s[0:3], 0 offset:200
	buffer_load_dword v77, off, s[0:3], 0 offset:204
	v_mov_b32_e32 v78, 0
	buffer_store_dword v78, off, s[0:3], 0 offset:200
	buffer_store_dword v78, off, s[0:3], 0 offset:204
	s_waitcnt vmcnt(2)
	ds_write_b64 v1, v[76:77]
.LBB36_179:
	s_or_b64 exec, exec, s[4:5]
	s_waitcnt lgkmcnt(0)
	; wave barrier
	s_waitcnt lgkmcnt(0)
	buffer_load_dword v98, off, s[0:3], 0 offset:208
	buffer_load_dword v99, off, s[0:3], 0 offset:212
	;; [unrolled: 1-line block ×24, first 2 shown]
	v_mov_b32_e32 v76, 0
	ds_read_b128 v[78:81], v76 offset:512
	ds_read_b128 v[82:85], v76 offset:528
	;; [unrolled: 1-line block ×5, first 2 shown]
	ds_read_b64 v[122:123], v76 offset:592
	v_cmp_lt_u32_e32 vcc, 24, v0
	s_waitcnt vmcnt(22) lgkmcnt(5)
	v_fma_f64 v[78:79], v[98:99], v[78:79], 0
	s_waitcnt vmcnt(20)
	v_fmac_f64_e32 v[78:79], v[100:101], v[80:81]
	s_waitcnt vmcnt(18) lgkmcnt(4)
	v_fmac_f64_e32 v[78:79], v[102:103], v[82:83]
	s_waitcnt vmcnt(16)
	v_fmac_f64_e32 v[78:79], v[104:105], v[84:85]
	s_waitcnt vmcnt(14) lgkmcnt(3)
	v_fmac_f64_e32 v[78:79], v[106:107], v[86:87]
	;; [unrolled: 4-line block ×3, first 2 shown]
	s_waitcnt vmcnt(4)
	v_fmac_f64_e32 v[78:79], v[118:119], v[92:93]
	s_waitcnt lgkmcnt(1)
	v_fmac_f64_e32 v[78:79], v[116:117], v[94:95]
	s_waitcnt vmcnt(3)
	v_fmac_f64_e32 v[78:79], v[114:115], v[96:97]
	s_waitcnt vmcnt(2) lgkmcnt(0)
	v_fmac_f64_e32 v[78:79], v[112:113], v[122:123]
	s_waitcnt vmcnt(0)
	v_add_f64 v[78:79], v[120:121], -v[78:79]
	buffer_store_dword v79, off, s[0:3], 0 offset:204
	buffer_store_dword v78, off, s[0:3], 0 offset:200
	s_and_saveexec_b64 s[4:5], vcc
	s_cbranch_execz .LBB36_181
; %bb.180:
	buffer_load_dword v78, off, s[0:3], 0 offset:192
	buffer_load_dword v79, off, s[0:3], 0 offset:196
	s_waitcnt vmcnt(0)
	ds_write_b64 v1, v[78:79]
	buffer_store_dword v76, off, s[0:3], 0 offset:192
	buffer_store_dword v76, off, s[0:3], 0 offset:196
.LBB36_181:
	s_or_b64 exec, exec, s[4:5]
	s_waitcnt lgkmcnt(0)
	; wave barrier
	s_waitcnt lgkmcnt(0)
	buffer_load_dword v102, off, s[0:3], 0 offset:200
	buffer_load_dword v103, off, s[0:3], 0 offset:204
	;; [unrolled: 1-line block ×26, first 2 shown]
	ds_read2_b64 v[78:81], v76 offset0:63 offset1:64
	ds_read2_b64 v[82:85], v76 offset0:65 offset1:66
	;; [unrolled: 1-line block ×6, first 2 shown]
	v_cmp_lt_u32_e32 vcc, 23, v0
	s_waitcnt vmcnt(24) lgkmcnt(5)
	v_fma_f64 v[76:77], v[102:103], v[78:79], 0
	s_waitcnt vmcnt(22)
	v_fmac_f64_e32 v[76:77], v[104:105], v[80:81]
	s_waitcnt vmcnt(20) lgkmcnt(4)
	v_fmac_f64_e32 v[76:77], v[106:107], v[82:83]
	s_waitcnt vmcnt(18)
	v_fmac_f64_e32 v[76:77], v[108:109], v[84:85]
	s_waitcnt vmcnt(16) lgkmcnt(3)
	v_fmac_f64_e32 v[76:77], v[110:111], v[86:87]
	;; [unrolled: 4-line block ×3, first 2 shown]
	s_waitcnt vmcnt(5)
	v_fmac_f64_e32 v[76:77], v[122:123], v[92:93]
	s_waitcnt lgkmcnt(1)
	v_fmac_f64_e32 v[76:77], v[120:121], v[94:95]
	v_fmac_f64_e32 v[76:77], v[118:119], v[96:97]
	s_waitcnt vmcnt(4) lgkmcnt(0)
	v_fmac_f64_e32 v[76:77], v[116:117], v[98:99]
	s_waitcnt vmcnt(2)
	v_fmac_f64_e32 v[76:77], v[124:125], v[100:101]
	s_waitcnt vmcnt(0)
	v_add_f64 v[76:77], v[126:127], -v[76:77]
	buffer_store_dword v77, off, s[0:3], 0 offset:196
	buffer_store_dword v76, off, s[0:3], 0 offset:192
	s_and_saveexec_b64 s[4:5], vcc
	s_cbranch_execz .LBB36_183
; %bb.182:
	buffer_load_dword v76, off, s[0:3], 0 offset:184
	buffer_load_dword v77, off, s[0:3], 0 offset:188
	v_mov_b32_e32 v78, 0
	buffer_store_dword v78, off, s[0:3], 0 offset:184
	buffer_store_dword v78, off, s[0:3], 0 offset:188
	s_waitcnt vmcnt(2)
	ds_write_b64 v1, v[76:77]
.LBB36_183:
	s_or_b64 exec, exec, s[4:5]
	s_waitcnt lgkmcnt(0)
	; wave barrier
	s_waitcnt lgkmcnt(0)
	buffer_load_dword v94, off, s[0:3], 0 offset:184
	buffer_load_dword v95, off, s[0:3], 0 offset:188
	buffer_load_dword v96, off, s[0:3], 0 offset:192
	buffer_load_dword v97, off, s[0:3], 0 offset:196
	buffer_load_dword v98, off, s[0:3], 0 offset:200
	buffer_load_dword v99, off, s[0:3], 0 offset:204
	buffer_load_dword v100, off, s[0:3], 0 offset:208
	buffer_load_dword v101, off, s[0:3], 0 offset:212
	buffer_load_dword v102, off, s[0:3], 0 offset:216
	buffer_load_dword v103, off, s[0:3], 0 offset:220
	buffer_load_dword v104, off, s[0:3], 0 offset:224
	buffer_load_dword v105, off, s[0:3], 0 offset:228
	buffer_load_dword v106, off, s[0:3], 0 offset:232
	buffer_load_dword v107, off, s[0:3], 0 offset:236
	buffer_load_dword v108, off, s[0:3], 0 offset:240
	buffer_load_dword v109, off, s[0:3], 0 offset:244
	v_mov_b32_e32 v76, 0
	ds_read_b128 v[78:81], v76 offset:496
	ds_read_b128 v[82:85], v76 offset:512
	;; [unrolled: 1-line block ×4, first 2 shown]
	v_cmp_lt_u32_e32 vcc, 22, v0
	s_waitcnt vmcnt(12) lgkmcnt(3)
	v_fma_f64 v[96:97], v[96:97], v[78:79], 0
	buffer_load_dword v79, off, s[0:3], 0 offset:252
	buffer_load_dword v78, off, s[0:3], 0 offset:248
	s_waitcnt vmcnt(12)
	v_fmac_f64_e32 v[96:97], v[98:99], v[80:81]
	s_waitcnt vmcnt(10) lgkmcnt(2)
	v_fmac_f64_e32 v[96:97], v[100:101], v[82:83]
	buffer_load_dword v83, off, s[0:3], 0 offset:260
	buffer_load_dword v82, off, s[0:3], 0 offset:256
	s_waitcnt vmcnt(10)
	v_fmac_f64_e32 v[96:97], v[102:103], v[84:85]
	s_waitcnt vmcnt(8) lgkmcnt(1)
	v_fmac_f64_e32 v[96:97], v[104:105], v[86:87]
	s_waitcnt vmcnt(6)
	v_fmac_f64_e32 v[96:97], v[106:107], v[88:89]
	s_waitcnt vmcnt(4) lgkmcnt(0)
	v_fmac_f64_e32 v[96:97], v[108:109], v[90:91]
	s_waitcnt vmcnt(2)
	v_fmac_f64_e32 v[96:97], v[78:79], v[92:93]
	ds_read_b128 v[78:81], v76 offset:560
	s_waitcnt vmcnt(0) lgkmcnt(0)
	v_fmac_f64_e32 v[96:97], v[82:83], v[78:79]
	buffer_load_dword v79, off, s[0:3], 0 offset:268
	buffer_load_dword v78, off, s[0:3], 0 offset:264
	;; [unrolled: 1-line block ×4, first 2 shown]
	s_waitcnt vmcnt(2)
	v_fmac_f64_e32 v[96:97], v[78:79], v[80:81]
	ds_read_b128 v[78:81], v76 offset:576
	s_waitcnt vmcnt(0) lgkmcnt(0)
	v_fmac_f64_e32 v[96:97], v[82:83], v[78:79]
	buffer_load_dword v79, off, s[0:3], 0 offset:284
	buffer_load_dword v78, off, s[0:3], 0 offset:280
	s_waitcnt vmcnt(0)
	v_fmac_f64_e32 v[96:97], v[78:79], v[80:81]
	buffer_load_dword v79, off, s[0:3], 0 offset:292
	buffer_load_dword v78, off, s[0:3], 0 offset:288
	ds_read_b64 v[80:81], v76 offset:592
	s_waitcnt vmcnt(0) lgkmcnt(0)
	v_fmac_f64_e32 v[96:97], v[78:79], v[80:81]
	v_add_f64 v[78:79], v[94:95], -v[96:97]
	buffer_store_dword v79, off, s[0:3], 0 offset:188
	buffer_store_dword v78, off, s[0:3], 0 offset:184
	s_and_saveexec_b64 s[4:5], vcc
	s_cbranch_execz .LBB36_185
; %bb.184:
	buffer_load_dword v78, off, s[0:3], 0 offset:176
	buffer_load_dword v79, off, s[0:3], 0 offset:180
	s_waitcnt vmcnt(0)
	ds_write_b64 v1, v[78:79]
	buffer_store_dword v76, off, s[0:3], 0 offset:176
	buffer_store_dword v76, off, s[0:3], 0 offset:180
.LBB36_185:
	s_or_b64 exec, exec, s[4:5]
	s_waitcnt lgkmcnt(0)
	; wave barrier
	s_waitcnt lgkmcnt(0)
	buffer_load_dword v82, off, s[0:3], 0 offset:176
	buffer_load_dword v83, off, s[0:3], 0 offset:180
	;; [unrolled: 1-line block ×16, first 2 shown]
	ds_read2_b64 v[78:81], v76 offset0:61 offset1:62
	v_cmp_lt_u32_e32 vcc, 21, v0
	s_waitcnt vmcnt(12) lgkmcnt(0)
	v_fma_f64 v[84:85], v[84:85], v[78:79], 0
	s_waitcnt vmcnt(10)
	v_fmac_f64_e32 v[84:85], v[86:87], v[80:81]
	ds_read2_b64 v[78:81], v76 offset0:63 offset1:64
	s_waitcnt vmcnt(8) lgkmcnt(0)
	v_fmac_f64_e32 v[84:85], v[88:89], v[78:79]
	s_waitcnt vmcnt(6)
	v_fmac_f64_e32 v[84:85], v[90:91], v[80:81]
	ds_read2_b64 v[78:81], v76 offset0:65 offset1:66
	s_waitcnt vmcnt(4) lgkmcnt(0)
	v_fmac_f64_e32 v[84:85], v[92:93], v[78:79]
	;; [unrolled: 5-line block ×3, first 2 shown]
	buffer_load_dword v79, off, s[0:3], 0 offset:244
	buffer_load_dword v78, off, s[0:3], 0 offset:240
	;; [unrolled: 1-line block ×4, first 2 shown]
	s_waitcnt vmcnt(2)
	v_fmac_f64_e32 v[84:85], v[78:79], v[80:81]
	ds_read2_b64 v[78:81], v76 offset0:69 offset1:70
	s_waitcnt vmcnt(0) lgkmcnt(0)
	v_fmac_f64_e32 v[84:85], v[86:87], v[78:79]
	buffer_load_dword v79, off, s[0:3], 0 offset:260
	buffer_load_dword v78, off, s[0:3], 0 offset:256
	;; [unrolled: 1-line block ×4, first 2 shown]
	s_waitcnt vmcnt(2)
	v_fmac_f64_e32 v[84:85], v[78:79], v[80:81]
	ds_read2_b64 v[78:81], v76 offset0:71 offset1:72
	s_waitcnt vmcnt(0) lgkmcnt(0)
	v_fmac_f64_e32 v[84:85], v[86:87], v[78:79]
	buffer_load_dword v79, off, s[0:3], 0 offset:276
	buffer_load_dword v78, off, s[0:3], 0 offset:272
	s_waitcnt vmcnt(0)
	v_fmac_f64_e32 v[84:85], v[78:79], v[80:81]
	buffer_load_dword v81, off, s[0:3], 0 offset:284
	buffer_load_dword v80, off, s[0:3], 0 offset:280
	ds_read2_b64 v[76:79], v76 offset0:73 offset1:74
	s_waitcnt vmcnt(0) lgkmcnt(0)
	v_fmac_f64_e32 v[84:85], v[80:81], v[76:77]
	buffer_load_dword v77, off, s[0:3], 0 offset:292
	buffer_load_dword v76, off, s[0:3], 0 offset:288
	s_waitcnt vmcnt(0)
	v_fmac_f64_e32 v[84:85], v[76:77], v[78:79]
	v_add_f64 v[76:77], v[82:83], -v[84:85]
	buffer_store_dword v77, off, s[0:3], 0 offset:180
	buffer_store_dword v76, off, s[0:3], 0 offset:176
	s_and_saveexec_b64 s[4:5], vcc
	s_cbranch_execz .LBB36_187
; %bb.186:
	buffer_load_dword v76, off, s[0:3], 0 offset:168
	buffer_load_dword v77, off, s[0:3], 0 offset:172
	v_mov_b32_e32 v78, 0
	buffer_store_dword v78, off, s[0:3], 0 offset:168
	buffer_store_dword v78, off, s[0:3], 0 offset:172
	s_waitcnt vmcnt(2)
	ds_write_b64 v1, v[76:77]
.LBB36_187:
	s_or_b64 exec, exec, s[4:5]
	s_waitcnt lgkmcnt(0)
	; wave barrier
	s_waitcnt lgkmcnt(0)
	buffer_load_dword v94, off, s[0:3], 0 offset:168
	buffer_load_dword v95, off, s[0:3], 0 offset:172
	;; [unrolled: 1-line block ×16, first 2 shown]
	v_mov_b32_e32 v76, 0
	ds_read_b128 v[78:81], v76 offset:480
	ds_read_b128 v[82:85], v76 offset:496
	;; [unrolled: 1-line block ×4, first 2 shown]
	v_cmp_lt_u32_e32 vcc, 20, v0
	s_waitcnt vmcnt(12) lgkmcnt(3)
	v_fma_f64 v[96:97], v[96:97], v[78:79], 0
	buffer_load_dword v79, off, s[0:3], 0 offset:236
	buffer_load_dword v78, off, s[0:3], 0 offset:232
	s_waitcnt vmcnt(12)
	v_fmac_f64_e32 v[96:97], v[98:99], v[80:81]
	s_waitcnt vmcnt(10) lgkmcnt(2)
	v_fmac_f64_e32 v[96:97], v[100:101], v[82:83]
	buffer_load_dword v83, off, s[0:3], 0 offset:244
	buffer_load_dword v82, off, s[0:3], 0 offset:240
	s_waitcnt vmcnt(10)
	v_fmac_f64_e32 v[96:97], v[102:103], v[84:85]
	s_waitcnt vmcnt(8) lgkmcnt(1)
	v_fmac_f64_e32 v[96:97], v[104:105], v[86:87]
	s_waitcnt vmcnt(6)
	v_fmac_f64_e32 v[96:97], v[106:107], v[88:89]
	s_waitcnt vmcnt(4) lgkmcnt(0)
	v_fmac_f64_e32 v[96:97], v[108:109], v[90:91]
	s_waitcnt vmcnt(2)
	v_fmac_f64_e32 v[96:97], v[78:79], v[92:93]
	ds_read_b128 v[78:81], v76 offset:544
	s_waitcnt vmcnt(0) lgkmcnt(0)
	v_fmac_f64_e32 v[96:97], v[82:83], v[78:79]
	buffer_load_dword v79, off, s[0:3], 0 offset:252
	buffer_load_dword v78, off, s[0:3], 0 offset:248
	;; [unrolled: 1-line block ×4, first 2 shown]
	s_waitcnt vmcnt(2)
	v_fmac_f64_e32 v[96:97], v[78:79], v[80:81]
	ds_read_b128 v[78:81], v76 offset:560
	s_waitcnt vmcnt(0) lgkmcnt(0)
	v_fmac_f64_e32 v[96:97], v[82:83], v[78:79]
	buffer_load_dword v79, off, s[0:3], 0 offset:268
	buffer_load_dword v78, off, s[0:3], 0 offset:264
	;; [unrolled: 1-line block ×4, first 2 shown]
	s_waitcnt vmcnt(2)
	v_fmac_f64_e32 v[96:97], v[78:79], v[80:81]
	ds_read_b128 v[78:81], v76 offset:576
	s_waitcnt vmcnt(0) lgkmcnt(0)
	v_fmac_f64_e32 v[96:97], v[82:83], v[78:79]
	buffer_load_dword v79, off, s[0:3], 0 offset:284
	buffer_load_dword v78, off, s[0:3], 0 offset:280
	s_waitcnt vmcnt(0)
	v_fmac_f64_e32 v[96:97], v[78:79], v[80:81]
	buffer_load_dword v79, off, s[0:3], 0 offset:292
	buffer_load_dword v78, off, s[0:3], 0 offset:288
	ds_read_b64 v[80:81], v76 offset:592
	s_waitcnt vmcnt(0) lgkmcnt(0)
	v_fmac_f64_e32 v[96:97], v[78:79], v[80:81]
	v_add_f64 v[78:79], v[94:95], -v[96:97]
	buffer_store_dword v79, off, s[0:3], 0 offset:172
	buffer_store_dword v78, off, s[0:3], 0 offset:168
	s_and_saveexec_b64 s[4:5], vcc
	s_cbranch_execz .LBB36_189
; %bb.188:
	buffer_load_dword v78, off, s[0:3], 0 offset:160
	buffer_load_dword v79, off, s[0:3], 0 offset:164
	s_waitcnt vmcnt(0)
	ds_write_b64 v1, v[78:79]
	buffer_store_dword v76, off, s[0:3], 0 offset:160
	buffer_store_dword v76, off, s[0:3], 0 offset:164
.LBB36_189:
	s_or_b64 exec, exec, s[4:5]
	s_waitcnt lgkmcnt(0)
	; wave barrier
	s_waitcnt lgkmcnt(0)
	buffer_load_dword v82, off, s[0:3], 0 offset:160
	buffer_load_dword v83, off, s[0:3], 0 offset:164
	;; [unrolled: 1-line block ×16, first 2 shown]
	ds_read2_b64 v[78:81], v76 offset0:59 offset1:60
	v_cmp_lt_u32_e32 vcc, 19, v0
	s_waitcnt vmcnt(12) lgkmcnt(0)
	v_fma_f64 v[84:85], v[84:85], v[78:79], 0
	s_waitcnt vmcnt(10)
	v_fmac_f64_e32 v[84:85], v[86:87], v[80:81]
	ds_read2_b64 v[78:81], v76 offset0:61 offset1:62
	s_waitcnt vmcnt(8) lgkmcnt(0)
	v_fmac_f64_e32 v[84:85], v[88:89], v[78:79]
	s_waitcnt vmcnt(6)
	v_fmac_f64_e32 v[84:85], v[90:91], v[80:81]
	ds_read2_b64 v[78:81], v76 offset0:63 offset1:64
	s_waitcnt vmcnt(4) lgkmcnt(0)
	v_fmac_f64_e32 v[84:85], v[92:93], v[78:79]
	;; [unrolled: 5-line block ×3, first 2 shown]
	buffer_load_dword v79, off, s[0:3], 0 offset:228
	buffer_load_dword v78, off, s[0:3], 0 offset:224
	buffer_load_dword v87, off, s[0:3], 0 offset:236
	buffer_load_dword v86, off, s[0:3], 0 offset:232
	s_waitcnt vmcnt(2)
	v_fmac_f64_e32 v[84:85], v[78:79], v[80:81]
	ds_read2_b64 v[78:81], v76 offset0:67 offset1:68
	s_waitcnt vmcnt(0) lgkmcnt(0)
	v_fmac_f64_e32 v[84:85], v[86:87], v[78:79]
	buffer_load_dword v79, off, s[0:3], 0 offset:244
	buffer_load_dword v78, off, s[0:3], 0 offset:240
	buffer_load_dword v87, off, s[0:3], 0 offset:252
	buffer_load_dword v86, off, s[0:3], 0 offset:248
	s_waitcnt vmcnt(2)
	v_fmac_f64_e32 v[84:85], v[78:79], v[80:81]
	ds_read2_b64 v[78:81], v76 offset0:69 offset1:70
	s_waitcnt vmcnt(0) lgkmcnt(0)
	v_fmac_f64_e32 v[84:85], v[86:87], v[78:79]
	;; [unrolled: 9-line block ×3, first 2 shown]
	buffer_load_dword v79, off, s[0:3], 0 offset:276
	buffer_load_dword v78, off, s[0:3], 0 offset:272
	s_waitcnt vmcnt(0)
	v_fmac_f64_e32 v[84:85], v[78:79], v[80:81]
	buffer_load_dword v81, off, s[0:3], 0 offset:284
	buffer_load_dword v80, off, s[0:3], 0 offset:280
	ds_read2_b64 v[76:79], v76 offset0:73 offset1:74
	s_waitcnt vmcnt(0) lgkmcnt(0)
	v_fmac_f64_e32 v[84:85], v[80:81], v[76:77]
	buffer_load_dword v77, off, s[0:3], 0 offset:292
	buffer_load_dword v76, off, s[0:3], 0 offset:288
	s_waitcnt vmcnt(0)
	v_fmac_f64_e32 v[84:85], v[76:77], v[78:79]
	v_add_f64 v[76:77], v[82:83], -v[84:85]
	buffer_store_dword v77, off, s[0:3], 0 offset:164
	buffer_store_dword v76, off, s[0:3], 0 offset:160
	s_and_saveexec_b64 s[4:5], vcc
	s_cbranch_execz .LBB36_191
; %bb.190:
	buffer_load_dword v76, off, s[0:3], 0 offset:152
	buffer_load_dword v77, off, s[0:3], 0 offset:156
	v_mov_b32_e32 v78, 0
	buffer_store_dword v78, off, s[0:3], 0 offset:152
	buffer_store_dword v78, off, s[0:3], 0 offset:156
	s_waitcnt vmcnt(2)
	ds_write_b64 v1, v[76:77]
.LBB36_191:
	s_or_b64 exec, exec, s[4:5]
	s_waitcnt lgkmcnt(0)
	; wave barrier
	s_waitcnt lgkmcnt(0)
	buffer_load_dword v76, off, s[0:3], 0 offset:152
	buffer_load_dword v77, off, s[0:3], 0 offset:156
	buffer_load_dword v78, off, s[0:3], 0 offset:160
	buffer_load_dword v79, off, s[0:3], 0 offset:164
	buffer_load_dword v98, off, s[0:3], 0 offset:168
	buffer_load_dword v99, off, s[0:3], 0 offset:172
	buffer_load_dword v100, off, s[0:3], 0 offset:176
	buffer_load_dword v101, off, s[0:3], 0 offset:180
	buffer_load_dword v102, off, s[0:3], 0 offset:184
	buffer_load_dword v103, off, s[0:3], 0 offset:188
	buffer_load_dword v104, off, s[0:3], 0 offset:192
	buffer_load_dword v105, off, s[0:3], 0 offset:196
	buffer_load_dword v106, off, s[0:3], 0 offset:200
	buffer_load_dword v107, off, s[0:3], 0 offset:204
	buffer_load_dword v108, off, s[0:3], 0 offset:208
	buffer_load_dword v109, off, s[0:3], 0 offset:212
	v_mov_b32_e32 v80, 0
	ds_read_b128 v[82:85], v80 offset:464
	ds_read_b128 v[86:89], v80 offset:480
	;; [unrolled: 1-line block ×4, first 2 shown]
	v_cmp_lt_u32_e32 vcc, 18, v0
	s_waitcnt vmcnt(12) lgkmcnt(3)
	v_fma_f64 v[78:79], v[78:79], v[82:83], 0
	buffer_load_dword v83, off, s[0:3], 0 offset:220
	buffer_load_dword v82, off, s[0:3], 0 offset:216
	s_waitcnt vmcnt(12)
	v_fmac_f64_e32 v[78:79], v[98:99], v[84:85]
	s_waitcnt vmcnt(10) lgkmcnt(2)
	v_fmac_f64_e32 v[78:79], v[100:101], v[86:87]
	buffer_load_dword v87, off, s[0:3], 0 offset:228
	buffer_load_dword v86, off, s[0:3], 0 offset:224
	s_waitcnt vmcnt(10)
	v_fmac_f64_e32 v[78:79], v[102:103], v[88:89]
	s_waitcnt vmcnt(8) lgkmcnt(1)
	v_fmac_f64_e32 v[78:79], v[104:105], v[90:91]
	s_waitcnt vmcnt(6)
	v_fmac_f64_e32 v[78:79], v[106:107], v[92:93]
	s_waitcnt vmcnt(4) lgkmcnt(0)
	v_fmac_f64_e32 v[78:79], v[108:109], v[94:95]
	s_waitcnt vmcnt(2)
	v_fmac_f64_e32 v[78:79], v[82:83], v[96:97]
	ds_read_b128 v[82:85], v80 offset:528
	s_waitcnt vmcnt(0) lgkmcnt(0)
	v_fmac_f64_e32 v[78:79], v[86:87], v[82:83]
	buffer_load_dword v83, off, s[0:3], 0 offset:236
	buffer_load_dword v82, off, s[0:3], 0 offset:232
	buffer_load_dword v87, off, s[0:3], 0 offset:244
	buffer_load_dword v86, off, s[0:3], 0 offset:240
	s_waitcnt vmcnt(2)
	v_fmac_f64_e32 v[78:79], v[82:83], v[84:85]
	ds_read_b128 v[82:85], v80 offset:544
	s_waitcnt vmcnt(0) lgkmcnt(0)
	v_fmac_f64_e32 v[78:79], v[86:87], v[82:83]
	buffer_load_dword v83, off, s[0:3], 0 offset:252
	buffer_load_dword v82, off, s[0:3], 0 offset:248
	buffer_load_dword v87, off, s[0:3], 0 offset:260
	buffer_load_dword v86, off, s[0:3], 0 offset:256
	;; [unrolled: 9-line block ×3, first 2 shown]
	s_waitcnt vmcnt(2)
	v_fmac_f64_e32 v[78:79], v[82:83], v[84:85]
	ds_read_b128 v[82:85], v80 offset:576
	s_waitcnt vmcnt(0) lgkmcnt(0)
	v_fmac_f64_e32 v[78:79], v[86:87], v[82:83]
	buffer_load_dword v83, off, s[0:3], 0 offset:284
	buffer_load_dword v82, off, s[0:3], 0 offset:280
	s_waitcnt vmcnt(0)
	v_fmac_f64_e32 v[78:79], v[82:83], v[84:85]
	buffer_load_dword v83, off, s[0:3], 0 offset:292
	buffer_load_dword v82, off, s[0:3], 0 offset:288
	ds_read_b64 v[84:85], v80 offset:592
	s_waitcnt vmcnt(0) lgkmcnt(0)
	v_fmac_f64_e32 v[78:79], v[82:83], v[84:85]
	v_add_f64 v[76:77], v[76:77], -v[78:79]
	buffer_store_dword v77, off, s[0:3], 0 offset:156
	buffer_store_dword v76, off, s[0:3], 0 offset:152
	s_and_saveexec_b64 s[4:5], vcc
	s_cbranch_execz .LBB36_193
; %bb.192:
	buffer_load_dword v76, off, s[0:3], 0 offset:144
	buffer_load_dword v77, off, s[0:3], 0 offset:148
	s_waitcnt vmcnt(0)
	ds_write_b64 v1, v[76:77]
	buffer_store_dword v80, off, s[0:3], 0 offset:144
	buffer_store_dword v80, off, s[0:3], 0 offset:148
.LBB36_193:
	s_or_b64 exec, exec, s[4:5]
	s_waitcnt lgkmcnt(0)
	; wave barrier
	s_waitcnt lgkmcnt(0)
	buffer_load_dword v76, off, s[0:3], 0 offset:144
	buffer_load_dword v77, off, s[0:3], 0 offset:148
	;; [unrolled: 1-line block ×16, first 2 shown]
	ds_read2_b64 v[82:85], v80 offset0:57 offset1:58
	v_cmp_lt_u32_e32 vcc, 17, v0
	s_waitcnt vmcnt(12) lgkmcnt(0)
	v_fma_f64 v[78:79], v[78:79], v[82:83], 0
	s_waitcnt vmcnt(10)
	v_fmac_f64_e32 v[78:79], v[86:87], v[84:85]
	ds_read2_b64 v[82:85], v80 offset0:59 offset1:60
	s_waitcnt vmcnt(8) lgkmcnt(0)
	v_fmac_f64_e32 v[78:79], v[88:89], v[82:83]
	s_waitcnt vmcnt(6)
	v_fmac_f64_e32 v[78:79], v[90:91], v[84:85]
	ds_read2_b64 v[82:85], v80 offset0:61 offset1:62
	s_waitcnt vmcnt(4) lgkmcnt(0)
	v_fmac_f64_e32 v[78:79], v[92:93], v[82:83]
	;; [unrolled: 5-line block ×3, first 2 shown]
	buffer_load_dword v83, off, s[0:3], 0 offset:212
	buffer_load_dword v82, off, s[0:3], 0 offset:208
	buffer_load_dword v87, off, s[0:3], 0 offset:220
	buffer_load_dword v86, off, s[0:3], 0 offset:216
	s_waitcnt vmcnt(2)
	v_fmac_f64_e32 v[78:79], v[82:83], v[84:85]
	ds_read2_b64 v[82:85], v80 offset0:65 offset1:66
	s_waitcnt vmcnt(0) lgkmcnt(0)
	v_fmac_f64_e32 v[78:79], v[86:87], v[82:83]
	buffer_load_dword v83, off, s[0:3], 0 offset:228
	buffer_load_dword v82, off, s[0:3], 0 offset:224
	buffer_load_dword v87, off, s[0:3], 0 offset:236
	buffer_load_dword v86, off, s[0:3], 0 offset:232
	s_waitcnt vmcnt(2)
	v_fmac_f64_e32 v[78:79], v[82:83], v[84:85]
	ds_read2_b64 v[82:85], v80 offset0:67 offset1:68
	s_waitcnt vmcnt(0) lgkmcnt(0)
	v_fmac_f64_e32 v[78:79], v[86:87], v[82:83]
	;; [unrolled: 9-line block ×4, first 2 shown]
	buffer_load_dword v83, off, s[0:3], 0 offset:276
	buffer_load_dword v82, off, s[0:3], 0 offset:272
	s_waitcnt vmcnt(0)
	v_fmac_f64_e32 v[78:79], v[82:83], v[84:85]
	buffer_load_dword v85, off, s[0:3], 0 offset:284
	buffer_load_dword v84, off, s[0:3], 0 offset:280
	ds_read2_b64 v[80:83], v80 offset0:73 offset1:74
	s_waitcnt vmcnt(0) lgkmcnt(0)
	v_fmac_f64_e32 v[78:79], v[84:85], v[80:81]
	buffer_load_dword v81, off, s[0:3], 0 offset:292
	buffer_load_dword v80, off, s[0:3], 0 offset:288
	s_waitcnt vmcnt(0)
	v_fmac_f64_e32 v[78:79], v[80:81], v[82:83]
	v_add_f64 v[76:77], v[76:77], -v[78:79]
	buffer_store_dword v77, off, s[0:3], 0 offset:148
	buffer_store_dword v76, off, s[0:3], 0 offset:144
	s_and_saveexec_b64 s[4:5], vcc
	s_cbranch_execz .LBB36_195
; %bb.194:
	buffer_load_dword v76, off, s[0:3], 0 offset:136
	buffer_load_dword v77, off, s[0:3], 0 offset:140
	v_mov_b32_e32 v78, 0
	buffer_store_dword v78, off, s[0:3], 0 offset:136
	buffer_store_dword v78, off, s[0:3], 0 offset:140
	s_waitcnt vmcnt(2)
	ds_write_b64 v1, v[76:77]
.LBB36_195:
	s_or_b64 exec, exec, s[4:5]
	s_waitcnt lgkmcnt(0)
	; wave barrier
	s_waitcnt lgkmcnt(0)
	buffer_load_dword v76, off, s[0:3], 0 offset:136
	buffer_load_dword v77, off, s[0:3], 0 offset:140
	;; [unrolled: 1-line block ×16, first 2 shown]
	v_mov_b32_e32 v80, 0
	ds_read_b128 v[82:85], v80 offset:448
	ds_read_b128 v[86:89], v80 offset:464
	;; [unrolled: 1-line block ×4, first 2 shown]
	v_cmp_lt_u32_e32 vcc, 16, v0
	s_waitcnt vmcnt(12) lgkmcnt(3)
	v_fma_f64 v[78:79], v[78:79], v[82:83], 0
	buffer_load_dword v83, off, s[0:3], 0 offset:204
	buffer_load_dword v82, off, s[0:3], 0 offset:200
	s_waitcnt vmcnt(12)
	v_fmac_f64_e32 v[78:79], v[98:99], v[84:85]
	s_waitcnt vmcnt(10) lgkmcnt(2)
	v_fmac_f64_e32 v[78:79], v[100:101], v[86:87]
	buffer_load_dword v87, off, s[0:3], 0 offset:212
	buffer_load_dword v86, off, s[0:3], 0 offset:208
	s_waitcnt vmcnt(10)
	v_fmac_f64_e32 v[78:79], v[102:103], v[88:89]
	s_waitcnt vmcnt(8) lgkmcnt(1)
	v_fmac_f64_e32 v[78:79], v[104:105], v[90:91]
	s_waitcnt vmcnt(6)
	v_fmac_f64_e32 v[78:79], v[106:107], v[92:93]
	s_waitcnt vmcnt(4) lgkmcnt(0)
	v_fmac_f64_e32 v[78:79], v[108:109], v[94:95]
	s_waitcnt vmcnt(2)
	v_fmac_f64_e32 v[78:79], v[82:83], v[96:97]
	ds_read_b128 v[82:85], v80 offset:512
	s_waitcnt vmcnt(0) lgkmcnt(0)
	v_fmac_f64_e32 v[78:79], v[86:87], v[82:83]
	buffer_load_dword v83, off, s[0:3], 0 offset:220
	buffer_load_dword v82, off, s[0:3], 0 offset:216
	buffer_load_dword v87, off, s[0:3], 0 offset:228
	buffer_load_dword v86, off, s[0:3], 0 offset:224
	s_waitcnt vmcnt(2)
	v_fmac_f64_e32 v[78:79], v[82:83], v[84:85]
	ds_read_b128 v[82:85], v80 offset:528
	s_waitcnt vmcnt(0) lgkmcnt(0)
	v_fmac_f64_e32 v[78:79], v[86:87], v[82:83]
	buffer_load_dword v83, off, s[0:3], 0 offset:236
	buffer_load_dword v82, off, s[0:3], 0 offset:232
	buffer_load_dword v87, off, s[0:3], 0 offset:244
	buffer_load_dword v86, off, s[0:3], 0 offset:240
	;; [unrolled: 9-line block ×4, first 2 shown]
	s_waitcnt vmcnt(2)
	v_fmac_f64_e32 v[78:79], v[82:83], v[84:85]
	ds_read_b128 v[82:85], v80 offset:576
	s_waitcnt vmcnt(0) lgkmcnt(0)
	v_fmac_f64_e32 v[78:79], v[86:87], v[82:83]
	buffer_load_dword v83, off, s[0:3], 0 offset:284
	buffer_load_dword v82, off, s[0:3], 0 offset:280
	s_waitcnt vmcnt(0)
	v_fmac_f64_e32 v[78:79], v[82:83], v[84:85]
	buffer_load_dword v83, off, s[0:3], 0 offset:292
	buffer_load_dword v82, off, s[0:3], 0 offset:288
	ds_read_b64 v[84:85], v80 offset:592
	s_waitcnt vmcnt(0) lgkmcnt(0)
	v_fmac_f64_e32 v[78:79], v[82:83], v[84:85]
	v_add_f64 v[76:77], v[76:77], -v[78:79]
	buffer_store_dword v77, off, s[0:3], 0 offset:140
	buffer_store_dword v76, off, s[0:3], 0 offset:136
	s_and_saveexec_b64 s[4:5], vcc
	s_cbranch_execz .LBB36_197
; %bb.196:
	buffer_load_dword v76, off, s[0:3], 0 offset:128
	buffer_load_dword v77, off, s[0:3], 0 offset:132
	s_waitcnt vmcnt(0)
	ds_write_b64 v1, v[76:77]
	buffer_store_dword v80, off, s[0:3], 0 offset:128
	buffer_store_dword v80, off, s[0:3], 0 offset:132
.LBB36_197:
	s_or_b64 exec, exec, s[4:5]
	s_waitcnt lgkmcnt(0)
	; wave barrier
	s_waitcnt lgkmcnt(0)
	buffer_load_dword v76, off, s[0:3], 0 offset:128
	buffer_load_dword v77, off, s[0:3], 0 offset:132
	buffer_load_dword v78, off, s[0:3], 0 offset:136
	buffer_load_dword v79, off, s[0:3], 0 offset:140
	buffer_load_dword v86, off, s[0:3], 0 offset:144
	buffer_load_dword v87, off, s[0:3], 0 offset:148
	buffer_load_dword v88, off, s[0:3], 0 offset:152
	buffer_load_dword v89, off, s[0:3], 0 offset:156
	buffer_load_dword v90, off, s[0:3], 0 offset:160
	buffer_load_dword v91, off, s[0:3], 0 offset:164
	buffer_load_dword v92, off, s[0:3], 0 offset:168
	buffer_load_dword v93, off, s[0:3], 0 offset:172
	buffer_load_dword v94, off, s[0:3], 0 offset:176
	buffer_load_dword v95, off, s[0:3], 0 offset:180
	buffer_load_dword v96, off, s[0:3], 0 offset:184
	buffer_load_dword v97, off, s[0:3], 0 offset:188
	ds_read2_b64 v[82:85], v80 offset0:55 offset1:56
	v_cmp_lt_u32_e32 vcc, 15, v0
	s_waitcnt vmcnt(12) lgkmcnt(0)
	v_fma_f64 v[78:79], v[78:79], v[82:83], 0
	s_waitcnt vmcnt(10)
	v_fmac_f64_e32 v[78:79], v[86:87], v[84:85]
	ds_read2_b64 v[82:85], v80 offset0:57 offset1:58
	s_waitcnt vmcnt(8) lgkmcnt(0)
	v_fmac_f64_e32 v[78:79], v[88:89], v[82:83]
	s_waitcnt vmcnt(6)
	v_fmac_f64_e32 v[78:79], v[90:91], v[84:85]
	ds_read2_b64 v[82:85], v80 offset0:59 offset1:60
	s_waitcnt vmcnt(4) lgkmcnt(0)
	v_fmac_f64_e32 v[78:79], v[92:93], v[82:83]
	;; [unrolled: 5-line block ×3, first 2 shown]
	buffer_load_dword v83, off, s[0:3], 0 offset:196
	buffer_load_dword v82, off, s[0:3], 0 offset:192
	buffer_load_dword v87, off, s[0:3], 0 offset:204
	buffer_load_dword v86, off, s[0:3], 0 offset:200
	s_waitcnt vmcnt(2)
	v_fmac_f64_e32 v[78:79], v[82:83], v[84:85]
	ds_read2_b64 v[82:85], v80 offset0:63 offset1:64
	s_waitcnt vmcnt(0) lgkmcnt(0)
	v_fmac_f64_e32 v[78:79], v[86:87], v[82:83]
	buffer_load_dword v83, off, s[0:3], 0 offset:212
	buffer_load_dword v82, off, s[0:3], 0 offset:208
	buffer_load_dword v87, off, s[0:3], 0 offset:220
	buffer_load_dword v86, off, s[0:3], 0 offset:216
	s_waitcnt vmcnt(2)
	v_fmac_f64_e32 v[78:79], v[82:83], v[84:85]
	ds_read2_b64 v[82:85], v80 offset0:65 offset1:66
	s_waitcnt vmcnt(0) lgkmcnt(0)
	v_fmac_f64_e32 v[78:79], v[86:87], v[82:83]
	;; [unrolled: 9-line block ×5, first 2 shown]
	buffer_load_dword v83, off, s[0:3], 0 offset:276
	buffer_load_dword v82, off, s[0:3], 0 offset:272
	s_waitcnt vmcnt(0)
	v_fmac_f64_e32 v[78:79], v[82:83], v[84:85]
	buffer_load_dword v85, off, s[0:3], 0 offset:284
	buffer_load_dword v84, off, s[0:3], 0 offset:280
	ds_read2_b64 v[80:83], v80 offset0:73 offset1:74
	s_waitcnt vmcnt(0) lgkmcnt(0)
	v_fmac_f64_e32 v[78:79], v[84:85], v[80:81]
	buffer_load_dword v81, off, s[0:3], 0 offset:292
	buffer_load_dword v80, off, s[0:3], 0 offset:288
	s_waitcnt vmcnt(0)
	v_fmac_f64_e32 v[78:79], v[80:81], v[82:83]
	v_add_f64 v[76:77], v[76:77], -v[78:79]
	buffer_store_dword v77, off, s[0:3], 0 offset:132
	buffer_store_dword v76, off, s[0:3], 0 offset:128
	s_and_saveexec_b64 s[4:5], vcc
	s_cbranch_execz .LBB36_199
; %bb.198:
	buffer_load_dword v76, off, s[0:3], 0 offset:120
	buffer_load_dword v77, off, s[0:3], 0 offset:124
	v_mov_b32_e32 v78, 0
	buffer_store_dword v78, off, s[0:3], 0 offset:120
	buffer_store_dword v78, off, s[0:3], 0 offset:124
	s_waitcnt vmcnt(2)
	ds_write_b64 v1, v[76:77]
.LBB36_199:
	s_or_b64 exec, exec, s[4:5]
	s_waitcnt lgkmcnt(0)
	; wave barrier
	s_waitcnt lgkmcnt(0)
	buffer_load_dword v76, off, s[0:3], 0 offset:120
	buffer_load_dword v77, off, s[0:3], 0 offset:124
	buffer_load_dword v78, off, s[0:3], 0 offset:128
	buffer_load_dword v79, off, s[0:3], 0 offset:132
	buffer_load_dword v98, off, s[0:3], 0 offset:136
	buffer_load_dword v99, off, s[0:3], 0 offset:140
	buffer_load_dword v100, off, s[0:3], 0 offset:144
	buffer_load_dword v101, off, s[0:3], 0 offset:148
	buffer_load_dword v102, off, s[0:3], 0 offset:152
	buffer_load_dword v103, off, s[0:3], 0 offset:156
	buffer_load_dword v104, off, s[0:3], 0 offset:160
	buffer_load_dword v105, off, s[0:3], 0 offset:164
	buffer_load_dword v106, off, s[0:3], 0 offset:168
	buffer_load_dword v107, off, s[0:3], 0 offset:172
	buffer_load_dword v108, off, s[0:3], 0 offset:176
	buffer_load_dword v109, off, s[0:3], 0 offset:180
	v_mov_b32_e32 v80, 0
	ds_read_b128 v[82:85], v80 offset:432
	ds_read_b128 v[86:89], v80 offset:448
	;; [unrolled: 1-line block ×4, first 2 shown]
	v_cmp_lt_u32_e32 vcc, 14, v0
	s_waitcnt vmcnt(12) lgkmcnt(3)
	v_fma_f64 v[78:79], v[78:79], v[82:83], 0
	buffer_load_dword v83, off, s[0:3], 0 offset:188
	buffer_load_dword v82, off, s[0:3], 0 offset:184
	s_waitcnt vmcnt(12)
	v_fmac_f64_e32 v[78:79], v[98:99], v[84:85]
	s_waitcnt vmcnt(10) lgkmcnt(2)
	v_fmac_f64_e32 v[78:79], v[100:101], v[86:87]
	buffer_load_dword v87, off, s[0:3], 0 offset:196
	buffer_load_dword v86, off, s[0:3], 0 offset:192
	s_waitcnt vmcnt(10)
	v_fmac_f64_e32 v[78:79], v[102:103], v[88:89]
	s_waitcnt vmcnt(8) lgkmcnt(1)
	v_fmac_f64_e32 v[78:79], v[104:105], v[90:91]
	s_waitcnt vmcnt(6)
	v_fmac_f64_e32 v[78:79], v[106:107], v[92:93]
	s_waitcnt vmcnt(4) lgkmcnt(0)
	v_fmac_f64_e32 v[78:79], v[108:109], v[94:95]
	s_waitcnt vmcnt(2)
	v_fmac_f64_e32 v[78:79], v[82:83], v[96:97]
	ds_read_b128 v[82:85], v80 offset:496
	s_waitcnt vmcnt(0) lgkmcnt(0)
	v_fmac_f64_e32 v[78:79], v[86:87], v[82:83]
	buffer_load_dword v83, off, s[0:3], 0 offset:204
	buffer_load_dword v82, off, s[0:3], 0 offset:200
	buffer_load_dword v87, off, s[0:3], 0 offset:212
	buffer_load_dword v86, off, s[0:3], 0 offset:208
	s_waitcnt vmcnt(2)
	v_fmac_f64_e32 v[78:79], v[82:83], v[84:85]
	ds_read_b128 v[82:85], v80 offset:512
	s_waitcnt vmcnt(0) lgkmcnt(0)
	v_fmac_f64_e32 v[78:79], v[86:87], v[82:83]
	buffer_load_dword v83, off, s[0:3], 0 offset:220
	buffer_load_dword v82, off, s[0:3], 0 offset:216
	buffer_load_dword v87, off, s[0:3], 0 offset:228
	buffer_load_dword v86, off, s[0:3], 0 offset:224
	s_waitcnt vmcnt(2)
	v_fmac_f64_e32 v[78:79], v[82:83], v[84:85]
	ds_read_b128 v[82:85], v80 offset:528
	s_waitcnt vmcnt(0) lgkmcnt(0)
	v_fmac_f64_e32 v[78:79], v[86:87], v[82:83]
	buffer_load_dword v83, off, s[0:3], 0 offset:236
	buffer_load_dword v82, off, s[0:3], 0 offset:232
	buffer_load_dword v87, off, s[0:3], 0 offset:244
	buffer_load_dword v86, off, s[0:3], 0 offset:240
	s_waitcnt vmcnt(2)
	v_fmac_f64_e32 v[78:79], v[82:83], v[84:85]
	ds_read_b128 v[82:85], v80 offset:544
	s_waitcnt vmcnt(0) lgkmcnt(0)
	v_fmac_f64_e32 v[78:79], v[86:87], v[82:83]
	buffer_load_dword v83, off, s[0:3], 0 offset:252
	buffer_load_dword v82, off, s[0:3], 0 offset:248
	buffer_load_dword v87, off, s[0:3], 0 offset:260
	buffer_load_dword v86, off, s[0:3], 0 offset:256
	s_waitcnt vmcnt(2)
	v_fmac_f64_e32 v[78:79], v[82:83], v[84:85]
	ds_read_b128 v[82:85], v80 offset:560
	s_waitcnt vmcnt(0) lgkmcnt(0)
	v_fmac_f64_e32 v[78:79], v[86:87], v[82:83]
	buffer_load_dword v83, off, s[0:3], 0 offset:268
	buffer_load_dword v82, off, s[0:3], 0 offset:264
	buffer_load_dword v87, off, s[0:3], 0 offset:276
	buffer_load_dword v86, off, s[0:3], 0 offset:272
	s_waitcnt vmcnt(2)
	v_fmac_f64_e32 v[78:79], v[82:83], v[84:85]
	ds_read_b128 v[82:85], v80 offset:576
	s_waitcnt vmcnt(0) lgkmcnt(0)
	v_fmac_f64_e32 v[78:79], v[86:87], v[82:83]
	buffer_load_dword v83, off, s[0:3], 0 offset:284
	buffer_load_dword v82, off, s[0:3], 0 offset:280
	s_waitcnt vmcnt(0)
	v_fmac_f64_e32 v[78:79], v[82:83], v[84:85]
	buffer_load_dword v83, off, s[0:3], 0 offset:292
	buffer_load_dword v82, off, s[0:3], 0 offset:288
	ds_read_b64 v[84:85], v80 offset:592
	s_waitcnt vmcnt(0) lgkmcnt(0)
	v_fmac_f64_e32 v[78:79], v[82:83], v[84:85]
	v_add_f64 v[76:77], v[76:77], -v[78:79]
	buffer_store_dword v77, off, s[0:3], 0 offset:124
	buffer_store_dword v76, off, s[0:3], 0 offset:120
	s_and_saveexec_b64 s[4:5], vcc
	s_cbranch_execz .LBB36_201
; %bb.200:
	buffer_load_dword v76, off, s[0:3], 0 offset:112
	buffer_load_dword v77, off, s[0:3], 0 offset:116
	s_waitcnt vmcnt(0)
	ds_write_b64 v1, v[76:77]
	buffer_store_dword v80, off, s[0:3], 0 offset:112
	buffer_store_dword v80, off, s[0:3], 0 offset:116
.LBB36_201:
	s_or_b64 exec, exec, s[4:5]
	s_waitcnt lgkmcnt(0)
	; wave barrier
	s_waitcnt lgkmcnt(0)
	buffer_load_dword v76, off, s[0:3], 0 offset:112
	buffer_load_dword v77, off, s[0:3], 0 offset:116
	buffer_load_dword v78, off, s[0:3], 0 offset:120
	buffer_load_dword v79, off, s[0:3], 0 offset:124
	buffer_load_dword v86, off, s[0:3], 0 offset:128
	buffer_load_dword v87, off, s[0:3], 0 offset:132
	buffer_load_dword v88, off, s[0:3], 0 offset:136
	buffer_load_dword v89, off, s[0:3], 0 offset:140
	buffer_load_dword v90, off, s[0:3], 0 offset:144
	buffer_load_dword v91, off, s[0:3], 0 offset:148
	buffer_load_dword v92, off, s[0:3], 0 offset:152
	buffer_load_dword v93, off, s[0:3], 0 offset:156
	buffer_load_dword v94, off, s[0:3], 0 offset:160
	buffer_load_dword v95, off, s[0:3], 0 offset:164
	buffer_load_dword v96, off, s[0:3], 0 offset:168
	buffer_load_dword v97, off, s[0:3], 0 offset:172
	ds_read2_b64 v[82:85], v80 offset0:53 offset1:54
	v_cmp_lt_u32_e32 vcc, 13, v0
	s_waitcnt vmcnt(12) lgkmcnt(0)
	v_fma_f64 v[78:79], v[78:79], v[82:83], 0
	s_waitcnt vmcnt(10)
	v_fmac_f64_e32 v[78:79], v[86:87], v[84:85]
	ds_read2_b64 v[82:85], v80 offset0:55 offset1:56
	s_waitcnt vmcnt(8) lgkmcnt(0)
	v_fmac_f64_e32 v[78:79], v[88:89], v[82:83]
	s_waitcnt vmcnt(6)
	v_fmac_f64_e32 v[78:79], v[90:91], v[84:85]
	ds_read2_b64 v[82:85], v80 offset0:57 offset1:58
	s_waitcnt vmcnt(4) lgkmcnt(0)
	v_fmac_f64_e32 v[78:79], v[92:93], v[82:83]
	;; [unrolled: 5-line block ×3, first 2 shown]
	buffer_load_dword v83, off, s[0:3], 0 offset:180
	buffer_load_dword v82, off, s[0:3], 0 offset:176
	buffer_load_dword v87, off, s[0:3], 0 offset:188
	buffer_load_dword v86, off, s[0:3], 0 offset:184
	s_waitcnt vmcnt(2)
	v_fmac_f64_e32 v[78:79], v[82:83], v[84:85]
	ds_read2_b64 v[82:85], v80 offset0:61 offset1:62
	s_waitcnt vmcnt(0) lgkmcnt(0)
	v_fmac_f64_e32 v[78:79], v[86:87], v[82:83]
	buffer_load_dword v83, off, s[0:3], 0 offset:196
	buffer_load_dword v82, off, s[0:3], 0 offset:192
	buffer_load_dword v87, off, s[0:3], 0 offset:204
	buffer_load_dword v86, off, s[0:3], 0 offset:200
	s_waitcnt vmcnt(2)
	v_fmac_f64_e32 v[78:79], v[82:83], v[84:85]
	ds_read2_b64 v[82:85], v80 offset0:63 offset1:64
	s_waitcnt vmcnt(0) lgkmcnt(0)
	v_fmac_f64_e32 v[78:79], v[86:87], v[82:83]
	;; [unrolled: 9-line block ×6, first 2 shown]
	buffer_load_dword v83, off, s[0:3], 0 offset:276
	buffer_load_dword v82, off, s[0:3], 0 offset:272
	s_waitcnt vmcnt(0)
	v_fmac_f64_e32 v[78:79], v[82:83], v[84:85]
	buffer_load_dword v85, off, s[0:3], 0 offset:284
	buffer_load_dword v84, off, s[0:3], 0 offset:280
	ds_read2_b64 v[80:83], v80 offset0:73 offset1:74
	s_waitcnt vmcnt(0) lgkmcnt(0)
	v_fmac_f64_e32 v[78:79], v[84:85], v[80:81]
	buffer_load_dword v81, off, s[0:3], 0 offset:292
	buffer_load_dword v80, off, s[0:3], 0 offset:288
	s_waitcnt vmcnt(0)
	v_fmac_f64_e32 v[78:79], v[80:81], v[82:83]
	v_add_f64 v[76:77], v[76:77], -v[78:79]
	buffer_store_dword v77, off, s[0:3], 0 offset:116
	buffer_store_dword v76, off, s[0:3], 0 offset:112
	s_and_saveexec_b64 s[4:5], vcc
	s_cbranch_execz .LBB36_203
; %bb.202:
	buffer_load_dword v76, off, s[0:3], 0 offset:104
	buffer_load_dword v77, off, s[0:3], 0 offset:108
	v_mov_b32_e32 v78, 0
	buffer_store_dword v78, off, s[0:3], 0 offset:104
	buffer_store_dword v78, off, s[0:3], 0 offset:108
	s_waitcnt vmcnt(2)
	ds_write_b64 v1, v[76:77]
.LBB36_203:
	s_or_b64 exec, exec, s[4:5]
	s_waitcnt lgkmcnt(0)
	; wave barrier
	s_waitcnt lgkmcnt(0)
	buffer_load_dword v76, off, s[0:3], 0 offset:104
	buffer_load_dword v77, off, s[0:3], 0 offset:108
	;; [unrolled: 1-line block ×16, first 2 shown]
	v_mov_b32_e32 v80, 0
	ds_read_b128 v[82:85], v80 offset:416
	ds_read_b128 v[86:89], v80 offset:432
	;; [unrolled: 1-line block ×4, first 2 shown]
	v_cmp_lt_u32_e32 vcc, 12, v0
	s_waitcnt vmcnt(12) lgkmcnt(3)
	v_fma_f64 v[78:79], v[78:79], v[82:83], 0
	buffer_load_dword v83, off, s[0:3], 0 offset:172
	buffer_load_dword v82, off, s[0:3], 0 offset:168
	s_waitcnt vmcnt(12)
	v_fmac_f64_e32 v[78:79], v[98:99], v[84:85]
	s_waitcnt vmcnt(10) lgkmcnt(2)
	v_fmac_f64_e32 v[78:79], v[100:101], v[86:87]
	buffer_load_dword v87, off, s[0:3], 0 offset:180
	buffer_load_dword v86, off, s[0:3], 0 offset:176
	s_waitcnt vmcnt(10)
	v_fmac_f64_e32 v[78:79], v[102:103], v[88:89]
	s_waitcnt vmcnt(8) lgkmcnt(1)
	v_fmac_f64_e32 v[78:79], v[104:105], v[90:91]
	s_waitcnt vmcnt(6)
	v_fmac_f64_e32 v[78:79], v[106:107], v[92:93]
	s_waitcnt vmcnt(4) lgkmcnt(0)
	v_fmac_f64_e32 v[78:79], v[108:109], v[94:95]
	s_waitcnt vmcnt(2)
	v_fmac_f64_e32 v[78:79], v[82:83], v[96:97]
	ds_read_b128 v[82:85], v80 offset:480
	s_waitcnt vmcnt(0) lgkmcnt(0)
	v_fmac_f64_e32 v[78:79], v[86:87], v[82:83]
	buffer_load_dword v83, off, s[0:3], 0 offset:188
	buffer_load_dword v82, off, s[0:3], 0 offset:184
	buffer_load_dword v87, off, s[0:3], 0 offset:196
	buffer_load_dword v86, off, s[0:3], 0 offset:192
	s_waitcnt vmcnt(2)
	v_fmac_f64_e32 v[78:79], v[82:83], v[84:85]
	ds_read_b128 v[82:85], v80 offset:496
	s_waitcnt vmcnt(0) lgkmcnt(0)
	v_fmac_f64_e32 v[78:79], v[86:87], v[82:83]
	buffer_load_dword v83, off, s[0:3], 0 offset:204
	buffer_load_dword v82, off, s[0:3], 0 offset:200
	buffer_load_dword v87, off, s[0:3], 0 offset:212
	buffer_load_dword v86, off, s[0:3], 0 offset:208
	;; [unrolled: 9-line block ×6, first 2 shown]
	s_waitcnt vmcnt(2)
	v_fmac_f64_e32 v[78:79], v[82:83], v[84:85]
	ds_read_b128 v[82:85], v80 offset:576
	s_waitcnt vmcnt(0) lgkmcnt(0)
	v_fmac_f64_e32 v[78:79], v[86:87], v[82:83]
	buffer_load_dword v83, off, s[0:3], 0 offset:284
	buffer_load_dword v82, off, s[0:3], 0 offset:280
	s_waitcnt vmcnt(0)
	v_fmac_f64_e32 v[78:79], v[82:83], v[84:85]
	buffer_load_dword v83, off, s[0:3], 0 offset:292
	buffer_load_dword v82, off, s[0:3], 0 offset:288
	ds_read_b64 v[84:85], v80 offset:592
	s_waitcnt vmcnt(0) lgkmcnt(0)
	v_fmac_f64_e32 v[78:79], v[82:83], v[84:85]
	v_add_f64 v[76:77], v[76:77], -v[78:79]
	buffer_store_dword v77, off, s[0:3], 0 offset:108
	buffer_store_dword v76, off, s[0:3], 0 offset:104
	s_and_saveexec_b64 s[4:5], vcc
	s_cbranch_execz .LBB36_205
; %bb.204:
	buffer_load_dword v76, off, s[0:3], 0 offset:96
	buffer_load_dword v77, off, s[0:3], 0 offset:100
	s_waitcnt vmcnt(0)
	ds_write_b64 v1, v[76:77]
	buffer_store_dword v80, off, s[0:3], 0 offset:96
	buffer_store_dword v80, off, s[0:3], 0 offset:100
.LBB36_205:
	s_or_b64 exec, exec, s[4:5]
	s_waitcnt lgkmcnt(0)
	; wave barrier
	s_waitcnt lgkmcnt(0)
	buffer_load_dword v76, off, s[0:3], 0 offset:96
	buffer_load_dword v77, off, s[0:3], 0 offset:100
	;; [unrolled: 1-line block ×16, first 2 shown]
	ds_read2_b64 v[82:85], v80 offset0:51 offset1:52
	v_cmp_lt_u32_e32 vcc, 11, v0
	s_waitcnt vmcnt(12) lgkmcnt(0)
	v_fma_f64 v[78:79], v[78:79], v[82:83], 0
	s_waitcnt vmcnt(10)
	v_fmac_f64_e32 v[78:79], v[86:87], v[84:85]
	ds_read2_b64 v[82:85], v80 offset0:53 offset1:54
	s_waitcnt vmcnt(8) lgkmcnt(0)
	v_fmac_f64_e32 v[78:79], v[88:89], v[82:83]
	s_waitcnt vmcnt(6)
	v_fmac_f64_e32 v[78:79], v[90:91], v[84:85]
	ds_read2_b64 v[82:85], v80 offset0:55 offset1:56
	s_waitcnt vmcnt(4) lgkmcnt(0)
	v_fmac_f64_e32 v[78:79], v[92:93], v[82:83]
	;; [unrolled: 5-line block ×3, first 2 shown]
	buffer_load_dword v83, off, s[0:3], 0 offset:164
	buffer_load_dword v82, off, s[0:3], 0 offset:160
	buffer_load_dword v87, off, s[0:3], 0 offset:172
	buffer_load_dword v86, off, s[0:3], 0 offset:168
	s_waitcnt vmcnt(2)
	v_fmac_f64_e32 v[78:79], v[82:83], v[84:85]
	ds_read2_b64 v[82:85], v80 offset0:59 offset1:60
	s_waitcnt vmcnt(0) lgkmcnt(0)
	v_fmac_f64_e32 v[78:79], v[86:87], v[82:83]
	buffer_load_dword v83, off, s[0:3], 0 offset:180
	buffer_load_dword v82, off, s[0:3], 0 offset:176
	buffer_load_dword v87, off, s[0:3], 0 offset:188
	buffer_load_dword v86, off, s[0:3], 0 offset:184
	s_waitcnt vmcnt(2)
	v_fmac_f64_e32 v[78:79], v[82:83], v[84:85]
	ds_read2_b64 v[82:85], v80 offset0:61 offset1:62
	s_waitcnt vmcnt(0) lgkmcnt(0)
	v_fmac_f64_e32 v[78:79], v[86:87], v[82:83]
	;; [unrolled: 9-line block ×7, first 2 shown]
	buffer_load_dword v83, off, s[0:3], 0 offset:276
	buffer_load_dword v82, off, s[0:3], 0 offset:272
	s_waitcnt vmcnt(0)
	v_fmac_f64_e32 v[78:79], v[82:83], v[84:85]
	buffer_load_dword v85, off, s[0:3], 0 offset:284
	buffer_load_dword v84, off, s[0:3], 0 offset:280
	ds_read2_b64 v[80:83], v80 offset0:73 offset1:74
	s_waitcnt vmcnt(0) lgkmcnt(0)
	v_fmac_f64_e32 v[78:79], v[84:85], v[80:81]
	buffer_load_dword v81, off, s[0:3], 0 offset:292
	buffer_load_dword v80, off, s[0:3], 0 offset:288
	s_waitcnt vmcnt(0)
	v_fmac_f64_e32 v[78:79], v[80:81], v[82:83]
	v_add_f64 v[76:77], v[76:77], -v[78:79]
	buffer_store_dword v77, off, s[0:3], 0 offset:100
	buffer_store_dword v76, off, s[0:3], 0 offset:96
	s_and_saveexec_b64 s[4:5], vcc
	s_cbranch_execz .LBB36_207
; %bb.206:
	buffer_load_dword v76, off, s[0:3], 0 offset:88
	buffer_load_dword v77, off, s[0:3], 0 offset:92
	v_mov_b32_e32 v78, 0
	buffer_store_dword v78, off, s[0:3], 0 offset:88
	buffer_store_dword v78, off, s[0:3], 0 offset:92
	s_waitcnt vmcnt(2)
	ds_write_b64 v1, v[76:77]
.LBB36_207:
	s_or_b64 exec, exec, s[4:5]
	s_waitcnt lgkmcnt(0)
	; wave barrier
	s_waitcnt lgkmcnt(0)
	buffer_load_dword v76, off, s[0:3], 0 offset:88
	buffer_load_dword v77, off, s[0:3], 0 offset:92
	;; [unrolled: 1-line block ×16, first 2 shown]
	v_mov_b32_e32 v80, 0
	ds_read_b128 v[82:85], v80 offset:400
	ds_read_b128 v[86:89], v80 offset:416
	;; [unrolled: 1-line block ×4, first 2 shown]
	v_cmp_lt_u32_e32 vcc, 10, v0
	s_waitcnt vmcnt(12) lgkmcnt(3)
	v_fma_f64 v[78:79], v[78:79], v[82:83], 0
	buffer_load_dword v83, off, s[0:3], 0 offset:156
	buffer_load_dword v82, off, s[0:3], 0 offset:152
	s_waitcnt vmcnt(12)
	v_fmac_f64_e32 v[78:79], v[98:99], v[84:85]
	s_waitcnt vmcnt(10) lgkmcnt(2)
	v_fmac_f64_e32 v[78:79], v[100:101], v[86:87]
	buffer_load_dword v87, off, s[0:3], 0 offset:164
	buffer_load_dword v86, off, s[0:3], 0 offset:160
	s_waitcnt vmcnt(10)
	v_fmac_f64_e32 v[78:79], v[102:103], v[88:89]
	s_waitcnt vmcnt(8) lgkmcnt(1)
	v_fmac_f64_e32 v[78:79], v[104:105], v[90:91]
	s_waitcnt vmcnt(6)
	v_fmac_f64_e32 v[78:79], v[106:107], v[92:93]
	s_waitcnt vmcnt(4) lgkmcnt(0)
	v_fmac_f64_e32 v[78:79], v[108:109], v[94:95]
	s_waitcnt vmcnt(2)
	v_fmac_f64_e32 v[78:79], v[82:83], v[96:97]
	ds_read_b128 v[82:85], v80 offset:464
	s_waitcnt vmcnt(0) lgkmcnt(0)
	v_fmac_f64_e32 v[78:79], v[86:87], v[82:83]
	buffer_load_dword v83, off, s[0:3], 0 offset:172
	buffer_load_dword v82, off, s[0:3], 0 offset:168
	buffer_load_dword v87, off, s[0:3], 0 offset:180
	buffer_load_dword v86, off, s[0:3], 0 offset:176
	s_waitcnt vmcnt(2)
	v_fmac_f64_e32 v[78:79], v[82:83], v[84:85]
	ds_read_b128 v[82:85], v80 offset:480
	s_waitcnt vmcnt(0) lgkmcnt(0)
	v_fmac_f64_e32 v[78:79], v[86:87], v[82:83]
	buffer_load_dword v83, off, s[0:3], 0 offset:188
	buffer_load_dword v82, off, s[0:3], 0 offset:184
	buffer_load_dword v87, off, s[0:3], 0 offset:196
	buffer_load_dword v86, off, s[0:3], 0 offset:192
	;; [unrolled: 9-line block ×7, first 2 shown]
	s_waitcnt vmcnt(2)
	v_fmac_f64_e32 v[78:79], v[82:83], v[84:85]
	ds_read_b128 v[82:85], v80 offset:576
	s_waitcnt vmcnt(0) lgkmcnt(0)
	v_fmac_f64_e32 v[78:79], v[86:87], v[82:83]
	buffer_load_dword v83, off, s[0:3], 0 offset:284
	buffer_load_dword v82, off, s[0:3], 0 offset:280
	s_waitcnt vmcnt(0)
	v_fmac_f64_e32 v[78:79], v[82:83], v[84:85]
	buffer_load_dword v83, off, s[0:3], 0 offset:292
	buffer_load_dword v82, off, s[0:3], 0 offset:288
	ds_read_b64 v[84:85], v80 offset:592
	s_waitcnt vmcnt(0) lgkmcnt(0)
	v_fmac_f64_e32 v[78:79], v[82:83], v[84:85]
	v_add_f64 v[76:77], v[76:77], -v[78:79]
	buffer_store_dword v77, off, s[0:3], 0 offset:92
	buffer_store_dword v76, off, s[0:3], 0 offset:88
	s_and_saveexec_b64 s[4:5], vcc
	s_cbranch_execz .LBB36_209
; %bb.208:
	buffer_load_dword v76, off, s[0:3], 0 offset:80
	buffer_load_dword v77, off, s[0:3], 0 offset:84
	s_waitcnt vmcnt(0)
	ds_write_b64 v1, v[76:77]
	buffer_store_dword v80, off, s[0:3], 0 offset:80
	buffer_store_dword v80, off, s[0:3], 0 offset:84
.LBB36_209:
	s_or_b64 exec, exec, s[4:5]
	s_waitcnt lgkmcnt(0)
	; wave barrier
	s_waitcnt lgkmcnt(0)
	buffer_load_dword v76, off, s[0:3], 0 offset:80
	buffer_load_dword v77, off, s[0:3], 0 offset:84
	;; [unrolled: 1-line block ×16, first 2 shown]
	ds_read2_b64 v[82:85], v80 offset0:49 offset1:50
	v_cmp_lt_u32_e32 vcc, 9, v0
	s_waitcnt vmcnt(12) lgkmcnt(0)
	v_fma_f64 v[78:79], v[78:79], v[82:83], 0
	s_waitcnt vmcnt(10)
	v_fmac_f64_e32 v[78:79], v[86:87], v[84:85]
	ds_read2_b64 v[82:85], v80 offset0:51 offset1:52
	s_waitcnt vmcnt(8) lgkmcnt(0)
	v_fmac_f64_e32 v[78:79], v[88:89], v[82:83]
	s_waitcnt vmcnt(6)
	v_fmac_f64_e32 v[78:79], v[90:91], v[84:85]
	ds_read2_b64 v[82:85], v80 offset0:53 offset1:54
	s_waitcnt vmcnt(4) lgkmcnt(0)
	v_fmac_f64_e32 v[78:79], v[92:93], v[82:83]
	;; [unrolled: 5-line block ×3, first 2 shown]
	buffer_load_dword v83, off, s[0:3], 0 offset:148
	buffer_load_dword v82, off, s[0:3], 0 offset:144
	buffer_load_dword v87, off, s[0:3], 0 offset:156
	buffer_load_dword v86, off, s[0:3], 0 offset:152
	s_waitcnt vmcnt(2)
	v_fmac_f64_e32 v[78:79], v[82:83], v[84:85]
	ds_read2_b64 v[82:85], v80 offset0:57 offset1:58
	s_waitcnt vmcnt(0) lgkmcnt(0)
	v_fmac_f64_e32 v[78:79], v[86:87], v[82:83]
	buffer_load_dword v83, off, s[0:3], 0 offset:164
	buffer_load_dword v82, off, s[0:3], 0 offset:160
	buffer_load_dword v87, off, s[0:3], 0 offset:172
	buffer_load_dword v86, off, s[0:3], 0 offset:168
	s_waitcnt vmcnt(2)
	v_fmac_f64_e32 v[78:79], v[82:83], v[84:85]
	ds_read2_b64 v[82:85], v80 offset0:59 offset1:60
	s_waitcnt vmcnt(0) lgkmcnt(0)
	v_fmac_f64_e32 v[78:79], v[86:87], v[82:83]
	;; [unrolled: 9-line block ×8, first 2 shown]
	buffer_load_dword v83, off, s[0:3], 0 offset:276
	buffer_load_dword v82, off, s[0:3], 0 offset:272
	s_waitcnt vmcnt(0)
	v_fmac_f64_e32 v[78:79], v[82:83], v[84:85]
	buffer_load_dword v85, off, s[0:3], 0 offset:284
	buffer_load_dword v84, off, s[0:3], 0 offset:280
	ds_read2_b64 v[80:83], v80 offset0:73 offset1:74
	s_waitcnt vmcnt(0) lgkmcnt(0)
	v_fmac_f64_e32 v[78:79], v[84:85], v[80:81]
	buffer_load_dword v81, off, s[0:3], 0 offset:292
	buffer_load_dword v80, off, s[0:3], 0 offset:288
	s_waitcnt vmcnt(0)
	v_fmac_f64_e32 v[78:79], v[80:81], v[82:83]
	v_add_f64 v[76:77], v[76:77], -v[78:79]
	buffer_store_dword v77, off, s[0:3], 0 offset:84
	buffer_store_dword v76, off, s[0:3], 0 offset:80
	s_and_saveexec_b64 s[4:5], vcc
	s_cbranch_execz .LBB36_211
; %bb.210:
	buffer_load_dword v76, off, s[0:3], 0 offset:72
	buffer_load_dword v77, off, s[0:3], 0 offset:76
	v_mov_b32_e32 v78, 0
	buffer_store_dword v78, off, s[0:3], 0 offset:72
	buffer_store_dword v78, off, s[0:3], 0 offset:76
	s_waitcnt vmcnt(2)
	ds_write_b64 v1, v[76:77]
.LBB36_211:
	s_or_b64 exec, exec, s[4:5]
	s_waitcnt lgkmcnt(0)
	; wave barrier
	s_waitcnt lgkmcnt(0)
	buffer_load_dword v76, off, s[0:3], 0 offset:72
	buffer_load_dword v77, off, s[0:3], 0 offset:76
	;; [unrolled: 1-line block ×16, first 2 shown]
	v_mov_b32_e32 v80, 0
	ds_read_b128 v[82:85], v80 offset:384
	ds_read_b128 v[86:89], v80 offset:400
	;; [unrolled: 1-line block ×4, first 2 shown]
	v_cmp_lt_u32_e32 vcc, 8, v0
	s_waitcnt vmcnt(12) lgkmcnt(3)
	v_fma_f64 v[78:79], v[78:79], v[82:83], 0
	buffer_load_dword v83, off, s[0:3], 0 offset:140
	buffer_load_dword v82, off, s[0:3], 0 offset:136
	s_waitcnt vmcnt(12)
	v_fmac_f64_e32 v[78:79], v[98:99], v[84:85]
	s_waitcnt vmcnt(10) lgkmcnt(2)
	v_fmac_f64_e32 v[78:79], v[100:101], v[86:87]
	buffer_load_dword v87, off, s[0:3], 0 offset:148
	buffer_load_dword v86, off, s[0:3], 0 offset:144
	s_waitcnt vmcnt(10)
	v_fmac_f64_e32 v[78:79], v[102:103], v[88:89]
	s_waitcnt vmcnt(8) lgkmcnt(1)
	v_fmac_f64_e32 v[78:79], v[104:105], v[90:91]
	s_waitcnt vmcnt(6)
	v_fmac_f64_e32 v[78:79], v[106:107], v[92:93]
	s_waitcnt vmcnt(4) lgkmcnt(0)
	v_fmac_f64_e32 v[78:79], v[108:109], v[94:95]
	s_waitcnt vmcnt(2)
	v_fmac_f64_e32 v[78:79], v[82:83], v[96:97]
	ds_read_b128 v[82:85], v80 offset:448
	s_waitcnt vmcnt(0) lgkmcnt(0)
	v_fmac_f64_e32 v[78:79], v[86:87], v[82:83]
	buffer_load_dword v83, off, s[0:3], 0 offset:156
	buffer_load_dword v82, off, s[0:3], 0 offset:152
	buffer_load_dword v87, off, s[0:3], 0 offset:164
	buffer_load_dword v86, off, s[0:3], 0 offset:160
	s_waitcnt vmcnt(2)
	v_fmac_f64_e32 v[78:79], v[82:83], v[84:85]
	ds_read_b128 v[82:85], v80 offset:464
	s_waitcnt vmcnt(0) lgkmcnt(0)
	v_fmac_f64_e32 v[78:79], v[86:87], v[82:83]
	buffer_load_dword v83, off, s[0:3], 0 offset:172
	buffer_load_dword v82, off, s[0:3], 0 offset:168
	buffer_load_dword v87, off, s[0:3], 0 offset:180
	buffer_load_dword v86, off, s[0:3], 0 offset:176
	s_waitcnt vmcnt(2)
	v_fmac_f64_e32 v[78:79], v[82:83], v[84:85]
	ds_read_b128 v[82:85], v80 offset:480
	s_waitcnt vmcnt(0) lgkmcnt(0)
	v_fmac_f64_e32 v[78:79], v[86:87], v[82:83]
	buffer_load_dword v83, off, s[0:3], 0 offset:188
	buffer_load_dword v82, off, s[0:3], 0 offset:184
	buffer_load_dword v87, off, s[0:3], 0 offset:196
	buffer_load_dword v86, off, s[0:3], 0 offset:192
	s_waitcnt vmcnt(2)
	v_fmac_f64_e32 v[78:79], v[82:83], v[84:85]
	ds_read_b128 v[82:85], v80 offset:496
	s_waitcnt vmcnt(0) lgkmcnt(0)
	v_fmac_f64_e32 v[78:79], v[86:87], v[82:83]
	buffer_load_dword v83, off, s[0:3], 0 offset:204
	buffer_load_dword v82, off, s[0:3], 0 offset:200
	buffer_load_dword v87, off, s[0:3], 0 offset:212
	buffer_load_dword v86, off, s[0:3], 0 offset:208
	s_waitcnt vmcnt(2)
	v_fmac_f64_e32 v[78:79], v[82:83], v[84:85]
	ds_read_b128 v[82:85], v80 offset:512
	s_waitcnt vmcnt(0) lgkmcnt(0)
	v_fmac_f64_e32 v[78:79], v[86:87], v[82:83]
	buffer_load_dword v83, off, s[0:3], 0 offset:220
	buffer_load_dword v82, off, s[0:3], 0 offset:216
	buffer_load_dword v87, off, s[0:3], 0 offset:228
	buffer_load_dword v86, off, s[0:3], 0 offset:224
	s_waitcnt vmcnt(2)
	v_fmac_f64_e32 v[78:79], v[82:83], v[84:85]
	ds_read_b128 v[82:85], v80 offset:528
	s_waitcnt vmcnt(0) lgkmcnt(0)
	v_fmac_f64_e32 v[78:79], v[86:87], v[82:83]
	buffer_load_dword v83, off, s[0:3], 0 offset:236
	buffer_load_dword v82, off, s[0:3], 0 offset:232
	buffer_load_dword v87, off, s[0:3], 0 offset:244
	buffer_load_dword v86, off, s[0:3], 0 offset:240
	s_waitcnt vmcnt(2)
	v_fmac_f64_e32 v[78:79], v[82:83], v[84:85]
	ds_read_b128 v[82:85], v80 offset:544
	s_waitcnt vmcnt(0) lgkmcnt(0)
	v_fmac_f64_e32 v[78:79], v[86:87], v[82:83]
	buffer_load_dword v83, off, s[0:3], 0 offset:252
	buffer_load_dword v82, off, s[0:3], 0 offset:248
	buffer_load_dword v87, off, s[0:3], 0 offset:260
	buffer_load_dword v86, off, s[0:3], 0 offset:256
	s_waitcnt vmcnt(2)
	v_fmac_f64_e32 v[78:79], v[82:83], v[84:85]
	ds_read_b128 v[82:85], v80 offset:560
	s_waitcnt vmcnt(0) lgkmcnt(0)
	v_fmac_f64_e32 v[78:79], v[86:87], v[82:83]
	buffer_load_dword v83, off, s[0:3], 0 offset:268
	buffer_load_dword v82, off, s[0:3], 0 offset:264
	buffer_load_dword v87, off, s[0:3], 0 offset:276
	buffer_load_dword v86, off, s[0:3], 0 offset:272
	s_waitcnt vmcnt(2)
	v_fmac_f64_e32 v[78:79], v[82:83], v[84:85]
	ds_read_b128 v[82:85], v80 offset:576
	s_waitcnt vmcnt(0) lgkmcnt(0)
	v_fmac_f64_e32 v[78:79], v[86:87], v[82:83]
	buffer_load_dword v83, off, s[0:3], 0 offset:284
	buffer_load_dword v82, off, s[0:3], 0 offset:280
	s_waitcnt vmcnt(0)
	v_fmac_f64_e32 v[78:79], v[82:83], v[84:85]
	buffer_load_dword v83, off, s[0:3], 0 offset:292
	buffer_load_dword v82, off, s[0:3], 0 offset:288
	ds_read_b64 v[84:85], v80 offset:592
	s_waitcnt vmcnt(0) lgkmcnt(0)
	v_fmac_f64_e32 v[78:79], v[82:83], v[84:85]
	v_add_f64 v[76:77], v[76:77], -v[78:79]
	buffer_store_dword v77, off, s[0:3], 0 offset:76
	buffer_store_dword v76, off, s[0:3], 0 offset:72
	s_and_saveexec_b64 s[4:5], vcc
	s_cbranch_execz .LBB36_213
; %bb.212:
	buffer_load_dword v76, off, s[0:3], 0 offset:64
	buffer_load_dword v77, off, s[0:3], 0 offset:68
	s_waitcnt vmcnt(0)
	ds_write_b64 v1, v[76:77]
	buffer_store_dword v80, off, s[0:3], 0 offset:64
	buffer_store_dword v80, off, s[0:3], 0 offset:68
.LBB36_213:
	s_or_b64 exec, exec, s[4:5]
	s_waitcnt lgkmcnt(0)
	; wave barrier
	s_waitcnt lgkmcnt(0)
	buffer_load_dword v76, off, s[0:3], 0 offset:64
	buffer_load_dword v77, off, s[0:3], 0 offset:68
	;; [unrolled: 1-line block ×16, first 2 shown]
	ds_read2_b64 v[82:85], v80 offset0:47 offset1:48
	v_cmp_lt_u32_e32 vcc, 7, v0
	s_waitcnt vmcnt(12) lgkmcnt(0)
	v_fma_f64 v[78:79], v[78:79], v[82:83], 0
	s_waitcnt vmcnt(10)
	v_fmac_f64_e32 v[78:79], v[86:87], v[84:85]
	ds_read2_b64 v[82:85], v80 offset0:49 offset1:50
	s_waitcnt vmcnt(8) lgkmcnt(0)
	v_fmac_f64_e32 v[78:79], v[88:89], v[82:83]
	s_waitcnt vmcnt(6)
	v_fmac_f64_e32 v[78:79], v[90:91], v[84:85]
	ds_read2_b64 v[82:85], v80 offset0:51 offset1:52
	s_waitcnt vmcnt(4) lgkmcnt(0)
	v_fmac_f64_e32 v[78:79], v[92:93], v[82:83]
	;; [unrolled: 5-line block ×3, first 2 shown]
	buffer_load_dword v83, off, s[0:3], 0 offset:132
	buffer_load_dword v82, off, s[0:3], 0 offset:128
	buffer_load_dword v87, off, s[0:3], 0 offset:140
	buffer_load_dword v86, off, s[0:3], 0 offset:136
	s_waitcnt vmcnt(2)
	v_fmac_f64_e32 v[78:79], v[82:83], v[84:85]
	ds_read2_b64 v[82:85], v80 offset0:55 offset1:56
	s_waitcnt vmcnt(0) lgkmcnt(0)
	v_fmac_f64_e32 v[78:79], v[86:87], v[82:83]
	buffer_load_dword v83, off, s[0:3], 0 offset:148
	buffer_load_dword v82, off, s[0:3], 0 offset:144
	buffer_load_dword v87, off, s[0:3], 0 offset:156
	buffer_load_dword v86, off, s[0:3], 0 offset:152
	s_waitcnt vmcnt(2)
	v_fmac_f64_e32 v[78:79], v[82:83], v[84:85]
	ds_read2_b64 v[82:85], v80 offset0:57 offset1:58
	s_waitcnt vmcnt(0) lgkmcnt(0)
	v_fmac_f64_e32 v[78:79], v[86:87], v[82:83]
	;; [unrolled: 9-line block ×9, first 2 shown]
	buffer_load_dword v83, off, s[0:3], 0 offset:276
	buffer_load_dword v82, off, s[0:3], 0 offset:272
	s_waitcnt vmcnt(0)
	v_fmac_f64_e32 v[78:79], v[82:83], v[84:85]
	buffer_load_dword v85, off, s[0:3], 0 offset:284
	buffer_load_dword v84, off, s[0:3], 0 offset:280
	ds_read2_b64 v[80:83], v80 offset0:73 offset1:74
	s_waitcnt vmcnt(0) lgkmcnt(0)
	v_fmac_f64_e32 v[78:79], v[84:85], v[80:81]
	buffer_load_dword v81, off, s[0:3], 0 offset:292
	buffer_load_dword v80, off, s[0:3], 0 offset:288
	s_waitcnt vmcnt(0)
	v_fmac_f64_e32 v[78:79], v[80:81], v[82:83]
	v_add_f64 v[76:77], v[76:77], -v[78:79]
	buffer_store_dword v77, off, s[0:3], 0 offset:68
	buffer_store_dword v76, off, s[0:3], 0 offset:64
	s_and_saveexec_b64 s[4:5], vcc
	s_cbranch_execz .LBB36_215
; %bb.214:
	buffer_load_dword v76, off, s[0:3], 0 offset:56
	buffer_load_dword v77, off, s[0:3], 0 offset:60
	v_mov_b32_e32 v78, 0
	buffer_store_dword v78, off, s[0:3], 0 offset:56
	buffer_store_dword v78, off, s[0:3], 0 offset:60
	s_waitcnt vmcnt(2)
	ds_write_b64 v1, v[76:77]
.LBB36_215:
	s_or_b64 exec, exec, s[4:5]
	s_waitcnt lgkmcnt(0)
	; wave barrier
	s_waitcnt lgkmcnt(0)
	buffer_load_dword v76, off, s[0:3], 0 offset:56
	buffer_load_dword v77, off, s[0:3], 0 offset:60
	buffer_load_dword v78, off, s[0:3], 0 offset:64
	buffer_load_dword v79, off, s[0:3], 0 offset:68
	buffer_load_dword v98, off, s[0:3], 0 offset:72
	buffer_load_dword v99, off, s[0:3], 0 offset:76
	buffer_load_dword v100, off, s[0:3], 0 offset:80
	buffer_load_dword v101, off, s[0:3], 0 offset:84
	buffer_load_dword v102, off, s[0:3], 0 offset:88
	buffer_load_dword v103, off, s[0:3], 0 offset:92
	buffer_load_dword v104, off, s[0:3], 0 offset:96
	buffer_load_dword v105, off, s[0:3], 0 offset:100
	buffer_load_dword v106, off, s[0:3], 0 offset:104
	buffer_load_dword v107, off, s[0:3], 0 offset:108
	buffer_load_dword v108, off, s[0:3], 0 offset:112
	buffer_load_dword v109, off, s[0:3], 0 offset:116
	v_mov_b32_e32 v80, 0
	ds_read_b128 v[82:85], v80 offset:368
	ds_read_b128 v[86:89], v80 offset:384
	;; [unrolled: 1-line block ×4, first 2 shown]
	v_cmp_lt_u32_e32 vcc, 6, v0
	s_waitcnt vmcnt(12) lgkmcnt(3)
	v_fma_f64 v[78:79], v[78:79], v[82:83], 0
	buffer_load_dword v83, off, s[0:3], 0 offset:124
	buffer_load_dword v82, off, s[0:3], 0 offset:120
	s_waitcnt vmcnt(12)
	v_fmac_f64_e32 v[78:79], v[98:99], v[84:85]
	s_waitcnt vmcnt(10) lgkmcnt(2)
	v_fmac_f64_e32 v[78:79], v[100:101], v[86:87]
	buffer_load_dword v87, off, s[0:3], 0 offset:132
	buffer_load_dword v86, off, s[0:3], 0 offset:128
	s_waitcnt vmcnt(10)
	v_fmac_f64_e32 v[78:79], v[102:103], v[88:89]
	s_waitcnt vmcnt(8) lgkmcnt(1)
	v_fmac_f64_e32 v[78:79], v[104:105], v[90:91]
	s_waitcnt vmcnt(6)
	v_fmac_f64_e32 v[78:79], v[106:107], v[92:93]
	s_waitcnt vmcnt(4) lgkmcnt(0)
	v_fmac_f64_e32 v[78:79], v[108:109], v[94:95]
	s_waitcnt vmcnt(2)
	v_fmac_f64_e32 v[78:79], v[82:83], v[96:97]
	ds_read_b128 v[82:85], v80 offset:432
	s_waitcnt vmcnt(0) lgkmcnt(0)
	v_fmac_f64_e32 v[78:79], v[86:87], v[82:83]
	buffer_load_dword v83, off, s[0:3], 0 offset:140
	buffer_load_dword v82, off, s[0:3], 0 offset:136
	buffer_load_dword v87, off, s[0:3], 0 offset:148
	buffer_load_dword v86, off, s[0:3], 0 offset:144
	s_waitcnt vmcnt(2)
	v_fmac_f64_e32 v[78:79], v[82:83], v[84:85]
	ds_read_b128 v[82:85], v80 offset:448
	s_waitcnt vmcnt(0) lgkmcnt(0)
	v_fmac_f64_e32 v[78:79], v[86:87], v[82:83]
	buffer_load_dword v83, off, s[0:3], 0 offset:156
	buffer_load_dword v82, off, s[0:3], 0 offset:152
	buffer_load_dword v87, off, s[0:3], 0 offset:164
	buffer_load_dword v86, off, s[0:3], 0 offset:160
	;; [unrolled: 9-line block ×9, first 2 shown]
	s_waitcnt vmcnt(2)
	v_fmac_f64_e32 v[78:79], v[82:83], v[84:85]
	ds_read_b128 v[82:85], v80 offset:576
	s_waitcnt vmcnt(0) lgkmcnt(0)
	v_fmac_f64_e32 v[78:79], v[86:87], v[82:83]
	buffer_load_dword v83, off, s[0:3], 0 offset:284
	buffer_load_dword v82, off, s[0:3], 0 offset:280
	s_waitcnt vmcnt(0)
	v_fmac_f64_e32 v[78:79], v[82:83], v[84:85]
	buffer_load_dword v83, off, s[0:3], 0 offset:292
	buffer_load_dword v82, off, s[0:3], 0 offset:288
	ds_read_b64 v[84:85], v80 offset:592
	s_waitcnt vmcnt(0) lgkmcnt(0)
	v_fmac_f64_e32 v[78:79], v[82:83], v[84:85]
	v_add_f64 v[76:77], v[76:77], -v[78:79]
	buffer_store_dword v77, off, s[0:3], 0 offset:60
	buffer_store_dword v76, off, s[0:3], 0 offset:56
	s_and_saveexec_b64 s[4:5], vcc
	s_cbranch_execz .LBB36_217
; %bb.216:
	buffer_load_dword v76, off, s[0:3], 0 offset:48
	buffer_load_dword v77, off, s[0:3], 0 offset:52
	s_waitcnt vmcnt(0)
	ds_write_b64 v1, v[76:77]
	buffer_store_dword v80, off, s[0:3], 0 offset:48
	buffer_store_dword v80, off, s[0:3], 0 offset:52
.LBB36_217:
	s_or_b64 exec, exec, s[4:5]
	s_waitcnt lgkmcnt(0)
	; wave barrier
	s_waitcnt lgkmcnt(0)
	buffer_load_dword v76, off, s[0:3], 0 offset:48
	buffer_load_dword v77, off, s[0:3], 0 offset:52
	;; [unrolled: 1-line block ×16, first 2 shown]
	ds_read2_b64 v[82:85], v80 offset0:45 offset1:46
	v_cmp_lt_u32_e32 vcc, 5, v0
	s_waitcnt vmcnt(12) lgkmcnt(0)
	v_fma_f64 v[78:79], v[78:79], v[82:83], 0
	s_waitcnt vmcnt(10)
	v_fmac_f64_e32 v[78:79], v[86:87], v[84:85]
	ds_read2_b64 v[82:85], v80 offset0:47 offset1:48
	s_waitcnt vmcnt(8) lgkmcnt(0)
	v_fmac_f64_e32 v[78:79], v[88:89], v[82:83]
	s_waitcnt vmcnt(6)
	v_fmac_f64_e32 v[78:79], v[90:91], v[84:85]
	ds_read2_b64 v[82:85], v80 offset0:49 offset1:50
	s_waitcnt vmcnt(4) lgkmcnt(0)
	v_fmac_f64_e32 v[78:79], v[92:93], v[82:83]
	;; [unrolled: 5-line block ×3, first 2 shown]
	buffer_load_dword v83, off, s[0:3], 0 offset:116
	buffer_load_dword v82, off, s[0:3], 0 offset:112
	buffer_load_dword v87, off, s[0:3], 0 offset:124
	buffer_load_dword v86, off, s[0:3], 0 offset:120
	s_waitcnt vmcnt(2)
	v_fmac_f64_e32 v[78:79], v[82:83], v[84:85]
	ds_read2_b64 v[82:85], v80 offset0:53 offset1:54
	s_waitcnt vmcnt(0) lgkmcnt(0)
	v_fmac_f64_e32 v[78:79], v[86:87], v[82:83]
	buffer_load_dword v83, off, s[0:3], 0 offset:132
	buffer_load_dword v82, off, s[0:3], 0 offset:128
	buffer_load_dword v87, off, s[0:3], 0 offset:140
	buffer_load_dword v86, off, s[0:3], 0 offset:136
	s_waitcnt vmcnt(2)
	v_fmac_f64_e32 v[78:79], v[82:83], v[84:85]
	ds_read2_b64 v[82:85], v80 offset0:55 offset1:56
	s_waitcnt vmcnt(0) lgkmcnt(0)
	v_fmac_f64_e32 v[78:79], v[86:87], v[82:83]
	;; [unrolled: 9-line block ×10, first 2 shown]
	buffer_load_dword v83, off, s[0:3], 0 offset:276
	buffer_load_dword v82, off, s[0:3], 0 offset:272
	s_waitcnt vmcnt(0)
	v_fmac_f64_e32 v[78:79], v[82:83], v[84:85]
	buffer_load_dword v85, off, s[0:3], 0 offset:284
	buffer_load_dword v84, off, s[0:3], 0 offset:280
	ds_read2_b64 v[80:83], v80 offset0:73 offset1:74
	s_waitcnt vmcnt(0) lgkmcnt(0)
	v_fmac_f64_e32 v[78:79], v[84:85], v[80:81]
	buffer_load_dword v81, off, s[0:3], 0 offset:292
	buffer_load_dword v80, off, s[0:3], 0 offset:288
	s_waitcnt vmcnt(0)
	v_fmac_f64_e32 v[78:79], v[80:81], v[82:83]
	v_add_f64 v[76:77], v[76:77], -v[78:79]
	buffer_store_dword v77, off, s[0:3], 0 offset:52
	buffer_store_dword v76, off, s[0:3], 0 offset:48
	s_and_saveexec_b64 s[4:5], vcc
	s_cbranch_execz .LBB36_219
; %bb.218:
	buffer_load_dword v76, off, s[0:3], 0 offset:40
	buffer_load_dword v77, off, s[0:3], 0 offset:44
	v_mov_b32_e32 v78, 0
	buffer_store_dword v78, off, s[0:3], 0 offset:40
	buffer_store_dword v78, off, s[0:3], 0 offset:44
	s_waitcnt vmcnt(2)
	ds_write_b64 v1, v[76:77]
.LBB36_219:
	s_or_b64 exec, exec, s[4:5]
	s_waitcnt lgkmcnt(0)
	; wave barrier
	s_waitcnt lgkmcnt(0)
	buffer_load_dword v76, off, s[0:3], 0 offset:40
	buffer_load_dword v77, off, s[0:3], 0 offset:44
	;; [unrolled: 1-line block ×16, first 2 shown]
	v_mov_b32_e32 v80, 0
	ds_read_b128 v[82:85], v80 offset:352
	ds_read_b128 v[86:89], v80 offset:368
	;; [unrolled: 1-line block ×4, first 2 shown]
	v_cmp_lt_u32_e32 vcc, 4, v0
	s_waitcnt vmcnt(12) lgkmcnt(3)
	v_fma_f64 v[78:79], v[78:79], v[82:83], 0
	buffer_load_dword v83, off, s[0:3], 0 offset:108
	buffer_load_dword v82, off, s[0:3], 0 offset:104
	s_waitcnt vmcnt(12)
	v_fmac_f64_e32 v[78:79], v[98:99], v[84:85]
	s_waitcnt vmcnt(10) lgkmcnt(2)
	v_fmac_f64_e32 v[78:79], v[100:101], v[86:87]
	buffer_load_dword v87, off, s[0:3], 0 offset:116
	buffer_load_dword v86, off, s[0:3], 0 offset:112
	s_waitcnt vmcnt(10)
	v_fmac_f64_e32 v[78:79], v[102:103], v[88:89]
	s_waitcnt vmcnt(8) lgkmcnt(1)
	v_fmac_f64_e32 v[78:79], v[104:105], v[90:91]
	s_waitcnt vmcnt(6)
	v_fmac_f64_e32 v[78:79], v[106:107], v[92:93]
	s_waitcnt vmcnt(4) lgkmcnt(0)
	v_fmac_f64_e32 v[78:79], v[108:109], v[94:95]
	s_waitcnt vmcnt(2)
	v_fmac_f64_e32 v[78:79], v[82:83], v[96:97]
	ds_read_b128 v[82:85], v80 offset:416
	s_waitcnt vmcnt(0) lgkmcnt(0)
	v_fmac_f64_e32 v[78:79], v[86:87], v[82:83]
	buffer_load_dword v83, off, s[0:3], 0 offset:124
	buffer_load_dword v82, off, s[0:3], 0 offset:120
	buffer_load_dword v87, off, s[0:3], 0 offset:132
	buffer_load_dword v86, off, s[0:3], 0 offset:128
	s_waitcnt vmcnt(2)
	v_fmac_f64_e32 v[78:79], v[82:83], v[84:85]
	ds_read_b128 v[82:85], v80 offset:432
	s_waitcnt vmcnt(0) lgkmcnt(0)
	v_fmac_f64_e32 v[78:79], v[86:87], v[82:83]
	buffer_load_dword v83, off, s[0:3], 0 offset:140
	buffer_load_dword v82, off, s[0:3], 0 offset:136
	buffer_load_dword v87, off, s[0:3], 0 offset:148
	buffer_load_dword v86, off, s[0:3], 0 offset:144
	;; [unrolled: 9-line block ×10, first 2 shown]
	s_waitcnt vmcnt(2)
	v_fmac_f64_e32 v[78:79], v[82:83], v[84:85]
	ds_read_b128 v[82:85], v80 offset:576
	s_waitcnt vmcnt(0) lgkmcnt(0)
	v_fmac_f64_e32 v[78:79], v[86:87], v[82:83]
	buffer_load_dword v83, off, s[0:3], 0 offset:284
	buffer_load_dword v82, off, s[0:3], 0 offset:280
	s_waitcnt vmcnt(0)
	v_fmac_f64_e32 v[78:79], v[82:83], v[84:85]
	buffer_load_dword v83, off, s[0:3], 0 offset:292
	buffer_load_dword v82, off, s[0:3], 0 offset:288
	ds_read_b64 v[84:85], v80 offset:592
	s_waitcnt vmcnt(0) lgkmcnt(0)
	v_fmac_f64_e32 v[78:79], v[82:83], v[84:85]
	v_add_f64 v[76:77], v[76:77], -v[78:79]
	buffer_store_dword v77, off, s[0:3], 0 offset:44
	buffer_store_dword v76, off, s[0:3], 0 offset:40
	s_and_saveexec_b64 s[4:5], vcc
	s_cbranch_execz .LBB36_221
; %bb.220:
	buffer_load_dword v76, off, s[0:3], 0 offset:32
	buffer_load_dword v77, off, s[0:3], 0 offset:36
	s_waitcnt vmcnt(0)
	ds_write_b64 v1, v[76:77]
	buffer_store_dword v80, off, s[0:3], 0 offset:32
	buffer_store_dword v80, off, s[0:3], 0 offset:36
.LBB36_221:
	s_or_b64 exec, exec, s[4:5]
	s_waitcnt lgkmcnt(0)
	; wave barrier
	s_waitcnt lgkmcnt(0)
	buffer_load_dword v76, off, s[0:3], 0 offset:32
	buffer_load_dword v77, off, s[0:3], 0 offset:36
	;; [unrolled: 1-line block ×16, first 2 shown]
	ds_read2_b64 v[82:85], v80 offset0:43 offset1:44
	v_cmp_lt_u32_e32 vcc, 3, v0
	s_waitcnt vmcnt(12) lgkmcnt(0)
	v_fma_f64 v[78:79], v[78:79], v[82:83], 0
	s_waitcnt vmcnt(10)
	v_fmac_f64_e32 v[78:79], v[86:87], v[84:85]
	ds_read2_b64 v[82:85], v80 offset0:45 offset1:46
	s_waitcnt vmcnt(8) lgkmcnt(0)
	v_fmac_f64_e32 v[78:79], v[88:89], v[82:83]
	s_waitcnt vmcnt(6)
	v_fmac_f64_e32 v[78:79], v[90:91], v[84:85]
	ds_read2_b64 v[82:85], v80 offset0:47 offset1:48
	s_waitcnt vmcnt(4) lgkmcnt(0)
	v_fmac_f64_e32 v[78:79], v[92:93], v[82:83]
	;; [unrolled: 5-line block ×3, first 2 shown]
	buffer_load_dword v83, off, s[0:3], 0 offset:100
	buffer_load_dword v82, off, s[0:3], 0 offset:96
	buffer_load_dword v87, off, s[0:3], 0 offset:108
	buffer_load_dword v86, off, s[0:3], 0 offset:104
	s_waitcnt vmcnt(2)
	v_fmac_f64_e32 v[78:79], v[82:83], v[84:85]
	ds_read2_b64 v[82:85], v80 offset0:51 offset1:52
	s_waitcnt vmcnt(0) lgkmcnt(0)
	v_fmac_f64_e32 v[78:79], v[86:87], v[82:83]
	buffer_load_dword v83, off, s[0:3], 0 offset:116
	buffer_load_dword v82, off, s[0:3], 0 offset:112
	buffer_load_dword v87, off, s[0:3], 0 offset:124
	buffer_load_dword v86, off, s[0:3], 0 offset:120
	s_waitcnt vmcnt(2)
	v_fmac_f64_e32 v[78:79], v[82:83], v[84:85]
	ds_read2_b64 v[82:85], v80 offset0:53 offset1:54
	s_waitcnt vmcnt(0) lgkmcnt(0)
	v_fmac_f64_e32 v[78:79], v[86:87], v[82:83]
	;; [unrolled: 9-line block ×11, first 2 shown]
	buffer_load_dword v83, off, s[0:3], 0 offset:276
	buffer_load_dword v82, off, s[0:3], 0 offset:272
	s_waitcnt vmcnt(0)
	v_fmac_f64_e32 v[78:79], v[82:83], v[84:85]
	buffer_load_dword v85, off, s[0:3], 0 offset:284
	buffer_load_dword v84, off, s[0:3], 0 offset:280
	ds_read2_b64 v[80:83], v80 offset0:73 offset1:74
	s_waitcnt vmcnt(0) lgkmcnt(0)
	v_fmac_f64_e32 v[78:79], v[84:85], v[80:81]
	buffer_load_dword v81, off, s[0:3], 0 offset:292
	buffer_load_dword v80, off, s[0:3], 0 offset:288
	s_waitcnt vmcnt(0)
	v_fmac_f64_e32 v[78:79], v[80:81], v[82:83]
	v_add_f64 v[76:77], v[76:77], -v[78:79]
	buffer_store_dword v77, off, s[0:3], 0 offset:36
	buffer_store_dword v76, off, s[0:3], 0 offset:32
	s_and_saveexec_b64 s[4:5], vcc
	s_cbranch_execz .LBB36_223
; %bb.222:
	buffer_load_dword v76, off, s[0:3], 0 offset:24
	buffer_load_dword v77, off, s[0:3], 0 offset:28
	v_mov_b32_e32 v78, 0
	buffer_store_dword v78, off, s[0:3], 0 offset:24
	buffer_store_dword v78, off, s[0:3], 0 offset:28
	s_waitcnt vmcnt(2)
	ds_write_b64 v1, v[76:77]
.LBB36_223:
	s_or_b64 exec, exec, s[4:5]
	s_waitcnt lgkmcnt(0)
	; wave barrier
	s_waitcnt lgkmcnt(0)
	buffer_load_dword v76, off, s[0:3], 0 offset:24
	buffer_load_dword v77, off, s[0:3], 0 offset:28
	;; [unrolled: 1-line block ×16, first 2 shown]
	v_mov_b32_e32 v80, 0
	ds_read_b128 v[82:85], v80 offset:336
	ds_read_b128 v[86:89], v80 offset:352
	;; [unrolled: 1-line block ×4, first 2 shown]
	v_cmp_lt_u32_e32 vcc, 2, v0
	s_waitcnt vmcnt(12) lgkmcnt(3)
	v_fma_f64 v[78:79], v[78:79], v[82:83], 0
	buffer_load_dword v83, off, s[0:3], 0 offset:92
	buffer_load_dword v82, off, s[0:3], 0 offset:88
	s_waitcnt vmcnt(12)
	v_fmac_f64_e32 v[78:79], v[98:99], v[84:85]
	s_waitcnt vmcnt(10) lgkmcnt(2)
	v_fmac_f64_e32 v[78:79], v[100:101], v[86:87]
	buffer_load_dword v87, off, s[0:3], 0 offset:100
	buffer_load_dword v86, off, s[0:3], 0 offset:96
	s_waitcnt vmcnt(10)
	v_fmac_f64_e32 v[78:79], v[102:103], v[88:89]
	s_waitcnt vmcnt(8) lgkmcnt(1)
	v_fmac_f64_e32 v[78:79], v[104:105], v[90:91]
	s_waitcnt vmcnt(6)
	v_fmac_f64_e32 v[78:79], v[106:107], v[92:93]
	s_waitcnt vmcnt(4) lgkmcnt(0)
	v_fmac_f64_e32 v[78:79], v[108:109], v[94:95]
	s_waitcnt vmcnt(2)
	v_fmac_f64_e32 v[78:79], v[82:83], v[96:97]
	ds_read_b128 v[82:85], v80 offset:400
	s_waitcnt vmcnt(0) lgkmcnt(0)
	v_fmac_f64_e32 v[78:79], v[86:87], v[82:83]
	buffer_load_dword v83, off, s[0:3], 0 offset:108
	buffer_load_dword v82, off, s[0:3], 0 offset:104
	buffer_load_dword v87, off, s[0:3], 0 offset:116
	buffer_load_dword v86, off, s[0:3], 0 offset:112
	s_waitcnt vmcnt(2)
	v_fmac_f64_e32 v[78:79], v[82:83], v[84:85]
	ds_read_b128 v[82:85], v80 offset:416
	s_waitcnt vmcnt(0) lgkmcnt(0)
	v_fmac_f64_e32 v[78:79], v[86:87], v[82:83]
	buffer_load_dword v83, off, s[0:3], 0 offset:124
	buffer_load_dword v82, off, s[0:3], 0 offset:120
	buffer_load_dword v87, off, s[0:3], 0 offset:132
	buffer_load_dword v86, off, s[0:3], 0 offset:128
	;; [unrolled: 9-line block ×11, first 2 shown]
	s_waitcnt vmcnt(2)
	v_fmac_f64_e32 v[78:79], v[82:83], v[84:85]
	ds_read_b128 v[82:85], v80 offset:576
	s_waitcnt vmcnt(0) lgkmcnt(0)
	v_fmac_f64_e32 v[78:79], v[86:87], v[82:83]
	buffer_load_dword v83, off, s[0:3], 0 offset:284
	buffer_load_dword v82, off, s[0:3], 0 offset:280
	s_waitcnt vmcnt(0)
	v_fmac_f64_e32 v[78:79], v[82:83], v[84:85]
	buffer_load_dword v83, off, s[0:3], 0 offset:292
	buffer_load_dword v82, off, s[0:3], 0 offset:288
	ds_read_b64 v[84:85], v80 offset:592
	s_waitcnt vmcnt(0) lgkmcnt(0)
	v_fmac_f64_e32 v[78:79], v[82:83], v[84:85]
	v_add_f64 v[76:77], v[76:77], -v[78:79]
	buffer_store_dword v77, off, s[0:3], 0 offset:28
	buffer_store_dword v76, off, s[0:3], 0 offset:24
	s_and_saveexec_b64 s[4:5], vcc
	s_cbranch_execz .LBB36_225
; %bb.224:
	buffer_load_dword v76, off, s[0:3], 0 offset:16
	buffer_load_dword v77, off, s[0:3], 0 offset:20
	s_waitcnt vmcnt(0)
	ds_write_b64 v1, v[76:77]
	buffer_store_dword v80, off, s[0:3], 0 offset:16
	buffer_store_dword v80, off, s[0:3], 0 offset:20
.LBB36_225:
	s_or_b64 exec, exec, s[4:5]
	s_waitcnt lgkmcnt(0)
	; wave barrier
	s_waitcnt lgkmcnt(0)
	buffer_load_dword v76, off, s[0:3], 0 offset:16
	buffer_load_dword v77, off, s[0:3], 0 offset:20
	;; [unrolled: 1-line block ×16, first 2 shown]
	ds_read2_b64 v[82:85], v80 offset0:41 offset1:42
	v_cmp_lt_u32_e32 vcc, 1, v0
	s_waitcnt vmcnt(12) lgkmcnt(0)
	v_fma_f64 v[78:79], v[78:79], v[82:83], 0
	s_waitcnt vmcnt(10)
	v_fmac_f64_e32 v[78:79], v[86:87], v[84:85]
	ds_read2_b64 v[82:85], v80 offset0:43 offset1:44
	s_waitcnt vmcnt(8) lgkmcnt(0)
	v_fmac_f64_e32 v[78:79], v[88:89], v[82:83]
	s_waitcnt vmcnt(6)
	v_fmac_f64_e32 v[78:79], v[90:91], v[84:85]
	ds_read2_b64 v[82:85], v80 offset0:45 offset1:46
	s_waitcnt vmcnt(4) lgkmcnt(0)
	v_fmac_f64_e32 v[78:79], v[92:93], v[82:83]
	;; [unrolled: 5-line block ×3, first 2 shown]
	buffer_load_dword v83, off, s[0:3], 0 offset:84
	buffer_load_dword v82, off, s[0:3], 0 offset:80
	buffer_load_dword v87, off, s[0:3], 0 offset:92
	buffer_load_dword v86, off, s[0:3], 0 offset:88
	s_waitcnt vmcnt(2)
	v_fmac_f64_e32 v[78:79], v[82:83], v[84:85]
	ds_read2_b64 v[82:85], v80 offset0:49 offset1:50
	s_waitcnt vmcnt(0) lgkmcnt(0)
	v_fmac_f64_e32 v[78:79], v[86:87], v[82:83]
	buffer_load_dword v83, off, s[0:3], 0 offset:100
	buffer_load_dword v82, off, s[0:3], 0 offset:96
	buffer_load_dword v87, off, s[0:3], 0 offset:108
	buffer_load_dword v86, off, s[0:3], 0 offset:104
	s_waitcnt vmcnt(2)
	v_fmac_f64_e32 v[78:79], v[82:83], v[84:85]
	ds_read2_b64 v[82:85], v80 offset0:51 offset1:52
	s_waitcnt vmcnt(0) lgkmcnt(0)
	v_fmac_f64_e32 v[78:79], v[86:87], v[82:83]
	;; [unrolled: 9-line block ×12, first 2 shown]
	buffer_load_dword v83, off, s[0:3], 0 offset:276
	buffer_load_dword v82, off, s[0:3], 0 offset:272
	s_waitcnt vmcnt(0)
	v_fmac_f64_e32 v[78:79], v[82:83], v[84:85]
	buffer_load_dword v85, off, s[0:3], 0 offset:284
	buffer_load_dword v84, off, s[0:3], 0 offset:280
	ds_read2_b64 v[80:83], v80 offset0:73 offset1:74
	s_waitcnt vmcnt(0) lgkmcnt(0)
	v_fmac_f64_e32 v[78:79], v[84:85], v[80:81]
	buffer_load_dword v81, off, s[0:3], 0 offset:292
	buffer_load_dword v80, off, s[0:3], 0 offset:288
	s_waitcnt vmcnt(0)
	v_fmac_f64_e32 v[78:79], v[80:81], v[82:83]
	v_add_f64 v[76:77], v[76:77], -v[78:79]
	buffer_store_dword v77, off, s[0:3], 0 offset:20
	buffer_store_dword v76, off, s[0:3], 0 offset:16
	s_and_saveexec_b64 s[4:5], vcc
	s_cbranch_execz .LBB36_227
; %bb.226:
	buffer_load_dword v76, off, s[0:3], 0 offset:8
	buffer_load_dword v77, off, s[0:3], 0 offset:12
	v_mov_b32_e32 v78, 0
	buffer_store_dword v78, off, s[0:3], 0 offset:8
	buffer_store_dword v78, off, s[0:3], 0 offset:12
	s_waitcnt vmcnt(2)
	ds_write_b64 v1, v[76:77]
.LBB36_227:
	s_or_b64 exec, exec, s[4:5]
	s_waitcnt lgkmcnt(0)
	; wave barrier
	s_waitcnt lgkmcnt(0)
	buffer_load_dword v76, off, s[0:3], 0 offset:8
	buffer_load_dword v77, off, s[0:3], 0 offset:12
	;; [unrolled: 1-line block ×16, first 2 shown]
	v_mov_b32_e32 v80, 0
	ds_read_b128 v[82:85], v80 offset:320
	ds_read_b128 v[86:89], v80 offset:336
	;; [unrolled: 1-line block ×4, first 2 shown]
	v_cmp_ne_u32_e32 vcc, 0, v0
	s_waitcnt vmcnt(12) lgkmcnt(3)
	v_fma_f64 v[78:79], v[78:79], v[82:83], 0
	buffer_load_dword v83, off, s[0:3], 0 offset:76
	buffer_load_dword v82, off, s[0:3], 0 offset:72
	s_waitcnt vmcnt(12)
	v_fmac_f64_e32 v[78:79], v[98:99], v[84:85]
	s_waitcnt vmcnt(10) lgkmcnt(2)
	v_fmac_f64_e32 v[78:79], v[100:101], v[86:87]
	buffer_load_dword v87, off, s[0:3], 0 offset:84
	buffer_load_dword v86, off, s[0:3], 0 offset:80
	s_waitcnt vmcnt(10)
	v_fmac_f64_e32 v[78:79], v[102:103], v[88:89]
	s_waitcnt vmcnt(8) lgkmcnt(1)
	v_fmac_f64_e32 v[78:79], v[104:105], v[90:91]
	s_waitcnt vmcnt(6)
	v_fmac_f64_e32 v[78:79], v[106:107], v[92:93]
	s_waitcnt vmcnt(4) lgkmcnt(0)
	v_fmac_f64_e32 v[78:79], v[108:109], v[94:95]
	s_waitcnt vmcnt(2)
	v_fmac_f64_e32 v[78:79], v[82:83], v[96:97]
	ds_read_b128 v[82:85], v80 offset:384
	s_waitcnt vmcnt(0) lgkmcnt(0)
	v_fmac_f64_e32 v[78:79], v[86:87], v[82:83]
	buffer_load_dword v83, off, s[0:3], 0 offset:92
	buffer_load_dword v82, off, s[0:3], 0 offset:88
	buffer_load_dword v87, off, s[0:3], 0 offset:100
	buffer_load_dword v86, off, s[0:3], 0 offset:96
	s_waitcnt vmcnt(2)
	v_fmac_f64_e32 v[78:79], v[82:83], v[84:85]
	ds_read_b128 v[82:85], v80 offset:400
	s_waitcnt vmcnt(0) lgkmcnt(0)
	v_fmac_f64_e32 v[78:79], v[86:87], v[82:83]
	buffer_load_dword v83, off, s[0:3], 0 offset:108
	buffer_load_dword v82, off, s[0:3], 0 offset:104
	buffer_load_dword v87, off, s[0:3], 0 offset:116
	buffer_load_dword v86, off, s[0:3], 0 offset:112
	;; [unrolled: 9-line block ×12, first 2 shown]
	s_waitcnt vmcnt(2)
	v_fmac_f64_e32 v[78:79], v[82:83], v[84:85]
	ds_read_b128 v[82:85], v80 offset:576
	s_waitcnt vmcnt(0) lgkmcnt(0)
	v_fmac_f64_e32 v[78:79], v[86:87], v[82:83]
	buffer_load_dword v83, off, s[0:3], 0 offset:284
	buffer_load_dword v82, off, s[0:3], 0 offset:280
	s_waitcnt vmcnt(0)
	v_fmac_f64_e32 v[78:79], v[82:83], v[84:85]
	buffer_load_dword v83, off, s[0:3], 0 offset:292
	buffer_load_dword v82, off, s[0:3], 0 offset:288
	ds_read_b64 v[84:85], v80 offset:592
	s_waitcnt vmcnt(0) lgkmcnt(0)
	v_fmac_f64_e32 v[78:79], v[82:83], v[84:85]
	v_add_f64 v[76:77], v[76:77], -v[78:79]
	buffer_store_dword v77, off, s[0:3], 0 offset:12
	buffer_store_dword v76, off, s[0:3], 0 offset:8
	s_and_saveexec_b64 s[4:5], vcc
	s_cbranch_execz .LBB36_229
; %bb.228:
	buffer_load_dword v76, off, s[0:3], 0
	buffer_load_dword v77, off, s[0:3], 0 offset:4
	s_waitcnt vmcnt(0)
	ds_write_b64 v1, v[76:77]
	buffer_store_dword v80, off, s[0:3], 0
	buffer_store_dword v80, off, s[0:3], 0 offset:4
.LBB36_229:
	s_or_b64 exec, exec, s[4:5]
	s_waitcnt lgkmcnt(0)
	; wave barrier
	s_waitcnt lgkmcnt(0)
	buffer_load_dword v0, off, s[0:3], 0
	buffer_load_dword v1, off, s[0:3], 0 offset:4
	buffer_load_dword v82, off, s[0:3], 0 offset:8
	;; [unrolled: 1-line block ×15, first 2 shown]
	ds_read2_b64 v[76:79], v80 offset0:39 offset1:40
	s_and_b64 vcc, exec, s[20:21]
	s_waitcnt vmcnt(12) lgkmcnt(0)
	v_fma_f64 v[76:77], v[82:83], v[76:77], 0
	s_waitcnt vmcnt(10)
	v_fmac_f64_e32 v[76:77], v[84:85], v[78:79]
	ds_read2_b64 v[82:85], v80 offset0:41 offset1:42
	s_waitcnt vmcnt(8) lgkmcnt(0)
	v_fmac_f64_e32 v[76:77], v[86:87], v[82:83]
	s_waitcnt vmcnt(6)
	v_fmac_f64_e32 v[76:77], v[88:89], v[84:85]
	ds_read2_b64 v[82:85], v80 offset0:43 offset1:44
	s_waitcnt vmcnt(4) lgkmcnt(0)
	v_fmac_f64_e32 v[76:77], v[90:91], v[82:83]
	s_waitcnt vmcnt(2)
	v_fmac_f64_e32 v[76:77], v[92:93], v[84:85]
	ds_read2_b64 v[82:85], v80 offset0:45 offset1:46
	buffer_load_dword v79, off, s[0:3], 0 offset:68
	buffer_load_dword v78, off, s[0:3], 0 offset:64
	s_waitcnt vmcnt(2) lgkmcnt(0)
	v_fmac_f64_e32 v[76:77], v[94:95], v[82:83]
	s_waitcnt vmcnt(0)
	v_fmac_f64_e32 v[76:77], v[78:79], v[84:85]
	buffer_load_dword v79, off, s[0:3], 0 offset:76
	buffer_load_dword v78, off, s[0:3], 0 offset:72
	ds_read2_b64 v[82:85], v80 offset0:47 offset1:48
	s_waitcnt vmcnt(0) lgkmcnt(0)
	v_fmac_f64_e32 v[76:77], v[78:79], v[82:83]
	buffer_load_dword v79, off, s[0:3], 0 offset:84
	buffer_load_dword v78, off, s[0:3], 0 offset:80
	s_waitcnt vmcnt(0)
	v_fmac_f64_e32 v[76:77], v[78:79], v[84:85]
	buffer_load_dword v79, off, s[0:3], 0 offset:92
	buffer_load_dword v78, off, s[0:3], 0 offset:88
	ds_read2_b64 v[82:85], v80 offset0:49 offset1:50
	s_waitcnt vmcnt(0) lgkmcnt(0)
	v_fmac_f64_e32 v[76:77], v[78:79], v[82:83]
	buffer_load_dword v79, off, s[0:3], 0 offset:100
	buffer_load_dword v78, off, s[0:3], 0 offset:96
	;; [unrolled: 9-line block ×14, first 2 shown]
	s_waitcnt vmcnt(0)
	v_fmac_f64_e32 v[76:77], v[80:81], v[82:83]
	v_add_f64 v[0:1], v[0:1], -v[76:77]
	buffer_store_dword v1, off, s[0:3], 0 offset:4
	buffer_store_dword v0, off, s[0:3], 0
	s_cbranch_vccz .LBB36_303
; %bb.230:
	v_pk_mov_b32 v[0:1], s[10:11], s[10:11] op_sel:[0,1]
	flat_load_dword v0, v[0:1] offset:140
	s_waitcnt vmcnt(0) lgkmcnt(0)
	v_add_u32_e32 v0, -1, v0
	v_cmp_ne_u32_e32 vcc, 35, v0
	s_and_saveexec_b64 s[4:5], vcc
	s_cbranch_execz .LBB36_232
; %bb.231:
	v_mov_b32_e32 v1, 0
	v_lshl_add_u32 v0, v0, 3, v1
	buffer_load_dword v1, v0, s[0:3], 0 offen
	buffer_load_dword v76, v0, s[0:3], 0 offen offset:4
	s_waitcnt vmcnt(1)
	buffer_store_dword v1, off, s[0:3], 0 offset:280
	s_waitcnt vmcnt(1)
	buffer_store_dword v76, off, s[0:3], 0 offset:284
	buffer_store_dword v78, v0, s[0:3], 0 offen
	buffer_store_dword v79, v0, s[0:3], 0 offen offset:4
.LBB36_232:
	s_or_b64 exec, exec, s[4:5]
	v_pk_mov_b32 v[0:1], s[10:11], s[10:11] op_sel:[0,1]
	flat_load_dword v0, v[0:1] offset:136
	s_waitcnt vmcnt(0) lgkmcnt(0)
	v_add_u32_e32 v0, -1, v0
	v_cmp_ne_u32_e32 vcc, 34, v0
	s_and_saveexec_b64 s[4:5], vcc
	s_cbranch_execz .LBB36_234
; %bb.233:
	v_mov_b32_e32 v1, 0
	v_lshl_add_u32 v0, v0, 3, v1
	buffer_load_dword v1, v0, s[0:3], 0 offen
	buffer_load_dword v76, v0, s[0:3], 0 offen offset:4
	buffer_load_dword v77, off, s[0:3], 0 offset:276
	buffer_load_dword v78, off, s[0:3], 0 offset:272
	s_waitcnt vmcnt(3)
	buffer_store_dword v1, off, s[0:3], 0 offset:272
	s_waitcnt vmcnt(3)
	buffer_store_dword v76, off, s[0:3], 0 offset:276
	s_waitcnt vmcnt(3)
	buffer_store_dword v77, v0, s[0:3], 0 offen offset:4
	s_waitcnt vmcnt(3)
	buffer_store_dword v78, v0, s[0:3], 0 offen
.LBB36_234:
	s_or_b64 exec, exec, s[4:5]
	v_pk_mov_b32 v[0:1], s[10:11], s[10:11] op_sel:[0,1]
	flat_load_dword v0, v[0:1] offset:132
	s_waitcnt vmcnt(0) lgkmcnt(0)
	v_add_u32_e32 v0, -1, v0
	v_cmp_ne_u32_e32 vcc, 33, v0
	s_and_saveexec_b64 s[4:5], vcc
	s_cbranch_execz .LBB36_236
; %bb.235:
	v_mov_b32_e32 v1, 0
	v_lshl_add_u32 v0, v0, 3, v1
	buffer_load_dword v1, v0, s[0:3], 0 offen
	buffer_load_dword v76, v0, s[0:3], 0 offen offset:4
	buffer_load_dword v77, off, s[0:3], 0 offset:264
	buffer_load_dword v78, off, s[0:3], 0 offset:268
	s_waitcnt vmcnt(3)
	buffer_store_dword v1, off, s[0:3], 0 offset:264
	s_waitcnt vmcnt(3)
	buffer_store_dword v76, off, s[0:3], 0 offset:268
	s_waitcnt vmcnt(3)
	buffer_store_dword v77, v0, s[0:3], 0 offen
	s_waitcnt vmcnt(3)
	buffer_store_dword v78, v0, s[0:3], 0 offen offset:4
.LBB36_236:
	s_or_b64 exec, exec, s[4:5]
	v_pk_mov_b32 v[0:1], s[10:11], s[10:11] op_sel:[0,1]
	flat_load_dword v0, v[0:1] offset:128
	s_waitcnt vmcnt(0) lgkmcnt(0)
	v_add_u32_e32 v0, -1, v0
	v_cmp_ne_u32_e32 vcc, 32, v0
	s_and_saveexec_b64 s[4:5], vcc
	s_cbranch_execz .LBB36_238
; %bb.237:
	v_mov_b32_e32 v1, 0
	v_lshl_add_u32 v0, v0, 3, v1
	buffer_load_dword v1, v0, s[0:3], 0 offen
	buffer_load_dword v76, v0, s[0:3], 0 offen offset:4
	buffer_load_dword v77, off, s[0:3], 0 offset:260
	buffer_load_dword v78, off, s[0:3], 0 offset:256
	s_waitcnt vmcnt(3)
	buffer_store_dword v1, off, s[0:3], 0 offset:256
	s_waitcnt vmcnt(3)
	buffer_store_dword v76, off, s[0:3], 0 offset:260
	s_waitcnt vmcnt(3)
	buffer_store_dword v77, v0, s[0:3], 0 offen offset:4
	s_waitcnt vmcnt(3)
	buffer_store_dword v78, v0, s[0:3], 0 offen
.LBB36_238:
	s_or_b64 exec, exec, s[4:5]
	v_pk_mov_b32 v[0:1], s[10:11], s[10:11] op_sel:[0,1]
	flat_load_dword v0, v[0:1] offset:124
	s_waitcnt vmcnt(0) lgkmcnt(0)
	v_add_u32_e32 v0, -1, v0
	v_cmp_ne_u32_e32 vcc, 31, v0
	s_and_saveexec_b64 s[4:5], vcc
	s_cbranch_execz .LBB36_240
; %bb.239:
	v_mov_b32_e32 v1, 0
	v_lshl_add_u32 v0, v0, 3, v1
	buffer_load_dword v1, v0, s[0:3], 0 offen
	buffer_load_dword v76, v0, s[0:3], 0 offen offset:4
	buffer_load_dword v77, off, s[0:3], 0 offset:248
	buffer_load_dword v78, off, s[0:3], 0 offset:252
	s_waitcnt vmcnt(3)
	buffer_store_dword v1, off, s[0:3], 0 offset:248
	s_waitcnt vmcnt(3)
	buffer_store_dword v76, off, s[0:3], 0 offset:252
	s_waitcnt vmcnt(3)
	buffer_store_dword v77, v0, s[0:3], 0 offen
	s_waitcnt vmcnt(3)
	buffer_store_dword v78, v0, s[0:3], 0 offen offset:4
.LBB36_240:
	;; [unrolled: 48-line block ×17, first 2 shown]
	s_or_b64 exec, exec, s[4:5]
	v_pk_mov_b32 v[0:1], s[10:11], s[10:11] op_sel:[0,1]
	flat_load_dword v76, v[0:1]
	s_nop 0
	buffer_load_dword v0, off, s[0:3], 0
	buffer_load_dword v1, off, s[0:3], 0 offset:4
	s_waitcnt vmcnt(0) lgkmcnt(0)
	v_add_u32_e32 v76, -1, v76
	v_cmp_ne_u32_e32 vcc, 0, v76
	s_and_saveexec_b64 s[4:5], vcc
	s_cbranch_execz .LBB36_302
; %bb.301:
	v_mov_b32_e32 v77, 0
	v_lshl_add_u32 v76, v76, 3, v77
	buffer_load_dword v77, v76, s[0:3], 0 offen offset:4
	buffer_load_dword v78, v76, s[0:3], 0 offen
	s_waitcnt vmcnt(1)
	buffer_store_dword v77, off, s[0:3], 0 offset:4
	s_waitcnt vmcnt(1)
	buffer_store_dword v78, off, s[0:3], 0
	buffer_store_dword v1, v76, s[0:3], 0 offen offset:4
	buffer_store_dword v0, v76, s[0:3], 0 offen
	buffer_load_dword v0, off, s[0:3], 0
	s_nop 0
	buffer_load_dword v1, off, s[0:3], 0 offset:4
.LBB36_302:
	s_or_b64 exec, exec, s[4:5]
.LBB36_303:
	s_waitcnt vmcnt(0)
	global_store_dwordx2 v[74:75], v[0:1], off
	buffer_load_dword v0, off, s[0:3], 0 offset:8
	s_nop 0
	buffer_load_dword v1, off, s[0:3], 0 offset:12
	buffer_load_dword v74, off, s[0:3], 0 offset:16
	;; [unrolled: 1-line block ×15, first 2 shown]
	s_waitcnt vmcnt(14)
	global_store_dwordx2 v[72:73], v[0:1], off
	s_waitcnt vmcnt(13)
	global_store_dwordx2 v[2:3], v[74:75], off
	;; [unrolled: 2-line block ×8, first 2 shown]
	buffer_load_dword v0, off, s[0:3], 0 offset:72
	buffer_load_dword v1, off, s[0:3], 0 offset:76
	s_waitcnt vmcnt(0)
	global_store_dwordx2 v[14:15], v[0:1], off
	buffer_load_dword v0, off, s[0:3], 0 offset:80
	s_nop 0
	buffer_load_dword v1, off, s[0:3], 0 offset:84
	s_waitcnt vmcnt(0)
	global_store_dwordx2 v[16:17], v[0:1], off
	buffer_load_dword v0, off, s[0:3], 0 offset:88
	s_nop 0
	;; [unrolled: 5-line block ×27, first 2 shown]
	buffer_load_dword v1, off, s[0:3], 0 offset:292
	s_waitcnt vmcnt(0)
	global_store_dwordx2 v[54:55], v[0:1], off
	s_endpgm
	.section	.rodata,"a",@progbits
	.p2align	6, 0x0
	.amdhsa_kernel _ZN9rocsolver6v33100L18getri_kernel_smallILi37EdPdEEvT1_iilPiilS4_bb
		.amdhsa_group_segment_fixed_size 600
		.amdhsa_private_segment_fixed_size 304
		.amdhsa_kernarg_size 60
		.amdhsa_user_sgpr_count 8
		.amdhsa_user_sgpr_private_segment_buffer 1
		.amdhsa_user_sgpr_dispatch_ptr 0
		.amdhsa_user_sgpr_queue_ptr 0
		.amdhsa_user_sgpr_kernarg_segment_ptr 1
		.amdhsa_user_sgpr_dispatch_id 0
		.amdhsa_user_sgpr_flat_scratch_init 1
		.amdhsa_user_sgpr_kernarg_preload_length 0
		.amdhsa_user_sgpr_kernarg_preload_offset 0
		.amdhsa_user_sgpr_private_segment_size 0
		.amdhsa_uses_dynamic_stack 0
		.amdhsa_system_sgpr_private_segment_wavefront_offset 1
		.amdhsa_system_sgpr_workgroup_id_x 1
		.amdhsa_system_sgpr_workgroup_id_y 0
		.amdhsa_system_sgpr_workgroup_id_z 0
		.amdhsa_system_sgpr_workgroup_info 0
		.amdhsa_system_vgpr_workitem_id 0
		.amdhsa_next_free_vgpr 128
		.amdhsa_next_free_sgpr 23
		.amdhsa_accum_offset 128
		.amdhsa_reserve_vcc 1
		.amdhsa_reserve_flat_scratch 1
		.amdhsa_float_round_mode_32 0
		.amdhsa_float_round_mode_16_64 0
		.amdhsa_float_denorm_mode_32 3
		.amdhsa_float_denorm_mode_16_64 3
		.amdhsa_dx10_clamp 1
		.amdhsa_ieee_mode 1
		.amdhsa_fp16_overflow 0
		.amdhsa_tg_split 0
		.amdhsa_exception_fp_ieee_invalid_op 0
		.amdhsa_exception_fp_denorm_src 0
		.amdhsa_exception_fp_ieee_div_zero 0
		.amdhsa_exception_fp_ieee_overflow 0
		.amdhsa_exception_fp_ieee_underflow 0
		.amdhsa_exception_fp_ieee_inexact 0
		.amdhsa_exception_int_div_zero 0
	.end_amdhsa_kernel
	.section	.text._ZN9rocsolver6v33100L18getri_kernel_smallILi37EdPdEEvT1_iilPiilS4_bb,"axG",@progbits,_ZN9rocsolver6v33100L18getri_kernel_smallILi37EdPdEEvT1_iilPiilS4_bb,comdat
.Lfunc_end36:
	.size	_ZN9rocsolver6v33100L18getri_kernel_smallILi37EdPdEEvT1_iilPiilS4_bb, .Lfunc_end36-_ZN9rocsolver6v33100L18getri_kernel_smallILi37EdPdEEvT1_iilPiilS4_bb
                                        ; -- End function
	.section	.AMDGPU.csdata,"",@progbits
; Kernel info:
; codeLenInByte = 38120
; NumSgprs: 29
; NumVgprs: 128
; NumAgprs: 0
; TotalNumVgprs: 128
; ScratchSize: 304
; MemoryBound: 0
; FloatMode: 240
; IeeeMode: 1
; LDSByteSize: 600 bytes/workgroup (compile time only)
; SGPRBlocks: 3
; VGPRBlocks: 15
; NumSGPRsForWavesPerEU: 29
; NumVGPRsForWavesPerEU: 128
; AccumOffset: 128
; Occupancy: 4
; WaveLimiterHint : 1
; COMPUTE_PGM_RSRC2:SCRATCH_EN: 1
; COMPUTE_PGM_RSRC2:USER_SGPR: 8
; COMPUTE_PGM_RSRC2:TRAP_HANDLER: 0
; COMPUTE_PGM_RSRC2:TGID_X_EN: 1
; COMPUTE_PGM_RSRC2:TGID_Y_EN: 0
; COMPUTE_PGM_RSRC2:TGID_Z_EN: 0
; COMPUTE_PGM_RSRC2:TIDIG_COMP_CNT: 0
; COMPUTE_PGM_RSRC3_GFX90A:ACCUM_OFFSET: 31
; COMPUTE_PGM_RSRC3_GFX90A:TG_SPLIT: 0
	.section	.text._ZN9rocsolver6v33100L18getri_kernel_smallILi38EdPdEEvT1_iilPiilS4_bb,"axG",@progbits,_ZN9rocsolver6v33100L18getri_kernel_smallILi38EdPdEEvT1_iilPiilS4_bb,comdat
	.globl	_ZN9rocsolver6v33100L18getri_kernel_smallILi38EdPdEEvT1_iilPiilS4_bb ; -- Begin function _ZN9rocsolver6v33100L18getri_kernel_smallILi38EdPdEEvT1_iilPiilS4_bb
	.p2align	8
	.type	_ZN9rocsolver6v33100L18getri_kernel_smallILi38EdPdEEvT1_iilPiilS4_bb,@function
_ZN9rocsolver6v33100L18getri_kernel_smallILi38EdPdEEvT1_iilPiilS4_bb: ; @_ZN9rocsolver6v33100L18getri_kernel_smallILi38EdPdEEvT1_iilPiilS4_bb
; %bb.0:
	s_add_u32 flat_scratch_lo, s6, s9
	s_addc_u32 flat_scratch_hi, s7, 0
	s_add_u32 s0, s0, s9
	s_addc_u32 s1, s1, 0
	v_cmp_gt_u32_e32 vcc, 38, v0
	s_and_saveexec_b64 s[6:7], vcc
	s_cbranch_execz .LBB37_160
; %bb.1:
	s_load_dword s22, s[4:5], 0x38
	s_load_dwordx4 s[16:19], s[4:5], 0x10
	s_load_dwordx4 s[12:15], s[4:5], 0x28
                                        ; implicit-def: $sgpr10_sgpr11
	s_waitcnt lgkmcnt(0)
	s_bitcmp1_b32 s22, 8
	s_cselect_b64 s[20:21], -1, 0
	s_ashr_i32 s9, s8, 31
	s_bfe_u32 s6, s22, 0x10008
	s_cmp_eq_u32 s6, 0
	s_cbranch_scc1 .LBB37_3
; %bb.2:
	s_load_dword s6, s[4:5], 0x20
	s_mul_i32 s7, s8, s13
	s_mul_hi_u32 s10, s8, s12
	s_mul_i32 s11, s9, s12
	s_add_i32 s10, s10, s7
	s_add_i32 s11, s10, s11
	s_mul_i32 s10, s8, s12
	s_waitcnt lgkmcnt(0)
	s_ashr_i32 s7, s6, 31
	s_lshl_b64 s[10:11], s[10:11], 2
	s_add_u32 s10, s18, s10
	s_addc_u32 s11, s19, s11
	s_lshl_b64 s[6:7], s[6:7], 2
	s_add_u32 s10, s10, s6
	s_addc_u32 s11, s11, s7
.LBB37_3:
	s_load_dwordx4 s[4:7], s[4:5], 0x0
	s_mul_i32 s12, s8, s17
	s_mul_hi_u32 s13, s8, s16
	s_add_i32 s17, s13, s12
	s_waitcnt lgkmcnt(0)
	s_ashr_i32 s13, s6, 31
	s_mov_b32 s12, s6
	s_mul_i32 s6, s9, s16
	s_add_i32 s17, s17, s6
	s_mul_i32 s16, s8, s16
	s_lshl_b64 s[16:17], s[16:17], 3
	s_add_u32 s6, s4, s16
	s_addc_u32 s16, s5, s17
	s_lshl_b64 s[4:5], s[12:13], 3
	s_add_u32 s4, s6, s4
	s_addc_u32 s5, s16, s5
	s_add_i32 s6, s7, s7
	v_add_u32_e32 v4, s6, v0
	v_ashrrev_i32_e32 v5, 31, v4
	v_lshlrev_b64 v[2:3], 3, v[4:5]
	v_add_u32_e32 v6, s7, v4
	v_mov_b32_e32 v1, s5
	v_add_co_u32_e32 v2, vcc, s4, v2
	v_ashrrev_i32_e32 v7, 31, v6
	v_addc_co_u32_e32 v3, vcc, v1, v3, vcc
	v_lshlrev_b64 v[4:5], 3, v[6:7]
	v_add_u32_e32 v8, s7, v6
	v_add_co_u32_e32 v4, vcc, s4, v4
	v_ashrrev_i32_e32 v9, 31, v8
	v_addc_co_u32_e32 v5, vcc, v1, v5, vcc
	v_lshlrev_b64 v[6:7], 3, v[8:9]
	v_add_u32_e32 v10, s7, v8
	;; [unrolled: 5-line block ×5, first 2 shown]
	v_add_co_u32_e32 v12, vcc, s4, v12
	v_ashrrev_i32_e32 v15, 31, v14
	v_addc_co_u32_e32 v13, vcc, v1, v13, vcc
	v_lshlrev_b64 v[16:17], 3, v[14:15]
	v_add_co_u32_e32 v18, vcc, s4, v16
	v_add_u32_e32 v16, s7, v14
	v_addc_co_u32_e32 v19, vcc, v1, v17, vcc
	v_ashrrev_i32_e32 v17, 31, v16
	v_lshlrev_b64 v[14:15], 3, v[16:17]
	v_add_u32_e32 v20, s7, v16
	v_add_co_u32_e32 v14, vcc, s4, v14
	v_ashrrev_i32_e32 v21, 31, v20
	v_addc_co_u32_e32 v15, vcc, v1, v15, vcc
	v_lshlrev_b64 v[16:17], 3, v[20:21]
	v_add_u32_e32 v22, s7, v20
	v_add_co_u32_e32 v16, vcc, s4, v16
	v_ashrrev_i32_e32 v23, 31, v22
	v_addc_co_u32_e32 v17, vcc, v1, v17, vcc
	;; [unrolled: 5-line block ×20, first 2 shown]
	v_lshlrev_b64 v[56:57], 3, v[58:59]
	v_add_co_u32_e32 v56, vcc, s4, v56
	v_addc_co_u32_e32 v57, vcc, v1, v57, vcc
	v_lshlrev_b32_e32 v1, 3, v0
	v_mov_b32_e32 v59, s5
	v_add_co_u32_e32 v76, vcc, s4, v1
	s_ashr_i32 s13, s7, 31
	s_mov_b32 s12, s7
	v_addc_co_u32_e32 v77, vcc, 0, v59, vcc
	s_lshl_b64 s[12:13], s[12:13], 3
	v_mov_b32_e32 v59, s13
	v_add_co_u32_e32 v74, vcc, s12, v76
	global_load_dwordx2 v[78:79], v1, s[4:5]
	global_load_dwordx2 v[82:83], v[2:3], off
	global_load_dwordx2 v[84:85], v[4:5], off
	v_addc_co_u32_e32 v75, vcc, v77, v59, vcc
	global_load_dwordx2 v[80:81], v[74:75], off
	global_load_dwordx2 v[86:87], v[6:7], off
	;; [unrolled: 1-line block ×12, first 2 shown]
	v_add_u32_e32 v58, s7, v58
	v_ashrrev_i32_e32 v59, 31, v58
	v_lshlrev_b64 v[60:61], 3, v[58:59]
	v_add_u32_e32 v58, s7, v58
	v_mov_b32_e32 v62, s5
	v_add_co_u32_e32 v60, vcc, s4, v60
	v_ashrrev_i32_e32 v59, 31, v58
	v_addc_co_u32_e32 v61, vcc, v62, v61, vcc
	v_lshlrev_b64 v[62:63], 3, v[58:59]
	v_add_u32_e32 v58, s7, v58
	v_mov_b32_e32 v64, s5
	v_add_co_u32_e32 v62, vcc, s4, v62
	v_ashrrev_i32_e32 v59, 31, v58
	v_addc_co_u32_e32 v63, vcc, v64, v63, vcc
	;; [unrolled: 6-line block ×7, first 2 shown]
	v_lshlrev_b64 v[58:59], 3, v[58:59]
	v_add_co_u32_e32 v58, vcc, s4, v58
	v_addc_co_u32_e32 v59, vcc, v108, v59, vcc
	global_load_dwordx2 v[108:109], v[58:59], off
	s_waitcnt vmcnt(15)
	buffer_store_dword v79, off, s[0:3], 0 offset:4
	buffer_store_dword v78, off, s[0:3], 0
	s_waitcnt vmcnt(14)
	buffer_store_dword v81, off, s[0:3], 0 offset:12
	buffer_store_dword v80, off, s[0:3], 0 offset:8
	;; [unrolled: 1-line block ×6, first 2 shown]
	s_waitcnt vmcnt(19)
	buffer_store_dword v87, off, s[0:3], 0 offset:36
	global_load_dwordx2 v[78:79], v[28:29], off
	global_load_dwordx2 v[80:81], v[30:31], off
	;; [unrolled: 1-line block ×11, first 2 shown]
	s_bitcmp0_b32 s22, 0
	buffer_store_dword v86, off, s[0:3], 0 offset:32
	global_load_dwordx2 v[86:87], v[36:37], off
	s_mov_b64 s[6:7], -1
	s_waitcnt vmcnt(32)
	buffer_store_dword v89, off, s[0:3], 0 offset:44
	buffer_store_dword v88, off, s[0:3], 0 offset:40
	global_load_dwordx2 v[88:89], v[38:39], off
	s_waitcnt vmcnt(34)
	buffer_store_dword v91, off, s[0:3], 0 offset:52
	buffer_store_dword v90, off, s[0:3], 0 offset:48
	global_load_dwordx2 v[90:91], v[40:41], off
	;; [unrolled: 4-line block ×4, first 2 shown]
	s_nop 0
	buffer_store_dword v96, off, s[0:3], 0 offset:72
	buffer_store_dword v97, off, s[0:3], 0 offset:76
	global_load_dwordx2 v[96:97], v[50:51], off
	s_nop 0
	buffer_store_dword v98, off, s[0:3], 0 offset:80
	buffer_store_dword v99, off, s[0:3], 0 offset:84
	global_load_dwordx2 v[98:99], v[54:55], off
	s_waitcnt vmcnt(44)
	buffer_store_dword v100, off, s[0:3], 0 offset:88
	buffer_store_dword v101, off, s[0:3], 0 offset:92
	global_load_dwordx2 v[100:101], v[60:61], off
	s_waitcnt vmcnt(46)
	;; [unrolled: 4-line block ×5, first 2 shown]
	buffer_store_dword v78, off, s[0:3], 0 offset:120
	buffer_store_dword v79, off, s[0:3], 0 offset:124
	s_waitcnt vmcnt(43)
	buffer_store_dword v80, off, s[0:3], 0 offset:128
	buffer_store_dword v81, off, s[0:3], 0 offset:132
	s_waitcnt vmcnt(44)
	;; [unrolled: 3-line block ×7, first 2 shown]
	buffer_store_dword v92, off, s[0:3], 0 offset:176
	buffer_store_dword v93, off, s[0:3], 0 offset:180
	buffer_store_dword v110, off, s[0:3], 0 offset:184
	buffer_store_dword v111, off, s[0:3], 0 offset:188
	s_waitcnt vmcnt(36)
	buffer_store_dword v94, off, s[0:3], 0 offset:192
	buffer_store_dword v95, off, s[0:3], 0 offset:196
	buffer_store_dword v113, off, s[0:3], 0 offset:204
	buffer_store_dword v112, off, s[0:3], 0 offset:200
	s_waitcnt vmcnt(37)
	;; [unrolled: 5-line block ×7, first 2 shown]
	buffer_store_dword v106, off, s[0:3], 0 offset:288
	buffer_store_dword v107, off, s[0:3], 0 offset:292
	;; [unrolled: 1-line block ×4, first 2 shown]
	s_cbranch_scc1 .LBB37_158
; %bb.4:
	v_cmp_eq_u32_e64 s[4:5], 0, v0
	s_and_saveexec_b64 s[6:7], s[4:5]
	s_cbranch_execz .LBB37_6
; %bb.5:
	v_mov_b32_e32 v78, 0
	ds_write_b32 v78, v78 offset:608
.LBB37_6:
	s_or_b64 exec, exec, s[6:7]
	v_mov_b32_e32 v78, 0
	v_lshl_add_u32 v78, v0, 3, v78
	s_waitcnt lgkmcnt(0)
	; wave barrier
	s_waitcnt lgkmcnt(0)
	buffer_load_dword v80, v78, s[0:3], 0 offen
	buffer_load_dword v81, v78, s[0:3], 0 offen offset:4
	s_waitcnt vmcnt(0)
	v_cmp_eq_f64_e32 vcc, 0, v[80:81]
	s_and_saveexec_b64 s[12:13], vcc
	s_cbranch_execz .LBB37_10
; %bb.7:
	v_mov_b32_e32 v79, 0
	ds_read_b32 v81, v79 offset:608
	v_add_u32_e32 v80, 1, v0
	s_waitcnt lgkmcnt(0)
	v_readfirstlane_b32 s6, v81
	s_cmp_eq_u32 s6, 0
	s_cselect_b64 s[16:17], -1, 0
	v_cmp_gt_i32_e32 vcc, s6, v80
	s_or_b64 s[16:17], s[16:17], vcc
	s_and_b64 exec, exec, s[16:17]
	s_cbranch_execz .LBB37_10
; %bb.8:
	s_mov_b64 s[16:17], 0
	v_mov_b32_e32 v81, s6
.LBB37_9:                               ; =>This Inner Loop Header: Depth=1
	ds_cmpst_rtn_b32 v81, v79, v81, v80 offset:608
	s_waitcnt lgkmcnt(0)
	v_cmp_ne_u32_e32 vcc, 0, v81
	v_cmp_le_i32_e64 s[6:7], v81, v80
	s_and_b64 s[6:7], vcc, s[6:7]
	s_and_b64 s[6:7], exec, s[6:7]
	s_or_b64 s[16:17], s[6:7], s[16:17]
	s_andn2_b64 exec, exec, s[16:17]
	s_cbranch_execnz .LBB37_9
.LBB37_10:
	s_or_b64 exec, exec, s[12:13]
	v_mov_b32_e32 v80, 0
	s_waitcnt lgkmcnt(0)
	; wave barrier
	ds_read_b32 v79, v80 offset:608
	s_and_saveexec_b64 s[6:7], s[4:5]
	s_cbranch_execz .LBB37_12
; %bb.11:
	s_lshl_b64 s[12:13], s[8:9], 2
	s_add_u32 s12, s14, s12
	s_addc_u32 s13, s15, s13
	s_waitcnt lgkmcnt(0)
	global_store_dword v80, v79, s[12:13]
.LBB37_12:
	s_or_b64 exec, exec, s[6:7]
	s_waitcnt lgkmcnt(0)
	v_cmp_ne_u32_e32 vcc, 0, v79
	s_mov_b64 s[6:7], 0
	s_cbranch_vccnz .LBB37_158
; %bb.13:
	buffer_load_dword v80, v78, s[0:3], 0 offen
	buffer_load_dword v81, v78, s[0:3], 0 offen offset:4
	s_waitcnt vmcnt(0)
	v_div_scale_f64 v[82:83], s[6:7], v[80:81], v[80:81], 1.0
	v_rcp_f64_e32 v[84:85], v[82:83]
	v_div_scale_f64 v[86:87], vcc, 1.0, v[80:81], 1.0
	v_fma_f64 v[88:89], -v[82:83], v[84:85], 1.0
	v_fmac_f64_e32 v[84:85], v[84:85], v[88:89]
	v_fma_f64 v[88:89], -v[82:83], v[84:85], 1.0
	v_fmac_f64_e32 v[84:85], v[84:85], v[88:89]
	v_mul_f64 v[88:89], v[86:87], v[84:85]
	v_fma_f64 v[82:83], -v[82:83], v[88:89], v[86:87]
	v_div_fmas_f64 v[82:83], v[82:83], v[84:85], v[88:89]
	v_div_fixup_f64 v[82:83], v[82:83], v[80:81], 1.0
	buffer_store_dword v83, v78, s[0:3], 0 offen offset:4
	buffer_store_dword v82, v78, s[0:3], 0 offen
	buffer_load_dword v85, off, s[0:3], 0 offset:12
	buffer_load_dword v84, off, s[0:3], 0 offset:8
	v_add_u32_e32 v80, 0x130, v1
	v_xor_b32_e32 v83, 0x80000000, v83
	s_waitcnt vmcnt(0)
	ds_write2_b64 v1, v[82:83], v[84:85] offset1:38
	s_waitcnt lgkmcnt(0)
	; wave barrier
	s_waitcnt lgkmcnt(0)
	s_and_saveexec_b64 s[6:7], s[4:5]
	s_cbranch_execz .LBB37_15
; %bb.14:
	buffer_load_dword v82, v78, s[0:3], 0 offen
	buffer_load_dword v83, v78, s[0:3], 0 offen offset:4
	v_mov_b32_e32 v79, 0
	ds_read_b64 v[84:85], v80
	ds_read_b64 v[86:87], v79 offset:8
	s_waitcnt vmcnt(0) lgkmcnt(1)
	v_fma_f64 v[82:83], v[82:83], v[84:85], 0
	s_waitcnt lgkmcnt(0)
	v_mul_f64 v[82:83], v[82:83], v[86:87]
	buffer_store_dword v82, off, s[0:3], 0 offset:8
	buffer_store_dword v83, off, s[0:3], 0 offset:12
.LBB37_15:
	s_or_b64 exec, exec, s[6:7]
	s_waitcnt lgkmcnt(0)
	; wave barrier
	buffer_load_dword v82, off, s[0:3], 0 offset:16
	buffer_load_dword v83, off, s[0:3], 0 offset:20
	v_cmp_gt_u32_e32 vcc, 2, v0
	s_waitcnt vmcnt(0)
	ds_write_b64 v80, v[82:83]
	s_waitcnt lgkmcnt(0)
	; wave barrier
	s_waitcnt lgkmcnt(0)
	s_and_saveexec_b64 s[6:7], vcc
	s_cbranch_execz .LBB37_17
; %bb.16:
	buffer_load_dword v79, v78, s[0:3], 0 offen offset:4
	buffer_load_dword v86, off, s[0:3], 0 offset:8
	s_nop 0
	buffer_load_dword v78, v78, s[0:3], 0 offen
	s_nop 0
	buffer_load_dword v87, off, s[0:3], 0 offset:12
	ds_read_b64 v[88:89], v80
	v_mov_b32_e32 v81, 0
	ds_read2_b64 v[82:85], v81 offset0:2 offset1:39
	s_waitcnt vmcnt(1) lgkmcnt(1)
	v_fma_f64 v[78:79], v[78:79], v[88:89], 0
	s_waitcnt vmcnt(0) lgkmcnt(0)
	v_fma_f64 v[84:85], v[86:87], v[84:85], v[78:79]
	v_cndmask_b32_e64 v79, v79, v85, s[4:5]
	v_cndmask_b32_e64 v78, v78, v84, s[4:5]
	v_mul_f64 v[78:79], v[78:79], v[82:83]
	buffer_store_dword v79, off, s[0:3], 0 offset:20
	buffer_store_dword v78, off, s[0:3], 0 offset:16
.LBB37_17:
	s_or_b64 exec, exec, s[6:7]
	s_waitcnt lgkmcnt(0)
	; wave barrier
	buffer_load_dword v78, off, s[0:3], 0 offset:24
	buffer_load_dword v79, off, s[0:3], 0 offset:28
	v_cmp_gt_u32_e32 vcc, 3, v0
	v_add_u32_e32 v81, -1, v0
	s_waitcnt vmcnt(0)
	ds_write_b64 v80, v[78:79]
	s_waitcnt lgkmcnt(0)
	; wave barrier
	s_waitcnt lgkmcnt(0)
	s_and_saveexec_b64 s[4:5], vcc
	s_cbranch_execz .LBB37_21
; %bb.18:
	v_add_u32_e32 v82, -1, v0
	v_add_u32_e32 v83, 0x130, v1
	v_add_u32_e32 v84, 0, v1
	s_mov_b64 s[6:7], 0
	v_pk_mov_b32 v[78:79], 0, 0
.LBB37_19:                              ; =>This Inner Loop Header: Depth=1
	buffer_load_dword v86, v84, s[0:3], 0 offen
	buffer_load_dword v87, v84, s[0:3], 0 offen offset:4
	ds_read_b64 v[88:89], v83
	v_add_u32_e32 v82, 1, v82
	v_cmp_lt_u32_e32 vcc, 1, v82
	v_add_u32_e32 v83, 8, v83
	v_add_u32_e32 v84, 8, v84
	s_or_b64 s[6:7], vcc, s[6:7]
	s_waitcnt vmcnt(0) lgkmcnt(0)
	v_fmac_f64_e32 v[78:79], v[86:87], v[88:89]
	s_andn2_b64 exec, exec, s[6:7]
	s_cbranch_execnz .LBB37_19
; %bb.20:
	s_or_b64 exec, exec, s[6:7]
	v_mov_b32_e32 v82, 0
	ds_read_b64 v[82:83], v82 offset:24
	s_waitcnt lgkmcnt(0)
	v_mul_f64 v[78:79], v[78:79], v[82:83]
	buffer_store_dword v79, off, s[0:3], 0 offset:28
	buffer_store_dword v78, off, s[0:3], 0 offset:24
.LBB37_21:
	s_or_b64 exec, exec, s[4:5]
	s_waitcnt lgkmcnt(0)
	; wave barrier
	buffer_load_dword v78, off, s[0:3], 0 offset:32
	buffer_load_dword v79, off, s[0:3], 0 offset:36
	v_cmp_gt_u32_e32 vcc, 4, v0
	s_waitcnt vmcnt(0)
	ds_write_b64 v80, v[78:79]
	s_waitcnt lgkmcnt(0)
	; wave barrier
	s_waitcnt lgkmcnt(0)
	s_and_saveexec_b64 s[4:5], vcc
	s_cbranch_execz .LBB37_25
; %bb.22:
	v_add_u32_e32 v82, -1, v0
	v_add_u32_e32 v83, 0x130, v1
	v_add_u32_e32 v84, 0, v1
	s_mov_b64 s[6:7], 0
	v_pk_mov_b32 v[78:79], 0, 0
.LBB37_23:                              ; =>This Inner Loop Header: Depth=1
	buffer_load_dword v86, v84, s[0:3], 0 offen
	buffer_load_dword v87, v84, s[0:3], 0 offen offset:4
	ds_read_b64 v[88:89], v83
	v_add_u32_e32 v82, 1, v82
	v_cmp_lt_u32_e32 vcc, 2, v82
	v_add_u32_e32 v83, 8, v83
	v_add_u32_e32 v84, 8, v84
	s_or_b64 s[6:7], vcc, s[6:7]
	s_waitcnt vmcnt(0) lgkmcnt(0)
	v_fmac_f64_e32 v[78:79], v[86:87], v[88:89]
	s_andn2_b64 exec, exec, s[6:7]
	s_cbranch_execnz .LBB37_23
; %bb.24:
	s_or_b64 exec, exec, s[6:7]
	v_mov_b32_e32 v82, 0
	ds_read_b64 v[82:83], v82 offset:32
	s_waitcnt lgkmcnt(0)
	v_mul_f64 v[78:79], v[78:79], v[82:83]
	buffer_store_dword v79, off, s[0:3], 0 offset:36
	buffer_store_dword v78, off, s[0:3], 0 offset:32
.LBB37_25:
	s_or_b64 exec, exec, s[4:5]
	s_waitcnt lgkmcnt(0)
	; wave barrier
	buffer_load_dword v78, off, s[0:3], 0 offset:40
	buffer_load_dword v79, off, s[0:3], 0 offset:44
	v_cmp_gt_u32_e32 vcc, 5, v0
	;; [unrolled: 41-line block ×21, first 2 shown]
	s_waitcnt vmcnt(0)
	ds_write_b64 v80, v[78:79]
	s_waitcnt lgkmcnt(0)
	; wave barrier
	s_waitcnt lgkmcnt(0)
	s_and_saveexec_b64 s[4:5], vcc
	s_cbranch_execz .LBB37_105
; %bb.102:
	v_add_u32_e32 v82, -1, v0
	v_add_u32_e32 v83, 0x130, v1
	v_add_u32_e32 v84, 0, v1
	s_mov_b64 s[6:7], 0
	v_pk_mov_b32 v[78:79], 0, 0
.LBB37_103:                             ; =>This Inner Loop Header: Depth=1
	buffer_load_dword v86, v84, s[0:3], 0 offen
	buffer_load_dword v87, v84, s[0:3], 0 offen offset:4
	ds_read_b64 v[88:89], v83
	v_add_u32_e32 v82, 1, v82
	v_cmp_lt_u32_e32 vcc, 22, v82
	v_add_u32_e32 v83, 8, v83
	v_add_u32_e32 v84, 8, v84
	s_or_b64 s[6:7], vcc, s[6:7]
	s_waitcnt vmcnt(0) lgkmcnt(0)
	v_fmac_f64_e32 v[78:79], v[86:87], v[88:89]
	s_andn2_b64 exec, exec, s[6:7]
	s_cbranch_execnz .LBB37_103
; %bb.104:
	s_or_b64 exec, exec, s[6:7]
	v_mov_b32_e32 v82, 0
	ds_read_b64 v[82:83], v82 offset:192
	s_waitcnt lgkmcnt(0)
	v_mul_f64 v[78:79], v[78:79], v[82:83]
	buffer_store_dword v79, off, s[0:3], 0 offset:196
	buffer_store_dword v78, off, s[0:3], 0 offset:192
.LBB37_105:
	s_or_b64 exec, exec, s[4:5]
	s_waitcnt lgkmcnt(0)
	; wave barrier
	buffer_load_dword v78, off, s[0:3], 0 offset:200
	buffer_load_dword v79, off, s[0:3], 0 offset:204
	v_cmp_gt_u32_e32 vcc, 25, v0
	s_waitcnt vmcnt(0)
	ds_write_b64 v80, v[78:79]
	s_waitcnt lgkmcnt(0)
	; wave barrier
	s_waitcnt lgkmcnt(0)
	s_and_saveexec_b64 s[4:5], vcc
	s_cbranch_execz .LBB37_109
; %bb.106:
	v_add_u32_e32 v82, -1, v0
	v_add_u32_e32 v83, 0x130, v1
	v_add_u32_e32 v84, 0, v1
	s_mov_b64 s[6:7], 0
	v_pk_mov_b32 v[78:79], 0, 0
.LBB37_107:                             ; =>This Inner Loop Header: Depth=1
	buffer_load_dword v86, v84, s[0:3], 0 offen
	buffer_load_dword v87, v84, s[0:3], 0 offen offset:4
	ds_read_b64 v[88:89], v83
	v_add_u32_e32 v82, 1, v82
	v_cmp_lt_u32_e32 vcc, 23, v82
	v_add_u32_e32 v83, 8, v83
	v_add_u32_e32 v84, 8, v84
	s_or_b64 s[6:7], vcc, s[6:7]
	s_waitcnt vmcnt(0) lgkmcnt(0)
	v_fmac_f64_e32 v[78:79], v[86:87], v[88:89]
	s_andn2_b64 exec, exec, s[6:7]
	s_cbranch_execnz .LBB37_107
; %bb.108:
	s_or_b64 exec, exec, s[6:7]
	v_mov_b32_e32 v82, 0
	ds_read_b64 v[82:83], v82 offset:200
	s_waitcnt lgkmcnt(0)
	v_mul_f64 v[78:79], v[78:79], v[82:83]
	buffer_store_dword v79, off, s[0:3], 0 offset:204
	buffer_store_dword v78, off, s[0:3], 0 offset:200
.LBB37_109:
	s_or_b64 exec, exec, s[4:5]
	s_waitcnt lgkmcnt(0)
	; wave barrier
	buffer_load_dword v78, off, s[0:3], 0 offset:208
	buffer_load_dword v79, off, s[0:3], 0 offset:212
	v_cmp_gt_u32_e32 vcc, 26, v0
	;; [unrolled: 41-line block ×12, first 2 shown]
	s_waitcnt vmcnt(0)
	ds_write_b64 v80, v[78:79]
	s_waitcnt lgkmcnt(0)
	; wave barrier
	s_waitcnt lgkmcnt(0)
	s_and_saveexec_b64 s[4:5], vcc
	s_cbranch_execz .LBB37_153
; %bb.150:
	v_add_u32_e32 v82, -1, v0
	v_add_u32_e32 v83, 0x130, v1
	v_add_u32_e32 v84, 0, v1
	s_mov_b64 s[6:7], 0
	v_pk_mov_b32 v[78:79], 0, 0
.LBB37_151:                             ; =>This Inner Loop Header: Depth=1
	buffer_load_dword v86, v84, s[0:3], 0 offen
	buffer_load_dword v87, v84, s[0:3], 0 offen offset:4
	ds_read_b64 v[88:89], v83
	v_add_u32_e32 v82, 1, v82
	v_cmp_lt_u32_e32 vcc, 34, v82
	v_add_u32_e32 v83, 8, v83
	v_add_u32_e32 v84, 8, v84
	s_or_b64 s[6:7], vcc, s[6:7]
	s_waitcnt vmcnt(0) lgkmcnt(0)
	v_fmac_f64_e32 v[78:79], v[86:87], v[88:89]
	s_andn2_b64 exec, exec, s[6:7]
	s_cbranch_execnz .LBB37_151
; %bb.152:
	s_or_b64 exec, exec, s[6:7]
	v_mov_b32_e32 v82, 0
	ds_read_b64 v[82:83], v82 offset:288
	s_waitcnt lgkmcnt(0)
	v_mul_f64 v[78:79], v[78:79], v[82:83]
	buffer_store_dword v79, off, s[0:3], 0 offset:292
	buffer_store_dword v78, off, s[0:3], 0 offset:288
.LBB37_153:
	s_or_b64 exec, exec, s[4:5]
	s_waitcnt lgkmcnt(0)
	; wave barrier
	buffer_load_dword v78, off, s[0:3], 0 offset:296
	buffer_load_dword v79, off, s[0:3], 0 offset:300
	v_cmp_ne_u32_e32 vcc, 37, v0
	s_waitcnt vmcnt(0)
	ds_write_b64 v80, v[78:79]
	s_waitcnt lgkmcnt(0)
	; wave barrier
	s_waitcnt lgkmcnt(0)
	s_and_saveexec_b64 s[4:5], vcc
	s_cbranch_execz .LBB37_157
; %bb.154:
	v_add_u32_e32 v80, 0x130, v1
	v_add_u32_e32 v1, 0, v1
	s_mov_b64 s[6:7], 0
	v_pk_mov_b32 v[78:79], 0, 0
.LBB37_155:                             ; =>This Inner Loop Header: Depth=1
	buffer_load_dword v82, v1, s[0:3], 0 offen
	buffer_load_dword v83, v1, s[0:3], 0 offen offset:4
	ds_read_b64 v[84:85], v80
	v_add_u32_e32 v81, 1, v81
	v_cmp_lt_u32_e32 vcc, 35, v81
	v_add_u32_e32 v80, 8, v80
	v_add_u32_e32 v1, 8, v1
	s_or_b64 s[6:7], vcc, s[6:7]
	s_waitcnt vmcnt(0) lgkmcnt(0)
	v_fmac_f64_e32 v[78:79], v[82:83], v[84:85]
	s_andn2_b64 exec, exec, s[6:7]
	s_cbranch_execnz .LBB37_155
; %bb.156:
	s_or_b64 exec, exec, s[6:7]
	v_mov_b32_e32 v1, 0
	ds_read_b64 v[80:81], v1 offset:296
	s_waitcnt lgkmcnt(0)
	v_mul_f64 v[78:79], v[78:79], v[80:81]
	buffer_store_dword v79, off, s[0:3], 0 offset:300
	buffer_store_dword v78, off, s[0:3], 0 offset:296
.LBB37_157:
	s_or_b64 exec, exec, s[4:5]
	s_mov_b64 s[6:7], -1
	s_waitcnt lgkmcnt(0)
	; wave barrier
.LBB37_158:
	s_and_b64 vcc, exec, s[6:7]
	s_cbranch_vccz .LBB37_160
; %bb.159:
	s_lshl_b64 s[4:5], s[8:9], 2
	s_add_u32 s4, s14, s4
	s_addc_u32 s5, s15, s5
	v_mov_b32_e32 v1, 0
	global_load_dword v1, v1, s[4:5]
	s_waitcnt vmcnt(0)
	v_cmp_ne_u32_e32 vcc, 0, v1
	s_cbranch_vccz .LBB37_161
.LBB37_160:
	s_endpgm
.LBB37_161:
	v_mov_b32_e32 v1, 0x130
	v_lshl_add_u32 v1, v0, 3, v1
	v_cmp_eq_u32_e32 vcc, 37, v0
	s_and_saveexec_b64 s[4:5], vcc
	s_cbranch_execz .LBB37_163
; %bb.162:
	buffer_load_dword v78, off, s[0:3], 0 offset:288
	buffer_load_dword v79, off, s[0:3], 0 offset:292
	v_mov_b32_e32 v80, 0
	buffer_store_dword v80, off, s[0:3], 0 offset:288
	buffer_store_dword v80, off, s[0:3], 0 offset:292
	s_waitcnt vmcnt(2)
	ds_write_b64 v1, v[78:79]
.LBB37_163:
	s_or_b64 exec, exec, s[4:5]
	s_waitcnt lgkmcnt(0)
	; wave barrier
	s_waitcnt lgkmcnt(0)
	buffer_load_dword v80, off, s[0:3], 0 offset:296
	buffer_load_dword v81, off, s[0:3], 0 offset:300
	;; [unrolled: 1-line block ×4, first 2 shown]
	v_mov_b32_e32 v78, 0
	ds_read_b64 v[84:85], v78 offset:600
	v_cmp_lt_u32_e32 vcc, 35, v0
	s_waitcnt vmcnt(2) lgkmcnt(0)
	v_fma_f64 v[80:81], v[80:81], v[84:85], 0
	s_waitcnt vmcnt(0)
	v_add_f64 v[80:81], v[82:83], -v[80:81]
	buffer_store_dword v80, off, s[0:3], 0 offset:288
	buffer_store_dword v81, off, s[0:3], 0 offset:292
	s_and_saveexec_b64 s[4:5], vcc
	s_cbranch_execz .LBB37_165
; %bb.164:
	buffer_load_dword v80, off, s[0:3], 0 offset:280
	buffer_load_dword v81, off, s[0:3], 0 offset:284
	s_waitcnt vmcnt(0)
	ds_write_b64 v1, v[80:81]
	buffer_store_dword v78, off, s[0:3], 0 offset:280
	buffer_store_dword v78, off, s[0:3], 0 offset:284
.LBB37_165:
	s_or_b64 exec, exec, s[4:5]
	s_waitcnt lgkmcnt(0)
	; wave barrier
	s_waitcnt lgkmcnt(0)
	buffer_load_dword v82, off, s[0:3], 0 offset:288
	buffer_load_dword v83, off, s[0:3], 0 offset:292
	;; [unrolled: 1-line block ×6, first 2 shown]
	ds_read_b128 v[78:81], v78 offset:592
	v_cmp_lt_u32_e32 vcc, 34, v0
	s_waitcnt vmcnt(4) lgkmcnt(0)
	v_fma_f64 v[78:79], v[82:83], v[78:79], 0
	s_waitcnt vmcnt(2)
	v_fmac_f64_e32 v[78:79], v[84:85], v[80:81]
	s_waitcnt vmcnt(0)
	v_add_f64 v[78:79], v[86:87], -v[78:79]
	buffer_store_dword v78, off, s[0:3], 0 offset:280
	buffer_store_dword v79, off, s[0:3], 0 offset:284
	s_and_saveexec_b64 s[4:5], vcc
	s_cbranch_execz .LBB37_167
; %bb.166:
	buffer_load_dword v78, off, s[0:3], 0 offset:272
	buffer_load_dword v79, off, s[0:3], 0 offset:276
	v_mov_b32_e32 v80, 0
	buffer_store_dword v80, off, s[0:3], 0 offset:272
	buffer_store_dword v80, off, s[0:3], 0 offset:276
	s_waitcnt vmcnt(2)
	ds_write_b64 v1, v[78:79]
.LBB37_167:
	s_or_b64 exec, exec, s[4:5]
	s_waitcnt lgkmcnt(0)
	; wave barrier
	s_waitcnt lgkmcnt(0)
	buffer_load_dword v84, off, s[0:3], 0 offset:280
	buffer_load_dword v85, off, s[0:3], 0 offset:284
	;; [unrolled: 1-line block ×8, first 2 shown]
	v_mov_b32_e32 v78, 0
	ds_read2_b64 v[80:83], v78 offset0:73 offset1:74
	ds_read_b64 v[92:93], v78 offset:600
	v_cmp_lt_u32_e32 vcc, 33, v0
	s_waitcnt vmcnt(6) lgkmcnt(1)
	v_fma_f64 v[80:81], v[84:85], v[80:81], 0
	s_waitcnt vmcnt(4)
	v_fmac_f64_e32 v[80:81], v[86:87], v[82:83]
	s_waitcnt vmcnt(2) lgkmcnt(0)
	v_fmac_f64_e32 v[80:81], v[88:89], v[92:93]
	s_waitcnt vmcnt(0)
	v_add_f64 v[80:81], v[90:91], -v[80:81]
	buffer_store_dword v80, off, s[0:3], 0 offset:272
	buffer_store_dword v81, off, s[0:3], 0 offset:276
	s_and_saveexec_b64 s[4:5], vcc
	s_cbranch_execz .LBB37_169
; %bb.168:
	buffer_load_dword v80, off, s[0:3], 0 offset:264
	buffer_load_dword v81, off, s[0:3], 0 offset:268
	s_waitcnt vmcnt(0)
	ds_write_b64 v1, v[80:81]
	buffer_store_dword v78, off, s[0:3], 0 offset:264
	buffer_store_dword v78, off, s[0:3], 0 offset:268
.LBB37_169:
	s_or_b64 exec, exec, s[4:5]
	s_waitcnt lgkmcnt(0)
	; wave barrier
	s_waitcnt lgkmcnt(0)
	buffer_load_dword v88, off, s[0:3], 0 offset:272
	buffer_load_dword v89, off, s[0:3], 0 offset:276
	;; [unrolled: 1-line block ×10, first 2 shown]
	ds_read_b128 v[80:83], v78 offset:576
	ds_read_b128 v[84:87], v78 offset:592
	v_cmp_lt_u32_e32 vcc, 32, v0
	s_waitcnt vmcnt(8) lgkmcnt(1)
	v_fma_f64 v[78:79], v[88:89], v[80:81], 0
	s_waitcnt vmcnt(6)
	v_fmac_f64_e32 v[78:79], v[90:91], v[82:83]
	s_waitcnt vmcnt(4) lgkmcnt(0)
	v_fmac_f64_e32 v[78:79], v[92:93], v[84:85]
	s_waitcnt vmcnt(2)
	v_fmac_f64_e32 v[78:79], v[94:95], v[86:87]
	s_waitcnt vmcnt(0)
	v_add_f64 v[78:79], v[96:97], -v[78:79]
	buffer_store_dword v78, off, s[0:3], 0 offset:264
	buffer_store_dword v79, off, s[0:3], 0 offset:268
	s_and_saveexec_b64 s[4:5], vcc
	s_cbranch_execz .LBB37_171
; %bb.170:
	buffer_load_dword v78, off, s[0:3], 0 offset:256
	buffer_load_dword v79, off, s[0:3], 0 offset:260
	v_mov_b32_e32 v80, 0
	buffer_store_dword v80, off, s[0:3], 0 offset:256
	buffer_store_dword v80, off, s[0:3], 0 offset:260
	s_waitcnt vmcnt(2)
	ds_write_b64 v1, v[78:79]
.LBB37_171:
	s_or_b64 exec, exec, s[4:5]
	s_waitcnt lgkmcnt(0)
	; wave barrier
	s_waitcnt lgkmcnt(0)
	buffer_load_dword v88, off, s[0:3], 0 offset:264
	buffer_load_dword v89, off, s[0:3], 0 offset:268
	buffer_load_dword v90, off, s[0:3], 0 offset:272
	buffer_load_dword v91, off, s[0:3], 0 offset:276
	buffer_load_dword v92, off, s[0:3], 0 offset:280
	buffer_load_dword v93, off, s[0:3], 0 offset:284
	buffer_load_dword v94, off, s[0:3], 0 offset:288
	buffer_load_dword v95, off, s[0:3], 0 offset:292
	buffer_load_dword v96, off, s[0:3], 0 offset:296
	buffer_load_dword v97, off, s[0:3], 0 offset:300
	buffer_load_dword v98, off, s[0:3], 0 offset:256
	buffer_load_dword v99, off, s[0:3], 0 offset:260
	v_mov_b32_e32 v78, 0
	ds_read2_b64 v[80:83], v78 offset0:71 offset1:72
	ds_read2_b64 v[84:87], v78 offset0:73 offset1:74
	ds_read_b64 v[100:101], v78 offset:600
	v_cmp_lt_u32_e32 vcc, 31, v0
	s_waitcnt vmcnt(10) lgkmcnt(2)
	v_fma_f64 v[80:81], v[88:89], v[80:81], 0
	s_waitcnt vmcnt(8)
	v_fmac_f64_e32 v[80:81], v[90:91], v[82:83]
	s_waitcnt vmcnt(6) lgkmcnt(1)
	v_fmac_f64_e32 v[80:81], v[92:93], v[84:85]
	s_waitcnt vmcnt(4)
	v_fmac_f64_e32 v[80:81], v[94:95], v[86:87]
	s_waitcnt vmcnt(2) lgkmcnt(0)
	v_fmac_f64_e32 v[80:81], v[96:97], v[100:101]
	s_waitcnt vmcnt(0)
	v_add_f64 v[80:81], v[98:99], -v[80:81]
	buffer_store_dword v80, off, s[0:3], 0 offset:256
	buffer_store_dword v81, off, s[0:3], 0 offset:260
	s_and_saveexec_b64 s[4:5], vcc
	s_cbranch_execz .LBB37_173
; %bb.172:
	buffer_load_dword v80, off, s[0:3], 0 offset:248
	buffer_load_dword v81, off, s[0:3], 0 offset:252
	s_waitcnt vmcnt(0)
	ds_write_b64 v1, v[80:81]
	buffer_store_dword v78, off, s[0:3], 0 offset:248
	buffer_store_dword v78, off, s[0:3], 0 offset:252
.LBB37_173:
	s_or_b64 exec, exec, s[4:5]
	s_waitcnt lgkmcnt(0)
	; wave barrier
	s_waitcnt lgkmcnt(0)
	buffer_load_dword v92, off, s[0:3], 0 offset:256
	buffer_load_dword v93, off, s[0:3], 0 offset:260
	;; [unrolled: 1-line block ×14, first 2 shown]
	ds_read_b128 v[80:83], v78 offset:560
	ds_read_b128 v[84:87], v78 offset:576
	;; [unrolled: 1-line block ×3, first 2 shown]
	v_cmp_lt_u32_e32 vcc, 30, v0
	s_waitcnt vmcnt(12) lgkmcnt(2)
	v_fma_f64 v[78:79], v[92:93], v[80:81], 0
	s_waitcnt vmcnt(10)
	v_fmac_f64_e32 v[78:79], v[94:95], v[82:83]
	s_waitcnt vmcnt(8) lgkmcnt(1)
	v_fmac_f64_e32 v[78:79], v[96:97], v[84:85]
	s_waitcnt vmcnt(6)
	v_fmac_f64_e32 v[78:79], v[98:99], v[86:87]
	s_waitcnt vmcnt(4) lgkmcnt(0)
	v_fmac_f64_e32 v[78:79], v[100:101], v[88:89]
	s_waitcnt vmcnt(2)
	v_fmac_f64_e32 v[78:79], v[102:103], v[90:91]
	s_waitcnt vmcnt(0)
	v_add_f64 v[78:79], v[104:105], -v[78:79]
	buffer_store_dword v78, off, s[0:3], 0 offset:248
	buffer_store_dword v79, off, s[0:3], 0 offset:252
	s_and_saveexec_b64 s[4:5], vcc
	s_cbranch_execz .LBB37_175
; %bb.174:
	buffer_load_dword v78, off, s[0:3], 0 offset:240
	buffer_load_dword v79, off, s[0:3], 0 offset:244
	v_mov_b32_e32 v80, 0
	buffer_store_dword v80, off, s[0:3], 0 offset:240
	buffer_store_dword v80, off, s[0:3], 0 offset:244
	s_waitcnt vmcnt(2)
	ds_write_b64 v1, v[78:79]
.LBB37_175:
	s_or_b64 exec, exec, s[4:5]
	s_waitcnt lgkmcnt(0)
	; wave barrier
	s_waitcnt lgkmcnt(0)
	buffer_load_dword v92, off, s[0:3], 0 offset:248
	buffer_load_dword v93, off, s[0:3], 0 offset:252
	;; [unrolled: 1-line block ×16, first 2 shown]
	v_mov_b32_e32 v78, 0
	ds_read2_b64 v[80:83], v78 offset0:69 offset1:70
	ds_read2_b64 v[84:87], v78 offset0:71 offset1:72
	ds_read2_b64 v[88:91], v78 offset0:73 offset1:74
	ds_read_b64 v[108:109], v78 offset:600
	v_cmp_lt_u32_e32 vcc, 29, v0
	s_waitcnt vmcnt(14) lgkmcnt(3)
	v_fma_f64 v[80:81], v[92:93], v[80:81], 0
	s_waitcnt vmcnt(12)
	v_fmac_f64_e32 v[80:81], v[94:95], v[82:83]
	s_waitcnt vmcnt(10) lgkmcnt(2)
	v_fmac_f64_e32 v[80:81], v[96:97], v[84:85]
	s_waitcnt vmcnt(8)
	v_fmac_f64_e32 v[80:81], v[98:99], v[86:87]
	s_waitcnt vmcnt(6) lgkmcnt(1)
	v_fmac_f64_e32 v[80:81], v[100:101], v[88:89]
	;; [unrolled: 4-line block ×3, first 2 shown]
	s_waitcnt vmcnt(0)
	v_add_f64 v[80:81], v[106:107], -v[80:81]
	buffer_store_dword v80, off, s[0:3], 0 offset:240
	buffer_store_dword v81, off, s[0:3], 0 offset:244
	s_and_saveexec_b64 s[4:5], vcc
	s_cbranch_execz .LBB37_177
; %bb.176:
	buffer_load_dword v80, off, s[0:3], 0 offset:232
	buffer_load_dword v81, off, s[0:3], 0 offset:236
	s_waitcnt vmcnt(0)
	ds_write_b64 v1, v[80:81]
	buffer_store_dword v78, off, s[0:3], 0 offset:232
	buffer_store_dword v78, off, s[0:3], 0 offset:236
.LBB37_177:
	s_or_b64 exec, exec, s[4:5]
	s_waitcnt lgkmcnt(0)
	; wave barrier
	s_waitcnt lgkmcnt(0)
	buffer_load_dword v96, off, s[0:3], 0 offset:240
	buffer_load_dword v97, off, s[0:3], 0 offset:244
	buffer_load_dword v98, off, s[0:3], 0 offset:248
	buffer_load_dword v99, off, s[0:3], 0 offset:252
	buffer_load_dword v100, off, s[0:3], 0 offset:256
	buffer_load_dword v101, off, s[0:3], 0 offset:260
	buffer_load_dword v102, off, s[0:3], 0 offset:264
	buffer_load_dword v103, off, s[0:3], 0 offset:268
	buffer_load_dword v104, off, s[0:3], 0 offset:272
	buffer_load_dword v105, off, s[0:3], 0 offset:276
	buffer_load_dword v106, off, s[0:3], 0 offset:280
	buffer_load_dword v107, off, s[0:3], 0 offset:284
	buffer_load_dword v108, off, s[0:3], 0 offset:288
	buffer_load_dword v109, off, s[0:3], 0 offset:292
	buffer_load_dword v111, off, s[0:3], 0 offset:300
	buffer_load_dword v110, off, s[0:3], 0 offset:296
	buffer_load_dword v112, off, s[0:3], 0 offset:232
	buffer_load_dword v113, off, s[0:3], 0 offset:236
	ds_read_b128 v[80:83], v78 offset:544
	ds_read_b128 v[84:87], v78 offset:560
	;; [unrolled: 1-line block ×4, first 2 shown]
	v_cmp_lt_u32_e32 vcc, 28, v0
	s_waitcnt vmcnt(16) lgkmcnt(3)
	v_fma_f64 v[78:79], v[96:97], v[80:81], 0
	s_waitcnt vmcnt(14)
	v_fmac_f64_e32 v[78:79], v[98:99], v[82:83]
	s_waitcnt vmcnt(12) lgkmcnt(2)
	v_fmac_f64_e32 v[78:79], v[100:101], v[84:85]
	s_waitcnt vmcnt(10)
	v_fmac_f64_e32 v[78:79], v[102:103], v[86:87]
	s_waitcnt vmcnt(8) lgkmcnt(1)
	v_fmac_f64_e32 v[78:79], v[104:105], v[88:89]
	;; [unrolled: 4-line block ×3, first 2 shown]
	s_waitcnt vmcnt(2)
	v_fmac_f64_e32 v[78:79], v[110:111], v[94:95]
	s_waitcnt vmcnt(0)
	v_add_f64 v[78:79], v[112:113], -v[78:79]
	buffer_store_dword v78, off, s[0:3], 0 offset:232
	buffer_store_dword v79, off, s[0:3], 0 offset:236
	s_and_saveexec_b64 s[4:5], vcc
	s_cbranch_execz .LBB37_179
; %bb.178:
	buffer_load_dword v78, off, s[0:3], 0 offset:224
	buffer_load_dword v79, off, s[0:3], 0 offset:228
	v_mov_b32_e32 v80, 0
	buffer_store_dword v80, off, s[0:3], 0 offset:224
	buffer_store_dword v80, off, s[0:3], 0 offset:228
	s_waitcnt vmcnt(2)
	ds_write_b64 v1, v[78:79]
.LBB37_179:
	s_or_b64 exec, exec, s[4:5]
	s_waitcnt lgkmcnt(0)
	; wave barrier
	s_waitcnt lgkmcnt(0)
	buffer_load_dword v96, off, s[0:3], 0 offset:232
	buffer_load_dword v97, off, s[0:3], 0 offset:236
	;; [unrolled: 1-line block ×20, first 2 shown]
	v_mov_b32_e32 v78, 0
	ds_read2_b64 v[80:83], v78 offset0:67 offset1:68
	ds_read2_b64 v[84:87], v78 offset0:69 offset1:70
	;; [unrolled: 1-line block ×4, first 2 shown]
	ds_read_b64 v[116:117], v78 offset:600
	v_cmp_lt_u32_e32 vcc, 27, v0
	s_waitcnt vmcnt(18) lgkmcnt(4)
	v_fma_f64 v[80:81], v[96:97], v[80:81], 0
	s_waitcnt vmcnt(16)
	v_fmac_f64_e32 v[80:81], v[98:99], v[82:83]
	s_waitcnt vmcnt(14) lgkmcnt(3)
	v_fmac_f64_e32 v[80:81], v[100:101], v[84:85]
	s_waitcnt vmcnt(12)
	v_fmac_f64_e32 v[80:81], v[102:103], v[86:87]
	s_waitcnt vmcnt(10) lgkmcnt(2)
	v_fmac_f64_e32 v[80:81], v[104:105], v[88:89]
	;; [unrolled: 4-line block ×3, first 2 shown]
	s_waitcnt vmcnt(2)
	v_fmac_f64_e32 v[80:81], v[112:113], v[94:95]
	s_waitcnt lgkmcnt(0)
	v_fmac_f64_e32 v[80:81], v[110:111], v[116:117]
	s_waitcnt vmcnt(0)
	v_add_f64 v[80:81], v[114:115], -v[80:81]
	buffer_store_dword v80, off, s[0:3], 0 offset:224
	buffer_store_dword v81, off, s[0:3], 0 offset:228
	s_and_saveexec_b64 s[4:5], vcc
	s_cbranch_execz .LBB37_181
; %bb.180:
	buffer_load_dword v80, off, s[0:3], 0 offset:216
	buffer_load_dword v81, off, s[0:3], 0 offset:220
	s_waitcnt vmcnt(0)
	ds_write_b64 v1, v[80:81]
	buffer_store_dword v78, off, s[0:3], 0 offset:216
	buffer_store_dword v78, off, s[0:3], 0 offset:220
.LBB37_181:
	s_or_b64 exec, exec, s[4:5]
	s_waitcnt lgkmcnt(0)
	; wave barrier
	s_waitcnt lgkmcnt(0)
	buffer_load_dword v100, off, s[0:3], 0 offset:224
	buffer_load_dword v101, off, s[0:3], 0 offset:228
	;; [unrolled: 1-line block ×22, first 2 shown]
	ds_read_b128 v[80:83], v78 offset:528
	ds_read_b128 v[84:87], v78 offset:544
	;; [unrolled: 1-line block ×5, first 2 shown]
	v_cmp_lt_u32_e32 vcc, 26, v0
	s_waitcnt vmcnt(20) lgkmcnt(4)
	v_fma_f64 v[78:79], v[100:101], v[80:81], 0
	s_waitcnt vmcnt(18)
	v_fmac_f64_e32 v[78:79], v[102:103], v[82:83]
	s_waitcnt vmcnt(16) lgkmcnt(3)
	v_fmac_f64_e32 v[78:79], v[104:105], v[84:85]
	s_waitcnt vmcnt(14)
	v_fmac_f64_e32 v[78:79], v[106:107], v[86:87]
	s_waitcnt vmcnt(12) lgkmcnt(2)
	v_fmac_f64_e32 v[78:79], v[108:109], v[88:89]
	;; [unrolled: 4-line block ×3, first 2 shown]
	s_waitcnt vmcnt(3)
	v_fmac_f64_e32 v[78:79], v[118:119], v[94:95]
	s_waitcnt lgkmcnt(0)
	v_fmac_f64_e32 v[78:79], v[116:117], v[96:97]
	s_waitcnt vmcnt(2)
	v_fmac_f64_e32 v[78:79], v[114:115], v[98:99]
	s_waitcnt vmcnt(0)
	v_add_f64 v[78:79], v[120:121], -v[78:79]
	buffer_store_dword v78, off, s[0:3], 0 offset:216
	buffer_store_dword v79, off, s[0:3], 0 offset:220
	s_and_saveexec_b64 s[4:5], vcc
	s_cbranch_execz .LBB37_183
; %bb.182:
	buffer_load_dword v78, off, s[0:3], 0 offset:208
	buffer_load_dword v79, off, s[0:3], 0 offset:212
	v_mov_b32_e32 v80, 0
	buffer_store_dword v80, off, s[0:3], 0 offset:208
	buffer_store_dword v80, off, s[0:3], 0 offset:212
	s_waitcnt vmcnt(2)
	ds_write_b64 v1, v[78:79]
.LBB37_183:
	s_or_b64 exec, exec, s[4:5]
	s_waitcnt lgkmcnt(0)
	; wave barrier
	s_waitcnt lgkmcnt(0)
	buffer_load_dword v100, off, s[0:3], 0 offset:216
	buffer_load_dword v101, off, s[0:3], 0 offset:220
	;; [unrolled: 1-line block ×24, first 2 shown]
	v_mov_b32_e32 v78, 0
	ds_read2_b64 v[80:83], v78 offset0:65 offset1:66
	ds_read2_b64 v[84:87], v78 offset0:67 offset1:68
	;; [unrolled: 1-line block ×5, first 2 shown]
	ds_read_b64 v[124:125], v78 offset:600
	v_cmp_lt_u32_e32 vcc, 25, v0
	s_waitcnt vmcnt(22) lgkmcnt(5)
	v_fma_f64 v[80:81], v[100:101], v[80:81], 0
	s_waitcnt vmcnt(20)
	v_fmac_f64_e32 v[80:81], v[102:103], v[82:83]
	s_waitcnt vmcnt(18) lgkmcnt(4)
	v_fmac_f64_e32 v[80:81], v[104:105], v[84:85]
	s_waitcnt vmcnt(16)
	v_fmac_f64_e32 v[80:81], v[106:107], v[86:87]
	s_waitcnt vmcnt(14) lgkmcnt(3)
	v_fmac_f64_e32 v[80:81], v[108:109], v[88:89]
	;; [unrolled: 4-line block ×3, first 2 shown]
	s_waitcnt vmcnt(4)
	v_fmac_f64_e32 v[80:81], v[120:121], v[94:95]
	s_waitcnt lgkmcnt(1)
	v_fmac_f64_e32 v[80:81], v[118:119], v[96:97]
	s_waitcnt vmcnt(3)
	v_fmac_f64_e32 v[80:81], v[116:117], v[98:99]
	s_waitcnt vmcnt(2) lgkmcnt(0)
	v_fmac_f64_e32 v[80:81], v[114:115], v[124:125]
	s_waitcnt vmcnt(0)
	v_add_f64 v[80:81], v[122:123], -v[80:81]
	buffer_store_dword v81, off, s[0:3], 0 offset:212
	buffer_store_dword v80, off, s[0:3], 0 offset:208
	s_and_saveexec_b64 s[4:5], vcc
	s_cbranch_execz .LBB37_185
; %bb.184:
	buffer_load_dword v80, off, s[0:3], 0 offset:200
	buffer_load_dword v81, off, s[0:3], 0 offset:204
	s_waitcnt vmcnt(0)
	ds_write_b64 v1, v[80:81]
	buffer_store_dword v78, off, s[0:3], 0 offset:200
	buffer_store_dword v78, off, s[0:3], 0 offset:204
.LBB37_185:
	s_or_b64 exec, exec, s[4:5]
	s_waitcnt lgkmcnt(0)
	; wave barrier
	s_waitcnt lgkmcnt(0)
	buffer_load_dword v96, off, s[0:3], 0 offset:200
	buffer_load_dword v97, off, s[0:3], 0 offset:204
	;; [unrolled: 1-line block ×16, first 2 shown]
	ds_read_b128 v[80:83], v78 offset:512
	ds_read_b128 v[84:87], v78 offset:528
	;; [unrolled: 1-line block ×4, first 2 shown]
	v_cmp_lt_u32_e32 vcc, 24, v0
	s_waitcnt vmcnt(12) lgkmcnt(3)
	v_fma_f64 v[98:99], v[98:99], v[80:81], 0
	buffer_load_dword v81, off, s[0:3], 0 offset:268
	buffer_load_dword v80, off, s[0:3], 0 offset:264
	s_waitcnt vmcnt(12)
	v_fmac_f64_e32 v[98:99], v[100:101], v[82:83]
	s_waitcnt vmcnt(10) lgkmcnt(2)
	v_fmac_f64_e32 v[98:99], v[102:103], v[84:85]
	buffer_load_dword v85, off, s[0:3], 0 offset:276
	buffer_load_dword v84, off, s[0:3], 0 offset:272
	s_waitcnt vmcnt(10)
	v_fmac_f64_e32 v[98:99], v[104:105], v[86:87]
	s_waitcnt vmcnt(8) lgkmcnt(1)
	v_fmac_f64_e32 v[98:99], v[106:107], v[88:89]
	s_waitcnt vmcnt(6)
	v_fmac_f64_e32 v[98:99], v[108:109], v[90:91]
	s_waitcnt vmcnt(4) lgkmcnt(0)
	v_fmac_f64_e32 v[98:99], v[110:111], v[92:93]
	s_waitcnt vmcnt(2)
	v_fmac_f64_e32 v[98:99], v[80:81], v[94:95]
	ds_read_b128 v[80:83], v78 offset:576
	s_waitcnt vmcnt(0) lgkmcnt(0)
	v_fmac_f64_e32 v[98:99], v[84:85], v[80:81]
	buffer_load_dword v81, off, s[0:3], 0 offset:284
	buffer_load_dword v80, off, s[0:3], 0 offset:280
	s_waitcnt vmcnt(0)
	v_fmac_f64_e32 v[98:99], v[80:81], v[82:83]
	buffer_load_dword v83, off, s[0:3], 0 offset:292
	buffer_load_dword v82, off, s[0:3], 0 offset:288
	ds_read_b128 v[78:81], v78 offset:592
	s_waitcnt vmcnt(0) lgkmcnt(0)
	v_fmac_f64_e32 v[98:99], v[82:83], v[78:79]
	buffer_load_dword v79, off, s[0:3], 0 offset:300
	buffer_load_dword v78, off, s[0:3], 0 offset:296
	s_waitcnt vmcnt(0)
	v_fmac_f64_e32 v[98:99], v[78:79], v[80:81]
	v_add_f64 v[78:79], v[96:97], -v[98:99]
	buffer_store_dword v79, off, s[0:3], 0 offset:204
	buffer_store_dword v78, off, s[0:3], 0 offset:200
	s_and_saveexec_b64 s[4:5], vcc
	s_cbranch_execz .LBB37_187
; %bb.186:
	buffer_load_dword v78, off, s[0:3], 0 offset:192
	buffer_load_dword v79, off, s[0:3], 0 offset:196
	v_mov_b32_e32 v80, 0
	buffer_store_dword v80, off, s[0:3], 0 offset:192
	buffer_store_dword v80, off, s[0:3], 0 offset:196
	s_waitcnt vmcnt(2)
	ds_write_b64 v1, v[78:79]
.LBB37_187:
	s_or_b64 exec, exec, s[4:5]
	s_waitcnt lgkmcnt(0)
	; wave barrier
	s_waitcnt lgkmcnt(0)
	buffer_load_dword v84, off, s[0:3], 0 offset:192
	buffer_load_dword v85, off, s[0:3], 0 offset:196
	;; [unrolled: 1-line block ×16, first 2 shown]
	v_mov_b32_e32 v78, 0
	ds_read2_b64 v[80:83], v78 offset0:63 offset1:64
	v_cmp_lt_u32_e32 vcc, 23, v0
	s_waitcnt vmcnt(12) lgkmcnt(0)
	v_fma_f64 v[86:87], v[86:87], v[80:81], 0
	s_waitcnt vmcnt(10)
	v_fmac_f64_e32 v[86:87], v[88:89], v[82:83]
	ds_read2_b64 v[80:83], v78 offset0:65 offset1:66
	s_waitcnt vmcnt(8) lgkmcnt(0)
	v_fmac_f64_e32 v[86:87], v[90:91], v[80:81]
	s_waitcnt vmcnt(6)
	v_fmac_f64_e32 v[86:87], v[92:93], v[82:83]
	ds_read2_b64 v[80:83], v78 offset0:67 offset1:68
	s_waitcnt vmcnt(4) lgkmcnt(0)
	v_fmac_f64_e32 v[86:87], v[94:95], v[80:81]
	;; [unrolled: 5-line block ×3, first 2 shown]
	buffer_load_dword v81, off, s[0:3], 0 offset:260
	buffer_load_dword v80, off, s[0:3], 0 offset:256
	;; [unrolled: 1-line block ×4, first 2 shown]
	s_waitcnt vmcnt(2)
	v_fmac_f64_e32 v[86:87], v[80:81], v[82:83]
	ds_read2_b64 v[80:83], v78 offset0:71 offset1:72
	s_waitcnt vmcnt(0) lgkmcnt(0)
	v_fmac_f64_e32 v[86:87], v[88:89], v[80:81]
	buffer_load_dword v81, off, s[0:3], 0 offset:276
	buffer_load_dword v80, off, s[0:3], 0 offset:272
	;; [unrolled: 1-line block ×4, first 2 shown]
	s_waitcnt vmcnt(2)
	v_fmac_f64_e32 v[86:87], v[80:81], v[82:83]
	ds_read2_b64 v[80:83], v78 offset0:73 offset1:74
	s_waitcnt vmcnt(0) lgkmcnt(0)
	v_fmac_f64_e32 v[86:87], v[88:89], v[80:81]
	buffer_load_dword v81, off, s[0:3], 0 offset:292
	buffer_load_dword v80, off, s[0:3], 0 offset:288
	s_waitcnt vmcnt(0)
	v_fmac_f64_e32 v[86:87], v[80:81], v[82:83]
	buffer_load_dword v81, off, s[0:3], 0 offset:300
	buffer_load_dword v80, off, s[0:3], 0 offset:296
	ds_read_b64 v[82:83], v78 offset:600
	s_waitcnt vmcnt(0) lgkmcnt(0)
	v_fmac_f64_e32 v[86:87], v[80:81], v[82:83]
	v_add_f64 v[80:81], v[84:85], -v[86:87]
	buffer_store_dword v81, off, s[0:3], 0 offset:196
	buffer_store_dword v80, off, s[0:3], 0 offset:192
	s_and_saveexec_b64 s[4:5], vcc
	s_cbranch_execz .LBB37_189
; %bb.188:
	buffer_load_dword v80, off, s[0:3], 0 offset:184
	buffer_load_dword v81, off, s[0:3], 0 offset:188
	s_waitcnt vmcnt(0)
	ds_write_b64 v1, v[80:81]
	buffer_store_dword v78, off, s[0:3], 0 offset:184
	buffer_store_dword v78, off, s[0:3], 0 offset:188
.LBB37_189:
	s_or_b64 exec, exec, s[4:5]
	s_waitcnt lgkmcnt(0)
	; wave barrier
	s_waitcnt lgkmcnt(0)
	buffer_load_dword v96, off, s[0:3], 0 offset:184
	buffer_load_dword v97, off, s[0:3], 0 offset:188
	;; [unrolled: 1-line block ×16, first 2 shown]
	ds_read_b128 v[80:83], v78 offset:496
	ds_read_b128 v[84:87], v78 offset:512
	ds_read_b128 v[88:91], v78 offset:528
	ds_read_b128 v[92:95], v78 offset:544
	v_cmp_lt_u32_e32 vcc, 22, v0
	s_waitcnt vmcnt(12) lgkmcnt(3)
	v_fma_f64 v[98:99], v[98:99], v[80:81], 0
	buffer_load_dword v81, off, s[0:3], 0 offset:252
	buffer_load_dword v80, off, s[0:3], 0 offset:248
	s_waitcnt vmcnt(12)
	v_fmac_f64_e32 v[98:99], v[100:101], v[82:83]
	s_waitcnt vmcnt(10) lgkmcnt(2)
	v_fmac_f64_e32 v[98:99], v[102:103], v[84:85]
	buffer_load_dword v85, off, s[0:3], 0 offset:260
	buffer_load_dword v84, off, s[0:3], 0 offset:256
	s_waitcnt vmcnt(10)
	v_fmac_f64_e32 v[98:99], v[104:105], v[86:87]
	s_waitcnt vmcnt(8) lgkmcnt(1)
	v_fmac_f64_e32 v[98:99], v[106:107], v[88:89]
	s_waitcnt vmcnt(6)
	v_fmac_f64_e32 v[98:99], v[108:109], v[90:91]
	s_waitcnt vmcnt(4) lgkmcnt(0)
	v_fmac_f64_e32 v[98:99], v[110:111], v[92:93]
	s_waitcnt vmcnt(2)
	v_fmac_f64_e32 v[98:99], v[80:81], v[94:95]
	ds_read_b128 v[80:83], v78 offset:560
	s_waitcnt vmcnt(0) lgkmcnt(0)
	v_fmac_f64_e32 v[98:99], v[84:85], v[80:81]
	buffer_load_dword v81, off, s[0:3], 0 offset:268
	buffer_load_dword v80, off, s[0:3], 0 offset:264
	;; [unrolled: 1-line block ×4, first 2 shown]
	s_waitcnt vmcnt(2)
	v_fmac_f64_e32 v[98:99], v[80:81], v[82:83]
	ds_read_b128 v[80:83], v78 offset:576
	s_waitcnt vmcnt(0) lgkmcnt(0)
	v_fmac_f64_e32 v[98:99], v[84:85], v[80:81]
	buffer_load_dword v81, off, s[0:3], 0 offset:284
	buffer_load_dword v80, off, s[0:3], 0 offset:280
	s_waitcnt vmcnt(0)
	v_fmac_f64_e32 v[98:99], v[80:81], v[82:83]
	buffer_load_dword v83, off, s[0:3], 0 offset:292
	buffer_load_dword v82, off, s[0:3], 0 offset:288
	ds_read_b128 v[78:81], v78 offset:592
	s_waitcnt vmcnt(0) lgkmcnt(0)
	v_fmac_f64_e32 v[98:99], v[82:83], v[78:79]
	buffer_load_dword v79, off, s[0:3], 0 offset:300
	buffer_load_dword v78, off, s[0:3], 0 offset:296
	s_waitcnt vmcnt(0)
	v_fmac_f64_e32 v[98:99], v[78:79], v[80:81]
	v_add_f64 v[78:79], v[96:97], -v[98:99]
	buffer_store_dword v79, off, s[0:3], 0 offset:188
	buffer_store_dword v78, off, s[0:3], 0 offset:184
	s_and_saveexec_b64 s[4:5], vcc
	s_cbranch_execz .LBB37_191
; %bb.190:
	buffer_load_dword v78, off, s[0:3], 0 offset:176
	buffer_load_dword v79, off, s[0:3], 0 offset:180
	v_mov_b32_e32 v80, 0
	buffer_store_dword v80, off, s[0:3], 0 offset:176
	buffer_store_dword v80, off, s[0:3], 0 offset:180
	s_waitcnt vmcnt(2)
	ds_write_b64 v1, v[78:79]
.LBB37_191:
	s_or_b64 exec, exec, s[4:5]
	s_waitcnt lgkmcnt(0)
	; wave barrier
	s_waitcnt lgkmcnt(0)
	buffer_load_dword v84, off, s[0:3], 0 offset:176
	buffer_load_dword v85, off, s[0:3], 0 offset:180
	;; [unrolled: 1-line block ×16, first 2 shown]
	v_mov_b32_e32 v78, 0
	ds_read2_b64 v[80:83], v78 offset0:61 offset1:62
	v_cmp_lt_u32_e32 vcc, 21, v0
	s_waitcnt vmcnt(12) lgkmcnt(0)
	v_fma_f64 v[86:87], v[86:87], v[80:81], 0
	s_waitcnt vmcnt(10)
	v_fmac_f64_e32 v[86:87], v[88:89], v[82:83]
	ds_read2_b64 v[80:83], v78 offset0:63 offset1:64
	s_waitcnt vmcnt(8) lgkmcnt(0)
	v_fmac_f64_e32 v[86:87], v[90:91], v[80:81]
	s_waitcnt vmcnt(6)
	v_fmac_f64_e32 v[86:87], v[92:93], v[82:83]
	ds_read2_b64 v[80:83], v78 offset0:65 offset1:66
	s_waitcnt vmcnt(4) lgkmcnt(0)
	v_fmac_f64_e32 v[86:87], v[94:95], v[80:81]
	;; [unrolled: 5-line block ×3, first 2 shown]
	buffer_load_dword v81, off, s[0:3], 0 offset:244
	buffer_load_dword v80, off, s[0:3], 0 offset:240
	buffer_load_dword v89, off, s[0:3], 0 offset:252
	buffer_load_dword v88, off, s[0:3], 0 offset:248
	s_waitcnt vmcnt(2)
	v_fmac_f64_e32 v[86:87], v[80:81], v[82:83]
	ds_read2_b64 v[80:83], v78 offset0:69 offset1:70
	s_waitcnt vmcnt(0) lgkmcnt(0)
	v_fmac_f64_e32 v[86:87], v[88:89], v[80:81]
	buffer_load_dword v81, off, s[0:3], 0 offset:260
	buffer_load_dword v80, off, s[0:3], 0 offset:256
	buffer_load_dword v89, off, s[0:3], 0 offset:268
	buffer_load_dword v88, off, s[0:3], 0 offset:264
	s_waitcnt vmcnt(2)
	v_fmac_f64_e32 v[86:87], v[80:81], v[82:83]
	ds_read2_b64 v[80:83], v78 offset0:71 offset1:72
	s_waitcnt vmcnt(0) lgkmcnt(0)
	v_fmac_f64_e32 v[86:87], v[88:89], v[80:81]
	;; [unrolled: 9-line block ×3, first 2 shown]
	buffer_load_dword v81, off, s[0:3], 0 offset:292
	buffer_load_dword v80, off, s[0:3], 0 offset:288
	s_waitcnt vmcnt(0)
	v_fmac_f64_e32 v[86:87], v[80:81], v[82:83]
	buffer_load_dword v81, off, s[0:3], 0 offset:300
	buffer_load_dword v80, off, s[0:3], 0 offset:296
	ds_read_b64 v[82:83], v78 offset:600
	s_waitcnt vmcnt(0) lgkmcnt(0)
	v_fmac_f64_e32 v[86:87], v[80:81], v[82:83]
	v_add_f64 v[80:81], v[84:85], -v[86:87]
	buffer_store_dword v81, off, s[0:3], 0 offset:180
	buffer_store_dword v80, off, s[0:3], 0 offset:176
	s_and_saveexec_b64 s[4:5], vcc
	s_cbranch_execz .LBB37_193
; %bb.192:
	buffer_load_dword v80, off, s[0:3], 0 offset:168
	buffer_load_dword v81, off, s[0:3], 0 offset:172
	s_waitcnt vmcnt(0)
	ds_write_b64 v1, v[80:81]
	buffer_store_dword v78, off, s[0:3], 0 offset:168
	buffer_store_dword v78, off, s[0:3], 0 offset:172
.LBB37_193:
	s_or_b64 exec, exec, s[4:5]
	s_waitcnt lgkmcnt(0)
	; wave barrier
	s_waitcnt lgkmcnt(0)
	buffer_load_dword v96, off, s[0:3], 0 offset:168
	buffer_load_dword v97, off, s[0:3], 0 offset:172
	;; [unrolled: 1-line block ×16, first 2 shown]
	ds_read_b128 v[80:83], v78 offset:480
	ds_read_b128 v[84:87], v78 offset:496
	;; [unrolled: 1-line block ×4, first 2 shown]
	v_cmp_lt_u32_e32 vcc, 20, v0
	s_waitcnt vmcnt(12) lgkmcnt(3)
	v_fma_f64 v[98:99], v[98:99], v[80:81], 0
	buffer_load_dword v81, off, s[0:3], 0 offset:236
	buffer_load_dword v80, off, s[0:3], 0 offset:232
	s_waitcnt vmcnt(12)
	v_fmac_f64_e32 v[98:99], v[100:101], v[82:83]
	s_waitcnt vmcnt(10) lgkmcnt(2)
	v_fmac_f64_e32 v[98:99], v[102:103], v[84:85]
	buffer_load_dword v85, off, s[0:3], 0 offset:244
	buffer_load_dword v84, off, s[0:3], 0 offset:240
	s_waitcnt vmcnt(10)
	v_fmac_f64_e32 v[98:99], v[104:105], v[86:87]
	s_waitcnt vmcnt(8) lgkmcnt(1)
	v_fmac_f64_e32 v[98:99], v[106:107], v[88:89]
	s_waitcnt vmcnt(6)
	v_fmac_f64_e32 v[98:99], v[108:109], v[90:91]
	s_waitcnt vmcnt(4) lgkmcnt(0)
	v_fmac_f64_e32 v[98:99], v[110:111], v[92:93]
	s_waitcnt vmcnt(2)
	v_fmac_f64_e32 v[98:99], v[80:81], v[94:95]
	ds_read_b128 v[80:83], v78 offset:544
	s_waitcnt vmcnt(0) lgkmcnt(0)
	v_fmac_f64_e32 v[98:99], v[84:85], v[80:81]
	buffer_load_dword v81, off, s[0:3], 0 offset:252
	buffer_load_dword v80, off, s[0:3], 0 offset:248
	;; [unrolled: 1-line block ×4, first 2 shown]
	s_waitcnt vmcnt(2)
	v_fmac_f64_e32 v[98:99], v[80:81], v[82:83]
	ds_read_b128 v[80:83], v78 offset:560
	s_waitcnt vmcnt(0) lgkmcnt(0)
	v_fmac_f64_e32 v[98:99], v[84:85], v[80:81]
	buffer_load_dword v81, off, s[0:3], 0 offset:268
	buffer_load_dword v80, off, s[0:3], 0 offset:264
	;; [unrolled: 1-line block ×4, first 2 shown]
	s_waitcnt vmcnt(2)
	v_fmac_f64_e32 v[98:99], v[80:81], v[82:83]
	ds_read_b128 v[80:83], v78 offset:576
	s_waitcnt vmcnt(0) lgkmcnt(0)
	v_fmac_f64_e32 v[98:99], v[84:85], v[80:81]
	buffer_load_dword v81, off, s[0:3], 0 offset:284
	buffer_load_dword v80, off, s[0:3], 0 offset:280
	s_waitcnt vmcnt(0)
	v_fmac_f64_e32 v[98:99], v[80:81], v[82:83]
	buffer_load_dword v83, off, s[0:3], 0 offset:292
	buffer_load_dword v82, off, s[0:3], 0 offset:288
	ds_read_b128 v[78:81], v78 offset:592
	s_waitcnt vmcnt(0) lgkmcnt(0)
	v_fmac_f64_e32 v[98:99], v[82:83], v[78:79]
	buffer_load_dword v79, off, s[0:3], 0 offset:300
	buffer_load_dword v78, off, s[0:3], 0 offset:296
	s_waitcnt vmcnt(0)
	v_fmac_f64_e32 v[98:99], v[78:79], v[80:81]
	v_add_f64 v[78:79], v[96:97], -v[98:99]
	buffer_store_dword v79, off, s[0:3], 0 offset:172
	buffer_store_dword v78, off, s[0:3], 0 offset:168
	s_and_saveexec_b64 s[4:5], vcc
	s_cbranch_execz .LBB37_195
; %bb.194:
	buffer_load_dword v78, off, s[0:3], 0 offset:160
	buffer_load_dword v79, off, s[0:3], 0 offset:164
	v_mov_b32_e32 v80, 0
	buffer_store_dword v80, off, s[0:3], 0 offset:160
	buffer_store_dword v80, off, s[0:3], 0 offset:164
	s_waitcnt vmcnt(2)
	ds_write_b64 v1, v[78:79]
.LBB37_195:
	s_or_b64 exec, exec, s[4:5]
	s_waitcnt lgkmcnt(0)
	; wave barrier
	s_waitcnt lgkmcnt(0)
	buffer_load_dword v78, off, s[0:3], 0 offset:160
	buffer_load_dword v79, off, s[0:3], 0 offset:164
	;; [unrolled: 1-line block ×16, first 2 shown]
	v_mov_b32_e32 v82, 0
	ds_read2_b64 v[84:87], v82 offset0:59 offset1:60
	v_cmp_lt_u32_e32 vcc, 19, v0
	s_waitcnt vmcnt(12) lgkmcnt(0)
	v_fma_f64 v[80:81], v[80:81], v[84:85], 0
	s_waitcnt vmcnt(10)
	v_fmac_f64_e32 v[80:81], v[88:89], v[86:87]
	ds_read2_b64 v[84:87], v82 offset0:61 offset1:62
	s_waitcnt vmcnt(8) lgkmcnt(0)
	v_fmac_f64_e32 v[80:81], v[90:91], v[84:85]
	s_waitcnt vmcnt(6)
	v_fmac_f64_e32 v[80:81], v[92:93], v[86:87]
	ds_read2_b64 v[84:87], v82 offset0:63 offset1:64
	s_waitcnt vmcnt(4) lgkmcnt(0)
	v_fmac_f64_e32 v[80:81], v[94:95], v[84:85]
	;; [unrolled: 5-line block ×3, first 2 shown]
	buffer_load_dword v85, off, s[0:3], 0 offset:228
	buffer_load_dword v84, off, s[0:3], 0 offset:224
	buffer_load_dword v89, off, s[0:3], 0 offset:236
	buffer_load_dword v88, off, s[0:3], 0 offset:232
	s_waitcnt vmcnt(2)
	v_fmac_f64_e32 v[80:81], v[84:85], v[86:87]
	ds_read2_b64 v[84:87], v82 offset0:67 offset1:68
	s_waitcnt vmcnt(0) lgkmcnt(0)
	v_fmac_f64_e32 v[80:81], v[88:89], v[84:85]
	buffer_load_dword v85, off, s[0:3], 0 offset:244
	buffer_load_dword v84, off, s[0:3], 0 offset:240
	buffer_load_dword v89, off, s[0:3], 0 offset:252
	buffer_load_dword v88, off, s[0:3], 0 offset:248
	s_waitcnt vmcnt(2)
	v_fmac_f64_e32 v[80:81], v[84:85], v[86:87]
	ds_read2_b64 v[84:87], v82 offset0:69 offset1:70
	s_waitcnt vmcnt(0) lgkmcnt(0)
	v_fmac_f64_e32 v[80:81], v[88:89], v[84:85]
	;; [unrolled: 9-line block ×4, first 2 shown]
	buffer_load_dword v85, off, s[0:3], 0 offset:292
	buffer_load_dword v84, off, s[0:3], 0 offset:288
	s_waitcnt vmcnt(0)
	v_fmac_f64_e32 v[80:81], v[84:85], v[86:87]
	buffer_load_dword v85, off, s[0:3], 0 offset:300
	buffer_load_dword v84, off, s[0:3], 0 offset:296
	ds_read_b64 v[86:87], v82 offset:600
	s_waitcnt vmcnt(0) lgkmcnt(0)
	v_fmac_f64_e32 v[80:81], v[84:85], v[86:87]
	v_add_f64 v[78:79], v[78:79], -v[80:81]
	buffer_store_dword v79, off, s[0:3], 0 offset:164
	buffer_store_dword v78, off, s[0:3], 0 offset:160
	s_and_saveexec_b64 s[4:5], vcc
	s_cbranch_execz .LBB37_197
; %bb.196:
	buffer_load_dword v78, off, s[0:3], 0 offset:152
	buffer_load_dword v79, off, s[0:3], 0 offset:156
	s_waitcnt vmcnt(0)
	ds_write_b64 v1, v[78:79]
	buffer_store_dword v82, off, s[0:3], 0 offset:152
	buffer_store_dword v82, off, s[0:3], 0 offset:156
.LBB37_197:
	s_or_b64 exec, exec, s[4:5]
	s_waitcnt lgkmcnt(0)
	; wave barrier
	s_waitcnt lgkmcnt(0)
	buffer_load_dword v78, off, s[0:3], 0 offset:152
	buffer_load_dword v79, off, s[0:3], 0 offset:156
	;; [unrolled: 1-line block ×16, first 2 shown]
	ds_read_b128 v[84:87], v82 offset:464
	ds_read_b128 v[88:91], v82 offset:480
	;; [unrolled: 1-line block ×4, first 2 shown]
	v_cmp_lt_u32_e32 vcc, 18, v0
	s_waitcnt vmcnt(12) lgkmcnt(3)
	v_fma_f64 v[80:81], v[80:81], v[84:85], 0
	buffer_load_dword v85, off, s[0:3], 0 offset:220
	buffer_load_dword v84, off, s[0:3], 0 offset:216
	s_waitcnt vmcnt(12)
	v_fmac_f64_e32 v[80:81], v[100:101], v[86:87]
	s_waitcnt vmcnt(10) lgkmcnt(2)
	v_fmac_f64_e32 v[80:81], v[102:103], v[88:89]
	buffer_load_dword v89, off, s[0:3], 0 offset:228
	buffer_load_dword v88, off, s[0:3], 0 offset:224
	s_waitcnt vmcnt(10)
	v_fmac_f64_e32 v[80:81], v[104:105], v[90:91]
	s_waitcnt vmcnt(8) lgkmcnt(1)
	v_fmac_f64_e32 v[80:81], v[106:107], v[92:93]
	s_waitcnt vmcnt(6)
	v_fmac_f64_e32 v[80:81], v[108:109], v[94:95]
	s_waitcnt vmcnt(4) lgkmcnt(0)
	v_fmac_f64_e32 v[80:81], v[110:111], v[96:97]
	s_waitcnt vmcnt(2)
	v_fmac_f64_e32 v[80:81], v[84:85], v[98:99]
	ds_read_b128 v[84:87], v82 offset:528
	s_waitcnt vmcnt(0) lgkmcnt(0)
	v_fmac_f64_e32 v[80:81], v[88:89], v[84:85]
	buffer_load_dword v85, off, s[0:3], 0 offset:236
	buffer_load_dword v84, off, s[0:3], 0 offset:232
	buffer_load_dword v89, off, s[0:3], 0 offset:244
	buffer_load_dword v88, off, s[0:3], 0 offset:240
	s_waitcnt vmcnt(2)
	v_fmac_f64_e32 v[80:81], v[84:85], v[86:87]
	ds_read_b128 v[84:87], v82 offset:544
	s_waitcnt vmcnt(0) lgkmcnt(0)
	v_fmac_f64_e32 v[80:81], v[88:89], v[84:85]
	buffer_load_dword v85, off, s[0:3], 0 offset:252
	buffer_load_dword v84, off, s[0:3], 0 offset:248
	buffer_load_dword v89, off, s[0:3], 0 offset:260
	buffer_load_dword v88, off, s[0:3], 0 offset:256
	;; [unrolled: 9-line block ×3, first 2 shown]
	s_waitcnt vmcnt(2)
	v_fmac_f64_e32 v[80:81], v[84:85], v[86:87]
	ds_read_b128 v[84:87], v82 offset:576
	s_waitcnt vmcnt(0) lgkmcnt(0)
	v_fmac_f64_e32 v[80:81], v[88:89], v[84:85]
	buffer_load_dword v85, off, s[0:3], 0 offset:284
	buffer_load_dword v84, off, s[0:3], 0 offset:280
	s_waitcnt vmcnt(0)
	v_fmac_f64_e32 v[80:81], v[84:85], v[86:87]
	buffer_load_dword v87, off, s[0:3], 0 offset:292
	buffer_load_dword v86, off, s[0:3], 0 offset:288
	ds_read_b128 v[82:85], v82 offset:592
	s_waitcnt vmcnt(0) lgkmcnt(0)
	v_fmac_f64_e32 v[80:81], v[86:87], v[82:83]
	buffer_load_dword v83, off, s[0:3], 0 offset:300
	buffer_load_dword v82, off, s[0:3], 0 offset:296
	s_waitcnt vmcnt(0)
	v_fmac_f64_e32 v[80:81], v[82:83], v[84:85]
	v_add_f64 v[78:79], v[78:79], -v[80:81]
	buffer_store_dword v79, off, s[0:3], 0 offset:156
	buffer_store_dword v78, off, s[0:3], 0 offset:152
	s_and_saveexec_b64 s[4:5], vcc
	s_cbranch_execz .LBB37_199
; %bb.198:
	buffer_load_dword v78, off, s[0:3], 0 offset:144
	buffer_load_dword v79, off, s[0:3], 0 offset:148
	v_mov_b32_e32 v80, 0
	buffer_store_dword v80, off, s[0:3], 0 offset:144
	buffer_store_dword v80, off, s[0:3], 0 offset:148
	s_waitcnt vmcnt(2)
	ds_write_b64 v1, v[78:79]
.LBB37_199:
	s_or_b64 exec, exec, s[4:5]
	s_waitcnt lgkmcnt(0)
	; wave barrier
	s_waitcnt lgkmcnt(0)
	buffer_load_dword v78, off, s[0:3], 0 offset:144
	buffer_load_dword v79, off, s[0:3], 0 offset:148
	;; [unrolled: 1-line block ×16, first 2 shown]
	v_mov_b32_e32 v82, 0
	ds_read2_b64 v[84:87], v82 offset0:57 offset1:58
	v_cmp_lt_u32_e32 vcc, 17, v0
	s_waitcnt vmcnt(12) lgkmcnt(0)
	v_fma_f64 v[80:81], v[80:81], v[84:85], 0
	s_waitcnt vmcnt(10)
	v_fmac_f64_e32 v[80:81], v[88:89], v[86:87]
	ds_read2_b64 v[84:87], v82 offset0:59 offset1:60
	s_waitcnt vmcnt(8) lgkmcnt(0)
	v_fmac_f64_e32 v[80:81], v[90:91], v[84:85]
	s_waitcnt vmcnt(6)
	v_fmac_f64_e32 v[80:81], v[92:93], v[86:87]
	ds_read2_b64 v[84:87], v82 offset0:61 offset1:62
	s_waitcnt vmcnt(4) lgkmcnt(0)
	v_fmac_f64_e32 v[80:81], v[94:95], v[84:85]
	;; [unrolled: 5-line block ×3, first 2 shown]
	buffer_load_dword v85, off, s[0:3], 0 offset:212
	buffer_load_dword v84, off, s[0:3], 0 offset:208
	buffer_load_dword v89, off, s[0:3], 0 offset:220
	buffer_load_dword v88, off, s[0:3], 0 offset:216
	s_waitcnt vmcnt(2)
	v_fmac_f64_e32 v[80:81], v[84:85], v[86:87]
	ds_read2_b64 v[84:87], v82 offset0:65 offset1:66
	s_waitcnt vmcnt(0) lgkmcnt(0)
	v_fmac_f64_e32 v[80:81], v[88:89], v[84:85]
	buffer_load_dword v85, off, s[0:3], 0 offset:228
	buffer_load_dword v84, off, s[0:3], 0 offset:224
	buffer_load_dword v89, off, s[0:3], 0 offset:236
	buffer_load_dword v88, off, s[0:3], 0 offset:232
	s_waitcnt vmcnt(2)
	v_fmac_f64_e32 v[80:81], v[84:85], v[86:87]
	ds_read2_b64 v[84:87], v82 offset0:67 offset1:68
	s_waitcnt vmcnt(0) lgkmcnt(0)
	v_fmac_f64_e32 v[80:81], v[88:89], v[84:85]
	;; [unrolled: 9-line block ×5, first 2 shown]
	buffer_load_dword v85, off, s[0:3], 0 offset:292
	buffer_load_dword v84, off, s[0:3], 0 offset:288
	s_waitcnt vmcnt(0)
	v_fmac_f64_e32 v[80:81], v[84:85], v[86:87]
	buffer_load_dword v85, off, s[0:3], 0 offset:300
	buffer_load_dword v84, off, s[0:3], 0 offset:296
	ds_read_b64 v[86:87], v82 offset:600
	s_waitcnt vmcnt(0) lgkmcnt(0)
	v_fmac_f64_e32 v[80:81], v[84:85], v[86:87]
	v_add_f64 v[78:79], v[78:79], -v[80:81]
	buffer_store_dword v79, off, s[0:3], 0 offset:148
	buffer_store_dword v78, off, s[0:3], 0 offset:144
	s_and_saveexec_b64 s[4:5], vcc
	s_cbranch_execz .LBB37_201
; %bb.200:
	buffer_load_dword v78, off, s[0:3], 0 offset:136
	buffer_load_dword v79, off, s[0:3], 0 offset:140
	s_waitcnt vmcnt(0)
	ds_write_b64 v1, v[78:79]
	buffer_store_dword v82, off, s[0:3], 0 offset:136
	buffer_store_dword v82, off, s[0:3], 0 offset:140
.LBB37_201:
	s_or_b64 exec, exec, s[4:5]
	s_waitcnt lgkmcnt(0)
	; wave barrier
	s_waitcnt lgkmcnt(0)
	buffer_load_dword v78, off, s[0:3], 0 offset:136
	buffer_load_dword v79, off, s[0:3], 0 offset:140
	;; [unrolled: 1-line block ×16, first 2 shown]
	ds_read_b128 v[84:87], v82 offset:448
	ds_read_b128 v[88:91], v82 offset:464
	;; [unrolled: 1-line block ×4, first 2 shown]
	v_cmp_lt_u32_e32 vcc, 16, v0
	s_waitcnt vmcnt(12) lgkmcnt(3)
	v_fma_f64 v[80:81], v[80:81], v[84:85], 0
	buffer_load_dword v85, off, s[0:3], 0 offset:204
	buffer_load_dword v84, off, s[0:3], 0 offset:200
	s_waitcnt vmcnt(12)
	v_fmac_f64_e32 v[80:81], v[100:101], v[86:87]
	s_waitcnt vmcnt(10) lgkmcnt(2)
	v_fmac_f64_e32 v[80:81], v[102:103], v[88:89]
	buffer_load_dword v89, off, s[0:3], 0 offset:212
	buffer_load_dword v88, off, s[0:3], 0 offset:208
	s_waitcnt vmcnt(10)
	v_fmac_f64_e32 v[80:81], v[104:105], v[90:91]
	s_waitcnt vmcnt(8) lgkmcnt(1)
	v_fmac_f64_e32 v[80:81], v[106:107], v[92:93]
	s_waitcnt vmcnt(6)
	v_fmac_f64_e32 v[80:81], v[108:109], v[94:95]
	s_waitcnt vmcnt(4) lgkmcnt(0)
	v_fmac_f64_e32 v[80:81], v[110:111], v[96:97]
	s_waitcnt vmcnt(2)
	v_fmac_f64_e32 v[80:81], v[84:85], v[98:99]
	ds_read_b128 v[84:87], v82 offset:512
	s_waitcnt vmcnt(0) lgkmcnt(0)
	v_fmac_f64_e32 v[80:81], v[88:89], v[84:85]
	buffer_load_dword v85, off, s[0:3], 0 offset:220
	buffer_load_dword v84, off, s[0:3], 0 offset:216
	buffer_load_dword v89, off, s[0:3], 0 offset:228
	buffer_load_dword v88, off, s[0:3], 0 offset:224
	s_waitcnt vmcnt(2)
	v_fmac_f64_e32 v[80:81], v[84:85], v[86:87]
	ds_read_b128 v[84:87], v82 offset:528
	s_waitcnt vmcnt(0) lgkmcnt(0)
	v_fmac_f64_e32 v[80:81], v[88:89], v[84:85]
	buffer_load_dword v85, off, s[0:3], 0 offset:236
	buffer_load_dword v84, off, s[0:3], 0 offset:232
	buffer_load_dword v89, off, s[0:3], 0 offset:244
	buffer_load_dword v88, off, s[0:3], 0 offset:240
	;; [unrolled: 9-line block ×4, first 2 shown]
	s_waitcnt vmcnt(2)
	v_fmac_f64_e32 v[80:81], v[84:85], v[86:87]
	ds_read_b128 v[84:87], v82 offset:576
	s_waitcnt vmcnt(0) lgkmcnt(0)
	v_fmac_f64_e32 v[80:81], v[88:89], v[84:85]
	buffer_load_dword v85, off, s[0:3], 0 offset:284
	buffer_load_dword v84, off, s[0:3], 0 offset:280
	s_waitcnt vmcnt(0)
	v_fmac_f64_e32 v[80:81], v[84:85], v[86:87]
	buffer_load_dword v87, off, s[0:3], 0 offset:292
	buffer_load_dword v86, off, s[0:3], 0 offset:288
	ds_read_b128 v[82:85], v82 offset:592
	s_waitcnt vmcnt(0) lgkmcnt(0)
	v_fmac_f64_e32 v[80:81], v[86:87], v[82:83]
	buffer_load_dword v83, off, s[0:3], 0 offset:300
	buffer_load_dword v82, off, s[0:3], 0 offset:296
	s_waitcnt vmcnt(0)
	v_fmac_f64_e32 v[80:81], v[82:83], v[84:85]
	v_add_f64 v[78:79], v[78:79], -v[80:81]
	buffer_store_dword v79, off, s[0:3], 0 offset:140
	buffer_store_dword v78, off, s[0:3], 0 offset:136
	s_and_saveexec_b64 s[4:5], vcc
	s_cbranch_execz .LBB37_203
; %bb.202:
	buffer_load_dword v78, off, s[0:3], 0 offset:128
	buffer_load_dword v79, off, s[0:3], 0 offset:132
	v_mov_b32_e32 v80, 0
	buffer_store_dword v80, off, s[0:3], 0 offset:128
	buffer_store_dword v80, off, s[0:3], 0 offset:132
	s_waitcnt vmcnt(2)
	ds_write_b64 v1, v[78:79]
.LBB37_203:
	s_or_b64 exec, exec, s[4:5]
	s_waitcnt lgkmcnt(0)
	; wave barrier
	s_waitcnt lgkmcnt(0)
	buffer_load_dword v78, off, s[0:3], 0 offset:128
	buffer_load_dword v79, off, s[0:3], 0 offset:132
	;; [unrolled: 1-line block ×16, first 2 shown]
	v_mov_b32_e32 v82, 0
	ds_read2_b64 v[84:87], v82 offset0:55 offset1:56
	v_cmp_lt_u32_e32 vcc, 15, v0
	s_waitcnt vmcnt(12) lgkmcnt(0)
	v_fma_f64 v[80:81], v[80:81], v[84:85], 0
	s_waitcnt vmcnt(10)
	v_fmac_f64_e32 v[80:81], v[88:89], v[86:87]
	ds_read2_b64 v[84:87], v82 offset0:57 offset1:58
	s_waitcnt vmcnt(8) lgkmcnt(0)
	v_fmac_f64_e32 v[80:81], v[90:91], v[84:85]
	s_waitcnt vmcnt(6)
	v_fmac_f64_e32 v[80:81], v[92:93], v[86:87]
	ds_read2_b64 v[84:87], v82 offset0:59 offset1:60
	s_waitcnt vmcnt(4) lgkmcnt(0)
	v_fmac_f64_e32 v[80:81], v[94:95], v[84:85]
	;; [unrolled: 5-line block ×3, first 2 shown]
	buffer_load_dword v85, off, s[0:3], 0 offset:196
	buffer_load_dword v84, off, s[0:3], 0 offset:192
	buffer_load_dword v89, off, s[0:3], 0 offset:204
	buffer_load_dword v88, off, s[0:3], 0 offset:200
	s_waitcnt vmcnt(2)
	v_fmac_f64_e32 v[80:81], v[84:85], v[86:87]
	ds_read2_b64 v[84:87], v82 offset0:63 offset1:64
	s_waitcnt vmcnt(0) lgkmcnt(0)
	v_fmac_f64_e32 v[80:81], v[88:89], v[84:85]
	buffer_load_dword v85, off, s[0:3], 0 offset:212
	buffer_load_dword v84, off, s[0:3], 0 offset:208
	buffer_load_dword v89, off, s[0:3], 0 offset:220
	buffer_load_dword v88, off, s[0:3], 0 offset:216
	s_waitcnt vmcnt(2)
	v_fmac_f64_e32 v[80:81], v[84:85], v[86:87]
	ds_read2_b64 v[84:87], v82 offset0:65 offset1:66
	s_waitcnt vmcnt(0) lgkmcnt(0)
	v_fmac_f64_e32 v[80:81], v[88:89], v[84:85]
	;; [unrolled: 9-line block ×6, first 2 shown]
	buffer_load_dword v85, off, s[0:3], 0 offset:292
	buffer_load_dword v84, off, s[0:3], 0 offset:288
	s_waitcnt vmcnt(0)
	v_fmac_f64_e32 v[80:81], v[84:85], v[86:87]
	buffer_load_dword v85, off, s[0:3], 0 offset:300
	buffer_load_dword v84, off, s[0:3], 0 offset:296
	ds_read_b64 v[86:87], v82 offset:600
	s_waitcnt vmcnt(0) lgkmcnt(0)
	v_fmac_f64_e32 v[80:81], v[84:85], v[86:87]
	v_add_f64 v[78:79], v[78:79], -v[80:81]
	buffer_store_dword v79, off, s[0:3], 0 offset:132
	buffer_store_dword v78, off, s[0:3], 0 offset:128
	s_and_saveexec_b64 s[4:5], vcc
	s_cbranch_execz .LBB37_205
; %bb.204:
	buffer_load_dword v78, off, s[0:3], 0 offset:120
	buffer_load_dword v79, off, s[0:3], 0 offset:124
	s_waitcnt vmcnt(0)
	ds_write_b64 v1, v[78:79]
	buffer_store_dword v82, off, s[0:3], 0 offset:120
	buffer_store_dword v82, off, s[0:3], 0 offset:124
.LBB37_205:
	s_or_b64 exec, exec, s[4:5]
	s_waitcnt lgkmcnt(0)
	; wave barrier
	s_waitcnt lgkmcnt(0)
	buffer_load_dword v78, off, s[0:3], 0 offset:120
	buffer_load_dword v79, off, s[0:3], 0 offset:124
	;; [unrolled: 1-line block ×16, first 2 shown]
	ds_read_b128 v[84:87], v82 offset:432
	ds_read_b128 v[88:91], v82 offset:448
	;; [unrolled: 1-line block ×4, first 2 shown]
	v_cmp_lt_u32_e32 vcc, 14, v0
	s_waitcnt vmcnt(12) lgkmcnt(3)
	v_fma_f64 v[80:81], v[80:81], v[84:85], 0
	buffer_load_dword v85, off, s[0:3], 0 offset:188
	buffer_load_dword v84, off, s[0:3], 0 offset:184
	s_waitcnt vmcnt(12)
	v_fmac_f64_e32 v[80:81], v[100:101], v[86:87]
	s_waitcnt vmcnt(10) lgkmcnt(2)
	v_fmac_f64_e32 v[80:81], v[102:103], v[88:89]
	buffer_load_dword v89, off, s[0:3], 0 offset:196
	buffer_load_dword v88, off, s[0:3], 0 offset:192
	s_waitcnt vmcnt(10)
	v_fmac_f64_e32 v[80:81], v[104:105], v[90:91]
	s_waitcnt vmcnt(8) lgkmcnt(1)
	v_fmac_f64_e32 v[80:81], v[106:107], v[92:93]
	s_waitcnt vmcnt(6)
	v_fmac_f64_e32 v[80:81], v[108:109], v[94:95]
	s_waitcnt vmcnt(4) lgkmcnt(0)
	v_fmac_f64_e32 v[80:81], v[110:111], v[96:97]
	s_waitcnt vmcnt(2)
	v_fmac_f64_e32 v[80:81], v[84:85], v[98:99]
	ds_read_b128 v[84:87], v82 offset:496
	s_waitcnt vmcnt(0) lgkmcnt(0)
	v_fmac_f64_e32 v[80:81], v[88:89], v[84:85]
	buffer_load_dword v85, off, s[0:3], 0 offset:204
	buffer_load_dword v84, off, s[0:3], 0 offset:200
	buffer_load_dword v89, off, s[0:3], 0 offset:212
	buffer_load_dword v88, off, s[0:3], 0 offset:208
	s_waitcnt vmcnt(2)
	v_fmac_f64_e32 v[80:81], v[84:85], v[86:87]
	ds_read_b128 v[84:87], v82 offset:512
	s_waitcnt vmcnt(0) lgkmcnt(0)
	v_fmac_f64_e32 v[80:81], v[88:89], v[84:85]
	buffer_load_dword v85, off, s[0:3], 0 offset:220
	buffer_load_dword v84, off, s[0:3], 0 offset:216
	buffer_load_dword v89, off, s[0:3], 0 offset:228
	buffer_load_dword v88, off, s[0:3], 0 offset:224
	;; [unrolled: 9-line block ×5, first 2 shown]
	s_waitcnt vmcnt(2)
	v_fmac_f64_e32 v[80:81], v[84:85], v[86:87]
	ds_read_b128 v[84:87], v82 offset:576
	s_waitcnt vmcnt(0) lgkmcnt(0)
	v_fmac_f64_e32 v[80:81], v[88:89], v[84:85]
	buffer_load_dword v85, off, s[0:3], 0 offset:284
	buffer_load_dword v84, off, s[0:3], 0 offset:280
	s_waitcnt vmcnt(0)
	v_fmac_f64_e32 v[80:81], v[84:85], v[86:87]
	buffer_load_dword v87, off, s[0:3], 0 offset:292
	buffer_load_dword v86, off, s[0:3], 0 offset:288
	ds_read_b128 v[82:85], v82 offset:592
	s_waitcnt vmcnt(0) lgkmcnt(0)
	v_fmac_f64_e32 v[80:81], v[86:87], v[82:83]
	buffer_load_dword v83, off, s[0:3], 0 offset:300
	buffer_load_dword v82, off, s[0:3], 0 offset:296
	s_waitcnt vmcnt(0)
	v_fmac_f64_e32 v[80:81], v[82:83], v[84:85]
	v_add_f64 v[78:79], v[78:79], -v[80:81]
	buffer_store_dword v79, off, s[0:3], 0 offset:124
	buffer_store_dword v78, off, s[0:3], 0 offset:120
	s_and_saveexec_b64 s[4:5], vcc
	s_cbranch_execz .LBB37_207
; %bb.206:
	buffer_load_dword v78, off, s[0:3], 0 offset:112
	buffer_load_dword v79, off, s[0:3], 0 offset:116
	v_mov_b32_e32 v80, 0
	buffer_store_dword v80, off, s[0:3], 0 offset:112
	buffer_store_dword v80, off, s[0:3], 0 offset:116
	s_waitcnt vmcnt(2)
	ds_write_b64 v1, v[78:79]
.LBB37_207:
	s_or_b64 exec, exec, s[4:5]
	s_waitcnt lgkmcnt(0)
	; wave barrier
	s_waitcnt lgkmcnt(0)
	buffer_load_dword v78, off, s[0:3], 0 offset:112
	buffer_load_dword v79, off, s[0:3], 0 offset:116
	buffer_load_dword v80, off, s[0:3], 0 offset:120
	buffer_load_dword v81, off, s[0:3], 0 offset:124
	buffer_load_dword v88, off, s[0:3], 0 offset:128
	buffer_load_dword v89, off, s[0:3], 0 offset:132
	buffer_load_dword v90, off, s[0:3], 0 offset:136
	buffer_load_dword v91, off, s[0:3], 0 offset:140
	buffer_load_dword v92, off, s[0:3], 0 offset:144
	buffer_load_dword v93, off, s[0:3], 0 offset:148
	buffer_load_dword v94, off, s[0:3], 0 offset:152
	buffer_load_dword v95, off, s[0:3], 0 offset:156
	buffer_load_dword v96, off, s[0:3], 0 offset:160
	buffer_load_dword v97, off, s[0:3], 0 offset:164
	buffer_load_dword v98, off, s[0:3], 0 offset:168
	buffer_load_dword v99, off, s[0:3], 0 offset:172
	v_mov_b32_e32 v82, 0
	ds_read2_b64 v[84:87], v82 offset0:53 offset1:54
	v_cmp_lt_u32_e32 vcc, 13, v0
	s_waitcnt vmcnt(12) lgkmcnt(0)
	v_fma_f64 v[80:81], v[80:81], v[84:85], 0
	s_waitcnt vmcnt(10)
	v_fmac_f64_e32 v[80:81], v[88:89], v[86:87]
	ds_read2_b64 v[84:87], v82 offset0:55 offset1:56
	s_waitcnt vmcnt(8) lgkmcnt(0)
	v_fmac_f64_e32 v[80:81], v[90:91], v[84:85]
	s_waitcnt vmcnt(6)
	v_fmac_f64_e32 v[80:81], v[92:93], v[86:87]
	ds_read2_b64 v[84:87], v82 offset0:57 offset1:58
	s_waitcnt vmcnt(4) lgkmcnt(0)
	v_fmac_f64_e32 v[80:81], v[94:95], v[84:85]
	;; [unrolled: 5-line block ×3, first 2 shown]
	buffer_load_dword v85, off, s[0:3], 0 offset:180
	buffer_load_dword v84, off, s[0:3], 0 offset:176
	buffer_load_dword v89, off, s[0:3], 0 offset:188
	buffer_load_dword v88, off, s[0:3], 0 offset:184
	s_waitcnt vmcnt(2)
	v_fmac_f64_e32 v[80:81], v[84:85], v[86:87]
	ds_read2_b64 v[84:87], v82 offset0:61 offset1:62
	s_waitcnt vmcnt(0) lgkmcnt(0)
	v_fmac_f64_e32 v[80:81], v[88:89], v[84:85]
	buffer_load_dword v85, off, s[0:3], 0 offset:196
	buffer_load_dword v84, off, s[0:3], 0 offset:192
	buffer_load_dword v89, off, s[0:3], 0 offset:204
	buffer_load_dword v88, off, s[0:3], 0 offset:200
	s_waitcnt vmcnt(2)
	v_fmac_f64_e32 v[80:81], v[84:85], v[86:87]
	ds_read2_b64 v[84:87], v82 offset0:63 offset1:64
	s_waitcnt vmcnt(0) lgkmcnt(0)
	v_fmac_f64_e32 v[80:81], v[88:89], v[84:85]
	;; [unrolled: 9-line block ×7, first 2 shown]
	buffer_load_dword v85, off, s[0:3], 0 offset:292
	buffer_load_dword v84, off, s[0:3], 0 offset:288
	s_waitcnt vmcnt(0)
	v_fmac_f64_e32 v[80:81], v[84:85], v[86:87]
	buffer_load_dword v85, off, s[0:3], 0 offset:300
	buffer_load_dword v84, off, s[0:3], 0 offset:296
	ds_read_b64 v[86:87], v82 offset:600
	s_waitcnt vmcnt(0) lgkmcnt(0)
	v_fmac_f64_e32 v[80:81], v[84:85], v[86:87]
	v_add_f64 v[78:79], v[78:79], -v[80:81]
	buffer_store_dword v79, off, s[0:3], 0 offset:116
	buffer_store_dword v78, off, s[0:3], 0 offset:112
	s_and_saveexec_b64 s[4:5], vcc
	s_cbranch_execz .LBB37_209
; %bb.208:
	buffer_load_dword v78, off, s[0:3], 0 offset:104
	buffer_load_dword v79, off, s[0:3], 0 offset:108
	s_waitcnt vmcnt(0)
	ds_write_b64 v1, v[78:79]
	buffer_store_dword v82, off, s[0:3], 0 offset:104
	buffer_store_dword v82, off, s[0:3], 0 offset:108
.LBB37_209:
	s_or_b64 exec, exec, s[4:5]
	s_waitcnt lgkmcnt(0)
	; wave barrier
	s_waitcnt lgkmcnt(0)
	buffer_load_dword v78, off, s[0:3], 0 offset:104
	buffer_load_dword v79, off, s[0:3], 0 offset:108
	;; [unrolled: 1-line block ×16, first 2 shown]
	ds_read_b128 v[84:87], v82 offset:416
	ds_read_b128 v[88:91], v82 offset:432
	;; [unrolled: 1-line block ×4, first 2 shown]
	v_cmp_lt_u32_e32 vcc, 12, v0
	s_waitcnt vmcnt(12) lgkmcnt(3)
	v_fma_f64 v[80:81], v[80:81], v[84:85], 0
	buffer_load_dword v85, off, s[0:3], 0 offset:172
	buffer_load_dword v84, off, s[0:3], 0 offset:168
	s_waitcnt vmcnt(12)
	v_fmac_f64_e32 v[80:81], v[100:101], v[86:87]
	s_waitcnt vmcnt(10) lgkmcnt(2)
	v_fmac_f64_e32 v[80:81], v[102:103], v[88:89]
	buffer_load_dword v89, off, s[0:3], 0 offset:180
	buffer_load_dword v88, off, s[0:3], 0 offset:176
	s_waitcnt vmcnt(10)
	v_fmac_f64_e32 v[80:81], v[104:105], v[90:91]
	s_waitcnt vmcnt(8) lgkmcnt(1)
	v_fmac_f64_e32 v[80:81], v[106:107], v[92:93]
	s_waitcnt vmcnt(6)
	v_fmac_f64_e32 v[80:81], v[108:109], v[94:95]
	s_waitcnt vmcnt(4) lgkmcnt(0)
	v_fmac_f64_e32 v[80:81], v[110:111], v[96:97]
	s_waitcnt vmcnt(2)
	v_fmac_f64_e32 v[80:81], v[84:85], v[98:99]
	ds_read_b128 v[84:87], v82 offset:480
	s_waitcnt vmcnt(0) lgkmcnt(0)
	v_fmac_f64_e32 v[80:81], v[88:89], v[84:85]
	buffer_load_dword v85, off, s[0:3], 0 offset:188
	buffer_load_dword v84, off, s[0:3], 0 offset:184
	buffer_load_dword v89, off, s[0:3], 0 offset:196
	buffer_load_dword v88, off, s[0:3], 0 offset:192
	s_waitcnt vmcnt(2)
	v_fmac_f64_e32 v[80:81], v[84:85], v[86:87]
	ds_read_b128 v[84:87], v82 offset:496
	s_waitcnt vmcnt(0) lgkmcnt(0)
	v_fmac_f64_e32 v[80:81], v[88:89], v[84:85]
	buffer_load_dword v85, off, s[0:3], 0 offset:204
	buffer_load_dword v84, off, s[0:3], 0 offset:200
	buffer_load_dword v89, off, s[0:3], 0 offset:212
	buffer_load_dword v88, off, s[0:3], 0 offset:208
	;; [unrolled: 9-line block ×6, first 2 shown]
	s_waitcnt vmcnt(2)
	v_fmac_f64_e32 v[80:81], v[84:85], v[86:87]
	ds_read_b128 v[84:87], v82 offset:576
	s_waitcnt vmcnt(0) lgkmcnt(0)
	v_fmac_f64_e32 v[80:81], v[88:89], v[84:85]
	buffer_load_dword v85, off, s[0:3], 0 offset:284
	buffer_load_dword v84, off, s[0:3], 0 offset:280
	s_waitcnt vmcnt(0)
	v_fmac_f64_e32 v[80:81], v[84:85], v[86:87]
	buffer_load_dword v87, off, s[0:3], 0 offset:292
	buffer_load_dword v86, off, s[0:3], 0 offset:288
	ds_read_b128 v[82:85], v82 offset:592
	s_waitcnt vmcnt(0) lgkmcnt(0)
	v_fmac_f64_e32 v[80:81], v[86:87], v[82:83]
	buffer_load_dword v83, off, s[0:3], 0 offset:300
	buffer_load_dword v82, off, s[0:3], 0 offset:296
	s_waitcnt vmcnt(0)
	v_fmac_f64_e32 v[80:81], v[82:83], v[84:85]
	v_add_f64 v[78:79], v[78:79], -v[80:81]
	buffer_store_dword v79, off, s[0:3], 0 offset:108
	buffer_store_dword v78, off, s[0:3], 0 offset:104
	s_and_saveexec_b64 s[4:5], vcc
	s_cbranch_execz .LBB37_211
; %bb.210:
	buffer_load_dword v78, off, s[0:3], 0 offset:96
	buffer_load_dword v79, off, s[0:3], 0 offset:100
	v_mov_b32_e32 v80, 0
	buffer_store_dword v80, off, s[0:3], 0 offset:96
	buffer_store_dword v80, off, s[0:3], 0 offset:100
	s_waitcnt vmcnt(2)
	ds_write_b64 v1, v[78:79]
.LBB37_211:
	s_or_b64 exec, exec, s[4:5]
	s_waitcnt lgkmcnt(0)
	; wave barrier
	s_waitcnt lgkmcnt(0)
	buffer_load_dword v78, off, s[0:3], 0 offset:96
	buffer_load_dword v79, off, s[0:3], 0 offset:100
	;; [unrolled: 1-line block ×16, first 2 shown]
	v_mov_b32_e32 v82, 0
	ds_read2_b64 v[84:87], v82 offset0:51 offset1:52
	v_cmp_lt_u32_e32 vcc, 11, v0
	s_waitcnt vmcnt(12) lgkmcnt(0)
	v_fma_f64 v[80:81], v[80:81], v[84:85], 0
	s_waitcnt vmcnt(10)
	v_fmac_f64_e32 v[80:81], v[88:89], v[86:87]
	ds_read2_b64 v[84:87], v82 offset0:53 offset1:54
	s_waitcnt vmcnt(8) lgkmcnt(0)
	v_fmac_f64_e32 v[80:81], v[90:91], v[84:85]
	s_waitcnt vmcnt(6)
	v_fmac_f64_e32 v[80:81], v[92:93], v[86:87]
	ds_read2_b64 v[84:87], v82 offset0:55 offset1:56
	s_waitcnt vmcnt(4) lgkmcnt(0)
	v_fmac_f64_e32 v[80:81], v[94:95], v[84:85]
	;; [unrolled: 5-line block ×3, first 2 shown]
	buffer_load_dword v85, off, s[0:3], 0 offset:164
	buffer_load_dword v84, off, s[0:3], 0 offset:160
	buffer_load_dword v89, off, s[0:3], 0 offset:172
	buffer_load_dword v88, off, s[0:3], 0 offset:168
	s_waitcnt vmcnt(2)
	v_fmac_f64_e32 v[80:81], v[84:85], v[86:87]
	ds_read2_b64 v[84:87], v82 offset0:59 offset1:60
	s_waitcnt vmcnt(0) lgkmcnt(0)
	v_fmac_f64_e32 v[80:81], v[88:89], v[84:85]
	buffer_load_dword v85, off, s[0:3], 0 offset:180
	buffer_load_dword v84, off, s[0:3], 0 offset:176
	buffer_load_dword v89, off, s[0:3], 0 offset:188
	buffer_load_dword v88, off, s[0:3], 0 offset:184
	s_waitcnt vmcnt(2)
	v_fmac_f64_e32 v[80:81], v[84:85], v[86:87]
	ds_read2_b64 v[84:87], v82 offset0:61 offset1:62
	s_waitcnt vmcnt(0) lgkmcnt(0)
	v_fmac_f64_e32 v[80:81], v[88:89], v[84:85]
	buffer_load_dword v85, off, s[0:3], 0 offset:196
	buffer_load_dword v84, off, s[0:3], 0 offset:192
	buffer_load_dword v89, off, s[0:3], 0 offset:204
	buffer_load_dword v88, off, s[0:3], 0 offset:200
	s_waitcnt vmcnt(2)
	v_fmac_f64_e32 v[80:81], v[84:85], v[86:87]
	ds_read2_b64 v[84:87], v82 offset0:63 offset1:64
	s_waitcnt vmcnt(0) lgkmcnt(0)
	v_fmac_f64_e32 v[80:81], v[88:89], v[84:85]
	buffer_load_dword v85, off, s[0:3], 0 offset:212
	buffer_load_dword v84, off, s[0:3], 0 offset:208
	buffer_load_dword v89, off, s[0:3], 0 offset:220
	buffer_load_dword v88, off, s[0:3], 0 offset:216
	s_waitcnt vmcnt(2)
	v_fmac_f64_e32 v[80:81], v[84:85], v[86:87]
	ds_read2_b64 v[84:87], v82 offset0:65 offset1:66
	s_waitcnt vmcnt(0) lgkmcnt(0)
	v_fmac_f64_e32 v[80:81], v[88:89], v[84:85]
	buffer_load_dword v85, off, s[0:3], 0 offset:228
	buffer_load_dword v84, off, s[0:3], 0 offset:224
	buffer_load_dword v89, off, s[0:3], 0 offset:236
	buffer_load_dword v88, off, s[0:3], 0 offset:232
	s_waitcnt vmcnt(2)
	v_fmac_f64_e32 v[80:81], v[84:85], v[86:87]
	ds_read2_b64 v[84:87], v82 offset0:67 offset1:68
	s_waitcnt vmcnt(0) lgkmcnt(0)
	v_fmac_f64_e32 v[80:81], v[88:89], v[84:85]
	buffer_load_dword v85, off, s[0:3], 0 offset:244
	buffer_load_dword v84, off, s[0:3], 0 offset:240
	buffer_load_dword v89, off, s[0:3], 0 offset:252
	buffer_load_dword v88, off, s[0:3], 0 offset:248
	s_waitcnt vmcnt(2)
	v_fmac_f64_e32 v[80:81], v[84:85], v[86:87]
	ds_read2_b64 v[84:87], v82 offset0:69 offset1:70
	s_waitcnt vmcnt(0) lgkmcnt(0)
	v_fmac_f64_e32 v[80:81], v[88:89], v[84:85]
	buffer_load_dword v85, off, s[0:3], 0 offset:260
	buffer_load_dword v84, off, s[0:3], 0 offset:256
	buffer_load_dword v89, off, s[0:3], 0 offset:268
	buffer_load_dword v88, off, s[0:3], 0 offset:264
	s_waitcnt vmcnt(2)
	v_fmac_f64_e32 v[80:81], v[84:85], v[86:87]
	ds_read2_b64 v[84:87], v82 offset0:71 offset1:72
	s_waitcnt vmcnt(0) lgkmcnt(0)
	v_fmac_f64_e32 v[80:81], v[88:89], v[84:85]
	buffer_load_dword v85, off, s[0:3], 0 offset:276
	buffer_load_dword v84, off, s[0:3], 0 offset:272
	buffer_load_dword v89, off, s[0:3], 0 offset:284
	buffer_load_dword v88, off, s[0:3], 0 offset:280
	s_waitcnt vmcnt(2)
	v_fmac_f64_e32 v[80:81], v[84:85], v[86:87]
	ds_read2_b64 v[84:87], v82 offset0:73 offset1:74
	s_waitcnt vmcnt(0) lgkmcnt(0)
	v_fmac_f64_e32 v[80:81], v[88:89], v[84:85]
	buffer_load_dword v85, off, s[0:3], 0 offset:292
	buffer_load_dword v84, off, s[0:3], 0 offset:288
	s_waitcnt vmcnt(0)
	v_fmac_f64_e32 v[80:81], v[84:85], v[86:87]
	buffer_load_dword v85, off, s[0:3], 0 offset:300
	buffer_load_dword v84, off, s[0:3], 0 offset:296
	ds_read_b64 v[86:87], v82 offset:600
	s_waitcnt vmcnt(0) lgkmcnt(0)
	v_fmac_f64_e32 v[80:81], v[84:85], v[86:87]
	v_add_f64 v[78:79], v[78:79], -v[80:81]
	buffer_store_dword v79, off, s[0:3], 0 offset:100
	buffer_store_dword v78, off, s[0:3], 0 offset:96
	s_and_saveexec_b64 s[4:5], vcc
	s_cbranch_execz .LBB37_213
; %bb.212:
	buffer_load_dword v78, off, s[0:3], 0 offset:88
	buffer_load_dword v79, off, s[0:3], 0 offset:92
	s_waitcnt vmcnt(0)
	ds_write_b64 v1, v[78:79]
	buffer_store_dword v82, off, s[0:3], 0 offset:88
	buffer_store_dword v82, off, s[0:3], 0 offset:92
.LBB37_213:
	s_or_b64 exec, exec, s[4:5]
	s_waitcnt lgkmcnt(0)
	; wave barrier
	s_waitcnt lgkmcnt(0)
	buffer_load_dword v78, off, s[0:3], 0 offset:88
	buffer_load_dword v79, off, s[0:3], 0 offset:92
	buffer_load_dword v80, off, s[0:3], 0 offset:96
	buffer_load_dword v81, off, s[0:3], 0 offset:100
	buffer_load_dword v100, off, s[0:3], 0 offset:104
	buffer_load_dword v101, off, s[0:3], 0 offset:108
	buffer_load_dword v102, off, s[0:3], 0 offset:112
	buffer_load_dword v103, off, s[0:3], 0 offset:116
	buffer_load_dword v104, off, s[0:3], 0 offset:120
	buffer_load_dword v105, off, s[0:3], 0 offset:124
	buffer_load_dword v106, off, s[0:3], 0 offset:128
	buffer_load_dword v107, off, s[0:3], 0 offset:132
	buffer_load_dword v108, off, s[0:3], 0 offset:136
	buffer_load_dword v109, off, s[0:3], 0 offset:140
	buffer_load_dword v110, off, s[0:3], 0 offset:144
	buffer_load_dword v111, off, s[0:3], 0 offset:148
	ds_read_b128 v[84:87], v82 offset:400
	ds_read_b128 v[88:91], v82 offset:416
	ds_read_b128 v[92:95], v82 offset:432
	ds_read_b128 v[96:99], v82 offset:448
	v_cmp_lt_u32_e32 vcc, 10, v0
	s_waitcnt vmcnt(12) lgkmcnt(3)
	v_fma_f64 v[80:81], v[80:81], v[84:85], 0
	buffer_load_dword v85, off, s[0:3], 0 offset:156
	buffer_load_dword v84, off, s[0:3], 0 offset:152
	s_waitcnt vmcnt(12)
	v_fmac_f64_e32 v[80:81], v[100:101], v[86:87]
	s_waitcnt vmcnt(10) lgkmcnt(2)
	v_fmac_f64_e32 v[80:81], v[102:103], v[88:89]
	buffer_load_dword v89, off, s[0:3], 0 offset:164
	buffer_load_dword v88, off, s[0:3], 0 offset:160
	s_waitcnt vmcnt(10)
	v_fmac_f64_e32 v[80:81], v[104:105], v[90:91]
	s_waitcnt vmcnt(8) lgkmcnt(1)
	v_fmac_f64_e32 v[80:81], v[106:107], v[92:93]
	s_waitcnt vmcnt(6)
	v_fmac_f64_e32 v[80:81], v[108:109], v[94:95]
	s_waitcnt vmcnt(4) lgkmcnt(0)
	v_fmac_f64_e32 v[80:81], v[110:111], v[96:97]
	s_waitcnt vmcnt(2)
	v_fmac_f64_e32 v[80:81], v[84:85], v[98:99]
	ds_read_b128 v[84:87], v82 offset:464
	s_waitcnt vmcnt(0) lgkmcnt(0)
	v_fmac_f64_e32 v[80:81], v[88:89], v[84:85]
	buffer_load_dword v85, off, s[0:3], 0 offset:172
	buffer_load_dword v84, off, s[0:3], 0 offset:168
	buffer_load_dword v89, off, s[0:3], 0 offset:180
	buffer_load_dword v88, off, s[0:3], 0 offset:176
	s_waitcnt vmcnt(2)
	v_fmac_f64_e32 v[80:81], v[84:85], v[86:87]
	ds_read_b128 v[84:87], v82 offset:480
	s_waitcnt vmcnt(0) lgkmcnt(0)
	v_fmac_f64_e32 v[80:81], v[88:89], v[84:85]
	buffer_load_dword v85, off, s[0:3], 0 offset:188
	buffer_load_dword v84, off, s[0:3], 0 offset:184
	buffer_load_dword v89, off, s[0:3], 0 offset:196
	buffer_load_dword v88, off, s[0:3], 0 offset:192
	;; [unrolled: 9-line block ×7, first 2 shown]
	s_waitcnt vmcnt(2)
	v_fmac_f64_e32 v[80:81], v[84:85], v[86:87]
	ds_read_b128 v[84:87], v82 offset:576
	s_waitcnt vmcnt(0) lgkmcnt(0)
	v_fmac_f64_e32 v[80:81], v[88:89], v[84:85]
	buffer_load_dword v85, off, s[0:3], 0 offset:284
	buffer_load_dword v84, off, s[0:3], 0 offset:280
	s_waitcnt vmcnt(0)
	v_fmac_f64_e32 v[80:81], v[84:85], v[86:87]
	buffer_load_dword v87, off, s[0:3], 0 offset:292
	buffer_load_dword v86, off, s[0:3], 0 offset:288
	ds_read_b128 v[82:85], v82 offset:592
	s_waitcnt vmcnt(0) lgkmcnt(0)
	v_fmac_f64_e32 v[80:81], v[86:87], v[82:83]
	buffer_load_dword v83, off, s[0:3], 0 offset:300
	buffer_load_dword v82, off, s[0:3], 0 offset:296
	s_waitcnt vmcnt(0)
	v_fmac_f64_e32 v[80:81], v[82:83], v[84:85]
	v_add_f64 v[78:79], v[78:79], -v[80:81]
	buffer_store_dword v79, off, s[0:3], 0 offset:92
	buffer_store_dword v78, off, s[0:3], 0 offset:88
	s_and_saveexec_b64 s[4:5], vcc
	s_cbranch_execz .LBB37_215
; %bb.214:
	buffer_load_dword v78, off, s[0:3], 0 offset:80
	buffer_load_dword v79, off, s[0:3], 0 offset:84
	v_mov_b32_e32 v80, 0
	buffer_store_dword v80, off, s[0:3], 0 offset:80
	buffer_store_dword v80, off, s[0:3], 0 offset:84
	s_waitcnt vmcnt(2)
	ds_write_b64 v1, v[78:79]
.LBB37_215:
	s_or_b64 exec, exec, s[4:5]
	s_waitcnt lgkmcnt(0)
	; wave barrier
	s_waitcnt lgkmcnt(0)
	buffer_load_dword v78, off, s[0:3], 0 offset:80
	buffer_load_dword v79, off, s[0:3], 0 offset:84
	;; [unrolled: 1-line block ×16, first 2 shown]
	v_mov_b32_e32 v82, 0
	ds_read2_b64 v[84:87], v82 offset0:49 offset1:50
	v_cmp_lt_u32_e32 vcc, 9, v0
	s_waitcnt vmcnt(12) lgkmcnt(0)
	v_fma_f64 v[80:81], v[80:81], v[84:85], 0
	s_waitcnt vmcnt(10)
	v_fmac_f64_e32 v[80:81], v[88:89], v[86:87]
	ds_read2_b64 v[84:87], v82 offset0:51 offset1:52
	s_waitcnt vmcnt(8) lgkmcnt(0)
	v_fmac_f64_e32 v[80:81], v[90:91], v[84:85]
	s_waitcnt vmcnt(6)
	v_fmac_f64_e32 v[80:81], v[92:93], v[86:87]
	ds_read2_b64 v[84:87], v82 offset0:53 offset1:54
	s_waitcnt vmcnt(4) lgkmcnt(0)
	v_fmac_f64_e32 v[80:81], v[94:95], v[84:85]
	;; [unrolled: 5-line block ×3, first 2 shown]
	buffer_load_dword v85, off, s[0:3], 0 offset:148
	buffer_load_dword v84, off, s[0:3], 0 offset:144
	buffer_load_dword v89, off, s[0:3], 0 offset:156
	buffer_load_dword v88, off, s[0:3], 0 offset:152
	s_waitcnt vmcnt(2)
	v_fmac_f64_e32 v[80:81], v[84:85], v[86:87]
	ds_read2_b64 v[84:87], v82 offset0:57 offset1:58
	s_waitcnt vmcnt(0) lgkmcnt(0)
	v_fmac_f64_e32 v[80:81], v[88:89], v[84:85]
	buffer_load_dword v85, off, s[0:3], 0 offset:164
	buffer_load_dword v84, off, s[0:3], 0 offset:160
	buffer_load_dword v89, off, s[0:3], 0 offset:172
	buffer_load_dword v88, off, s[0:3], 0 offset:168
	s_waitcnt vmcnt(2)
	v_fmac_f64_e32 v[80:81], v[84:85], v[86:87]
	ds_read2_b64 v[84:87], v82 offset0:59 offset1:60
	s_waitcnt vmcnt(0) lgkmcnt(0)
	v_fmac_f64_e32 v[80:81], v[88:89], v[84:85]
	;; [unrolled: 9-line block ×9, first 2 shown]
	buffer_load_dword v85, off, s[0:3], 0 offset:292
	buffer_load_dword v84, off, s[0:3], 0 offset:288
	s_waitcnt vmcnt(0)
	v_fmac_f64_e32 v[80:81], v[84:85], v[86:87]
	buffer_load_dword v85, off, s[0:3], 0 offset:300
	buffer_load_dword v84, off, s[0:3], 0 offset:296
	ds_read_b64 v[86:87], v82 offset:600
	s_waitcnt vmcnt(0) lgkmcnt(0)
	v_fmac_f64_e32 v[80:81], v[84:85], v[86:87]
	v_add_f64 v[78:79], v[78:79], -v[80:81]
	buffer_store_dword v79, off, s[0:3], 0 offset:84
	buffer_store_dword v78, off, s[0:3], 0 offset:80
	s_and_saveexec_b64 s[4:5], vcc
	s_cbranch_execz .LBB37_217
; %bb.216:
	buffer_load_dword v78, off, s[0:3], 0 offset:72
	buffer_load_dword v79, off, s[0:3], 0 offset:76
	s_waitcnt vmcnt(0)
	ds_write_b64 v1, v[78:79]
	buffer_store_dword v82, off, s[0:3], 0 offset:72
	buffer_store_dword v82, off, s[0:3], 0 offset:76
.LBB37_217:
	s_or_b64 exec, exec, s[4:5]
	s_waitcnt lgkmcnt(0)
	; wave barrier
	s_waitcnt lgkmcnt(0)
	buffer_load_dword v78, off, s[0:3], 0 offset:72
	buffer_load_dword v79, off, s[0:3], 0 offset:76
	;; [unrolled: 1-line block ×16, first 2 shown]
	ds_read_b128 v[84:87], v82 offset:384
	ds_read_b128 v[88:91], v82 offset:400
	;; [unrolled: 1-line block ×4, first 2 shown]
	v_cmp_lt_u32_e32 vcc, 8, v0
	s_waitcnt vmcnt(12) lgkmcnt(3)
	v_fma_f64 v[80:81], v[80:81], v[84:85], 0
	buffer_load_dword v85, off, s[0:3], 0 offset:140
	buffer_load_dword v84, off, s[0:3], 0 offset:136
	s_waitcnt vmcnt(12)
	v_fmac_f64_e32 v[80:81], v[100:101], v[86:87]
	s_waitcnt vmcnt(10) lgkmcnt(2)
	v_fmac_f64_e32 v[80:81], v[102:103], v[88:89]
	buffer_load_dword v89, off, s[0:3], 0 offset:148
	buffer_load_dword v88, off, s[0:3], 0 offset:144
	s_waitcnt vmcnt(10)
	v_fmac_f64_e32 v[80:81], v[104:105], v[90:91]
	s_waitcnt vmcnt(8) lgkmcnt(1)
	v_fmac_f64_e32 v[80:81], v[106:107], v[92:93]
	s_waitcnt vmcnt(6)
	v_fmac_f64_e32 v[80:81], v[108:109], v[94:95]
	s_waitcnt vmcnt(4) lgkmcnt(0)
	v_fmac_f64_e32 v[80:81], v[110:111], v[96:97]
	s_waitcnt vmcnt(2)
	v_fmac_f64_e32 v[80:81], v[84:85], v[98:99]
	ds_read_b128 v[84:87], v82 offset:448
	s_waitcnt vmcnt(0) lgkmcnt(0)
	v_fmac_f64_e32 v[80:81], v[88:89], v[84:85]
	buffer_load_dword v85, off, s[0:3], 0 offset:156
	buffer_load_dword v84, off, s[0:3], 0 offset:152
	buffer_load_dword v89, off, s[0:3], 0 offset:164
	buffer_load_dword v88, off, s[0:3], 0 offset:160
	s_waitcnt vmcnt(2)
	v_fmac_f64_e32 v[80:81], v[84:85], v[86:87]
	ds_read_b128 v[84:87], v82 offset:464
	s_waitcnt vmcnt(0) lgkmcnt(0)
	v_fmac_f64_e32 v[80:81], v[88:89], v[84:85]
	buffer_load_dword v85, off, s[0:3], 0 offset:172
	buffer_load_dword v84, off, s[0:3], 0 offset:168
	buffer_load_dword v89, off, s[0:3], 0 offset:180
	buffer_load_dword v88, off, s[0:3], 0 offset:176
	s_waitcnt vmcnt(2)
	v_fmac_f64_e32 v[80:81], v[84:85], v[86:87]
	ds_read_b128 v[84:87], v82 offset:480
	s_waitcnt vmcnt(0) lgkmcnt(0)
	v_fmac_f64_e32 v[80:81], v[88:89], v[84:85]
	buffer_load_dword v85, off, s[0:3], 0 offset:188
	buffer_load_dword v84, off, s[0:3], 0 offset:184
	buffer_load_dword v89, off, s[0:3], 0 offset:196
	buffer_load_dword v88, off, s[0:3], 0 offset:192
	s_waitcnt vmcnt(2)
	v_fmac_f64_e32 v[80:81], v[84:85], v[86:87]
	ds_read_b128 v[84:87], v82 offset:496
	s_waitcnt vmcnt(0) lgkmcnt(0)
	v_fmac_f64_e32 v[80:81], v[88:89], v[84:85]
	buffer_load_dword v85, off, s[0:3], 0 offset:204
	buffer_load_dword v84, off, s[0:3], 0 offset:200
	buffer_load_dword v89, off, s[0:3], 0 offset:212
	buffer_load_dword v88, off, s[0:3], 0 offset:208
	s_waitcnt vmcnt(2)
	v_fmac_f64_e32 v[80:81], v[84:85], v[86:87]
	ds_read_b128 v[84:87], v82 offset:512
	s_waitcnt vmcnt(0) lgkmcnt(0)
	v_fmac_f64_e32 v[80:81], v[88:89], v[84:85]
	buffer_load_dword v85, off, s[0:3], 0 offset:220
	buffer_load_dword v84, off, s[0:3], 0 offset:216
	buffer_load_dword v89, off, s[0:3], 0 offset:228
	buffer_load_dword v88, off, s[0:3], 0 offset:224
	s_waitcnt vmcnt(2)
	v_fmac_f64_e32 v[80:81], v[84:85], v[86:87]
	ds_read_b128 v[84:87], v82 offset:528
	s_waitcnt vmcnt(0) lgkmcnt(0)
	v_fmac_f64_e32 v[80:81], v[88:89], v[84:85]
	buffer_load_dword v85, off, s[0:3], 0 offset:236
	buffer_load_dword v84, off, s[0:3], 0 offset:232
	buffer_load_dword v89, off, s[0:3], 0 offset:244
	buffer_load_dword v88, off, s[0:3], 0 offset:240
	s_waitcnt vmcnt(2)
	v_fmac_f64_e32 v[80:81], v[84:85], v[86:87]
	ds_read_b128 v[84:87], v82 offset:544
	s_waitcnt vmcnt(0) lgkmcnt(0)
	v_fmac_f64_e32 v[80:81], v[88:89], v[84:85]
	buffer_load_dword v85, off, s[0:3], 0 offset:252
	buffer_load_dword v84, off, s[0:3], 0 offset:248
	buffer_load_dword v89, off, s[0:3], 0 offset:260
	buffer_load_dword v88, off, s[0:3], 0 offset:256
	s_waitcnt vmcnt(2)
	v_fmac_f64_e32 v[80:81], v[84:85], v[86:87]
	ds_read_b128 v[84:87], v82 offset:560
	s_waitcnt vmcnt(0) lgkmcnt(0)
	v_fmac_f64_e32 v[80:81], v[88:89], v[84:85]
	buffer_load_dword v85, off, s[0:3], 0 offset:268
	buffer_load_dword v84, off, s[0:3], 0 offset:264
	buffer_load_dword v89, off, s[0:3], 0 offset:276
	buffer_load_dword v88, off, s[0:3], 0 offset:272
	s_waitcnt vmcnt(2)
	v_fmac_f64_e32 v[80:81], v[84:85], v[86:87]
	ds_read_b128 v[84:87], v82 offset:576
	s_waitcnt vmcnt(0) lgkmcnt(0)
	v_fmac_f64_e32 v[80:81], v[88:89], v[84:85]
	buffer_load_dword v85, off, s[0:3], 0 offset:284
	buffer_load_dword v84, off, s[0:3], 0 offset:280
	s_waitcnt vmcnt(0)
	v_fmac_f64_e32 v[80:81], v[84:85], v[86:87]
	buffer_load_dword v87, off, s[0:3], 0 offset:292
	buffer_load_dword v86, off, s[0:3], 0 offset:288
	ds_read_b128 v[82:85], v82 offset:592
	s_waitcnt vmcnt(0) lgkmcnt(0)
	v_fmac_f64_e32 v[80:81], v[86:87], v[82:83]
	buffer_load_dword v83, off, s[0:3], 0 offset:300
	buffer_load_dword v82, off, s[0:3], 0 offset:296
	s_waitcnt vmcnt(0)
	v_fmac_f64_e32 v[80:81], v[82:83], v[84:85]
	v_add_f64 v[78:79], v[78:79], -v[80:81]
	buffer_store_dword v79, off, s[0:3], 0 offset:76
	buffer_store_dword v78, off, s[0:3], 0 offset:72
	s_and_saveexec_b64 s[4:5], vcc
	s_cbranch_execz .LBB37_219
; %bb.218:
	buffer_load_dword v78, off, s[0:3], 0 offset:64
	buffer_load_dword v79, off, s[0:3], 0 offset:68
	v_mov_b32_e32 v80, 0
	buffer_store_dword v80, off, s[0:3], 0 offset:64
	buffer_store_dword v80, off, s[0:3], 0 offset:68
	s_waitcnt vmcnt(2)
	ds_write_b64 v1, v[78:79]
.LBB37_219:
	s_or_b64 exec, exec, s[4:5]
	s_waitcnt lgkmcnt(0)
	; wave barrier
	s_waitcnt lgkmcnt(0)
	buffer_load_dword v78, off, s[0:3], 0 offset:64
	buffer_load_dword v79, off, s[0:3], 0 offset:68
	;; [unrolled: 1-line block ×16, first 2 shown]
	v_mov_b32_e32 v82, 0
	ds_read2_b64 v[84:87], v82 offset0:47 offset1:48
	v_cmp_lt_u32_e32 vcc, 7, v0
	s_waitcnt vmcnt(12) lgkmcnt(0)
	v_fma_f64 v[80:81], v[80:81], v[84:85], 0
	s_waitcnt vmcnt(10)
	v_fmac_f64_e32 v[80:81], v[88:89], v[86:87]
	ds_read2_b64 v[84:87], v82 offset0:49 offset1:50
	s_waitcnt vmcnt(8) lgkmcnt(0)
	v_fmac_f64_e32 v[80:81], v[90:91], v[84:85]
	s_waitcnt vmcnt(6)
	v_fmac_f64_e32 v[80:81], v[92:93], v[86:87]
	ds_read2_b64 v[84:87], v82 offset0:51 offset1:52
	s_waitcnt vmcnt(4) lgkmcnt(0)
	v_fmac_f64_e32 v[80:81], v[94:95], v[84:85]
	s_waitcnt vmcnt(2)
	v_fmac_f64_e32 v[80:81], v[96:97], v[86:87]
	ds_read2_b64 v[84:87], v82 offset0:53 offset1:54
	s_waitcnt vmcnt(0) lgkmcnt(0)
	v_fmac_f64_e32 v[80:81], v[98:99], v[84:85]
	buffer_load_dword v85, off, s[0:3], 0 offset:132
	buffer_load_dword v84, off, s[0:3], 0 offset:128
	buffer_load_dword v89, off, s[0:3], 0 offset:140
	buffer_load_dword v88, off, s[0:3], 0 offset:136
	s_waitcnt vmcnt(2)
	v_fmac_f64_e32 v[80:81], v[84:85], v[86:87]
	ds_read2_b64 v[84:87], v82 offset0:55 offset1:56
	s_waitcnt vmcnt(0) lgkmcnt(0)
	v_fmac_f64_e32 v[80:81], v[88:89], v[84:85]
	buffer_load_dword v85, off, s[0:3], 0 offset:148
	buffer_load_dword v84, off, s[0:3], 0 offset:144
	buffer_load_dword v89, off, s[0:3], 0 offset:156
	buffer_load_dword v88, off, s[0:3], 0 offset:152
	s_waitcnt vmcnt(2)
	v_fmac_f64_e32 v[80:81], v[84:85], v[86:87]
	ds_read2_b64 v[84:87], v82 offset0:57 offset1:58
	s_waitcnt vmcnt(0) lgkmcnt(0)
	v_fmac_f64_e32 v[80:81], v[88:89], v[84:85]
	;; [unrolled: 9-line block ×10, first 2 shown]
	buffer_load_dword v85, off, s[0:3], 0 offset:292
	buffer_load_dword v84, off, s[0:3], 0 offset:288
	s_waitcnt vmcnt(0)
	v_fmac_f64_e32 v[80:81], v[84:85], v[86:87]
	buffer_load_dword v85, off, s[0:3], 0 offset:300
	buffer_load_dword v84, off, s[0:3], 0 offset:296
	ds_read_b64 v[86:87], v82 offset:600
	s_waitcnt vmcnt(0) lgkmcnt(0)
	v_fmac_f64_e32 v[80:81], v[84:85], v[86:87]
	v_add_f64 v[78:79], v[78:79], -v[80:81]
	buffer_store_dword v79, off, s[0:3], 0 offset:68
	buffer_store_dword v78, off, s[0:3], 0 offset:64
	s_and_saveexec_b64 s[4:5], vcc
	s_cbranch_execz .LBB37_221
; %bb.220:
	buffer_load_dword v78, off, s[0:3], 0 offset:56
	buffer_load_dword v79, off, s[0:3], 0 offset:60
	s_waitcnt vmcnt(0)
	ds_write_b64 v1, v[78:79]
	buffer_store_dword v82, off, s[0:3], 0 offset:56
	buffer_store_dword v82, off, s[0:3], 0 offset:60
.LBB37_221:
	s_or_b64 exec, exec, s[4:5]
	s_waitcnt lgkmcnt(0)
	; wave barrier
	s_waitcnt lgkmcnt(0)
	buffer_load_dword v78, off, s[0:3], 0 offset:56
	buffer_load_dword v79, off, s[0:3], 0 offset:60
	;; [unrolled: 1-line block ×16, first 2 shown]
	ds_read_b128 v[84:87], v82 offset:368
	ds_read_b128 v[88:91], v82 offset:384
	;; [unrolled: 1-line block ×4, first 2 shown]
	v_cmp_lt_u32_e32 vcc, 6, v0
	s_waitcnt vmcnt(12) lgkmcnt(3)
	v_fma_f64 v[80:81], v[80:81], v[84:85], 0
	buffer_load_dword v85, off, s[0:3], 0 offset:124
	buffer_load_dword v84, off, s[0:3], 0 offset:120
	s_waitcnt vmcnt(12)
	v_fmac_f64_e32 v[80:81], v[100:101], v[86:87]
	s_waitcnt vmcnt(10) lgkmcnt(2)
	v_fmac_f64_e32 v[80:81], v[102:103], v[88:89]
	buffer_load_dword v89, off, s[0:3], 0 offset:132
	buffer_load_dword v88, off, s[0:3], 0 offset:128
	s_waitcnt vmcnt(10)
	v_fmac_f64_e32 v[80:81], v[104:105], v[90:91]
	s_waitcnt vmcnt(8) lgkmcnt(1)
	v_fmac_f64_e32 v[80:81], v[106:107], v[92:93]
	s_waitcnt vmcnt(6)
	v_fmac_f64_e32 v[80:81], v[108:109], v[94:95]
	s_waitcnt vmcnt(4) lgkmcnt(0)
	v_fmac_f64_e32 v[80:81], v[110:111], v[96:97]
	s_waitcnt vmcnt(2)
	v_fmac_f64_e32 v[80:81], v[84:85], v[98:99]
	ds_read_b128 v[84:87], v82 offset:432
	s_waitcnt vmcnt(0) lgkmcnt(0)
	v_fmac_f64_e32 v[80:81], v[88:89], v[84:85]
	buffer_load_dword v85, off, s[0:3], 0 offset:140
	buffer_load_dword v84, off, s[0:3], 0 offset:136
	buffer_load_dword v89, off, s[0:3], 0 offset:148
	buffer_load_dword v88, off, s[0:3], 0 offset:144
	s_waitcnt vmcnt(2)
	v_fmac_f64_e32 v[80:81], v[84:85], v[86:87]
	ds_read_b128 v[84:87], v82 offset:448
	s_waitcnt vmcnt(0) lgkmcnt(0)
	v_fmac_f64_e32 v[80:81], v[88:89], v[84:85]
	buffer_load_dword v85, off, s[0:3], 0 offset:156
	buffer_load_dword v84, off, s[0:3], 0 offset:152
	buffer_load_dword v89, off, s[0:3], 0 offset:164
	buffer_load_dword v88, off, s[0:3], 0 offset:160
	;; [unrolled: 9-line block ×9, first 2 shown]
	s_waitcnt vmcnt(2)
	v_fmac_f64_e32 v[80:81], v[84:85], v[86:87]
	ds_read_b128 v[84:87], v82 offset:576
	s_waitcnt vmcnt(0) lgkmcnt(0)
	v_fmac_f64_e32 v[80:81], v[88:89], v[84:85]
	buffer_load_dword v85, off, s[0:3], 0 offset:284
	buffer_load_dword v84, off, s[0:3], 0 offset:280
	s_waitcnt vmcnt(0)
	v_fmac_f64_e32 v[80:81], v[84:85], v[86:87]
	buffer_load_dword v87, off, s[0:3], 0 offset:292
	buffer_load_dword v86, off, s[0:3], 0 offset:288
	ds_read_b128 v[82:85], v82 offset:592
	s_waitcnt vmcnt(0) lgkmcnt(0)
	v_fmac_f64_e32 v[80:81], v[86:87], v[82:83]
	buffer_load_dword v83, off, s[0:3], 0 offset:300
	buffer_load_dword v82, off, s[0:3], 0 offset:296
	s_waitcnt vmcnt(0)
	v_fmac_f64_e32 v[80:81], v[82:83], v[84:85]
	v_add_f64 v[78:79], v[78:79], -v[80:81]
	buffer_store_dword v79, off, s[0:3], 0 offset:60
	buffer_store_dword v78, off, s[0:3], 0 offset:56
	s_and_saveexec_b64 s[4:5], vcc
	s_cbranch_execz .LBB37_223
; %bb.222:
	buffer_load_dword v78, off, s[0:3], 0 offset:48
	buffer_load_dword v79, off, s[0:3], 0 offset:52
	v_mov_b32_e32 v80, 0
	buffer_store_dword v80, off, s[0:3], 0 offset:48
	buffer_store_dword v80, off, s[0:3], 0 offset:52
	s_waitcnt vmcnt(2)
	ds_write_b64 v1, v[78:79]
.LBB37_223:
	s_or_b64 exec, exec, s[4:5]
	s_waitcnt lgkmcnt(0)
	; wave barrier
	s_waitcnt lgkmcnt(0)
	buffer_load_dword v78, off, s[0:3], 0 offset:48
	buffer_load_dword v79, off, s[0:3], 0 offset:52
	;; [unrolled: 1-line block ×16, first 2 shown]
	v_mov_b32_e32 v82, 0
	ds_read2_b64 v[84:87], v82 offset0:45 offset1:46
	v_cmp_lt_u32_e32 vcc, 5, v0
	s_waitcnt vmcnt(12) lgkmcnt(0)
	v_fma_f64 v[80:81], v[80:81], v[84:85], 0
	s_waitcnt vmcnt(10)
	v_fmac_f64_e32 v[80:81], v[88:89], v[86:87]
	ds_read2_b64 v[84:87], v82 offset0:47 offset1:48
	s_waitcnt vmcnt(8) lgkmcnt(0)
	v_fmac_f64_e32 v[80:81], v[90:91], v[84:85]
	s_waitcnt vmcnt(6)
	v_fmac_f64_e32 v[80:81], v[92:93], v[86:87]
	ds_read2_b64 v[84:87], v82 offset0:49 offset1:50
	s_waitcnt vmcnt(4) lgkmcnt(0)
	v_fmac_f64_e32 v[80:81], v[94:95], v[84:85]
	;; [unrolled: 5-line block ×3, first 2 shown]
	buffer_load_dword v85, off, s[0:3], 0 offset:116
	buffer_load_dword v84, off, s[0:3], 0 offset:112
	buffer_load_dword v89, off, s[0:3], 0 offset:124
	buffer_load_dword v88, off, s[0:3], 0 offset:120
	s_waitcnt vmcnt(2)
	v_fmac_f64_e32 v[80:81], v[84:85], v[86:87]
	ds_read2_b64 v[84:87], v82 offset0:53 offset1:54
	s_waitcnt vmcnt(0) lgkmcnt(0)
	v_fmac_f64_e32 v[80:81], v[88:89], v[84:85]
	buffer_load_dword v85, off, s[0:3], 0 offset:132
	buffer_load_dword v84, off, s[0:3], 0 offset:128
	buffer_load_dword v89, off, s[0:3], 0 offset:140
	buffer_load_dword v88, off, s[0:3], 0 offset:136
	s_waitcnt vmcnt(2)
	v_fmac_f64_e32 v[80:81], v[84:85], v[86:87]
	ds_read2_b64 v[84:87], v82 offset0:55 offset1:56
	s_waitcnt vmcnt(0) lgkmcnt(0)
	v_fmac_f64_e32 v[80:81], v[88:89], v[84:85]
	;; [unrolled: 9-line block ×11, first 2 shown]
	buffer_load_dword v85, off, s[0:3], 0 offset:292
	buffer_load_dword v84, off, s[0:3], 0 offset:288
	s_waitcnt vmcnt(0)
	v_fmac_f64_e32 v[80:81], v[84:85], v[86:87]
	buffer_load_dword v85, off, s[0:3], 0 offset:300
	buffer_load_dword v84, off, s[0:3], 0 offset:296
	ds_read_b64 v[86:87], v82 offset:600
	s_waitcnt vmcnt(0) lgkmcnt(0)
	v_fmac_f64_e32 v[80:81], v[84:85], v[86:87]
	v_add_f64 v[78:79], v[78:79], -v[80:81]
	buffer_store_dword v79, off, s[0:3], 0 offset:52
	buffer_store_dword v78, off, s[0:3], 0 offset:48
	s_and_saveexec_b64 s[4:5], vcc
	s_cbranch_execz .LBB37_225
; %bb.224:
	buffer_load_dword v78, off, s[0:3], 0 offset:40
	buffer_load_dword v79, off, s[0:3], 0 offset:44
	s_waitcnt vmcnt(0)
	ds_write_b64 v1, v[78:79]
	buffer_store_dword v82, off, s[0:3], 0 offset:40
	buffer_store_dword v82, off, s[0:3], 0 offset:44
.LBB37_225:
	s_or_b64 exec, exec, s[4:5]
	s_waitcnt lgkmcnt(0)
	; wave barrier
	s_waitcnt lgkmcnt(0)
	buffer_load_dword v78, off, s[0:3], 0 offset:40
	buffer_load_dword v79, off, s[0:3], 0 offset:44
	;; [unrolled: 1-line block ×16, first 2 shown]
	ds_read_b128 v[84:87], v82 offset:352
	ds_read_b128 v[88:91], v82 offset:368
	;; [unrolled: 1-line block ×4, first 2 shown]
	v_cmp_lt_u32_e32 vcc, 4, v0
	s_waitcnt vmcnt(12) lgkmcnt(3)
	v_fma_f64 v[80:81], v[80:81], v[84:85], 0
	buffer_load_dword v85, off, s[0:3], 0 offset:108
	buffer_load_dword v84, off, s[0:3], 0 offset:104
	s_waitcnt vmcnt(12)
	v_fmac_f64_e32 v[80:81], v[100:101], v[86:87]
	s_waitcnt vmcnt(10) lgkmcnt(2)
	v_fmac_f64_e32 v[80:81], v[102:103], v[88:89]
	buffer_load_dword v89, off, s[0:3], 0 offset:116
	buffer_load_dword v88, off, s[0:3], 0 offset:112
	s_waitcnt vmcnt(10)
	v_fmac_f64_e32 v[80:81], v[104:105], v[90:91]
	s_waitcnt vmcnt(8) lgkmcnt(1)
	v_fmac_f64_e32 v[80:81], v[106:107], v[92:93]
	s_waitcnt vmcnt(6)
	v_fmac_f64_e32 v[80:81], v[108:109], v[94:95]
	s_waitcnt vmcnt(4) lgkmcnt(0)
	v_fmac_f64_e32 v[80:81], v[110:111], v[96:97]
	s_waitcnt vmcnt(2)
	v_fmac_f64_e32 v[80:81], v[84:85], v[98:99]
	ds_read_b128 v[84:87], v82 offset:416
	s_waitcnt vmcnt(0) lgkmcnt(0)
	v_fmac_f64_e32 v[80:81], v[88:89], v[84:85]
	buffer_load_dword v85, off, s[0:3], 0 offset:124
	buffer_load_dword v84, off, s[0:3], 0 offset:120
	buffer_load_dword v89, off, s[0:3], 0 offset:132
	buffer_load_dword v88, off, s[0:3], 0 offset:128
	s_waitcnt vmcnt(2)
	v_fmac_f64_e32 v[80:81], v[84:85], v[86:87]
	ds_read_b128 v[84:87], v82 offset:432
	s_waitcnt vmcnt(0) lgkmcnt(0)
	v_fmac_f64_e32 v[80:81], v[88:89], v[84:85]
	buffer_load_dword v85, off, s[0:3], 0 offset:140
	buffer_load_dword v84, off, s[0:3], 0 offset:136
	buffer_load_dword v89, off, s[0:3], 0 offset:148
	buffer_load_dword v88, off, s[0:3], 0 offset:144
	;; [unrolled: 9-line block ×10, first 2 shown]
	s_waitcnt vmcnt(2)
	v_fmac_f64_e32 v[80:81], v[84:85], v[86:87]
	ds_read_b128 v[84:87], v82 offset:576
	s_waitcnt vmcnt(0) lgkmcnt(0)
	v_fmac_f64_e32 v[80:81], v[88:89], v[84:85]
	buffer_load_dword v85, off, s[0:3], 0 offset:284
	buffer_load_dword v84, off, s[0:3], 0 offset:280
	s_waitcnt vmcnt(0)
	v_fmac_f64_e32 v[80:81], v[84:85], v[86:87]
	buffer_load_dword v87, off, s[0:3], 0 offset:292
	buffer_load_dword v86, off, s[0:3], 0 offset:288
	ds_read_b128 v[82:85], v82 offset:592
	s_waitcnt vmcnt(0) lgkmcnt(0)
	v_fmac_f64_e32 v[80:81], v[86:87], v[82:83]
	buffer_load_dword v83, off, s[0:3], 0 offset:300
	buffer_load_dword v82, off, s[0:3], 0 offset:296
	s_waitcnt vmcnt(0)
	v_fmac_f64_e32 v[80:81], v[82:83], v[84:85]
	v_add_f64 v[78:79], v[78:79], -v[80:81]
	buffer_store_dword v79, off, s[0:3], 0 offset:44
	buffer_store_dword v78, off, s[0:3], 0 offset:40
	s_and_saveexec_b64 s[4:5], vcc
	s_cbranch_execz .LBB37_227
; %bb.226:
	buffer_load_dword v78, off, s[0:3], 0 offset:32
	buffer_load_dword v79, off, s[0:3], 0 offset:36
	v_mov_b32_e32 v80, 0
	buffer_store_dword v80, off, s[0:3], 0 offset:32
	buffer_store_dword v80, off, s[0:3], 0 offset:36
	s_waitcnt vmcnt(2)
	ds_write_b64 v1, v[78:79]
.LBB37_227:
	s_or_b64 exec, exec, s[4:5]
	s_waitcnt lgkmcnt(0)
	; wave barrier
	s_waitcnt lgkmcnt(0)
	buffer_load_dword v78, off, s[0:3], 0 offset:32
	buffer_load_dword v79, off, s[0:3], 0 offset:36
	;; [unrolled: 1-line block ×16, first 2 shown]
	v_mov_b32_e32 v82, 0
	ds_read2_b64 v[84:87], v82 offset0:43 offset1:44
	v_cmp_lt_u32_e32 vcc, 3, v0
	s_waitcnt vmcnt(12) lgkmcnt(0)
	v_fma_f64 v[80:81], v[80:81], v[84:85], 0
	s_waitcnt vmcnt(10)
	v_fmac_f64_e32 v[80:81], v[88:89], v[86:87]
	ds_read2_b64 v[84:87], v82 offset0:45 offset1:46
	s_waitcnt vmcnt(8) lgkmcnt(0)
	v_fmac_f64_e32 v[80:81], v[90:91], v[84:85]
	s_waitcnt vmcnt(6)
	v_fmac_f64_e32 v[80:81], v[92:93], v[86:87]
	ds_read2_b64 v[84:87], v82 offset0:47 offset1:48
	s_waitcnt vmcnt(4) lgkmcnt(0)
	v_fmac_f64_e32 v[80:81], v[94:95], v[84:85]
	;; [unrolled: 5-line block ×3, first 2 shown]
	buffer_load_dword v85, off, s[0:3], 0 offset:100
	buffer_load_dword v84, off, s[0:3], 0 offset:96
	buffer_load_dword v89, off, s[0:3], 0 offset:108
	buffer_load_dword v88, off, s[0:3], 0 offset:104
	s_waitcnt vmcnt(2)
	v_fmac_f64_e32 v[80:81], v[84:85], v[86:87]
	ds_read2_b64 v[84:87], v82 offset0:51 offset1:52
	s_waitcnt vmcnt(0) lgkmcnt(0)
	v_fmac_f64_e32 v[80:81], v[88:89], v[84:85]
	buffer_load_dword v85, off, s[0:3], 0 offset:116
	buffer_load_dword v84, off, s[0:3], 0 offset:112
	buffer_load_dword v89, off, s[0:3], 0 offset:124
	buffer_load_dword v88, off, s[0:3], 0 offset:120
	s_waitcnt vmcnt(2)
	v_fmac_f64_e32 v[80:81], v[84:85], v[86:87]
	ds_read2_b64 v[84:87], v82 offset0:53 offset1:54
	s_waitcnt vmcnt(0) lgkmcnt(0)
	v_fmac_f64_e32 v[80:81], v[88:89], v[84:85]
	;; [unrolled: 9-line block ×12, first 2 shown]
	buffer_load_dword v85, off, s[0:3], 0 offset:292
	buffer_load_dword v84, off, s[0:3], 0 offset:288
	s_waitcnt vmcnt(0)
	v_fmac_f64_e32 v[80:81], v[84:85], v[86:87]
	buffer_load_dword v85, off, s[0:3], 0 offset:300
	buffer_load_dword v84, off, s[0:3], 0 offset:296
	ds_read_b64 v[86:87], v82 offset:600
	s_waitcnt vmcnt(0) lgkmcnt(0)
	v_fmac_f64_e32 v[80:81], v[84:85], v[86:87]
	v_add_f64 v[78:79], v[78:79], -v[80:81]
	buffer_store_dword v79, off, s[0:3], 0 offset:36
	buffer_store_dword v78, off, s[0:3], 0 offset:32
	s_and_saveexec_b64 s[4:5], vcc
	s_cbranch_execz .LBB37_229
; %bb.228:
	buffer_load_dword v78, off, s[0:3], 0 offset:24
	buffer_load_dword v79, off, s[0:3], 0 offset:28
	s_waitcnt vmcnt(0)
	ds_write_b64 v1, v[78:79]
	buffer_store_dword v82, off, s[0:3], 0 offset:24
	buffer_store_dword v82, off, s[0:3], 0 offset:28
.LBB37_229:
	s_or_b64 exec, exec, s[4:5]
	s_waitcnt lgkmcnt(0)
	; wave barrier
	s_waitcnt lgkmcnt(0)
	buffer_load_dword v78, off, s[0:3], 0 offset:24
	buffer_load_dword v79, off, s[0:3], 0 offset:28
	buffer_load_dword v80, off, s[0:3], 0 offset:32
	buffer_load_dword v81, off, s[0:3], 0 offset:36
	buffer_load_dword v100, off, s[0:3], 0 offset:40
	buffer_load_dword v101, off, s[0:3], 0 offset:44
	buffer_load_dword v102, off, s[0:3], 0 offset:48
	buffer_load_dword v103, off, s[0:3], 0 offset:52
	buffer_load_dword v104, off, s[0:3], 0 offset:56
	buffer_load_dword v105, off, s[0:3], 0 offset:60
	buffer_load_dword v106, off, s[0:3], 0 offset:64
	buffer_load_dword v107, off, s[0:3], 0 offset:68
	buffer_load_dword v108, off, s[0:3], 0 offset:72
	buffer_load_dword v109, off, s[0:3], 0 offset:76
	buffer_load_dword v110, off, s[0:3], 0 offset:80
	buffer_load_dword v111, off, s[0:3], 0 offset:84
	ds_read_b128 v[84:87], v82 offset:336
	ds_read_b128 v[88:91], v82 offset:352
	;; [unrolled: 1-line block ×4, first 2 shown]
	v_cmp_lt_u32_e32 vcc, 2, v0
	s_waitcnt vmcnt(12) lgkmcnt(3)
	v_fma_f64 v[80:81], v[80:81], v[84:85], 0
	buffer_load_dword v85, off, s[0:3], 0 offset:92
	buffer_load_dword v84, off, s[0:3], 0 offset:88
	s_waitcnt vmcnt(12)
	v_fmac_f64_e32 v[80:81], v[100:101], v[86:87]
	s_waitcnt vmcnt(10) lgkmcnt(2)
	v_fmac_f64_e32 v[80:81], v[102:103], v[88:89]
	buffer_load_dword v89, off, s[0:3], 0 offset:100
	buffer_load_dword v88, off, s[0:3], 0 offset:96
	s_waitcnt vmcnt(10)
	v_fmac_f64_e32 v[80:81], v[104:105], v[90:91]
	s_waitcnt vmcnt(8) lgkmcnt(1)
	v_fmac_f64_e32 v[80:81], v[106:107], v[92:93]
	s_waitcnt vmcnt(6)
	v_fmac_f64_e32 v[80:81], v[108:109], v[94:95]
	s_waitcnt vmcnt(4) lgkmcnt(0)
	v_fmac_f64_e32 v[80:81], v[110:111], v[96:97]
	s_waitcnt vmcnt(2)
	v_fmac_f64_e32 v[80:81], v[84:85], v[98:99]
	ds_read_b128 v[84:87], v82 offset:400
	s_waitcnt vmcnt(0) lgkmcnt(0)
	v_fmac_f64_e32 v[80:81], v[88:89], v[84:85]
	buffer_load_dword v85, off, s[0:3], 0 offset:108
	buffer_load_dword v84, off, s[0:3], 0 offset:104
	buffer_load_dword v89, off, s[0:3], 0 offset:116
	buffer_load_dword v88, off, s[0:3], 0 offset:112
	s_waitcnt vmcnt(2)
	v_fmac_f64_e32 v[80:81], v[84:85], v[86:87]
	ds_read_b128 v[84:87], v82 offset:416
	s_waitcnt vmcnt(0) lgkmcnt(0)
	v_fmac_f64_e32 v[80:81], v[88:89], v[84:85]
	buffer_load_dword v85, off, s[0:3], 0 offset:124
	buffer_load_dword v84, off, s[0:3], 0 offset:120
	buffer_load_dword v89, off, s[0:3], 0 offset:132
	buffer_load_dword v88, off, s[0:3], 0 offset:128
	;; [unrolled: 9-line block ×11, first 2 shown]
	s_waitcnt vmcnt(2)
	v_fmac_f64_e32 v[80:81], v[84:85], v[86:87]
	ds_read_b128 v[84:87], v82 offset:576
	s_waitcnt vmcnt(0) lgkmcnt(0)
	v_fmac_f64_e32 v[80:81], v[88:89], v[84:85]
	buffer_load_dword v85, off, s[0:3], 0 offset:284
	buffer_load_dword v84, off, s[0:3], 0 offset:280
	s_waitcnt vmcnt(0)
	v_fmac_f64_e32 v[80:81], v[84:85], v[86:87]
	buffer_load_dword v87, off, s[0:3], 0 offset:292
	buffer_load_dword v86, off, s[0:3], 0 offset:288
	ds_read_b128 v[82:85], v82 offset:592
	s_waitcnt vmcnt(0) lgkmcnt(0)
	v_fmac_f64_e32 v[80:81], v[86:87], v[82:83]
	buffer_load_dword v83, off, s[0:3], 0 offset:300
	buffer_load_dword v82, off, s[0:3], 0 offset:296
	s_waitcnt vmcnt(0)
	v_fmac_f64_e32 v[80:81], v[82:83], v[84:85]
	v_add_f64 v[78:79], v[78:79], -v[80:81]
	buffer_store_dword v79, off, s[0:3], 0 offset:28
	buffer_store_dword v78, off, s[0:3], 0 offset:24
	s_and_saveexec_b64 s[4:5], vcc
	s_cbranch_execz .LBB37_231
; %bb.230:
	buffer_load_dword v78, off, s[0:3], 0 offset:16
	buffer_load_dword v79, off, s[0:3], 0 offset:20
	v_mov_b32_e32 v80, 0
	buffer_store_dword v80, off, s[0:3], 0 offset:16
	buffer_store_dword v80, off, s[0:3], 0 offset:20
	s_waitcnt vmcnt(2)
	ds_write_b64 v1, v[78:79]
.LBB37_231:
	s_or_b64 exec, exec, s[4:5]
	s_waitcnt lgkmcnt(0)
	; wave barrier
	s_waitcnt lgkmcnt(0)
	buffer_load_dword v78, off, s[0:3], 0 offset:16
	buffer_load_dword v79, off, s[0:3], 0 offset:20
	;; [unrolled: 1-line block ×16, first 2 shown]
	v_mov_b32_e32 v82, 0
	ds_read2_b64 v[84:87], v82 offset0:41 offset1:42
	v_cmp_lt_u32_e32 vcc, 1, v0
	s_waitcnt vmcnt(12) lgkmcnt(0)
	v_fma_f64 v[80:81], v[80:81], v[84:85], 0
	s_waitcnt vmcnt(10)
	v_fmac_f64_e32 v[80:81], v[88:89], v[86:87]
	ds_read2_b64 v[84:87], v82 offset0:43 offset1:44
	s_waitcnt vmcnt(8) lgkmcnt(0)
	v_fmac_f64_e32 v[80:81], v[90:91], v[84:85]
	s_waitcnt vmcnt(6)
	v_fmac_f64_e32 v[80:81], v[92:93], v[86:87]
	ds_read2_b64 v[84:87], v82 offset0:45 offset1:46
	s_waitcnt vmcnt(4) lgkmcnt(0)
	v_fmac_f64_e32 v[80:81], v[94:95], v[84:85]
	;; [unrolled: 5-line block ×3, first 2 shown]
	buffer_load_dword v85, off, s[0:3], 0 offset:84
	buffer_load_dword v84, off, s[0:3], 0 offset:80
	buffer_load_dword v89, off, s[0:3], 0 offset:92
	buffer_load_dword v88, off, s[0:3], 0 offset:88
	s_waitcnt vmcnt(2)
	v_fmac_f64_e32 v[80:81], v[84:85], v[86:87]
	ds_read2_b64 v[84:87], v82 offset0:49 offset1:50
	s_waitcnt vmcnt(0) lgkmcnt(0)
	v_fmac_f64_e32 v[80:81], v[88:89], v[84:85]
	buffer_load_dword v85, off, s[0:3], 0 offset:100
	buffer_load_dword v84, off, s[0:3], 0 offset:96
	buffer_load_dword v89, off, s[0:3], 0 offset:108
	buffer_load_dword v88, off, s[0:3], 0 offset:104
	s_waitcnt vmcnt(2)
	v_fmac_f64_e32 v[80:81], v[84:85], v[86:87]
	ds_read2_b64 v[84:87], v82 offset0:51 offset1:52
	s_waitcnt vmcnt(0) lgkmcnt(0)
	v_fmac_f64_e32 v[80:81], v[88:89], v[84:85]
	;; [unrolled: 9-line block ×13, first 2 shown]
	buffer_load_dword v85, off, s[0:3], 0 offset:292
	buffer_load_dword v84, off, s[0:3], 0 offset:288
	s_waitcnt vmcnt(0)
	v_fmac_f64_e32 v[80:81], v[84:85], v[86:87]
	buffer_load_dword v85, off, s[0:3], 0 offset:300
	buffer_load_dword v84, off, s[0:3], 0 offset:296
	ds_read_b64 v[86:87], v82 offset:600
	s_waitcnt vmcnt(0) lgkmcnt(0)
	v_fmac_f64_e32 v[80:81], v[84:85], v[86:87]
	v_add_f64 v[78:79], v[78:79], -v[80:81]
	buffer_store_dword v79, off, s[0:3], 0 offset:20
	buffer_store_dword v78, off, s[0:3], 0 offset:16
	s_and_saveexec_b64 s[4:5], vcc
	s_cbranch_execz .LBB37_233
; %bb.232:
	buffer_load_dword v78, off, s[0:3], 0 offset:8
	buffer_load_dword v79, off, s[0:3], 0 offset:12
	s_waitcnt vmcnt(0)
	ds_write_b64 v1, v[78:79]
	buffer_store_dword v82, off, s[0:3], 0 offset:8
	buffer_store_dword v82, off, s[0:3], 0 offset:12
.LBB37_233:
	s_or_b64 exec, exec, s[4:5]
	s_waitcnt lgkmcnt(0)
	; wave barrier
	s_waitcnt lgkmcnt(0)
	buffer_load_dword v78, off, s[0:3], 0 offset:8
	buffer_load_dword v79, off, s[0:3], 0 offset:12
	;; [unrolled: 1-line block ×16, first 2 shown]
	ds_read_b128 v[84:87], v82 offset:320
	ds_read_b128 v[88:91], v82 offset:336
	;; [unrolled: 1-line block ×4, first 2 shown]
	v_cmp_ne_u32_e32 vcc, 0, v0
	s_waitcnt vmcnt(12) lgkmcnt(3)
	v_fma_f64 v[80:81], v[80:81], v[84:85], 0
	buffer_load_dword v85, off, s[0:3], 0 offset:76
	buffer_load_dword v84, off, s[0:3], 0 offset:72
	s_waitcnt vmcnt(12)
	v_fmac_f64_e32 v[80:81], v[100:101], v[86:87]
	s_waitcnt vmcnt(10) lgkmcnt(2)
	v_fmac_f64_e32 v[80:81], v[102:103], v[88:89]
	buffer_load_dword v89, off, s[0:3], 0 offset:84
	buffer_load_dword v88, off, s[0:3], 0 offset:80
	s_waitcnt vmcnt(10)
	v_fmac_f64_e32 v[80:81], v[104:105], v[90:91]
	s_waitcnt vmcnt(8) lgkmcnt(1)
	v_fmac_f64_e32 v[80:81], v[106:107], v[92:93]
	s_waitcnt vmcnt(6)
	v_fmac_f64_e32 v[80:81], v[108:109], v[94:95]
	s_waitcnt vmcnt(4) lgkmcnt(0)
	v_fmac_f64_e32 v[80:81], v[110:111], v[96:97]
	s_waitcnt vmcnt(2)
	v_fmac_f64_e32 v[80:81], v[84:85], v[98:99]
	ds_read_b128 v[84:87], v82 offset:384
	s_waitcnt vmcnt(0) lgkmcnt(0)
	v_fmac_f64_e32 v[80:81], v[88:89], v[84:85]
	buffer_load_dword v85, off, s[0:3], 0 offset:92
	buffer_load_dword v84, off, s[0:3], 0 offset:88
	buffer_load_dword v89, off, s[0:3], 0 offset:100
	buffer_load_dword v88, off, s[0:3], 0 offset:96
	s_waitcnt vmcnt(2)
	v_fmac_f64_e32 v[80:81], v[84:85], v[86:87]
	ds_read_b128 v[84:87], v82 offset:400
	s_waitcnt vmcnt(0) lgkmcnt(0)
	v_fmac_f64_e32 v[80:81], v[88:89], v[84:85]
	buffer_load_dword v85, off, s[0:3], 0 offset:108
	buffer_load_dword v84, off, s[0:3], 0 offset:104
	buffer_load_dword v89, off, s[0:3], 0 offset:116
	buffer_load_dword v88, off, s[0:3], 0 offset:112
	;; [unrolled: 9-line block ×12, first 2 shown]
	s_waitcnt vmcnt(2)
	v_fmac_f64_e32 v[80:81], v[84:85], v[86:87]
	ds_read_b128 v[84:87], v82 offset:576
	s_waitcnt vmcnt(0) lgkmcnt(0)
	v_fmac_f64_e32 v[80:81], v[88:89], v[84:85]
	buffer_load_dword v85, off, s[0:3], 0 offset:284
	buffer_load_dword v84, off, s[0:3], 0 offset:280
	s_waitcnt vmcnt(0)
	v_fmac_f64_e32 v[80:81], v[84:85], v[86:87]
	buffer_load_dword v87, off, s[0:3], 0 offset:292
	buffer_load_dword v86, off, s[0:3], 0 offset:288
	ds_read_b128 v[82:85], v82 offset:592
	s_waitcnt vmcnt(0) lgkmcnt(0)
	v_fmac_f64_e32 v[80:81], v[86:87], v[82:83]
	buffer_load_dword v83, off, s[0:3], 0 offset:300
	buffer_load_dword v82, off, s[0:3], 0 offset:296
	s_waitcnt vmcnt(0)
	v_fmac_f64_e32 v[80:81], v[82:83], v[84:85]
	v_add_f64 v[78:79], v[78:79], -v[80:81]
	buffer_store_dword v79, off, s[0:3], 0 offset:12
	buffer_store_dword v78, off, s[0:3], 0 offset:8
	s_and_saveexec_b64 s[4:5], vcc
	s_cbranch_execz .LBB37_235
; %bb.234:
	buffer_load_dword v78, off, s[0:3], 0
	buffer_load_dword v79, off, s[0:3], 0 offset:4
	v_mov_b32_e32 v0, 0
	buffer_store_dword v0, off, s[0:3], 0
	buffer_store_dword v0, off, s[0:3], 0 offset:4
	s_waitcnt vmcnt(2)
	ds_write_b64 v1, v[78:79]
.LBB37_235:
	s_or_b64 exec, exec, s[4:5]
	s_waitcnt lgkmcnt(0)
	; wave barrier
	s_waitcnt lgkmcnt(0)
	buffer_load_dword v0, off, s[0:3], 0
	buffer_load_dword v1, off, s[0:3], 0 offset:4
	buffer_load_dword v84, off, s[0:3], 0 offset:8
	;; [unrolled: 1-line block ×15, first 2 shown]
	v_mov_b32_e32 v82, 0
	ds_read2_b64 v[78:81], v82 offset0:39 offset1:40
	s_and_b64 vcc, exec, s[20:21]
	s_waitcnt vmcnt(12) lgkmcnt(0)
	v_fma_f64 v[78:79], v[84:85], v[78:79], 0
	s_waitcnt vmcnt(10)
	v_fmac_f64_e32 v[78:79], v[86:87], v[80:81]
	ds_read2_b64 v[84:87], v82 offset0:41 offset1:42
	s_waitcnt vmcnt(8) lgkmcnt(0)
	v_fmac_f64_e32 v[78:79], v[88:89], v[84:85]
	s_waitcnt vmcnt(6)
	v_fmac_f64_e32 v[78:79], v[90:91], v[86:87]
	ds_read2_b64 v[84:87], v82 offset0:43 offset1:44
	s_waitcnt vmcnt(4) lgkmcnt(0)
	v_fmac_f64_e32 v[78:79], v[92:93], v[84:85]
	s_waitcnt vmcnt(2)
	v_fmac_f64_e32 v[78:79], v[94:95], v[86:87]
	ds_read2_b64 v[84:87], v82 offset0:45 offset1:46
	buffer_load_dword v81, off, s[0:3], 0 offset:68
	buffer_load_dword v80, off, s[0:3], 0 offset:64
	s_waitcnt vmcnt(2) lgkmcnt(0)
	v_fmac_f64_e32 v[78:79], v[96:97], v[84:85]
	s_waitcnt vmcnt(0)
	v_fmac_f64_e32 v[78:79], v[80:81], v[86:87]
	buffer_load_dword v81, off, s[0:3], 0 offset:76
	buffer_load_dword v80, off, s[0:3], 0 offset:72
	ds_read2_b64 v[84:87], v82 offset0:47 offset1:48
	s_waitcnt vmcnt(0) lgkmcnt(0)
	v_fmac_f64_e32 v[78:79], v[80:81], v[84:85]
	buffer_load_dword v81, off, s[0:3], 0 offset:84
	buffer_load_dword v80, off, s[0:3], 0 offset:80
	s_waitcnt vmcnt(0)
	v_fmac_f64_e32 v[78:79], v[80:81], v[86:87]
	buffer_load_dword v81, off, s[0:3], 0 offset:92
	buffer_load_dword v80, off, s[0:3], 0 offset:88
	ds_read2_b64 v[84:87], v82 offset0:49 offset1:50
	s_waitcnt vmcnt(0) lgkmcnt(0)
	v_fmac_f64_e32 v[78:79], v[80:81], v[84:85]
	buffer_load_dword v81, off, s[0:3], 0 offset:100
	buffer_load_dword v80, off, s[0:3], 0 offset:96
	;; [unrolled: 9-line block ×14, first 2 shown]
	buffer_load_dword v85, off, s[0:3], 0 offset:300
	buffer_load_dword v84, off, s[0:3], 0 offset:296
	ds_read_b64 v[82:83], v82 offset:600
	s_waitcnt vmcnt(2)
	v_fmac_f64_e32 v[78:79], v[80:81], v[86:87]
	s_waitcnt vmcnt(0) lgkmcnt(0)
	v_fmac_f64_e32 v[78:79], v[84:85], v[82:83]
	v_add_f64 v[0:1], v[0:1], -v[78:79]
	buffer_store_dword v1, off, s[0:3], 0 offset:4
	buffer_store_dword v0, off, s[0:3], 0
	s_cbranch_vccz .LBB37_311
; %bb.236:
	v_pk_mov_b32 v[0:1], s[10:11], s[10:11] op_sel:[0,1]
	flat_load_dword v0, v[0:1] offset:144
	s_waitcnt vmcnt(0) lgkmcnt(0)
	v_add_u32_e32 v0, -1, v0
	v_cmp_ne_u32_e32 vcc, 36, v0
	s_and_saveexec_b64 s[4:5], vcc
	s_cbranch_execz .LBB37_238
; %bb.237:
	v_mov_b32_e32 v1, 0
	v_lshl_add_u32 v0, v0, 3, v1
	buffer_load_dword v1, v0, s[0:3], 0 offen offset:4
	buffer_load_dword v78, v0, s[0:3], 0 offen
	s_waitcnt vmcnt(1)
	buffer_store_dword v1, off, s[0:3], 0 offset:292
	s_waitcnt vmcnt(1)
	buffer_store_dword v78, off, s[0:3], 0 offset:288
	buffer_store_dword v81, v0, s[0:3], 0 offen offset:4
	buffer_store_dword v80, v0, s[0:3], 0 offen
.LBB37_238:
	s_or_b64 exec, exec, s[4:5]
	v_pk_mov_b32 v[0:1], s[10:11], s[10:11] op_sel:[0,1]
	flat_load_dword v0, v[0:1] offset:140
	s_waitcnt vmcnt(0) lgkmcnt(0)
	v_add_u32_e32 v0, -1, v0
	v_cmp_ne_u32_e32 vcc, 35, v0
	s_and_saveexec_b64 s[4:5], vcc
	s_cbranch_execz .LBB37_240
; %bb.239:
	v_mov_b32_e32 v1, 0
	v_lshl_add_u32 v0, v0, 3, v1
	buffer_load_dword v1, v0, s[0:3], 0 offen
	buffer_load_dword v78, v0, s[0:3], 0 offen offset:4
	buffer_load_dword v79, off, s[0:3], 0 offset:280
	buffer_load_dword v80, off, s[0:3], 0 offset:284
	s_waitcnt vmcnt(3)
	buffer_store_dword v1, off, s[0:3], 0 offset:280
	s_waitcnt vmcnt(3)
	buffer_store_dword v78, off, s[0:3], 0 offset:284
	s_waitcnt vmcnt(3)
	buffer_store_dword v79, v0, s[0:3], 0 offen
	s_waitcnt vmcnt(3)
	buffer_store_dword v80, v0, s[0:3], 0 offen offset:4
.LBB37_240:
	s_or_b64 exec, exec, s[4:5]
	v_pk_mov_b32 v[0:1], s[10:11], s[10:11] op_sel:[0,1]
	flat_load_dword v0, v[0:1] offset:136
	s_waitcnt vmcnt(0) lgkmcnt(0)
	v_add_u32_e32 v0, -1, v0
	v_cmp_ne_u32_e32 vcc, 34, v0
	s_and_saveexec_b64 s[4:5], vcc
	s_cbranch_execz .LBB37_242
; %bb.241:
	v_mov_b32_e32 v1, 0
	v_lshl_add_u32 v0, v0, 3, v1
	buffer_load_dword v1, v0, s[0:3], 0 offen
	buffer_load_dword v78, v0, s[0:3], 0 offen offset:4
	buffer_load_dword v79, off, s[0:3], 0 offset:276
	buffer_load_dword v80, off, s[0:3], 0 offset:272
	s_waitcnt vmcnt(3)
	buffer_store_dword v1, off, s[0:3], 0 offset:272
	s_waitcnt vmcnt(3)
	buffer_store_dword v78, off, s[0:3], 0 offset:276
	s_waitcnt vmcnt(3)
	buffer_store_dword v79, v0, s[0:3], 0 offen offset:4
	s_waitcnt vmcnt(3)
	buffer_store_dword v80, v0, s[0:3], 0 offen
.LBB37_242:
	s_or_b64 exec, exec, s[4:5]
	v_pk_mov_b32 v[0:1], s[10:11], s[10:11] op_sel:[0,1]
	flat_load_dword v0, v[0:1] offset:132
	s_waitcnt vmcnt(0) lgkmcnt(0)
	v_add_u32_e32 v0, -1, v0
	v_cmp_ne_u32_e32 vcc, 33, v0
	s_and_saveexec_b64 s[4:5], vcc
	s_cbranch_execz .LBB37_244
; %bb.243:
	v_mov_b32_e32 v1, 0
	v_lshl_add_u32 v0, v0, 3, v1
	buffer_load_dword v1, v0, s[0:3], 0 offen
	buffer_load_dword v78, v0, s[0:3], 0 offen offset:4
	buffer_load_dword v79, off, s[0:3], 0 offset:264
	buffer_load_dword v80, off, s[0:3], 0 offset:268
	s_waitcnt vmcnt(3)
	buffer_store_dword v1, off, s[0:3], 0 offset:264
	s_waitcnt vmcnt(3)
	buffer_store_dword v78, off, s[0:3], 0 offset:268
	s_waitcnt vmcnt(3)
	buffer_store_dword v79, v0, s[0:3], 0 offen
	s_waitcnt vmcnt(3)
	buffer_store_dword v80, v0, s[0:3], 0 offen offset:4
.LBB37_244:
	s_or_b64 exec, exec, s[4:5]
	v_pk_mov_b32 v[0:1], s[10:11], s[10:11] op_sel:[0,1]
	flat_load_dword v0, v[0:1] offset:128
	s_waitcnt vmcnt(0) lgkmcnt(0)
	v_add_u32_e32 v0, -1, v0
	v_cmp_ne_u32_e32 vcc, 32, v0
	s_and_saveexec_b64 s[4:5], vcc
	s_cbranch_execz .LBB37_246
; %bb.245:
	v_mov_b32_e32 v1, 0
	v_lshl_add_u32 v0, v0, 3, v1
	buffer_load_dword v1, v0, s[0:3], 0 offen
	buffer_load_dword v78, v0, s[0:3], 0 offen offset:4
	buffer_load_dword v79, off, s[0:3], 0 offset:260
	buffer_load_dword v80, off, s[0:3], 0 offset:256
	s_waitcnt vmcnt(3)
	buffer_store_dword v1, off, s[0:3], 0 offset:256
	s_waitcnt vmcnt(3)
	buffer_store_dword v78, off, s[0:3], 0 offset:260
	s_waitcnt vmcnt(3)
	buffer_store_dword v79, v0, s[0:3], 0 offen offset:4
	s_waitcnt vmcnt(3)
	buffer_store_dword v80, v0, s[0:3], 0 offen
.LBB37_246:
	;; [unrolled: 48-line block ×17, first 2 shown]
	s_or_b64 exec, exec, s[4:5]
	v_pk_mov_b32 v[0:1], s[10:11], s[10:11] op_sel:[0,1]
	flat_load_dword v0, v[0:1] offset:4
	s_waitcnt vmcnt(0) lgkmcnt(0)
	v_add_u32_e32 v0, -1, v0
	v_cmp_ne_u32_e32 vcc, 1, v0
	s_and_saveexec_b64 s[4:5], vcc
	s_cbranch_execz .LBB37_308
; %bb.307:
	v_mov_b32_e32 v1, 0
	v_lshl_add_u32 v0, v0, 3, v1
	buffer_load_dword v1, v0, s[0:3], 0 offen
	buffer_load_dword v78, v0, s[0:3], 0 offen offset:4
	buffer_load_dword v79, off, s[0:3], 0 offset:8
	buffer_load_dword v80, off, s[0:3], 0 offset:12
	s_waitcnt vmcnt(3)
	buffer_store_dword v1, off, s[0:3], 0 offset:8
	s_waitcnt vmcnt(3)
	buffer_store_dword v78, off, s[0:3], 0 offset:12
	s_waitcnt vmcnt(3)
	buffer_store_dword v79, v0, s[0:3], 0 offen
	s_waitcnt vmcnt(3)
	buffer_store_dword v80, v0, s[0:3], 0 offen offset:4
.LBB37_308:
	s_or_b64 exec, exec, s[4:5]
	v_pk_mov_b32 v[0:1], s[10:11], s[10:11] op_sel:[0,1]
	flat_load_dword v78, v[0:1]
	s_nop 0
	buffer_load_dword v0, off, s[0:3], 0
	buffer_load_dword v1, off, s[0:3], 0 offset:4
	s_waitcnt vmcnt(0) lgkmcnt(0)
	v_add_u32_e32 v78, -1, v78
	v_cmp_ne_u32_e32 vcc, 0, v78
	s_and_saveexec_b64 s[4:5], vcc
	s_cbranch_execz .LBB37_310
; %bb.309:
	v_mov_b32_e32 v79, 0
	v_lshl_add_u32 v78, v78, 3, v79
	buffer_load_dword v79, v78, s[0:3], 0 offen offset:4
	buffer_load_dword v80, v78, s[0:3], 0 offen
	s_waitcnt vmcnt(1)
	buffer_store_dword v79, off, s[0:3], 0 offset:4
	s_waitcnt vmcnt(1)
	buffer_store_dword v80, off, s[0:3], 0
	buffer_store_dword v1, v78, s[0:3], 0 offen offset:4
	buffer_store_dword v0, v78, s[0:3], 0 offen
	buffer_load_dword v0, off, s[0:3], 0
	s_nop 0
	buffer_load_dword v1, off, s[0:3], 0 offset:4
.LBB37_310:
	s_or_b64 exec, exec, s[4:5]
.LBB37_311:
	s_waitcnt vmcnt(0)
	global_store_dwordx2 v[76:77], v[0:1], off
	buffer_load_dword v0, off, s[0:3], 0 offset:8
	s_nop 0
	buffer_load_dword v1, off, s[0:3], 0 offset:12
	buffer_load_dword v76, off, s[0:3], 0 offset:16
	;; [unrolled: 1-line block ×15, first 2 shown]
	s_waitcnt vmcnt(14)
	global_store_dwordx2 v[74:75], v[0:1], off
	s_waitcnt vmcnt(13)
	global_store_dwordx2 v[2:3], v[76:77], off
	;; [unrolled: 2-line block ×8, first 2 shown]
	buffer_load_dword v0, off, s[0:3], 0 offset:72
	buffer_load_dword v1, off, s[0:3], 0 offset:76
	s_waitcnt vmcnt(0)
	global_store_dwordx2 v[14:15], v[0:1], off
	buffer_load_dword v0, off, s[0:3], 0 offset:80
	s_nop 0
	buffer_load_dword v1, off, s[0:3], 0 offset:84
	s_waitcnt vmcnt(0)
	global_store_dwordx2 v[16:17], v[0:1], off
	buffer_load_dword v0, off, s[0:3], 0 offset:88
	s_nop 0
	;; [unrolled: 5-line block ×28, first 2 shown]
	buffer_load_dword v1, off, s[0:3], 0 offset:300
	s_waitcnt vmcnt(0)
	global_store_dwordx2 v[58:59], v[0:1], off
	s_endpgm
	.section	.rodata,"a",@progbits
	.p2align	6, 0x0
	.amdhsa_kernel _ZN9rocsolver6v33100L18getri_kernel_smallILi38EdPdEEvT1_iilPiilS4_bb
		.amdhsa_group_segment_fixed_size 616
		.amdhsa_private_segment_fixed_size 320
		.amdhsa_kernarg_size 60
		.amdhsa_user_sgpr_count 8
		.amdhsa_user_sgpr_private_segment_buffer 1
		.amdhsa_user_sgpr_dispatch_ptr 0
		.amdhsa_user_sgpr_queue_ptr 0
		.amdhsa_user_sgpr_kernarg_segment_ptr 1
		.amdhsa_user_sgpr_dispatch_id 0
		.amdhsa_user_sgpr_flat_scratch_init 1
		.amdhsa_user_sgpr_kernarg_preload_length 0
		.amdhsa_user_sgpr_kernarg_preload_offset 0
		.amdhsa_user_sgpr_private_segment_size 0
		.amdhsa_uses_dynamic_stack 0
		.amdhsa_system_sgpr_private_segment_wavefront_offset 1
		.amdhsa_system_sgpr_workgroup_id_x 1
		.amdhsa_system_sgpr_workgroup_id_y 0
		.amdhsa_system_sgpr_workgroup_id_z 0
		.amdhsa_system_sgpr_workgroup_info 0
		.amdhsa_system_vgpr_workitem_id 0
		.amdhsa_next_free_vgpr 126
		.amdhsa_next_free_sgpr 23
		.amdhsa_accum_offset 128
		.amdhsa_reserve_vcc 1
		.amdhsa_reserve_flat_scratch 1
		.amdhsa_float_round_mode_32 0
		.amdhsa_float_round_mode_16_64 0
		.amdhsa_float_denorm_mode_32 3
		.amdhsa_float_denorm_mode_16_64 3
		.amdhsa_dx10_clamp 1
		.amdhsa_ieee_mode 1
		.amdhsa_fp16_overflow 0
		.amdhsa_tg_split 0
		.amdhsa_exception_fp_ieee_invalid_op 0
		.amdhsa_exception_fp_denorm_src 0
		.amdhsa_exception_fp_ieee_div_zero 0
		.amdhsa_exception_fp_ieee_overflow 0
		.amdhsa_exception_fp_ieee_underflow 0
		.amdhsa_exception_fp_ieee_inexact 0
		.amdhsa_exception_int_div_zero 0
	.end_amdhsa_kernel
	.section	.text._ZN9rocsolver6v33100L18getri_kernel_smallILi38EdPdEEvT1_iilPiilS4_bb,"axG",@progbits,_ZN9rocsolver6v33100L18getri_kernel_smallILi38EdPdEEvT1_iilPiilS4_bb,comdat
.Lfunc_end37:
	.size	_ZN9rocsolver6v33100L18getri_kernel_smallILi38EdPdEEvT1_iilPiilS4_bb, .Lfunc_end37-_ZN9rocsolver6v33100L18getri_kernel_smallILi38EdPdEEvT1_iilPiilS4_bb
                                        ; -- End function
	.section	.AMDGPU.csdata,"",@progbits
; Kernel info:
; codeLenInByte = 39684
; NumSgprs: 29
; NumVgprs: 126
; NumAgprs: 0
; TotalNumVgprs: 126
; ScratchSize: 320
; MemoryBound: 0
; FloatMode: 240
; IeeeMode: 1
; LDSByteSize: 616 bytes/workgroup (compile time only)
; SGPRBlocks: 3
; VGPRBlocks: 15
; NumSGPRsForWavesPerEU: 29
; NumVGPRsForWavesPerEU: 126
; AccumOffset: 128
; Occupancy: 4
; WaveLimiterHint : 1
; COMPUTE_PGM_RSRC2:SCRATCH_EN: 1
; COMPUTE_PGM_RSRC2:USER_SGPR: 8
; COMPUTE_PGM_RSRC2:TRAP_HANDLER: 0
; COMPUTE_PGM_RSRC2:TGID_X_EN: 1
; COMPUTE_PGM_RSRC2:TGID_Y_EN: 0
; COMPUTE_PGM_RSRC2:TGID_Z_EN: 0
; COMPUTE_PGM_RSRC2:TIDIG_COMP_CNT: 0
; COMPUTE_PGM_RSRC3_GFX90A:ACCUM_OFFSET: 31
; COMPUTE_PGM_RSRC3_GFX90A:TG_SPLIT: 0
	.section	.text._ZN9rocsolver6v33100L18getri_kernel_smallILi39EdPdEEvT1_iilPiilS4_bb,"axG",@progbits,_ZN9rocsolver6v33100L18getri_kernel_smallILi39EdPdEEvT1_iilPiilS4_bb,comdat
	.globl	_ZN9rocsolver6v33100L18getri_kernel_smallILi39EdPdEEvT1_iilPiilS4_bb ; -- Begin function _ZN9rocsolver6v33100L18getri_kernel_smallILi39EdPdEEvT1_iilPiilS4_bb
	.p2align	8
	.type	_ZN9rocsolver6v33100L18getri_kernel_smallILi39EdPdEEvT1_iilPiilS4_bb,@function
_ZN9rocsolver6v33100L18getri_kernel_smallILi39EdPdEEvT1_iilPiilS4_bb: ; @_ZN9rocsolver6v33100L18getri_kernel_smallILi39EdPdEEvT1_iilPiilS4_bb
; %bb.0:
	s_add_u32 flat_scratch_lo, s6, s9
	s_addc_u32 flat_scratch_hi, s7, 0
	s_add_u32 s0, s0, s9
	s_addc_u32 s1, s1, 0
	v_cmp_gt_u32_e32 vcc, 39, v0
	s_and_saveexec_b64 s[6:7], vcc
	s_cbranch_execz .LBB38_164
; %bb.1:
	s_load_dword s22, s[4:5], 0x38
	s_load_dwordx4 s[16:19], s[4:5], 0x10
	s_load_dwordx4 s[12:15], s[4:5], 0x28
                                        ; implicit-def: $sgpr10_sgpr11
	s_waitcnt lgkmcnt(0)
	s_bitcmp1_b32 s22, 8
	s_cselect_b64 s[20:21], -1, 0
	s_ashr_i32 s9, s8, 31
	s_bfe_u32 s6, s22, 0x10008
	s_cmp_eq_u32 s6, 0
	s_cbranch_scc1 .LBB38_3
; %bb.2:
	s_load_dword s6, s[4:5], 0x20
	s_mul_i32 s7, s8, s13
	s_mul_hi_u32 s10, s8, s12
	s_mul_i32 s11, s9, s12
	s_add_i32 s10, s10, s7
	s_add_i32 s11, s10, s11
	s_mul_i32 s10, s8, s12
	s_waitcnt lgkmcnt(0)
	s_ashr_i32 s7, s6, 31
	s_lshl_b64 s[10:11], s[10:11], 2
	s_add_u32 s10, s18, s10
	s_addc_u32 s11, s19, s11
	s_lshl_b64 s[6:7], s[6:7], 2
	s_add_u32 s10, s10, s6
	s_addc_u32 s11, s11, s7
.LBB38_3:
	s_load_dwordx4 s[4:7], s[4:5], 0x0
	s_mul_i32 s12, s8, s17
	s_mul_hi_u32 s13, s8, s16
	s_add_i32 s17, s13, s12
	s_waitcnt lgkmcnt(0)
	s_ashr_i32 s13, s6, 31
	s_mov_b32 s12, s6
	s_mul_i32 s6, s9, s16
	s_add_i32 s17, s17, s6
	s_mul_i32 s16, s8, s16
	s_lshl_b64 s[16:17], s[16:17], 3
	s_add_u32 s6, s4, s16
	s_addc_u32 s16, s5, s17
	s_lshl_b64 s[4:5], s[12:13], 3
	s_add_u32 s4, s6, s4
	s_addc_u32 s5, s16, s5
	s_add_i32 s6, s7, s7
	v_add_u32_e32 v4, s6, v0
	v_ashrrev_i32_e32 v5, 31, v4
	v_lshlrev_b64 v[2:3], 3, v[4:5]
	v_add_u32_e32 v6, s7, v4
	v_mov_b32_e32 v1, s5
	v_add_co_u32_e32 v2, vcc, s4, v2
	v_ashrrev_i32_e32 v7, 31, v6
	v_addc_co_u32_e32 v3, vcc, v1, v3, vcc
	v_lshlrev_b64 v[4:5], 3, v[6:7]
	v_add_u32_e32 v8, s7, v6
	v_add_co_u32_e32 v4, vcc, s4, v4
	v_ashrrev_i32_e32 v9, 31, v8
	v_addc_co_u32_e32 v5, vcc, v1, v5, vcc
	v_lshlrev_b64 v[6:7], 3, v[8:9]
	v_add_u32_e32 v10, s7, v8
	;; [unrolled: 5-line block ×5, first 2 shown]
	v_add_co_u32_e32 v12, vcc, s4, v12
	v_ashrrev_i32_e32 v15, 31, v14
	v_addc_co_u32_e32 v13, vcc, v1, v13, vcc
	v_lshlrev_b64 v[16:17], 3, v[14:15]
	v_add_co_u32_e32 v18, vcc, s4, v16
	v_add_u32_e32 v16, s7, v14
	v_addc_co_u32_e32 v19, vcc, v1, v17, vcc
	v_ashrrev_i32_e32 v17, 31, v16
	v_lshlrev_b64 v[14:15], 3, v[16:17]
	v_add_u32_e32 v20, s7, v16
	v_add_co_u32_e32 v14, vcc, s4, v14
	v_ashrrev_i32_e32 v21, 31, v20
	v_addc_co_u32_e32 v15, vcc, v1, v15, vcc
	v_lshlrev_b64 v[16:17], 3, v[20:21]
	v_add_u32_e32 v22, s7, v20
	v_add_co_u32_e32 v16, vcc, s4, v16
	v_ashrrev_i32_e32 v23, 31, v22
	v_addc_co_u32_e32 v17, vcc, v1, v17, vcc
	;; [unrolled: 5-line block ×21, first 2 shown]
	v_lshlrev_b64 v[58:59], 3, v[60:61]
	v_add_co_u32_e32 v58, vcc, s4, v58
	v_addc_co_u32_e32 v59, vcc, v1, v59, vcc
	v_lshlrev_b32_e32 v1, 3, v0
	v_mov_b32_e32 v62, s5
	v_add_co_u32_e32 v78, vcc, s4, v1
	s_ashr_i32 s13, s7, 31
	s_mov_b32 s12, s7
	v_addc_co_u32_e32 v79, vcc, 0, v62, vcc
	s_lshl_b64 s[12:13], s[12:13], 3
	v_mov_b32_e32 v62, s13
	v_add_co_u32_e32 v76, vcc, s12, v78
	v_addc_co_u32_e32 v77, vcc, v79, v62, vcc
	global_load_dwordx2 v[80:81], v1, s[4:5]
	global_load_dwordx2 v[82:83], v[76:77], off
	global_load_dwordx2 v[84:85], v[2:3], off
	;; [unrolled: 1-line block ×16, first 2 shown]
	v_add_u32_e32 v60, s7, v60
	v_ashrrev_i32_e32 v61, 31, v60
	v_lshlrev_b64 v[62:63], 3, v[60:61]
	v_add_u32_e32 v60, s7, v60
	v_mov_b32_e32 v64, s5
	v_add_co_u32_e32 v62, vcc, s4, v62
	v_ashrrev_i32_e32 v61, 31, v60
	v_addc_co_u32_e32 v63, vcc, v64, v63, vcc
	v_lshlrev_b64 v[64:65], 3, v[60:61]
	v_add_u32_e32 v60, s7, v60
	v_mov_b32_e32 v66, s5
	v_add_co_u32_e32 v64, vcc, s4, v64
	v_ashrrev_i32_e32 v61, 31, v60
	v_addc_co_u32_e32 v65, vcc, v66, v65, vcc
	;; [unrolled: 6-line block ×7, first 2 shown]
	v_lshlrev_b64 v[60:61], 3, v[60:61]
	v_add_co_u32_e32 v60, vcc, s4, v60
	v_addc_co_u32_e32 v61, vcc, v114, v61, vcc
	global_load_dwordx2 v[114:115], v[60:61], off
	s_waitcnt vmcnt(17)
	buffer_store_dword v81, off, s[0:3], 0 offset:4
	buffer_store_dword v80, off, s[0:3], 0
	s_waitcnt vmcnt(18)
	buffer_store_dword v83, off, s[0:3], 0 offset:12
	buffer_store_dword v82, off, s[0:3], 0 offset:8
	s_waitcnt vmcnt(19)
	buffer_store_dword v85, off, s[0:3], 0 offset:20
	buffer_store_dword v84, off, s[0:3], 0 offset:16
	;; [unrolled: 3-line block ×6, first 2 shown]
	global_load_dwordx2 v[80:81], v[32:33], off
	global_load_dwordx2 v[82:83], v[34:35], off
	;; [unrolled: 1-line block ×11, first 2 shown]
	s_bitcmp0_b32 s22, 0
	s_waitcnt vmcnt(35)
	buffer_store_dword v95, off, s[0:3], 0 offset:60
	buffer_store_dword v94, off, s[0:3], 0 offset:56
	global_load_dwordx2 v[94:95], v[46:47], off
	s_mov_b64 s[6:7], -1
	s_waitcnt vmcnt(35)
	buffer_store_dword v97, off, s[0:3], 0 offset:68
	buffer_store_dword v96, off, s[0:3], 0 offset:64
	global_load_dwordx2 v[96:97], v[48:49], off
	s_nop 0
	buffer_store_dword v98, off, s[0:3], 0 offset:72
	buffer_store_dword v99, off, s[0:3], 0 offset:76
	global_load_dwordx2 v[98:99], v[50:51], off
	s_nop 0
	buffer_store_dword v100, off, s[0:3], 0 offset:80
	buffer_store_dword v101, off, s[0:3], 0 offset:84
	global_load_dwordx2 v[100:101], v[52:53], off
	s_waitcnt vmcnt(43)
	buffer_store_dword v102, off, s[0:3], 0 offset:88
	buffer_store_dword v103, off, s[0:3], 0 offset:92
	global_load_dwordx2 v[102:103], v[54:55], off
	s_waitcnt vmcnt(45)
	;; [unrolled: 4-line block ×7, first 2 shown]
	buffer_store_dword v80, off, s[0:3], 0 offset:136
	buffer_store_dword v81, off, s[0:3], 0 offset:140
	s_waitcnt vmcnt(41)
	buffer_store_dword v82, off, s[0:3], 0 offset:144
	buffer_store_dword v83, off, s[0:3], 0 offset:148
	s_waitcnt vmcnt(42)
	;; [unrolled: 3-line block ×12, first 2 shown]
	buffer_store_dword v104, off, s[0:3], 0 offset:232
	buffer_store_dword v105, off, s[0:3], 0 offset:236
	buffer_store_dword v116, off, s[0:3], 0 offset:240
	buffer_store_dword v117, off, s[0:3], 0 offset:244
	s_waitcnt vmcnt(37)
	buffer_store_dword v107, off, s[0:3], 0 offset:252
	buffer_store_dword v106, off, s[0:3], 0 offset:248
	buffer_store_dword v119, off, s[0:3], 0 offset:260
	buffer_store_dword v118, off, s[0:3], 0 offset:256
	s_waitcnt vmcnt(38)
	;; [unrolled: 5-line block ×4, first 2 shown]
	buffer_store_dword v113, off, s[0:3], 0 offset:300
	buffer_store_dword v112, off, s[0:3], 0 offset:296
	;; [unrolled: 1-line block ×4, first 2 shown]
	s_cbranch_scc1 .LBB38_162
; %bb.4:
	v_cmp_eq_u32_e64 s[4:5], 0, v0
	s_and_saveexec_b64 s[6:7], s[4:5]
	s_cbranch_execz .LBB38_6
; %bb.5:
	v_mov_b32_e32 v80, 0
	ds_write_b32 v80, v80 offset:312
.LBB38_6:
	s_or_b64 exec, exec, s[6:7]
	v_mov_b32_e32 v80, 0
	v_lshl_add_u32 v80, v0, 3, v80
	s_waitcnt lgkmcnt(0)
	; wave barrier
	s_waitcnt lgkmcnt(0)
	buffer_load_dword v82, v80, s[0:3], 0 offen
	buffer_load_dword v83, v80, s[0:3], 0 offen offset:4
	s_waitcnt vmcnt(0)
	v_cmp_eq_f64_e32 vcc, 0, v[82:83]
	s_and_saveexec_b64 s[12:13], vcc
	s_cbranch_execz .LBB38_10
; %bb.7:
	v_mov_b32_e32 v81, 0
	ds_read_b32 v83, v81 offset:312
	v_add_u32_e32 v82, 1, v0
	s_waitcnt lgkmcnt(0)
	v_readfirstlane_b32 s6, v83
	s_cmp_eq_u32 s6, 0
	s_cselect_b64 s[16:17], -1, 0
	v_cmp_gt_i32_e32 vcc, s6, v82
	s_or_b64 s[16:17], s[16:17], vcc
	s_and_b64 exec, exec, s[16:17]
	s_cbranch_execz .LBB38_10
; %bb.8:
	s_mov_b64 s[16:17], 0
	v_mov_b32_e32 v83, s6
.LBB38_9:                               ; =>This Inner Loop Header: Depth=1
	ds_cmpst_rtn_b32 v83, v81, v83, v82 offset:312
	s_waitcnt lgkmcnt(0)
	v_cmp_ne_u32_e32 vcc, 0, v83
	v_cmp_le_i32_e64 s[6:7], v83, v82
	s_and_b64 s[6:7], vcc, s[6:7]
	s_and_b64 s[6:7], exec, s[6:7]
	s_or_b64 s[16:17], s[6:7], s[16:17]
	s_andn2_b64 exec, exec, s[16:17]
	s_cbranch_execnz .LBB38_9
.LBB38_10:
	s_or_b64 exec, exec, s[12:13]
	v_mov_b32_e32 v82, 0
	s_waitcnt lgkmcnt(0)
	; wave barrier
	ds_read_b32 v81, v82 offset:312
	s_and_saveexec_b64 s[6:7], s[4:5]
	s_cbranch_execz .LBB38_12
; %bb.11:
	s_lshl_b64 s[12:13], s[8:9], 2
	s_add_u32 s12, s14, s12
	s_addc_u32 s13, s15, s13
	s_waitcnt lgkmcnt(0)
	global_store_dword v82, v81, s[12:13]
.LBB38_12:
	s_or_b64 exec, exec, s[6:7]
	s_waitcnt lgkmcnt(0)
	v_cmp_ne_u32_e32 vcc, 0, v81
	s_mov_b64 s[6:7], 0
	s_cbranch_vccnz .LBB38_162
; %bb.13:
	buffer_load_dword v82, v80, s[0:3], 0 offen
	buffer_load_dword v83, v80, s[0:3], 0 offen offset:4
	s_waitcnt vmcnt(0)
	v_div_scale_f64 v[84:85], s[6:7], v[82:83], v[82:83], 1.0
	v_rcp_f64_e32 v[86:87], v[84:85]
	v_div_scale_f64 v[88:89], vcc, 1.0, v[82:83], 1.0
	v_fma_f64 v[90:91], -v[84:85], v[86:87], 1.0
	v_fmac_f64_e32 v[86:87], v[86:87], v[90:91]
	v_fma_f64 v[90:91], -v[84:85], v[86:87], 1.0
	v_fmac_f64_e32 v[86:87], v[86:87], v[90:91]
	v_mul_f64 v[90:91], v[88:89], v[86:87]
	v_fma_f64 v[84:85], -v[84:85], v[90:91], v[88:89]
	v_div_fmas_f64 v[84:85], v[84:85], v[86:87], v[90:91]
	v_div_fixup_f64 v[84:85], v[84:85], v[82:83], 1.0
	buffer_store_dword v85, v80, s[0:3], 0 offen offset:4
	buffer_store_dword v84, v80, s[0:3], 0 offen
	buffer_load_dword v87, off, s[0:3], 0 offset:12
	buffer_load_dword v86, off, s[0:3], 0 offset:8
	v_add_u32_e32 v82, 0x140, v1
	v_xor_b32_e32 v85, 0x80000000, v85
	s_waitcnt vmcnt(0)
	ds_write2_b64 v1, v[84:85], v[86:87] offset1:40
	s_waitcnt lgkmcnt(0)
	; wave barrier
	s_waitcnt lgkmcnt(0)
	s_and_saveexec_b64 s[6:7], s[4:5]
	s_cbranch_execz .LBB38_15
; %bb.14:
	buffer_load_dword v84, v80, s[0:3], 0 offen
	buffer_load_dword v85, v80, s[0:3], 0 offen offset:4
	v_mov_b32_e32 v81, 0
	ds_read_b64 v[86:87], v82
	ds_read_b64 v[88:89], v81 offset:8
	s_waitcnt vmcnt(0) lgkmcnt(1)
	v_fma_f64 v[84:85], v[84:85], v[86:87], 0
	s_waitcnt lgkmcnt(0)
	v_mul_f64 v[84:85], v[84:85], v[88:89]
	buffer_store_dword v84, off, s[0:3], 0 offset:8
	buffer_store_dword v85, off, s[0:3], 0 offset:12
.LBB38_15:
	s_or_b64 exec, exec, s[6:7]
	s_waitcnt lgkmcnt(0)
	; wave barrier
	buffer_load_dword v84, off, s[0:3], 0 offset:16
	buffer_load_dword v85, off, s[0:3], 0 offset:20
	v_cmp_gt_u32_e32 vcc, 2, v0
	s_waitcnt vmcnt(0)
	ds_write_b64 v82, v[84:85]
	s_waitcnt lgkmcnt(0)
	; wave barrier
	s_waitcnt lgkmcnt(0)
	s_and_saveexec_b64 s[6:7], vcc
	s_cbranch_execz .LBB38_17
; %bb.16:
	buffer_load_dword v81, v80, s[0:3], 0 offen offset:4
	buffer_load_dword v88, off, s[0:3], 0 offset:8
	s_nop 0
	buffer_load_dword v80, v80, s[0:3], 0 offen
	s_nop 0
	buffer_load_dword v89, off, s[0:3], 0 offset:12
	ds_read_b64 v[90:91], v82
	v_mov_b32_e32 v83, 0
	ds_read2_b64 v[84:87], v83 offset0:2 offset1:41
	s_waitcnt vmcnt(1) lgkmcnt(1)
	v_fma_f64 v[80:81], v[80:81], v[90:91], 0
	s_waitcnt vmcnt(0) lgkmcnt(0)
	v_fma_f64 v[86:87], v[88:89], v[86:87], v[80:81]
	v_cndmask_b32_e64 v81, v81, v87, s[4:5]
	v_cndmask_b32_e64 v80, v80, v86, s[4:5]
	v_mul_f64 v[80:81], v[80:81], v[84:85]
	buffer_store_dword v81, off, s[0:3], 0 offset:20
	buffer_store_dword v80, off, s[0:3], 0 offset:16
.LBB38_17:
	s_or_b64 exec, exec, s[6:7]
	s_waitcnt lgkmcnt(0)
	; wave barrier
	buffer_load_dword v80, off, s[0:3], 0 offset:24
	buffer_load_dword v81, off, s[0:3], 0 offset:28
	v_cmp_gt_u32_e32 vcc, 3, v0
	v_add_u32_e32 v83, -1, v0
	s_waitcnt vmcnt(0)
	ds_write_b64 v82, v[80:81]
	s_waitcnt lgkmcnt(0)
	; wave barrier
	s_waitcnt lgkmcnt(0)
	s_and_saveexec_b64 s[4:5], vcc
	s_cbranch_execz .LBB38_21
; %bb.18:
	v_add_u32_e32 v84, -1, v0
	v_add_u32_e32 v85, 0x140, v1
	v_add_u32_e32 v86, 0, v1
	s_mov_b64 s[6:7], 0
	v_pk_mov_b32 v[80:81], 0, 0
.LBB38_19:                              ; =>This Inner Loop Header: Depth=1
	buffer_load_dword v88, v86, s[0:3], 0 offen
	buffer_load_dword v89, v86, s[0:3], 0 offen offset:4
	ds_read_b64 v[90:91], v85
	v_add_u32_e32 v84, 1, v84
	v_cmp_lt_u32_e32 vcc, 1, v84
	v_add_u32_e32 v85, 8, v85
	v_add_u32_e32 v86, 8, v86
	s_or_b64 s[6:7], vcc, s[6:7]
	s_waitcnt vmcnt(0) lgkmcnt(0)
	v_fmac_f64_e32 v[80:81], v[88:89], v[90:91]
	s_andn2_b64 exec, exec, s[6:7]
	s_cbranch_execnz .LBB38_19
; %bb.20:
	s_or_b64 exec, exec, s[6:7]
	v_mov_b32_e32 v84, 0
	ds_read_b64 v[84:85], v84 offset:24
	s_waitcnt lgkmcnt(0)
	v_mul_f64 v[80:81], v[80:81], v[84:85]
	buffer_store_dword v81, off, s[0:3], 0 offset:28
	buffer_store_dword v80, off, s[0:3], 0 offset:24
.LBB38_21:
	s_or_b64 exec, exec, s[4:5]
	s_waitcnt lgkmcnt(0)
	; wave barrier
	buffer_load_dword v80, off, s[0:3], 0 offset:32
	buffer_load_dword v81, off, s[0:3], 0 offset:36
	v_cmp_gt_u32_e32 vcc, 4, v0
	s_waitcnt vmcnt(0)
	ds_write_b64 v82, v[80:81]
	s_waitcnt lgkmcnt(0)
	; wave barrier
	s_waitcnt lgkmcnt(0)
	s_and_saveexec_b64 s[4:5], vcc
	s_cbranch_execz .LBB38_25
; %bb.22:
	v_add_u32_e32 v84, -1, v0
	v_add_u32_e32 v85, 0x140, v1
	v_add_u32_e32 v86, 0, v1
	s_mov_b64 s[6:7], 0
	v_pk_mov_b32 v[80:81], 0, 0
.LBB38_23:                              ; =>This Inner Loop Header: Depth=1
	buffer_load_dword v88, v86, s[0:3], 0 offen
	buffer_load_dword v89, v86, s[0:3], 0 offen offset:4
	ds_read_b64 v[90:91], v85
	v_add_u32_e32 v84, 1, v84
	v_cmp_lt_u32_e32 vcc, 2, v84
	v_add_u32_e32 v85, 8, v85
	v_add_u32_e32 v86, 8, v86
	s_or_b64 s[6:7], vcc, s[6:7]
	s_waitcnt vmcnt(0) lgkmcnt(0)
	v_fmac_f64_e32 v[80:81], v[88:89], v[90:91]
	s_andn2_b64 exec, exec, s[6:7]
	s_cbranch_execnz .LBB38_23
; %bb.24:
	s_or_b64 exec, exec, s[6:7]
	v_mov_b32_e32 v84, 0
	ds_read_b64 v[84:85], v84 offset:32
	s_waitcnt lgkmcnt(0)
	v_mul_f64 v[80:81], v[80:81], v[84:85]
	buffer_store_dword v81, off, s[0:3], 0 offset:36
	buffer_store_dword v80, off, s[0:3], 0 offset:32
.LBB38_25:
	s_or_b64 exec, exec, s[4:5]
	s_waitcnt lgkmcnt(0)
	; wave barrier
	buffer_load_dword v80, off, s[0:3], 0 offset:40
	buffer_load_dword v81, off, s[0:3], 0 offset:44
	v_cmp_gt_u32_e32 vcc, 5, v0
	;; [unrolled: 41-line block ×21, first 2 shown]
	s_waitcnt vmcnt(0)
	ds_write_b64 v82, v[80:81]
	s_waitcnt lgkmcnt(0)
	; wave barrier
	s_waitcnt lgkmcnt(0)
	s_and_saveexec_b64 s[4:5], vcc
	s_cbranch_execz .LBB38_105
; %bb.102:
	v_add_u32_e32 v84, -1, v0
	v_add_u32_e32 v85, 0x140, v1
	v_add_u32_e32 v86, 0, v1
	s_mov_b64 s[6:7], 0
	v_pk_mov_b32 v[80:81], 0, 0
.LBB38_103:                             ; =>This Inner Loop Header: Depth=1
	buffer_load_dword v88, v86, s[0:3], 0 offen
	buffer_load_dword v89, v86, s[0:3], 0 offen offset:4
	ds_read_b64 v[90:91], v85
	v_add_u32_e32 v84, 1, v84
	v_cmp_lt_u32_e32 vcc, 22, v84
	v_add_u32_e32 v85, 8, v85
	v_add_u32_e32 v86, 8, v86
	s_or_b64 s[6:7], vcc, s[6:7]
	s_waitcnt vmcnt(0) lgkmcnt(0)
	v_fmac_f64_e32 v[80:81], v[88:89], v[90:91]
	s_andn2_b64 exec, exec, s[6:7]
	s_cbranch_execnz .LBB38_103
; %bb.104:
	s_or_b64 exec, exec, s[6:7]
	v_mov_b32_e32 v84, 0
	ds_read_b64 v[84:85], v84 offset:192
	s_waitcnt lgkmcnt(0)
	v_mul_f64 v[80:81], v[80:81], v[84:85]
	buffer_store_dword v81, off, s[0:3], 0 offset:196
	buffer_store_dword v80, off, s[0:3], 0 offset:192
.LBB38_105:
	s_or_b64 exec, exec, s[4:5]
	s_waitcnt lgkmcnt(0)
	; wave barrier
	buffer_load_dword v80, off, s[0:3], 0 offset:200
	buffer_load_dword v81, off, s[0:3], 0 offset:204
	v_cmp_gt_u32_e32 vcc, 25, v0
	s_waitcnt vmcnt(0)
	ds_write_b64 v82, v[80:81]
	s_waitcnt lgkmcnt(0)
	; wave barrier
	s_waitcnt lgkmcnt(0)
	s_and_saveexec_b64 s[4:5], vcc
	s_cbranch_execz .LBB38_109
; %bb.106:
	v_add_u32_e32 v84, -1, v0
	v_add_u32_e32 v85, 0x140, v1
	v_add_u32_e32 v86, 0, v1
	s_mov_b64 s[6:7], 0
	v_pk_mov_b32 v[80:81], 0, 0
.LBB38_107:                             ; =>This Inner Loop Header: Depth=1
	buffer_load_dword v88, v86, s[0:3], 0 offen
	buffer_load_dword v89, v86, s[0:3], 0 offen offset:4
	ds_read_b64 v[90:91], v85
	v_add_u32_e32 v84, 1, v84
	v_cmp_lt_u32_e32 vcc, 23, v84
	v_add_u32_e32 v85, 8, v85
	v_add_u32_e32 v86, 8, v86
	s_or_b64 s[6:7], vcc, s[6:7]
	s_waitcnt vmcnt(0) lgkmcnt(0)
	v_fmac_f64_e32 v[80:81], v[88:89], v[90:91]
	s_andn2_b64 exec, exec, s[6:7]
	s_cbranch_execnz .LBB38_107
; %bb.108:
	s_or_b64 exec, exec, s[6:7]
	v_mov_b32_e32 v84, 0
	ds_read_b64 v[84:85], v84 offset:200
	s_waitcnt lgkmcnt(0)
	v_mul_f64 v[80:81], v[80:81], v[84:85]
	buffer_store_dword v81, off, s[0:3], 0 offset:204
	buffer_store_dword v80, off, s[0:3], 0 offset:200
.LBB38_109:
	s_or_b64 exec, exec, s[4:5]
	s_waitcnt lgkmcnt(0)
	; wave barrier
	buffer_load_dword v80, off, s[0:3], 0 offset:208
	buffer_load_dword v81, off, s[0:3], 0 offset:212
	v_cmp_gt_u32_e32 vcc, 26, v0
	;; [unrolled: 41-line block ×13, first 2 shown]
	s_waitcnt vmcnt(0)
	ds_write_b64 v82, v[80:81]
	s_waitcnt lgkmcnt(0)
	; wave barrier
	s_waitcnt lgkmcnt(0)
	s_and_saveexec_b64 s[4:5], vcc
	s_cbranch_execz .LBB38_157
; %bb.154:
	v_add_u32_e32 v84, -1, v0
	v_add_u32_e32 v85, 0x140, v1
	v_add_u32_e32 v86, 0, v1
	s_mov_b64 s[6:7], 0
	v_pk_mov_b32 v[80:81], 0, 0
.LBB38_155:                             ; =>This Inner Loop Header: Depth=1
	buffer_load_dword v88, v86, s[0:3], 0 offen
	buffer_load_dword v89, v86, s[0:3], 0 offen offset:4
	ds_read_b64 v[90:91], v85
	v_add_u32_e32 v84, 1, v84
	v_cmp_lt_u32_e32 vcc, 35, v84
	v_add_u32_e32 v85, 8, v85
	v_add_u32_e32 v86, 8, v86
	s_or_b64 s[6:7], vcc, s[6:7]
	s_waitcnt vmcnt(0) lgkmcnt(0)
	v_fmac_f64_e32 v[80:81], v[88:89], v[90:91]
	s_andn2_b64 exec, exec, s[6:7]
	s_cbranch_execnz .LBB38_155
; %bb.156:
	s_or_b64 exec, exec, s[6:7]
	v_mov_b32_e32 v84, 0
	ds_read_b64 v[84:85], v84 offset:296
	s_waitcnt lgkmcnt(0)
	v_mul_f64 v[80:81], v[80:81], v[84:85]
	buffer_store_dword v81, off, s[0:3], 0 offset:300
	buffer_store_dword v80, off, s[0:3], 0 offset:296
.LBB38_157:
	s_or_b64 exec, exec, s[4:5]
	s_waitcnt lgkmcnt(0)
	; wave barrier
	buffer_load_dword v80, off, s[0:3], 0 offset:304
	buffer_load_dword v81, off, s[0:3], 0 offset:308
	v_cmp_ne_u32_e32 vcc, 38, v0
	s_waitcnt vmcnt(0)
	ds_write_b64 v82, v[80:81]
	s_waitcnt lgkmcnt(0)
	; wave barrier
	s_waitcnt lgkmcnt(0)
	s_and_saveexec_b64 s[4:5], vcc
	s_cbranch_execz .LBB38_161
; %bb.158:
	v_add_u32_e32 v82, 0x140, v1
	v_add_u32_e32 v1, 0, v1
	s_mov_b64 s[6:7], 0
	v_pk_mov_b32 v[80:81], 0, 0
.LBB38_159:                             ; =>This Inner Loop Header: Depth=1
	buffer_load_dword v84, v1, s[0:3], 0 offen
	buffer_load_dword v85, v1, s[0:3], 0 offen offset:4
	ds_read_b64 v[86:87], v82
	v_add_u32_e32 v83, 1, v83
	v_cmp_lt_u32_e32 vcc, 36, v83
	v_add_u32_e32 v82, 8, v82
	v_add_u32_e32 v1, 8, v1
	s_or_b64 s[6:7], vcc, s[6:7]
	s_waitcnt vmcnt(0) lgkmcnt(0)
	v_fmac_f64_e32 v[80:81], v[84:85], v[86:87]
	s_andn2_b64 exec, exec, s[6:7]
	s_cbranch_execnz .LBB38_159
; %bb.160:
	s_or_b64 exec, exec, s[6:7]
	v_mov_b32_e32 v1, 0
	ds_read_b64 v[82:83], v1 offset:304
	s_waitcnt lgkmcnt(0)
	v_mul_f64 v[80:81], v[80:81], v[82:83]
	buffer_store_dword v81, off, s[0:3], 0 offset:308
	buffer_store_dword v80, off, s[0:3], 0 offset:304
.LBB38_161:
	s_or_b64 exec, exec, s[4:5]
	s_mov_b64 s[6:7], -1
	s_waitcnt lgkmcnt(0)
	; wave barrier
.LBB38_162:
	s_and_b64 vcc, exec, s[6:7]
	s_cbranch_vccz .LBB38_164
; %bb.163:
	s_lshl_b64 s[4:5], s[8:9], 2
	s_add_u32 s4, s14, s4
	s_addc_u32 s5, s15, s5
	v_mov_b32_e32 v1, 0
	global_load_dword v1, v1, s[4:5]
	s_waitcnt vmcnt(0)
	v_cmp_ne_u32_e32 vcc, 0, v1
	s_cbranch_vccz .LBB38_165
.LBB38_164:
	s_endpgm
.LBB38_165:
	v_mov_b32_e32 v1, 0x140
	v_lshl_add_u32 v1, v0, 3, v1
	v_cmp_eq_u32_e32 vcc, 38, v0
	s_and_saveexec_b64 s[4:5], vcc
	s_cbranch_execz .LBB38_167
; %bb.166:
	buffer_load_dword v80, off, s[0:3], 0 offset:296
	buffer_load_dword v81, off, s[0:3], 0 offset:300
	v_mov_b32_e32 v82, 0
	buffer_store_dword v82, off, s[0:3], 0 offset:296
	buffer_store_dword v82, off, s[0:3], 0 offset:300
	s_waitcnt vmcnt(2)
	ds_write_b64 v1, v[80:81]
.LBB38_167:
	s_or_b64 exec, exec, s[4:5]
	s_waitcnt lgkmcnt(0)
	; wave barrier
	s_waitcnt lgkmcnt(0)
	buffer_load_dword v82, off, s[0:3], 0 offset:304
	buffer_load_dword v83, off, s[0:3], 0 offset:308
	;; [unrolled: 1-line block ×4, first 2 shown]
	v_mov_b32_e32 v80, 0
	ds_read_b64 v[86:87], v80 offset:624
	v_cmp_lt_u32_e32 vcc, 36, v0
	s_waitcnt vmcnt(2) lgkmcnt(0)
	v_fma_f64 v[82:83], v[82:83], v[86:87], 0
	s_waitcnt vmcnt(0)
	v_add_f64 v[82:83], v[84:85], -v[82:83]
	buffer_store_dword v82, off, s[0:3], 0 offset:296
	buffer_store_dword v83, off, s[0:3], 0 offset:300
	s_and_saveexec_b64 s[4:5], vcc
	s_cbranch_execz .LBB38_169
; %bb.168:
	buffer_load_dword v82, off, s[0:3], 0 offset:288
	buffer_load_dword v83, off, s[0:3], 0 offset:292
	s_waitcnt vmcnt(0)
	ds_write_b64 v1, v[82:83]
	buffer_store_dword v80, off, s[0:3], 0 offset:288
	buffer_store_dword v80, off, s[0:3], 0 offset:292
.LBB38_169:
	s_or_b64 exec, exec, s[4:5]
	s_waitcnt lgkmcnt(0)
	; wave barrier
	s_waitcnt lgkmcnt(0)
	buffer_load_dword v84, off, s[0:3], 0 offset:296
	buffer_load_dword v85, off, s[0:3], 0 offset:300
	;; [unrolled: 1-line block ×6, first 2 shown]
	ds_read2_b64 v[80:83], v80 offset0:77 offset1:78
	v_cmp_lt_u32_e32 vcc, 35, v0
	s_waitcnt vmcnt(4) lgkmcnt(0)
	v_fma_f64 v[80:81], v[84:85], v[80:81], 0
	s_waitcnt vmcnt(2)
	v_fmac_f64_e32 v[80:81], v[86:87], v[82:83]
	s_waitcnt vmcnt(0)
	v_add_f64 v[80:81], v[88:89], -v[80:81]
	buffer_store_dword v80, off, s[0:3], 0 offset:288
	buffer_store_dword v81, off, s[0:3], 0 offset:292
	s_and_saveexec_b64 s[4:5], vcc
	s_cbranch_execz .LBB38_171
; %bb.170:
	buffer_load_dword v80, off, s[0:3], 0 offset:280
	buffer_load_dword v81, off, s[0:3], 0 offset:284
	v_mov_b32_e32 v82, 0
	buffer_store_dword v82, off, s[0:3], 0 offset:280
	buffer_store_dword v82, off, s[0:3], 0 offset:284
	s_waitcnt vmcnt(2)
	ds_write_b64 v1, v[80:81]
.LBB38_171:
	s_or_b64 exec, exec, s[4:5]
	s_waitcnt lgkmcnt(0)
	; wave barrier
	s_waitcnt lgkmcnt(0)
	buffer_load_dword v86, off, s[0:3], 0 offset:288
	buffer_load_dword v87, off, s[0:3], 0 offset:292
	;; [unrolled: 1-line block ×8, first 2 shown]
	v_mov_b32_e32 v80, 0
	ds_read_b128 v[82:85], v80 offset:608
	ds_read_b64 v[94:95], v80 offset:624
	v_cmp_lt_u32_e32 vcc, 34, v0
	s_waitcnt vmcnt(6) lgkmcnt(1)
	v_fma_f64 v[82:83], v[86:87], v[82:83], 0
	s_waitcnt vmcnt(4)
	v_fmac_f64_e32 v[82:83], v[88:89], v[84:85]
	s_waitcnt vmcnt(2) lgkmcnt(0)
	v_fmac_f64_e32 v[82:83], v[90:91], v[94:95]
	s_waitcnt vmcnt(0)
	v_add_f64 v[82:83], v[92:93], -v[82:83]
	buffer_store_dword v82, off, s[0:3], 0 offset:280
	buffer_store_dword v83, off, s[0:3], 0 offset:284
	s_and_saveexec_b64 s[4:5], vcc
	s_cbranch_execz .LBB38_173
; %bb.172:
	buffer_load_dword v82, off, s[0:3], 0 offset:272
	buffer_load_dword v83, off, s[0:3], 0 offset:276
	s_waitcnt vmcnt(0)
	ds_write_b64 v1, v[82:83]
	buffer_store_dword v80, off, s[0:3], 0 offset:272
	buffer_store_dword v80, off, s[0:3], 0 offset:276
.LBB38_173:
	s_or_b64 exec, exec, s[4:5]
	s_waitcnt lgkmcnt(0)
	; wave barrier
	s_waitcnt lgkmcnt(0)
	buffer_load_dword v90, off, s[0:3], 0 offset:280
	buffer_load_dword v91, off, s[0:3], 0 offset:284
	;; [unrolled: 1-line block ×10, first 2 shown]
	ds_read2_b64 v[82:85], v80 offset0:75 offset1:76
	ds_read2_b64 v[86:89], v80 offset0:77 offset1:78
	v_cmp_lt_u32_e32 vcc, 33, v0
	s_waitcnt vmcnt(8) lgkmcnt(1)
	v_fma_f64 v[80:81], v[90:91], v[82:83], 0
	s_waitcnt vmcnt(6)
	v_fmac_f64_e32 v[80:81], v[92:93], v[84:85]
	s_waitcnt vmcnt(4) lgkmcnt(0)
	v_fmac_f64_e32 v[80:81], v[94:95], v[86:87]
	s_waitcnt vmcnt(2)
	v_fmac_f64_e32 v[80:81], v[96:97], v[88:89]
	s_waitcnt vmcnt(0)
	v_add_f64 v[80:81], v[98:99], -v[80:81]
	buffer_store_dword v80, off, s[0:3], 0 offset:272
	buffer_store_dword v81, off, s[0:3], 0 offset:276
	s_and_saveexec_b64 s[4:5], vcc
	s_cbranch_execz .LBB38_175
; %bb.174:
	buffer_load_dword v80, off, s[0:3], 0 offset:264
	buffer_load_dword v81, off, s[0:3], 0 offset:268
	v_mov_b32_e32 v82, 0
	buffer_store_dword v82, off, s[0:3], 0 offset:264
	buffer_store_dword v82, off, s[0:3], 0 offset:268
	s_waitcnt vmcnt(2)
	ds_write_b64 v1, v[80:81]
.LBB38_175:
	s_or_b64 exec, exec, s[4:5]
	s_waitcnt lgkmcnt(0)
	; wave barrier
	s_waitcnt lgkmcnt(0)
	buffer_load_dword v90, off, s[0:3], 0 offset:272
	buffer_load_dword v91, off, s[0:3], 0 offset:276
	;; [unrolled: 1-line block ×12, first 2 shown]
	v_mov_b32_e32 v80, 0
	ds_read_b128 v[82:85], v80 offset:592
	ds_read_b128 v[86:89], v80 offset:608
	ds_read_b64 v[102:103], v80 offset:624
	v_cmp_lt_u32_e32 vcc, 32, v0
	s_waitcnt vmcnt(10) lgkmcnt(2)
	v_fma_f64 v[82:83], v[90:91], v[82:83], 0
	s_waitcnt vmcnt(8)
	v_fmac_f64_e32 v[82:83], v[92:93], v[84:85]
	s_waitcnt vmcnt(6) lgkmcnt(1)
	v_fmac_f64_e32 v[82:83], v[94:95], v[86:87]
	s_waitcnt vmcnt(4)
	v_fmac_f64_e32 v[82:83], v[96:97], v[88:89]
	s_waitcnt vmcnt(2) lgkmcnt(0)
	v_fmac_f64_e32 v[82:83], v[98:99], v[102:103]
	s_waitcnt vmcnt(0)
	v_add_f64 v[82:83], v[100:101], -v[82:83]
	buffer_store_dword v82, off, s[0:3], 0 offset:264
	buffer_store_dword v83, off, s[0:3], 0 offset:268
	s_and_saveexec_b64 s[4:5], vcc
	s_cbranch_execz .LBB38_177
; %bb.176:
	buffer_load_dword v82, off, s[0:3], 0 offset:256
	buffer_load_dword v83, off, s[0:3], 0 offset:260
	s_waitcnt vmcnt(0)
	ds_write_b64 v1, v[82:83]
	buffer_store_dword v80, off, s[0:3], 0 offset:256
	buffer_store_dword v80, off, s[0:3], 0 offset:260
.LBB38_177:
	s_or_b64 exec, exec, s[4:5]
	s_waitcnt lgkmcnt(0)
	; wave barrier
	s_waitcnt lgkmcnt(0)
	buffer_load_dword v94, off, s[0:3], 0 offset:264
	buffer_load_dword v95, off, s[0:3], 0 offset:268
	;; [unrolled: 1-line block ×14, first 2 shown]
	ds_read2_b64 v[82:85], v80 offset0:73 offset1:74
	ds_read2_b64 v[86:89], v80 offset0:75 offset1:76
	;; [unrolled: 1-line block ×3, first 2 shown]
	v_cmp_lt_u32_e32 vcc, 31, v0
	s_waitcnt vmcnt(12) lgkmcnt(2)
	v_fma_f64 v[80:81], v[94:95], v[82:83], 0
	s_waitcnt vmcnt(10)
	v_fmac_f64_e32 v[80:81], v[96:97], v[84:85]
	s_waitcnt vmcnt(8) lgkmcnt(1)
	v_fmac_f64_e32 v[80:81], v[98:99], v[86:87]
	s_waitcnt vmcnt(6)
	v_fmac_f64_e32 v[80:81], v[100:101], v[88:89]
	s_waitcnt vmcnt(4) lgkmcnt(0)
	v_fmac_f64_e32 v[80:81], v[102:103], v[90:91]
	s_waitcnt vmcnt(2)
	v_fmac_f64_e32 v[80:81], v[104:105], v[92:93]
	s_waitcnt vmcnt(0)
	v_add_f64 v[80:81], v[106:107], -v[80:81]
	buffer_store_dword v80, off, s[0:3], 0 offset:256
	buffer_store_dword v81, off, s[0:3], 0 offset:260
	s_and_saveexec_b64 s[4:5], vcc
	s_cbranch_execz .LBB38_179
; %bb.178:
	buffer_load_dword v80, off, s[0:3], 0 offset:248
	buffer_load_dword v81, off, s[0:3], 0 offset:252
	v_mov_b32_e32 v82, 0
	buffer_store_dword v82, off, s[0:3], 0 offset:248
	buffer_store_dword v82, off, s[0:3], 0 offset:252
	s_waitcnt vmcnt(2)
	ds_write_b64 v1, v[80:81]
.LBB38_179:
	s_or_b64 exec, exec, s[4:5]
	s_waitcnt lgkmcnt(0)
	; wave barrier
	s_waitcnt lgkmcnt(0)
	buffer_load_dword v94, off, s[0:3], 0 offset:256
	buffer_load_dword v95, off, s[0:3], 0 offset:260
	;; [unrolled: 1-line block ×16, first 2 shown]
	v_mov_b32_e32 v80, 0
	ds_read_b128 v[82:85], v80 offset:576
	ds_read_b128 v[86:89], v80 offset:592
	;; [unrolled: 1-line block ×3, first 2 shown]
	ds_read_b64 v[110:111], v80 offset:624
	v_cmp_lt_u32_e32 vcc, 30, v0
	s_waitcnt vmcnt(14) lgkmcnt(3)
	v_fma_f64 v[82:83], v[94:95], v[82:83], 0
	s_waitcnt vmcnt(12)
	v_fmac_f64_e32 v[82:83], v[96:97], v[84:85]
	s_waitcnt vmcnt(10) lgkmcnt(2)
	v_fmac_f64_e32 v[82:83], v[98:99], v[86:87]
	s_waitcnt vmcnt(8)
	v_fmac_f64_e32 v[82:83], v[100:101], v[88:89]
	s_waitcnt vmcnt(6) lgkmcnt(1)
	v_fmac_f64_e32 v[82:83], v[102:103], v[90:91]
	;; [unrolled: 4-line block ×3, first 2 shown]
	s_waitcnt vmcnt(0)
	v_add_f64 v[82:83], v[108:109], -v[82:83]
	buffer_store_dword v82, off, s[0:3], 0 offset:248
	buffer_store_dword v83, off, s[0:3], 0 offset:252
	s_and_saveexec_b64 s[4:5], vcc
	s_cbranch_execz .LBB38_181
; %bb.180:
	buffer_load_dword v82, off, s[0:3], 0 offset:240
	buffer_load_dword v83, off, s[0:3], 0 offset:244
	s_waitcnt vmcnt(0)
	ds_write_b64 v1, v[82:83]
	buffer_store_dword v80, off, s[0:3], 0 offset:240
	buffer_store_dword v80, off, s[0:3], 0 offset:244
.LBB38_181:
	s_or_b64 exec, exec, s[4:5]
	s_waitcnt lgkmcnt(0)
	; wave barrier
	s_waitcnt lgkmcnt(0)
	buffer_load_dword v98, off, s[0:3], 0 offset:248
	buffer_load_dword v99, off, s[0:3], 0 offset:252
	;; [unrolled: 1-line block ×18, first 2 shown]
	ds_read2_b64 v[82:85], v80 offset0:71 offset1:72
	ds_read2_b64 v[86:89], v80 offset0:73 offset1:74
	ds_read2_b64 v[90:93], v80 offset0:75 offset1:76
	ds_read2_b64 v[94:97], v80 offset0:77 offset1:78
	v_cmp_lt_u32_e32 vcc, 29, v0
	s_waitcnt vmcnt(16) lgkmcnt(3)
	v_fma_f64 v[80:81], v[98:99], v[82:83], 0
	s_waitcnt vmcnt(14)
	v_fmac_f64_e32 v[80:81], v[100:101], v[84:85]
	s_waitcnt vmcnt(12) lgkmcnt(2)
	v_fmac_f64_e32 v[80:81], v[102:103], v[86:87]
	s_waitcnt vmcnt(10)
	v_fmac_f64_e32 v[80:81], v[104:105], v[88:89]
	s_waitcnt vmcnt(8) lgkmcnt(1)
	v_fmac_f64_e32 v[80:81], v[106:107], v[90:91]
	;; [unrolled: 4-line block ×3, first 2 shown]
	s_waitcnt vmcnt(2)
	v_fmac_f64_e32 v[80:81], v[112:113], v[96:97]
	s_waitcnt vmcnt(0)
	v_add_f64 v[80:81], v[114:115], -v[80:81]
	buffer_store_dword v80, off, s[0:3], 0 offset:240
	buffer_store_dword v81, off, s[0:3], 0 offset:244
	s_and_saveexec_b64 s[4:5], vcc
	s_cbranch_execz .LBB38_183
; %bb.182:
	buffer_load_dword v80, off, s[0:3], 0 offset:232
	buffer_load_dword v81, off, s[0:3], 0 offset:236
	v_mov_b32_e32 v82, 0
	buffer_store_dword v82, off, s[0:3], 0 offset:232
	buffer_store_dword v82, off, s[0:3], 0 offset:236
	s_waitcnt vmcnt(2)
	ds_write_b64 v1, v[80:81]
.LBB38_183:
	s_or_b64 exec, exec, s[4:5]
	s_waitcnt lgkmcnt(0)
	; wave barrier
	s_waitcnt lgkmcnt(0)
	buffer_load_dword v98, off, s[0:3], 0 offset:240
	buffer_load_dword v99, off, s[0:3], 0 offset:244
	;; [unrolled: 1-line block ×20, first 2 shown]
	v_mov_b32_e32 v80, 0
	ds_read_b128 v[82:85], v80 offset:560
	ds_read_b128 v[86:89], v80 offset:576
	;; [unrolled: 1-line block ×4, first 2 shown]
	ds_read_b64 v[118:119], v80 offset:624
	v_cmp_lt_u32_e32 vcc, 28, v0
	s_waitcnt vmcnt(18) lgkmcnt(4)
	v_fma_f64 v[82:83], v[98:99], v[82:83], 0
	s_waitcnt vmcnt(16)
	v_fmac_f64_e32 v[82:83], v[100:101], v[84:85]
	s_waitcnt vmcnt(14) lgkmcnt(3)
	v_fmac_f64_e32 v[82:83], v[102:103], v[86:87]
	s_waitcnt vmcnt(12)
	v_fmac_f64_e32 v[82:83], v[104:105], v[88:89]
	s_waitcnt vmcnt(10) lgkmcnt(2)
	v_fmac_f64_e32 v[82:83], v[106:107], v[90:91]
	;; [unrolled: 4-line block ×3, first 2 shown]
	s_waitcnt vmcnt(2)
	v_fmac_f64_e32 v[82:83], v[114:115], v[96:97]
	s_waitcnt lgkmcnt(0)
	v_fmac_f64_e32 v[82:83], v[112:113], v[118:119]
	s_waitcnt vmcnt(0)
	v_add_f64 v[82:83], v[116:117], -v[82:83]
	buffer_store_dword v82, off, s[0:3], 0 offset:232
	buffer_store_dword v83, off, s[0:3], 0 offset:236
	s_and_saveexec_b64 s[4:5], vcc
	s_cbranch_execz .LBB38_185
; %bb.184:
	buffer_load_dword v82, off, s[0:3], 0 offset:224
	buffer_load_dword v83, off, s[0:3], 0 offset:228
	s_waitcnt vmcnt(0)
	ds_write_b64 v1, v[82:83]
	buffer_store_dword v80, off, s[0:3], 0 offset:224
	buffer_store_dword v80, off, s[0:3], 0 offset:228
.LBB38_185:
	s_or_b64 exec, exec, s[4:5]
	s_waitcnt lgkmcnt(0)
	; wave barrier
	s_waitcnt lgkmcnt(0)
	buffer_load_dword v102, off, s[0:3], 0 offset:232
	buffer_load_dword v103, off, s[0:3], 0 offset:236
	;; [unrolled: 1-line block ×22, first 2 shown]
	ds_read2_b64 v[82:85], v80 offset0:69 offset1:70
	ds_read2_b64 v[86:89], v80 offset0:71 offset1:72
	;; [unrolled: 1-line block ×5, first 2 shown]
	v_cmp_lt_u32_e32 vcc, 27, v0
	s_waitcnt vmcnt(20) lgkmcnt(4)
	v_fma_f64 v[80:81], v[102:103], v[82:83], 0
	s_waitcnt vmcnt(18)
	v_fmac_f64_e32 v[80:81], v[104:105], v[84:85]
	s_waitcnt vmcnt(16) lgkmcnt(3)
	v_fmac_f64_e32 v[80:81], v[106:107], v[86:87]
	s_waitcnt vmcnt(14)
	v_fmac_f64_e32 v[80:81], v[108:109], v[88:89]
	s_waitcnt vmcnt(12) lgkmcnt(2)
	v_fmac_f64_e32 v[80:81], v[110:111], v[90:91]
	;; [unrolled: 4-line block ×3, first 2 shown]
	s_waitcnt vmcnt(3)
	v_fmac_f64_e32 v[80:81], v[120:121], v[96:97]
	s_waitcnt lgkmcnt(0)
	v_fmac_f64_e32 v[80:81], v[118:119], v[98:99]
	s_waitcnt vmcnt(2)
	v_fmac_f64_e32 v[80:81], v[116:117], v[100:101]
	s_waitcnt vmcnt(0)
	v_add_f64 v[80:81], v[122:123], -v[80:81]
	buffer_store_dword v80, off, s[0:3], 0 offset:224
	buffer_store_dword v81, off, s[0:3], 0 offset:228
	s_and_saveexec_b64 s[4:5], vcc
	s_cbranch_execz .LBB38_187
; %bb.186:
	buffer_load_dword v80, off, s[0:3], 0 offset:216
	buffer_load_dword v81, off, s[0:3], 0 offset:220
	v_mov_b32_e32 v82, 0
	buffer_store_dword v82, off, s[0:3], 0 offset:216
	buffer_store_dword v82, off, s[0:3], 0 offset:220
	s_waitcnt vmcnt(2)
	ds_write_b64 v1, v[80:81]
.LBB38_187:
	s_or_b64 exec, exec, s[4:5]
	s_waitcnt lgkmcnt(0)
	; wave barrier
	s_waitcnt lgkmcnt(0)
	buffer_load_dword v98, off, s[0:3], 0 offset:216
	buffer_load_dword v99, off, s[0:3], 0 offset:220
	;; [unrolled: 1-line block ×16, first 2 shown]
	v_mov_b32_e32 v80, 0
	ds_read_b128 v[82:85], v80 offset:544
	ds_read_b128 v[86:89], v80 offset:560
	;; [unrolled: 1-line block ×4, first 2 shown]
	v_cmp_lt_u32_e32 vcc, 26, v0
	s_waitcnt vmcnt(12) lgkmcnt(3)
	v_fma_f64 v[100:101], v[100:101], v[82:83], 0
	buffer_load_dword v83, off, s[0:3], 0 offset:284
	buffer_load_dword v82, off, s[0:3], 0 offset:280
	s_waitcnt vmcnt(12)
	v_fmac_f64_e32 v[100:101], v[102:103], v[84:85]
	s_waitcnt vmcnt(10) lgkmcnt(2)
	v_fmac_f64_e32 v[100:101], v[104:105], v[86:87]
	buffer_load_dword v87, off, s[0:3], 0 offset:292
	buffer_load_dword v86, off, s[0:3], 0 offset:288
	s_waitcnt vmcnt(10)
	v_fmac_f64_e32 v[100:101], v[106:107], v[88:89]
	s_waitcnt vmcnt(8) lgkmcnt(1)
	v_fmac_f64_e32 v[100:101], v[108:109], v[90:91]
	s_waitcnt vmcnt(6)
	v_fmac_f64_e32 v[100:101], v[110:111], v[92:93]
	s_waitcnt vmcnt(4) lgkmcnt(0)
	v_fmac_f64_e32 v[100:101], v[112:113], v[94:95]
	s_waitcnt vmcnt(2)
	v_fmac_f64_e32 v[100:101], v[82:83], v[96:97]
	ds_read_b128 v[82:85], v80 offset:608
	s_waitcnt vmcnt(0) lgkmcnt(0)
	v_fmac_f64_e32 v[100:101], v[86:87], v[82:83]
	buffer_load_dword v83, off, s[0:3], 0 offset:300
	buffer_load_dword v82, off, s[0:3], 0 offset:296
	s_waitcnt vmcnt(0)
	v_fmac_f64_e32 v[100:101], v[82:83], v[84:85]
	buffer_load_dword v83, off, s[0:3], 0 offset:308
	buffer_load_dword v82, off, s[0:3], 0 offset:304
	ds_read_b64 v[84:85], v80 offset:624
	s_waitcnt vmcnt(0) lgkmcnt(0)
	v_fmac_f64_e32 v[100:101], v[82:83], v[84:85]
	v_add_f64 v[82:83], v[98:99], -v[100:101]
	buffer_store_dword v83, off, s[0:3], 0 offset:220
	buffer_store_dword v82, off, s[0:3], 0 offset:216
	s_and_saveexec_b64 s[4:5], vcc
	s_cbranch_execz .LBB38_189
; %bb.188:
	buffer_load_dword v82, off, s[0:3], 0 offset:208
	buffer_load_dword v83, off, s[0:3], 0 offset:212
	s_waitcnt vmcnt(0)
	ds_write_b64 v1, v[82:83]
	buffer_store_dword v80, off, s[0:3], 0 offset:208
	buffer_store_dword v80, off, s[0:3], 0 offset:212
.LBB38_189:
	s_or_b64 exec, exec, s[4:5]
	s_waitcnt lgkmcnt(0)
	; wave barrier
	s_waitcnt lgkmcnt(0)
	buffer_load_dword v86, off, s[0:3], 0 offset:208
	buffer_load_dword v87, off, s[0:3], 0 offset:212
	;; [unrolled: 1-line block ×16, first 2 shown]
	ds_read2_b64 v[82:85], v80 offset0:67 offset1:68
	v_cmp_lt_u32_e32 vcc, 25, v0
	s_waitcnt vmcnt(12) lgkmcnt(0)
	v_fma_f64 v[88:89], v[88:89], v[82:83], 0
	s_waitcnt vmcnt(10)
	v_fmac_f64_e32 v[88:89], v[90:91], v[84:85]
	ds_read2_b64 v[82:85], v80 offset0:69 offset1:70
	s_waitcnt vmcnt(8) lgkmcnt(0)
	v_fmac_f64_e32 v[88:89], v[92:93], v[82:83]
	s_waitcnt vmcnt(6)
	v_fmac_f64_e32 v[88:89], v[94:95], v[84:85]
	ds_read2_b64 v[82:85], v80 offset0:71 offset1:72
	s_waitcnt vmcnt(4) lgkmcnt(0)
	v_fmac_f64_e32 v[88:89], v[96:97], v[82:83]
	;; [unrolled: 5-line block ×3, first 2 shown]
	buffer_load_dword v83, off, s[0:3], 0 offset:276
	buffer_load_dword v82, off, s[0:3], 0 offset:272
	;; [unrolled: 1-line block ×4, first 2 shown]
	s_waitcnt vmcnt(2)
	v_fmac_f64_e32 v[88:89], v[82:83], v[84:85]
	ds_read2_b64 v[82:85], v80 offset0:75 offset1:76
	s_waitcnt vmcnt(0) lgkmcnt(0)
	v_fmac_f64_e32 v[88:89], v[90:91], v[82:83]
	buffer_load_dword v83, off, s[0:3], 0 offset:292
	buffer_load_dword v82, off, s[0:3], 0 offset:288
	s_waitcnt vmcnt(0)
	v_fmac_f64_e32 v[88:89], v[82:83], v[84:85]
	buffer_load_dword v85, off, s[0:3], 0 offset:300
	buffer_load_dword v84, off, s[0:3], 0 offset:296
	ds_read2_b64 v[80:83], v80 offset0:77 offset1:78
	s_waitcnt vmcnt(0) lgkmcnt(0)
	v_fmac_f64_e32 v[88:89], v[84:85], v[80:81]
	buffer_load_dword v81, off, s[0:3], 0 offset:308
	buffer_load_dword v80, off, s[0:3], 0 offset:304
	s_waitcnt vmcnt(0)
	v_fmac_f64_e32 v[88:89], v[80:81], v[82:83]
	v_add_f64 v[80:81], v[86:87], -v[88:89]
	buffer_store_dword v81, off, s[0:3], 0 offset:212
	buffer_store_dword v80, off, s[0:3], 0 offset:208
	s_and_saveexec_b64 s[4:5], vcc
	s_cbranch_execz .LBB38_191
; %bb.190:
	buffer_load_dword v80, off, s[0:3], 0 offset:200
	buffer_load_dword v81, off, s[0:3], 0 offset:204
	v_mov_b32_e32 v82, 0
	buffer_store_dword v82, off, s[0:3], 0 offset:200
	buffer_store_dword v82, off, s[0:3], 0 offset:204
	s_waitcnt vmcnt(2)
	ds_write_b64 v1, v[80:81]
.LBB38_191:
	s_or_b64 exec, exec, s[4:5]
	s_waitcnt lgkmcnt(0)
	; wave barrier
	s_waitcnt lgkmcnt(0)
	buffer_load_dword v98, off, s[0:3], 0 offset:200
	buffer_load_dword v99, off, s[0:3], 0 offset:204
	;; [unrolled: 1-line block ×16, first 2 shown]
	v_mov_b32_e32 v80, 0
	ds_read_b128 v[82:85], v80 offset:528
	ds_read_b128 v[86:89], v80 offset:544
	;; [unrolled: 1-line block ×4, first 2 shown]
	v_cmp_lt_u32_e32 vcc, 24, v0
	s_waitcnt vmcnt(12) lgkmcnt(3)
	v_fma_f64 v[100:101], v[100:101], v[82:83], 0
	buffer_load_dword v83, off, s[0:3], 0 offset:268
	buffer_load_dword v82, off, s[0:3], 0 offset:264
	s_waitcnt vmcnt(12)
	v_fmac_f64_e32 v[100:101], v[102:103], v[84:85]
	s_waitcnt vmcnt(10) lgkmcnt(2)
	v_fmac_f64_e32 v[100:101], v[104:105], v[86:87]
	buffer_load_dword v87, off, s[0:3], 0 offset:276
	buffer_load_dword v86, off, s[0:3], 0 offset:272
	s_waitcnt vmcnt(10)
	v_fmac_f64_e32 v[100:101], v[106:107], v[88:89]
	s_waitcnt vmcnt(8) lgkmcnt(1)
	v_fmac_f64_e32 v[100:101], v[108:109], v[90:91]
	s_waitcnt vmcnt(6)
	v_fmac_f64_e32 v[100:101], v[110:111], v[92:93]
	s_waitcnt vmcnt(4) lgkmcnt(0)
	v_fmac_f64_e32 v[100:101], v[112:113], v[94:95]
	s_waitcnt vmcnt(2)
	v_fmac_f64_e32 v[100:101], v[82:83], v[96:97]
	ds_read_b128 v[82:85], v80 offset:592
	s_waitcnt vmcnt(0) lgkmcnt(0)
	v_fmac_f64_e32 v[100:101], v[86:87], v[82:83]
	buffer_load_dword v83, off, s[0:3], 0 offset:284
	buffer_load_dword v82, off, s[0:3], 0 offset:280
	;; [unrolled: 1-line block ×4, first 2 shown]
	s_waitcnt vmcnt(2)
	v_fmac_f64_e32 v[100:101], v[82:83], v[84:85]
	ds_read_b128 v[82:85], v80 offset:608
	s_waitcnt vmcnt(0) lgkmcnt(0)
	v_fmac_f64_e32 v[100:101], v[86:87], v[82:83]
	buffer_load_dword v83, off, s[0:3], 0 offset:300
	buffer_load_dword v82, off, s[0:3], 0 offset:296
	s_waitcnt vmcnt(0)
	v_fmac_f64_e32 v[100:101], v[82:83], v[84:85]
	buffer_load_dword v83, off, s[0:3], 0 offset:308
	buffer_load_dword v82, off, s[0:3], 0 offset:304
	ds_read_b64 v[84:85], v80 offset:624
	s_waitcnt vmcnt(0) lgkmcnt(0)
	v_fmac_f64_e32 v[100:101], v[82:83], v[84:85]
	v_add_f64 v[82:83], v[98:99], -v[100:101]
	buffer_store_dword v83, off, s[0:3], 0 offset:204
	buffer_store_dword v82, off, s[0:3], 0 offset:200
	s_and_saveexec_b64 s[4:5], vcc
	s_cbranch_execz .LBB38_193
; %bb.192:
	buffer_load_dword v82, off, s[0:3], 0 offset:192
	buffer_load_dword v83, off, s[0:3], 0 offset:196
	s_waitcnt vmcnt(0)
	ds_write_b64 v1, v[82:83]
	buffer_store_dword v80, off, s[0:3], 0 offset:192
	buffer_store_dword v80, off, s[0:3], 0 offset:196
.LBB38_193:
	s_or_b64 exec, exec, s[4:5]
	s_waitcnt lgkmcnt(0)
	; wave barrier
	s_waitcnt lgkmcnt(0)
	buffer_load_dword v86, off, s[0:3], 0 offset:192
	buffer_load_dword v87, off, s[0:3], 0 offset:196
	;; [unrolled: 1-line block ×16, first 2 shown]
	ds_read2_b64 v[82:85], v80 offset0:65 offset1:66
	v_cmp_lt_u32_e32 vcc, 23, v0
	s_waitcnt vmcnt(12) lgkmcnt(0)
	v_fma_f64 v[88:89], v[88:89], v[82:83], 0
	s_waitcnt vmcnt(10)
	v_fmac_f64_e32 v[88:89], v[90:91], v[84:85]
	ds_read2_b64 v[82:85], v80 offset0:67 offset1:68
	s_waitcnt vmcnt(8) lgkmcnt(0)
	v_fmac_f64_e32 v[88:89], v[92:93], v[82:83]
	s_waitcnt vmcnt(6)
	v_fmac_f64_e32 v[88:89], v[94:95], v[84:85]
	ds_read2_b64 v[82:85], v80 offset0:69 offset1:70
	s_waitcnt vmcnt(4) lgkmcnt(0)
	v_fmac_f64_e32 v[88:89], v[96:97], v[82:83]
	;; [unrolled: 5-line block ×3, first 2 shown]
	buffer_load_dword v83, off, s[0:3], 0 offset:260
	buffer_load_dword v82, off, s[0:3], 0 offset:256
	;; [unrolled: 1-line block ×4, first 2 shown]
	s_waitcnt vmcnt(2)
	v_fmac_f64_e32 v[88:89], v[82:83], v[84:85]
	ds_read2_b64 v[82:85], v80 offset0:73 offset1:74
	s_waitcnt vmcnt(0) lgkmcnt(0)
	v_fmac_f64_e32 v[88:89], v[90:91], v[82:83]
	buffer_load_dword v83, off, s[0:3], 0 offset:276
	buffer_load_dword v82, off, s[0:3], 0 offset:272
	;; [unrolled: 1-line block ×4, first 2 shown]
	s_waitcnt vmcnt(2)
	v_fmac_f64_e32 v[88:89], v[82:83], v[84:85]
	ds_read2_b64 v[82:85], v80 offset0:75 offset1:76
	s_waitcnt vmcnt(0) lgkmcnt(0)
	v_fmac_f64_e32 v[88:89], v[90:91], v[82:83]
	buffer_load_dword v83, off, s[0:3], 0 offset:292
	buffer_load_dword v82, off, s[0:3], 0 offset:288
	s_waitcnt vmcnt(0)
	v_fmac_f64_e32 v[88:89], v[82:83], v[84:85]
	buffer_load_dword v85, off, s[0:3], 0 offset:300
	buffer_load_dword v84, off, s[0:3], 0 offset:296
	ds_read2_b64 v[80:83], v80 offset0:77 offset1:78
	s_waitcnt vmcnt(0) lgkmcnt(0)
	v_fmac_f64_e32 v[88:89], v[84:85], v[80:81]
	buffer_load_dword v81, off, s[0:3], 0 offset:308
	buffer_load_dword v80, off, s[0:3], 0 offset:304
	s_waitcnt vmcnt(0)
	v_fmac_f64_e32 v[88:89], v[80:81], v[82:83]
	v_add_f64 v[80:81], v[86:87], -v[88:89]
	buffer_store_dword v81, off, s[0:3], 0 offset:196
	buffer_store_dword v80, off, s[0:3], 0 offset:192
	s_and_saveexec_b64 s[4:5], vcc
	s_cbranch_execz .LBB38_195
; %bb.194:
	buffer_load_dword v80, off, s[0:3], 0 offset:184
	buffer_load_dword v81, off, s[0:3], 0 offset:188
	v_mov_b32_e32 v82, 0
	buffer_store_dword v82, off, s[0:3], 0 offset:184
	buffer_store_dword v82, off, s[0:3], 0 offset:188
	s_waitcnt vmcnt(2)
	ds_write_b64 v1, v[80:81]
.LBB38_195:
	s_or_b64 exec, exec, s[4:5]
	s_waitcnt lgkmcnt(0)
	; wave barrier
	s_waitcnt lgkmcnt(0)
	buffer_load_dword v98, off, s[0:3], 0 offset:184
	buffer_load_dword v99, off, s[0:3], 0 offset:188
	;; [unrolled: 1-line block ×16, first 2 shown]
	v_mov_b32_e32 v80, 0
	ds_read_b128 v[82:85], v80 offset:512
	ds_read_b128 v[86:89], v80 offset:528
	;; [unrolled: 1-line block ×4, first 2 shown]
	v_cmp_lt_u32_e32 vcc, 22, v0
	s_waitcnt vmcnt(12) lgkmcnt(3)
	v_fma_f64 v[100:101], v[100:101], v[82:83], 0
	buffer_load_dword v83, off, s[0:3], 0 offset:252
	buffer_load_dword v82, off, s[0:3], 0 offset:248
	s_waitcnt vmcnt(12)
	v_fmac_f64_e32 v[100:101], v[102:103], v[84:85]
	s_waitcnt vmcnt(10) lgkmcnt(2)
	v_fmac_f64_e32 v[100:101], v[104:105], v[86:87]
	buffer_load_dword v87, off, s[0:3], 0 offset:260
	buffer_load_dword v86, off, s[0:3], 0 offset:256
	s_waitcnt vmcnt(10)
	v_fmac_f64_e32 v[100:101], v[106:107], v[88:89]
	s_waitcnt vmcnt(8) lgkmcnt(1)
	v_fmac_f64_e32 v[100:101], v[108:109], v[90:91]
	s_waitcnt vmcnt(6)
	v_fmac_f64_e32 v[100:101], v[110:111], v[92:93]
	s_waitcnt vmcnt(4) lgkmcnt(0)
	v_fmac_f64_e32 v[100:101], v[112:113], v[94:95]
	s_waitcnt vmcnt(2)
	v_fmac_f64_e32 v[100:101], v[82:83], v[96:97]
	ds_read_b128 v[82:85], v80 offset:576
	s_waitcnt vmcnt(0) lgkmcnt(0)
	v_fmac_f64_e32 v[100:101], v[86:87], v[82:83]
	buffer_load_dword v83, off, s[0:3], 0 offset:268
	buffer_load_dword v82, off, s[0:3], 0 offset:264
	buffer_load_dword v87, off, s[0:3], 0 offset:276
	buffer_load_dword v86, off, s[0:3], 0 offset:272
	s_waitcnt vmcnt(2)
	v_fmac_f64_e32 v[100:101], v[82:83], v[84:85]
	ds_read_b128 v[82:85], v80 offset:592
	s_waitcnt vmcnt(0) lgkmcnt(0)
	v_fmac_f64_e32 v[100:101], v[86:87], v[82:83]
	buffer_load_dword v83, off, s[0:3], 0 offset:284
	buffer_load_dword v82, off, s[0:3], 0 offset:280
	;; [unrolled: 1-line block ×4, first 2 shown]
	s_waitcnt vmcnt(2)
	v_fmac_f64_e32 v[100:101], v[82:83], v[84:85]
	ds_read_b128 v[82:85], v80 offset:608
	s_waitcnt vmcnt(0) lgkmcnt(0)
	v_fmac_f64_e32 v[100:101], v[86:87], v[82:83]
	buffer_load_dword v83, off, s[0:3], 0 offset:300
	buffer_load_dword v82, off, s[0:3], 0 offset:296
	s_waitcnt vmcnt(0)
	v_fmac_f64_e32 v[100:101], v[82:83], v[84:85]
	buffer_load_dword v83, off, s[0:3], 0 offset:308
	buffer_load_dword v82, off, s[0:3], 0 offset:304
	ds_read_b64 v[84:85], v80 offset:624
	s_waitcnt vmcnt(0) lgkmcnt(0)
	v_fmac_f64_e32 v[100:101], v[82:83], v[84:85]
	v_add_f64 v[82:83], v[98:99], -v[100:101]
	buffer_store_dword v83, off, s[0:3], 0 offset:188
	buffer_store_dword v82, off, s[0:3], 0 offset:184
	s_and_saveexec_b64 s[4:5], vcc
	s_cbranch_execz .LBB38_197
; %bb.196:
	buffer_load_dword v82, off, s[0:3], 0 offset:176
	buffer_load_dword v83, off, s[0:3], 0 offset:180
	s_waitcnt vmcnt(0)
	ds_write_b64 v1, v[82:83]
	buffer_store_dword v80, off, s[0:3], 0 offset:176
	buffer_store_dword v80, off, s[0:3], 0 offset:180
.LBB38_197:
	s_or_b64 exec, exec, s[4:5]
	s_waitcnt lgkmcnt(0)
	; wave barrier
	s_waitcnt lgkmcnt(0)
	buffer_load_dword v86, off, s[0:3], 0 offset:176
	buffer_load_dword v87, off, s[0:3], 0 offset:180
	;; [unrolled: 1-line block ×16, first 2 shown]
	ds_read2_b64 v[82:85], v80 offset0:63 offset1:64
	v_cmp_lt_u32_e32 vcc, 21, v0
	s_waitcnt vmcnt(12) lgkmcnt(0)
	v_fma_f64 v[88:89], v[88:89], v[82:83], 0
	s_waitcnt vmcnt(10)
	v_fmac_f64_e32 v[88:89], v[90:91], v[84:85]
	ds_read2_b64 v[82:85], v80 offset0:65 offset1:66
	s_waitcnt vmcnt(8) lgkmcnt(0)
	v_fmac_f64_e32 v[88:89], v[92:93], v[82:83]
	s_waitcnt vmcnt(6)
	v_fmac_f64_e32 v[88:89], v[94:95], v[84:85]
	ds_read2_b64 v[82:85], v80 offset0:67 offset1:68
	s_waitcnt vmcnt(4) lgkmcnt(0)
	v_fmac_f64_e32 v[88:89], v[96:97], v[82:83]
	;; [unrolled: 5-line block ×3, first 2 shown]
	buffer_load_dword v83, off, s[0:3], 0 offset:244
	buffer_load_dword v82, off, s[0:3], 0 offset:240
	buffer_load_dword v91, off, s[0:3], 0 offset:252
	buffer_load_dword v90, off, s[0:3], 0 offset:248
	s_waitcnt vmcnt(2)
	v_fmac_f64_e32 v[88:89], v[82:83], v[84:85]
	ds_read2_b64 v[82:85], v80 offset0:71 offset1:72
	s_waitcnt vmcnt(0) lgkmcnt(0)
	v_fmac_f64_e32 v[88:89], v[90:91], v[82:83]
	buffer_load_dword v83, off, s[0:3], 0 offset:260
	buffer_load_dword v82, off, s[0:3], 0 offset:256
	buffer_load_dword v91, off, s[0:3], 0 offset:268
	buffer_load_dword v90, off, s[0:3], 0 offset:264
	s_waitcnt vmcnt(2)
	v_fmac_f64_e32 v[88:89], v[82:83], v[84:85]
	ds_read2_b64 v[82:85], v80 offset0:73 offset1:74
	s_waitcnt vmcnt(0) lgkmcnt(0)
	v_fmac_f64_e32 v[88:89], v[90:91], v[82:83]
	;; [unrolled: 9-line block ×3, first 2 shown]
	buffer_load_dword v83, off, s[0:3], 0 offset:292
	buffer_load_dword v82, off, s[0:3], 0 offset:288
	s_waitcnt vmcnt(0)
	v_fmac_f64_e32 v[88:89], v[82:83], v[84:85]
	buffer_load_dword v85, off, s[0:3], 0 offset:300
	buffer_load_dword v84, off, s[0:3], 0 offset:296
	ds_read2_b64 v[80:83], v80 offset0:77 offset1:78
	s_waitcnt vmcnt(0) lgkmcnt(0)
	v_fmac_f64_e32 v[88:89], v[84:85], v[80:81]
	buffer_load_dword v81, off, s[0:3], 0 offset:308
	buffer_load_dword v80, off, s[0:3], 0 offset:304
	s_waitcnt vmcnt(0)
	v_fmac_f64_e32 v[88:89], v[80:81], v[82:83]
	v_add_f64 v[80:81], v[86:87], -v[88:89]
	buffer_store_dword v81, off, s[0:3], 0 offset:180
	buffer_store_dword v80, off, s[0:3], 0 offset:176
	s_and_saveexec_b64 s[4:5], vcc
	s_cbranch_execz .LBB38_199
; %bb.198:
	buffer_load_dword v80, off, s[0:3], 0 offset:168
	buffer_load_dword v81, off, s[0:3], 0 offset:172
	v_mov_b32_e32 v82, 0
	buffer_store_dword v82, off, s[0:3], 0 offset:168
	buffer_store_dword v82, off, s[0:3], 0 offset:172
	s_waitcnt vmcnt(2)
	ds_write_b64 v1, v[80:81]
.LBB38_199:
	s_or_b64 exec, exec, s[4:5]
	s_waitcnt lgkmcnt(0)
	; wave barrier
	s_waitcnt lgkmcnt(0)
	buffer_load_dword v80, off, s[0:3], 0 offset:168
	buffer_load_dword v81, off, s[0:3], 0 offset:172
	;; [unrolled: 1-line block ×16, first 2 shown]
	v_mov_b32_e32 v84, 0
	ds_read_b128 v[86:89], v84 offset:496
	ds_read_b128 v[90:93], v84 offset:512
	ds_read_b128 v[94:97], v84 offset:528
	ds_read_b128 v[98:101], v84 offset:544
	v_cmp_lt_u32_e32 vcc, 20, v0
	s_waitcnt vmcnt(12) lgkmcnt(3)
	v_fma_f64 v[82:83], v[82:83], v[86:87], 0
	buffer_load_dword v87, off, s[0:3], 0 offset:236
	buffer_load_dword v86, off, s[0:3], 0 offset:232
	s_waitcnt vmcnt(12)
	v_fmac_f64_e32 v[82:83], v[102:103], v[88:89]
	s_waitcnt vmcnt(10) lgkmcnt(2)
	v_fmac_f64_e32 v[82:83], v[104:105], v[90:91]
	buffer_load_dword v91, off, s[0:3], 0 offset:244
	buffer_load_dword v90, off, s[0:3], 0 offset:240
	s_waitcnt vmcnt(10)
	v_fmac_f64_e32 v[82:83], v[106:107], v[92:93]
	s_waitcnt vmcnt(8) lgkmcnt(1)
	v_fmac_f64_e32 v[82:83], v[108:109], v[94:95]
	s_waitcnt vmcnt(6)
	v_fmac_f64_e32 v[82:83], v[110:111], v[96:97]
	s_waitcnt vmcnt(4) lgkmcnt(0)
	v_fmac_f64_e32 v[82:83], v[112:113], v[98:99]
	s_waitcnt vmcnt(2)
	v_fmac_f64_e32 v[82:83], v[86:87], v[100:101]
	ds_read_b128 v[86:89], v84 offset:560
	s_waitcnt vmcnt(0) lgkmcnt(0)
	v_fmac_f64_e32 v[82:83], v[90:91], v[86:87]
	buffer_load_dword v87, off, s[0:3], 0 offset:252
	buffer_load_dword v86, off, s[0:3], 0 offset:248
	buffer_load_dword v91, off, s[0:3], 0 offset:260
	buffer_load_dword v90, off, s[0:3], 0 offset:256
	s_waitcnt vmcnt(2)
	v_fmac_f64_e32 v[82:83], v[86:87], v[88:89]
	ds_read_b128 v[86:89], v84 offset:576
	s_waitcnt vmcnt(0) lgkmcnt(0)
	v_fmac_f64_e32 v[82:83], v[90:91], v[86:87]
	buffer_load_dword v87, off, s[0:3], 0 offset:268
	buffer_load_dword v86, off, s[0:3], 0 offset:264
	buffer_load_dword v91, off, s[0:3], 0 offset:276
	buffer_load_dword v90, off, s[0:3], 0 offset:272
	;; [unrolled: 9-line block ×3, first 2 shown]
	s_waitcnt vmcnt(2)
	v_fmac_f64_e32 v[82:83], v[86:87], v[88:89]
	ds_read_b128 v[86:89], v84 offset:608
	s_waitcnt vmcnt(0) lgkmcnt(0)
	v_fmac_f64_e32 v[82:83], v[90:91], v[86:87]
	buffer_load_dword v87, off, s[0:3], 0 offset:300
	buffer_load_dword v86, off, s[0:3], 0 offset:296
	s_waitcnt vmcnt(0)
	v_fmac_f64_e32 v[82:83], v[86:87], v[88:89]
	buffer_load_dword v87, off, s[0:3], 0 offset:308
	buffer_load_dword v86, off, s[0:3], 0 offset:304
	ds_read_b64 v[88:89], v84 offset:624
	s_waitcnt vmcnt(0) lgkmcnt(0)
	v_fmac_f64_e32 v[82:83], v[86:87], v[88:89]
	v_add_f64 v[80:81], v[80:81], -v[82:83]
	buffer_store_dword v81, off, s[0:3], 0 offset:172
	buffer_store_dword v80, off, s[0:3], 0 offset:168
	s_and_saveexec_b64 s[4:5], vcc
	s_cbranch_execz .LBB38_201
; %bb.200:
	buffer_load_dword v80, off, s[0:3], 0 offset:160
	buffer_load_dword v81, off, s[0:3], 0 offset:164
	s_waitcnt vmcnt(0)
	ds_write_b64 v1, v[80:81]
	buffer_store_dword v84, off, s[0:3], 0 offset:160
	buffer_store_dword v84, off, s[0:3], 0 offset:164
.LBB38_201:
	s_or_b64 exec, exec, s[4:5]
	s_waitcnt lgkmcnt(0)
	; wave barrier
	s_waitcnt lgkmcnt(0)
	buffer_load_dword v80, off, s[0:3], 0 offset:160
	buffer_load_dword v81, off, s[0:3], 0 offset:164
	;; [unrolled: 1-line block ×16, first 2 shown]
	ds_read2_b64 v[86:89], v84 offset0:61 offset1:62
	v_cmp_lt_u32_e32 vcc, 19, v0
	s_waitcnt vmcnt(12) lgkmcnt(0)
	v_fma_f64 v[82:83], v[82:83], v[86:87], 0
	s_waitcnt vmcnt(10)
	v_fmac_f64_e32 v[82:83], v[90:91], v[88:89]
	ds_read2_b64 v[86:89], v84 offset0:63 offset1:64
	s_waitcnt vmcnt(8) lgkmcnt(0)
	v_fmac_f64_e32 v[82:83], v[92:93], v[86:87]
	s_waitcnt vmcnt(6)
	v_fmac_f64_e32 v[82:83], v[94:95], v[88:89]
	ds_read2_b64 v[86:89], v84 offset0:65 offset1:66
	s_waitcnt vmcnt(4) lgkmcnt(0)
	v_fmac_f64_e32 v[82:83], v[96:97], v[86:87]
	;; [unrolled: 5-line block ×3, first 2 shown]
	buffer_load_dword v87, off, s[0:3], 0 offset:228
	buffer_load_dword v86, off, s[0:3], 0 offset:224
	buffer_load_dword v91, off, s[0:3], 0 offset:236
	buffer_load_dword v90, off, s[0:3], 0 offset:232
	s_waitcnt vmcnt(2)
	v_fmac_f64_e32 v[82:83], v[86:87], v[88:89]
	ds_read2_b64 v[86:89], v84 offset0:69 offset1:70
	s_waitcnt vmcnt(0) lgkmcnt(0)
	v_fmac_f64_e32 v[82:83], v[90:91], v[86:87]
	buffer_load_dword v87, off, s[0:3], 0 offset:244
	buffer_load_dword v86, off, s[0:3], 0 offset:240
	buffer_load_dword v91, off, s[0:3], 0 offset:252
	buffer_load_dword v90, off, s[0:3], 0 offset:248
	s_waitcnt vmcnt(2)
	v_fmac_f64_e32 v[82:83], v[86:87], v[88:89]
	ds_read2_b64 v[86:89], v84 offset0:71 offset1:72
	s_waitcnt vmcnt(0) lgkmcnt(0)
	v_fmac_f64_e32 v[82:83], v[90:91], v[86:87]
	;; [unrolled: 9-line block ×4, first 2 shown]
	buffer_load_dword v87, off, s[0:3], 0 offset:292
	buffer_load_dword v86, off, s[0:3], 0 offset:288
	s_waitcnt vmcnt(0)
	v_fmac_f64_e32 v[82:83], v[86:87], v[88:89]
	buffer_load_dword v89, off, s[0:3], 0 offset:300
	buffer_load_dword v88, off, s[0:3], 0 offset:296
	ds_read2_b64 v[84:87], v84 offset0:77 offset1:78
	s_waitcnt vmcnt(0) lgkmcnt(0)
	v_fmac_f64_e32 v[82:83], v[88:89], v[84:85]
	buffer_load_dword v85, off, s[0:3], 0 offset:308
	buffer_load_dword v84, off, s[0:3], 0 offset:304
	s_waitcnt vmcnt(0)
	v_fmac_f64_e32 v[82:83], v[84:85], v[86:87]
	v_add_f64 v[80:81], v[80:81], -v[82:83]
	buffer_store_dword v81, off, s[0:3], 0 offset:164
	buffer_store_dword v80, off, s[0:3], 0 offset:160
	s_and_saveexec_b64 s[4:5], vcc
	s_cbranch_execz .LBB38_203
; %bb.202:
	buffer_load_dword v80, off, s[0:3], 0 offset:152
	buffer_load_dword v81, off, s[0:3], 0 offset:156
	v_mov_b32_e32 v82, 0
	buffer_store_dword v82, off, s[0:3], 0 offset:152
	buffer_store_dword v82, off, s[0:3], 0 offset:156
	s_waitcnt vmcnt(2)
	ds_write_b64 v1, v[80:81]
.LBB38_203:
	s_or_b64 exec, exec, s[4:5]
	s_waitcnt lgkmcnt(0)
	; wave barrier
	s_waitcnt lgkmcnt(0)
	buffer_load_dword v80, off, s[0:3], 0 offset:152
	buffer_load_dword v81, off, s[0:3], 0 offset:156
	buffer_load_dword v82, off, s[0:3], 0 offset:160
	buffer_load_dword v83, off, s[0:3], 0 offset:164
	buffer_load_dword v102, off, s[0:3], 0 offset:168
	buffer_load_dword v103, off, s[0:3], 0 offset:172
	buffer_load_dword v104, off, s[0:3], 0 offset:176
	buffer_load_dword v105, off, s[0:3], 0 offset:180
	buffer_load_dword v106, off, s[0:3], 0 offset:184
	buffer_load_dword v107, off, s[0:3], 0 offset:188
	buffer_load_dword v108, off, s[0:3], 0 offset:192
	buffer_load_dword v109, off, s[0:3], 0 offset:196
	buffer_load_dword v110, off, s[0:3], 0 offset:200
	buffer_load_dword v111, off, s[0:3], 0 offset:204
	buffer_load_dword v112, off, s[0:3], 0 offset:208
	buffer_load_dword v113, off, s[0:3], 0 offset:212
	v_mov_b32_e32 v84, 0
	ds_read_b128 v[86:89], v84 offset:480
	ds_read_b128 v[90:93], v84 offset:496
	;; [unrolled: 1-line block ×4, first 2 shown]
	v_cmp_lt_u32_e32 vcc, 18, v0
	s_waitcnt vmcnt(12) lgkmcnt(3)
	v_fma_f64 v[82:83], v[82:83], v[86:87], 0
	buffer_load_dword v87, off, s[0:3], 0 offset:220
	buffer_load_dword v86, off, s[0:3], 0 offset:216
	s_waitcnt vmcnt(12)
	v_fmac_f64_e32 v[82:83], v[102:103], v[88:89]
	s_waitcnt vmcnt(10) lgkmcnt(2)
	v_fmac_f64_e32 v[82:83], v[104:105], v[90:91]
	buffer_load_dword v91, off, s[0:3], 0 offset:228
	buffer_load_dword v90, off, s[0:3], 0 offset:224
	s_waitcnt vmcnt(10)
	v_fmac_f64_e32 v[82:83], v[106:107], v[92:93]
	s_waitcnt vmcnt(8) lgkmcnt(1)
	v_fmac_f64_e32 v[82:83], v[108:109], v[94:95]
	s_waitcnt vmcnt(6)
	v_fmac_f64_e32 v[82:83], v[110:111], v[96:97]
	s_waitcnt vmcnt(4) lgkmcnt(0)
	v_fmac_f64_e32 v[82:83], v[112:113], v[98:99]
	s_waitcnt vmcnt(2)
	v_fmac_f64_e32 v[82:83], v[86:87], v[100:101]
	ds_read_b128 v[86:89], v84 offset:544
	s_waitcnt vmcnt(0) lgkmcnt(0)
	v_fmac_f64_e32 v[82:83], v[90:91], v[86:87]
	buffer_load_dword v87, off, s[0:3], 0 offset:236
	buffer_load_dword v86, off, s[0:3], 0 offset:232
	buffer_load_dword v91, off, s[0:3], 0 offset:244
	buffer_load_dword v90, off, s[0:3], 0 offset:240
	s_waitcnt vmcnt(2)
	v_fmac_f64_e32 v[82:83], v[86:87], v[88:89]
	ds_read_b128 v[86:89], v84 offset:560
	s_waitcnt vmcnt(0) lgkmcnt(0)
	v_fmac_f64_e32 v[82:83], v[90:91], v[86:87]
	buffer_load_dword v87, off, s[0:3], 0 offset:252
	buffer_load_dword v86, off, s[0:3], 0 offset:248
	buffer_load_dword v91, off, s[0:3], 0 offset:260
	buffer_load_dword v90, off, s[0:3], 0 offset:256
	;; [unrolled: 9-line block ×4, first 2 shown]
	s_waitcnt vmcnt(2)
	v_fmac_f64_e32 v[82:83], v[86:87], v[88:89]
	ds_read_b128 v[86:89], v84 offset:608
	s_waitcnt vmcnt(0) lgkmcnt(0)
	v_fmac_f64_e32 v[82:83], v[90:91], v[86:87]
	buffer_load_dword v87, off, s[0:3], 0 offset:300
	buffer_load_dword v86, off, s[0:3], 0 offset:296
	s_waitcnt vmcnt(0)
	v_fmac_f64_e32 v[82:83], v[86:87], v[88:89]
	buffer_load_dword v87, off, s[0:3], 0 offset:308
	buffer_load_dword v86, off, s[0:3], 0 offset:304
	ds_read_b64 v[88:89], v84 offset:624
	s_waitcnt vmcnt(0) lgkmcnt(0)
	v_fmac_f64_e32 v[82:83], v[86:87], v[88:89]
	v_add_f64 v[80:81], v[80:81], -v[82:83]
	buffer_store_dword v81, off, s[0:3], 0 offset:156
	buffer_store_dword v80, off, s[0:3], 0 offset:152
	s_and_saveexec_b64 s[4:5], vcc
	s_cbranch_execz .LBB38_205
; %bb.204:
	buffer_load_dword v80, off, s[0:3], 0 offset:144
	buffer_load_dword v81, off, s[0:3], 0 offset:148
	s_waitcnt vmcnt(0)
	ds_write_b64 v1, v[80:81]
	buffer_store_dword v84, off, s[0:3], 0 offset:144
	buffer_store_dword v84, off, s[0:3], 0 offset:148
.LBB38_205:
	s_or_b64 exec, exec, s[4:5]
	s_waitcnt lgkmcnt(0)
	; wave barrier
	s_waitcnt lgkmcnt(0)
	buffer_load_dword v80, off, s[0:3], 0 offset:144
	buffer_load_dword v81, off, s[0:3], 0 offset:148
	;; [unrolled: 1-line block ×16, first 2 shown]
	ds_read2_b64 v[86:89], v84 offset0:59 offset1:60
	v_cmp_lt_u32_e32 vcc, 17, v0
	s_waitcnt vmcnt(12) lgkmcnt(0)
	v_fma_f64 v[82:83], v[82:83], v[86:87], 0
	s_waitcnt vmcnt(10)
	v_fmac_f64_e32 v[82:83], v[90:91], v[88:89]
	ds_read2_b64 v[86:89], v84 offset0:61 offset1:62
	s_waitcnt vmcnt(8) lgkmcnt(0)
	v_fmac_f64_e32 v[82:83], v[92:93], v[86:87]
	s_waitcnt vmcnt(6)
	v_fmac_f64_e32 v[82:83], v[94:95], v[88:89]
	ds_read2_b64 v[86:89], v84 offset0:63 offset1:64
	s_waitcnt vmcnt(4) lgkmcnt(0)
	v_fmac_f64_e32 v[82:83], v[96:97], v[86:87]
	;; [unrolled: 5-line block ×3, first 2 shown]
	buffer_load_dword v87, off, s[0:3], 0 offset:212
	buffer_load_dword v86, off, s[0:3], 0 offset:208
	buffer_load_dword v91, off, s[0:3], 0 offset:220
	buffer_load_dword v90, off, s[0:3], 0 offset:216
	s_waitcnt vmcnt(2)
	v_fmac_f64_e32 v[82:83], v[86:87], v[88:89]
	ds_read2_b64 v[86:89], v84 offset0:67 offset1:68
	s_waitcnt vmcnt(0) lgkmcnt(0)
	v_fmac_f64_e32 v[82:83], v[90:91], v[86:87]
	buffer_load_dword v87, off, s[0:3], 0 offset:228
	buffer_load_dword v86, off, s[0:3], 0 offset:224
	buffer_load_dword v91, off, s[0:3], 0 offset:236
	buffer_load_dword v90, off, s[0:3], 0 offset:232
	s_waitcnt vmcnt(2)
	v_fmac_f64_e32 v[82:83], v[86:87], v[88:89]
	ds_read2_b64 v[86:89], v84 offset0:69 offset1:70
	s_waitcnt vmcnt(0) lgkmcnt(0)
	v_fmac_f64_e32 v[82:83], v[90:91], v[86:87]
	;; [unrolled: 9-line block ×5, first 2 shown]
	buffer_load_dword v87, off, s[0:3], 0 offset:292
	buffer_load_dword v86, off, s[0:3], 0 offset:288
	s_waitcnt vmcnt(0)
	v_fmac_f64_e32 v[82:83], v[86:87], v[88:89]
	buffer_load_dword v89, off, s[0:3], 0 offset:300
	buffer_load_dword v88, off, s[0:3], 0 offset:296
	ds_read2_b64 v[84:87], v84 offset0:77 offset1:78
	s_waitcnt vmcnt(0) lgkmcnt(0)
	v_fmac_f64_e32 v[82:83], v[88:89], v[84:85]
	buffer_load_dword v85, off, s[0:3], 0 offset:308
	buffer_load_dword v84, off, s[0:3], 0 offset:304
	s_waitcnt vmcnt(0)
	v_fmac_f64_e32 v[82:83], v[84:85], v[86:87]
	v_add_f64 v[80:81], v[80:81], -v[82:83]
	buffer_store_dword v81, off, s[0:3], 0 offset:148
	buffer_store_dword v80, off, s[0:3], 0 offset:144
	s_and_saveexec_b64 s[4:5], vcc
	s_cbranch_execz .LBB38_207
; %bb.206:
	buffer_load_dword v80, off, s[0:3], 0 offset:136
	buffer_load_dword v81, off, s[0:3], 0 offset:140
	v_mov_b32_e32 v82, 0
	buffer_store_dword v82, off, s[0:3], 0 offset:136
	buffer_store_dword v82, off, s[0:3], 0 offset:140
	s_waitcnt vmcnt(2)
	ds_write_b64 v1, v[80:81]
.LBB38_207:
	s_or_b64 exec, exec, s[4:5]
	s_waitcnt lgkmcnt(0)
	; wave barrier
	s_waitcnt lgkmcnt(0)
	buffer_load_dword v80, off, s[0:3], 0 offset:136
	buffer_load_dword v81, off, s[0:3], 0 offset:140
	buffer_load_dword v82, off, s[0:3], 0 offset:144
	buffer_load_dword v83, off, s[0:3], 0 offset:148
	buffer_load_dword v102, off, s[0:3], 0 offset:152
	buffer_load_dword v103, off, s[0:3], 0 offset:156
	buffer_load_dword v104, off, s[0:3], 0 offset:160
	buffer_load_dword v105, off, s[0:3], 0 offset:164
	buffer_load_dword v106, off, s[0:3], 0 offset:168
	buffer_load_dword v107, off, s[0:3], 0 offset:172
	buffer_load_dword v108, off, s[0:3], 0 offset:176
	buffer_load_dword v109, off, s[0:3], 0 offset:180
	buffer_load_dword v110, off, s[0:3], 0 offset:184
	buffer_load_dword v111, off, s[0:3], 0 offset:188
	buffer_load_dword v112, off, s[0:3], 0 offset:192
	buffer_load_dword v113, off, s[0:3], 0 offset:196
	v_mov_b32_e32 v84, 0
	ds_read_b128 v[86:89], v84 offset:464
	ds_read_b128 v[90:93], v84 offset:480
	;; [unrolled: 1-line block ×4, first 2 shown]
	v_cmp_lt_u32_e32 vcc, 16, v0
	s_waitcnt vmcnt(12) lgkmcnt(3)
	v_fma_f64 v[82:83], v[82:83], v[86:87], 0
	buffer_load_dword v87, off, s[0:3], 0 offset:204
	buffer_load_dword v86, off, s[0:3], 0 offset:200
	s_waitcnt vmcnt(12)
	v_fmac_f64_e32 v[82:83], v[102:103], v[88:89]
	s_waitcnt vmcnt(10) lgkmcnt(2)
	v_fmac_f64_e32 v[82:83], v[104:105], v[90:91]
	buffer_load_dword v91, off, s[0:3], 0 offset:212
	buffer_load_dword v90, off, s[0:3], 0 offset:208
	s_waitcnt vmcnt(10)
	v_fmac_f64_e32 v[82:83], v[106:107], v[92:93]
	s_waitcnt vmcnt(8) lgkmcnt(1)
	v_fmac_f64_e32 v[82:83], v[108:109], v[94:95]
	s_waitcnt vmcnt(6)
	v_fmac_f64_e32 v[82:83], v[110:111], v[96:97]
	s_waitcnt vmcnt(4) lgkmcnt(0)
	v_fmac_f64_e32 v[82:83], v[112:113], v[98:99]
	s_waitcnt vmcnt(2)
	v_fmac_f64_e32 v[82:83], v[86:87], v[100:101]
	ds_read_b128 v[86:89], v84 offset:528
	s_waitcnt vmcnt(0) lgkmcnt(0)
	v_fmac_f64_e32 v[82:83], v[90:91], v[86:87]
	buffer_load_dword v87, off, s[0:3], 0 offset:220
	buffer_load_dword v86, off, s[0:3], 0 offset:216
	buffer_load_dword v91, off, s[0:3], 0 offset:228
	buffer_load_dword v90, off, s[0:3], 0 offset:224
	s_waitcnt vmcnt(2)
	v_fmac_f64_e32 v[82:83], v[86:87], v[88:89]
	ds_read_b128 v[86:89], v84 offset:544
	s_waitcnt vmcnt(0) lgkmcnt(0)
	v_fmac_f64_e32 v[82:83], v[90:91], v[86:87]
	buffer_load_dword v87, off, s[0:3], 0 offset:236
	buffer_load_dword v86, off, s[0:3], 0 offset:232
	buffer_load_dword v91, off, s[0:3], 0 offset:244
	buffer_load_dword v90, off, s[0:3], 0 offset:240
	;; [unrolled: 9-line block ×5, first 2 shown]
	s_waitcnt vmcnt(2)
	v_fmac_f64_e32 v[82:83], v[86:87], v[88:89]
	ds_read_b128 v[86:89], v84 offset:608
	s_waitcnt vmcnt(0) lgkmcnt(0)
	v_fmac_f64_e32 v[82:83], v[90:91], v[86:87]
	buffer_load_dword v87, off, s[0:3], 0 offset:300
	buffer_load_dword v86, off, s[0:3], 0 offset:296
	s_waitcnt vmcnt(0)
	v_fmac_f64_e32 v[82:83], v[86:87], v[88:89]
	buffer_load_dword v87, off, s[0:3], 0 offset:308
	buffer_load_dword v86, off, s[0:3], 0 offset:304
	ds_read_b64 v[88:89], v84 offset:624
	s_waitcnt vmcnt(0) lgkmcnt(0)
	v_fmac_f64_e32 v[82:83], v[86:87], v[88:89]
	v_add_f64 v[80:81], v[80:81], -v[82:83]
	buffer_store_dword v81, off, s[0:3], 0 offset:140
	buffer_store_dword v80, off, s[0:3], 0 offset:136
	s_and_saveexec_b64 s[4:5], vcc
	s_cbranch_execz .LBB38_209
; %bb.208:
	buffer_load_dword v80, off, s[0:3], 0 offset:128
	buffer_load_dword v81, off, s[0:3], 0 offset:132
	s_waitcnt vmcnt(0)
	ds_write_b64 v1, v[80:81]
	buffer_store_dword v84, off, s[0:3], 0 offset:128
	buffer_store_dword v84, off, s[0:3], 0 offset:132
.LBB38_209:
	s_or_b64 exec, exec, s[4:5]
	s_waitcnt lgkmcnt(0)
	; wave barrier
	s_waitcnt lgkmcnt(0)
	buffer_load_dword v80, off, s[0:3], 0 offset:128
	buffer_load_dword v81, off, s[0:3], 0 offset:132
	;; [unrolled: 1-line block ×16, first 2 shown]
	ds_read2_b64 v[86:89], v84 offset0:57 offset1:58
	v_cmp_lt_u32_e32 vcc, 15, v0
	s_waitcnt vmcnt(12) lgkmcnt(0)
	v_fma_f64 v[82:83], v[82:83], v[86:87], 0
	s_waitcnt vmcnt(10)
	v_fmac_f64_e32 v[82:83], v[90:91], v[88:89]
	ds_read2_b64 v[86:89], v84 offset0:59 offset1:60
	s_waitcnt vmcnt(8) lgkmcnt(0)
	v_fmac_f64_e32 v[82:83], v[92:93], v[86:87]
	s_waitcnt vmcnt(6)
	v_fmac_f64_e32 v[82:83], v[94:95], v[88:89]
	ds_read2_b64 v[86:89], v84 offset0:61 offset1:62
	s_waitcnt vmcnt(4) lgkmcnt(0)
	v_fmac_f64_e32 v[82:83], v[96:97], v[86:87]
	;; [unrolled: 5-line block ×3, first 2 shown]
	buffer_load_dword v87, off, s[0:3], 0 offset:196
	buffer_load_dword v86, off, s[0:3], 0 offset:192
	buffer_load_dword v91, off, s[0:3], 0 offset:204
	buffer_load_dword v90, off, s[0:3], 0 offset:200
	s_waitcnt vmcnt(2)
	v_fmac_f64_e32 v[82:83], v[86:87], v[88:89]
	ds_read2_b64 v[86:89], v84 offset0:65 offset1:66
	s_waitcnt vmcnt(0) lgkmcnt(0)
	v_fmac_f64_e32 v[82:83], v[90:91], v[86:87]
	buffer_load_dword v87, off, s[0:3], 0 offset:212
	buffer_load_dword v86, off, s[0:3], 0 offset:208
	buffer_load_dword v91, off, s[0:3], 0 offset:220
	buffer_load_dword v90, off, s[0:3], 0 offset:216
	s_waitcnt vmcnt(2)
	v_fmac_f64_e32 v[82:83], v[86:87], v[88:89]
	ds_read2_b64 v[86:89], v84 offset0:67 offset1:68
	s_waitcnt vmcnt(0) lgkmcnt(0)
	v_fmac_f64_e32 v[82:83], v[90:91], v[86:87]
	;; [unrolled: 9-line block ×6, first 2 shown]
	buffer_load_dword v87, off, s[0:3], 0 offset:292
	buffer_load_dword v86, off, s[0:3], 0 offset:288
	s_waitcnt vmcnt(0)
	v_fmac_f64_e32 v[82:83], v[86:87], v[88:89]
	buffer_load_dword v89, off, s[0:3], 0 offset:300
	buffer_load_dword v88, off, s[0:3], 0 offset:296
	ds_read2_b64 v[84:87], v84 offset0:77 offset1:78
	s_waitcnt vmcnt(0) lgkmcnt(0)
	v_fmac_f64_e32 v[82:83], v[88:89], v[84:85]
	buffer_load_dword v85, off, s[0:3], 0 offset:308
	buffer_load_dword v84, off, s[0:3], 0 offset:304
	s_waitcnt vmcnt(0)
	v_fmac_f64_e32 v[82:83], v[84:85], v[86:87]
	v_add_f64 v[80:81], v[80:81], -v[82:83]
	buffer_store_dword v81, off, s[0:3], 0 offset:132
	buffer_store_dword v80, off, s[0:3], 0 offset:128
	s_and_saveexec_b64 s[4:5], vcc
	s_cbranch_execz .LBB38_211
; %bb.210:
	buffer_load_dword v80, off, s[0:3], 0 offset:120
	buffer_load_dword v81, off, s[0:3], 0 offset:124
	v_mov_b32_e32 v82, 0
	buffer_store_dword v82, off, s[0:3], 0 offset:120
	buffer_store_dword v82, off, s[0:3], 0 offset:124
	s_waitcnt vmcnt(2)
	ds_write_b64 v1, v[80:81]
.LBB38_211:
	s_or_b64 exec, exec, s[4:5]
	s_waitcnt lgkmcnt(0)
	; wave barrier
	s_waitcnt lgkmcnt(0)
	buffer_load_dword v80, off, s[0:3], 0 offset:120
	buffer_load_dword v81, off, s[0:3], 0 offset:124
	;; [unrolled: 1-line block ×16, first 2 shown]
	v_mov_b32_e32 v84, 0
	ds_read_b128 v[86:89], v84 offset:448
	ds_read_b128 v[90:93], v84 offset:464
	;; [unrolled: 1-line block ×4, first 2 shown]
	v_cmp_lt_u32_e32 vcc, 14, v0
	s_waitcnt vmcnt(12) lgkmcnt(3)
	v_fma_f64 v[82:83], v[82:83], v[86:87], 0
	buffer_load_dword v87, off, s[0:3], 0 offset:188
	buffer_load_dword v86, off, s[0:3], 0 offset:184
	s_waitcnt vmcnt(12)
	v_fmac_f64_e32 v[82:83], v[102:103], v[88:89]
	s_waitcnt vmcnt(10) lgkmcnt(2)
	v_fmac_f64_e32 v[82:83], v[104:105], v[90:91]
	buffer_load_dword v91, off, s[0:3], 0 offset:196
	buffer_load_dword v90, off, s[0:3], 0 offset:192
	s_waitcnt vmcnt(10)
	v_fmac_f64_e32 v[82:83], v[106:107], v[92:93]
	s_waitcnt vmcnt(8) lgkmcnt(1)
	v_fmac_f64_e32 v[82:83], v[108:109], v[94:95]
	s_waitcnt vmcnt(6)
	v_fmac_f64_e32 v[82:83], v[110:111], v[96:97]
	s_waitcnt vmcnt(4) lgkmcnt(0)
	v_fmac_f64_e32 v[82:83], v[112:113], v[98:99]
	s_waitcnt vmcnt(2)
	v_fmac_f64_e32 v[82:83], v[86:87], v[100:101]
	ds_read_b128 v[86:89], v84 offset:512
	s_waitcnt vmcnt(0) lgkmcnt(0)
	v_fmac_f64_e32 v[82:83], v[90:91], v[86:87]
	buffer_load_dword v87, off, s[0:3], 0 offset:204
	buffer_load_dword v86, off, s[0:3], 0 offset:200
	buffer_load_dword v91, off, s[0:3], 0 offset:212
	buffer_load_dword v90, off, s[0:3], 0 offset:208
	s_waitcnt vmcnt(2)
	v_fmac_f64_e32 v[82:83], v[86:87], v[88:89]
	ds_read_b128 v[86:89], v84 offset:528
	s_waitcnt vmcnt(0) lgkmcnt(0)
	v_fmac_f64_e32 v[82:83], v[90:91], v[86:87]
	buffer_load_dword v87, off, s[0:3], 0 offset:220
	buffer_load_dword v86, off, s[0:3], 0 offset:216
	buffer_load_dword v91, off, s[0:3], 0 offset:228
	buffer_load_dword v90, off, s[0:3], 0 offset:224
	;; [unrolled: 9-line block ×6, first 2 shown]
	s_waitcnt vmcnt(2)
	v_fmac_f64_e32 v[82:83], v[86:87], v[88:89]
	ds_read_b128 v[86:89], v84 offset:608
	s_waitcnt vmcnt(0) lgkmcnt(0)
	v_fmac_f64_e32 v[82:83], v[90:91], v[86:87]
	buffer_load_dword v87, off, s[0:3], 0 offset:300
	buffer_load_dword v86, off, s[0:3], 0 offset:296
	s_waitcnt vmcnt(0)
	v_fmac_f64_e32 v[82:83], v[86:87], v[88:89]
	buffer_load_dword v87, off, s[0:3], 0 offset:308
	buffer_load_dword v86, off, s[0:3], 0 offset:304
	ds_read_b64 v[88:89], v84 offset:624
	s_waitcnt vmcnt(0) lgkmcnt(0)
	v_fmac_f64_e32 v[82:83], v[86:87], v[88:89]
	v_add_f64 v[80:81], v[80:81], -v[82:83]
	buffer_store_dword v81, off, s[0:3], 0 offset:124
	buffer_store_dword v80, off, s[0:3], 0 offset:120
	s_and_saveexec_b64 s[4:5], vcc
	s_cbranch_execz .LBB38_213
; %bb.212:
	buffer_load_dword v80, off, s[0:3], 0 offset:112
	buffer_load_dword v81, off, s[0:3], 0 offset:116
	s_waitcnt vmcnt(0)
	ds_write_b64 v1, v[80:81]
	buffer_store_dword v84, off, s[0:3], 0 offset:112
	buffer_store_dword v84, off, s[0:3], 0 offset:116
.LBB38_213:
	s_or_b64 exec, exec, s[4:5]
	s_waitcnt lgkmcnt(0)
	; wave barrier
	s_waitcnt lgkmcnt(0)
	buffer_load_dword v80, off, s[0:3], 0 offset:112
	buffer_load_dword v81, off, s[0:3], 0 offset:116
	;; [unrolled: 1-line block ×16, first 2 shown]
	ds_read2_b64 v[86:89], v84 offset0:55 offset1:56
	v_cmp_lt_u32_e32 vcc, 13, v0
	s_waitcnt vmcnt(12) lgkmcnt(0)
	v_fma_f64 v[82:83], v[82:83], v[86:87], 0
	s_waitcnt vmcnt(10)
	v_fmac_f64_e32 v[82:83], v[90:91], v[88:89]
	ds_read2_b64 v[86:89], v84 offset0:57 offset1:58
	s_waitcnt vmcnt(8) lgkmcnt(0)
	v_fmac_f64_e32 v[82:83], v[92:93], v[86:87]
	s_waitcnt vmcnt(6)
	v_fmac_f64_e32 v[82:83], v[94:95], v[88:89]
	ds_read2_b64 v[86:89], v84 offset0:59 offset1:60
	s_waitcnt vmcnt(4) lgkmcnt(0)
	v_fmac_f64_e32 v[82:83], v[96:97], v[86:87]
	;; [unrolled: 5-line block ×3, first 2 shown]
	buffer_load_dword v87, off, s[0:3], 0 offset:180
	buffer_load_dword v86, off, s[0:3], 0 offset:176
	buffer_load_dword v91, off, s[0:3], 0 offset:188
	buffer_load_dword v90, off, s[0:3], 0 offset:184
	s_waitcnt vmcnt(2)
	v_fmac_f64_e32 v[82:83], v[86:87], v[88:89]
	ds_read2_b64 v[86:89], v84 offset0:63 offset1:64
	s_waitcnt vmcnt(0) lgkmcnt(0)
	v_fmac_f64_e32 v[82:83], v[90:91], v[86:87]
	buffer_load_dword v87, off, s[0:3], 0 offset:196
	buffer_load_dword v86, off, s[0:3], 0 offset:192
	buffer_load_dword v91, off, s[0:3], 0 offset:204
	buffer_load_dword v90, off, s[0:3], 0 offset:200
	s_waitcnt vmcnt(2)
	v_fmac_f64_e32 v[82:83], v[86:87], v[88:89]
	ds_read2_b64 v[86:89], v84 offset0:65 offset1:66
	s_waitcnt vmcnt(0) lgkmcnt(0)
	v_fmac_f64_e32 v[82:83], v[90:91], v[86:87]
	;; [unrolled: 9-line block ×7, first 2 shown]
	buffer_load_dword v87, off, s[0:3], 0 offset:292
	buffer_load_dword v86, off, s[0:3], 0 offset:288
	s_waitcnt vmcnt(0)
	v_fmac_f64_e32 v[82:83], v[86:87], v[88:89]
	buffer_load_dword v89, off, s[0:3], 0 offset:300
	buffer_load_dword v88, off, s[0:3], 0 offset:296
	ds_read2_b64 v[84:87], v84 offset0:77 offset1:78
	s_waitcnt vmcnt(0) lgkmcnt(0)
	v_fmac_f64_e32 v[82:83], v[88:89], v[84:85]
	buffer_load_dword v85, off, s[0:3], 0 offset:308
	buffer_load_dword v84, off, s[0:3], 0 offset:304
	s_waitcnt vmcnt(0)
	v_fmac_f64_e32 v[82:83], v[84:85], v[86:87]
	v_add_f64 v[80:81], v[80:81], -v[82:83]
	buffer_store_dword v81, off, s[0:3], 0 offset:116
	buffer_store_dword v80, off, s[0:3], 0 offset:112
	s_and_saveexec_b64 s[4:5], vcc
	s_cbranch_execz .LBB38_215
; %bb.214:
	buffer_load_dword v80, off, s[0:3], 0 offset:104
	buffer_load_dword v81, off, s[0:3], 0 offset:108
	v_mov_b32_e32 v82, 0
	buffer_store_dword v82, off, s[0:3], 0 offset:104
	buffer_store_dword v82, off, s[0:3], 0 offset:108
	s_waitcnt vmcnt(2)
	ds_write_b64 v1, v[80:81]
.LBB38_215:
	s_or_b64 exec, exec, s[4:5]
	s_waitcnt lgkmcnt(0)
	; wave barrier
	s_waitcnt lgkmcnt(0)
	buffer_load_dword v80, off, s[0:3], 0 offset:104
	buffer_load_dword v81, off, s[0:3], 0 offset:108
	buffer_load_dword v82, off, s[0:3], 0 offset:112
	buffer_load_dword v83, off, s[0:3], 0 offset:116
	buffer_load_dword v102, off, s[0:3], 0 offset:120
	buffer_load_dword v103, off, s[0:3], 0 offset:124
	buffer_load_dword v104, off, s[0:3], 0 offset:128
	buffer_load_dword v105, off, s[0:3], 0 offset:132
	buffer_load_dword v106, off, s[0:3], 0 offset:136
	buffer_load_dword v107, off, s[0:3], 0 offset:140
	buffer_load_dword v108, off, s[0:3], 0 offset:144
	buffer_load_dword v109, off, s[0:3], 0 offset:148
	buffer_load_dword v110, off, s[0:3], 0 offset:152
	buffer_load_dword v111, off, s[0:3], 0 offset:156
	buffer_load_dword v112, off, s[0:3], 0 offset:160
	buffer_load_dword v113, off, s[0:3], 0 offset:164
	v_mov_b32_e32 v84, 0
	ds_read_b128 v[86:89], v84 offset:432
	ds_read_b128 v[90:93], v84 offset:448
	;; [unrolled: 1-line block ×4, first 2 shown]
	v_cmp_lt_u32_e32 vcc, 12, v0
	s_waitcnt vmcnt(12) lgkmcnt(3)
	v_fma_f64 v[82:83], v[82:83], v[86:87], 0
	buffer_load_dword v87, off, s[0:3], 0 offset:172
	buffer_load_dword v86, off, s[0:3], 0 offset:168
	s_waitcnt vmcnt(12)
	v_fmac_f64_e32 v[82:83], v[102:103], v[88:89]
	s_waitcnt vmcnt(10) lgkmcnt(2)
	v_fmac_f64_e32 v[82:83], v[104:105], v[90:91]
	buffer_load_dword v91, off, s[0:3], 0 offset:180
	buffer_load_dword v90, off, s[0:3], 0 offset:176
	s_waitcnt vmcnt(10)
	v_fmac_f64_e32 v[82:83], v[106:107], v[92:93]
	s_waitcnt vmcnt(8) lgkmcnt(1)
	v_fmac_f64_e32 v[82:83], v[108:109], v[94:95]
	s_waitcnt vmcnt(6)
	v_fmac_f64_e32 v[82:83], v[110:111], v[96:97]
	s_waitcnt vmcnt(4) lgkmcnt(0)
	v_fmac_f64_e32 v[82:83], v[112:113], v[98:99]
	s_waitcnt vmcnt(2)
	v_fmac_f64_e32 v[82:83], v[86:87], v[100:101]
	ds_read_b128 v[86:89], v84 offset:496
	s_waitcnt vmcnt(0) lgkmcnt(0)
	v_fmac_f64_e32 v[82:83], v[90:91], v[86:87]
	buffer_load_dword v87, off, s[0:3], 0 offset:188
	buffer_load_dword v86, off, s[0:3], 0 offset:184
	buffer_load_dword v91, off, s[0:3], 0 offset:196
	buffer_load_dword v90, off, s[0:3], 0 offset:192
	s_waitcnt vmcnt(2)
	v_fmac_f64_e32 v[82:83], v[86:87], v[88:89]
	ds_read_b128 v[86:89], v84 offset:512
	s_waitcnt vmcnt(0) lgkmcnt(0)
	v_fmac_f64_e32 v[82:83], v[90:91], v[86:87]
	buffer_load_dword v87, off, s[0:3], 0 offset:204
	buffer_load_dword v86, off, s[0:3], 0 offset:200
	buffer_load_dword v91, off, s[0:3], 0 offset:212
	buffer_load_dword v90, off, s[0:3], 0 offset:208
	;; [unrolled: 9-line block ×7, first 2 shown]
	s_waitcnt vmcnt(2)
	v_fmac_f64_e32 v[82:83], v[86:87], v[88:89]
	ds_read_b128 v[86:89], v84 offset:608
	s_waitcnt vmcnt(0) lgkmcnt(0)
	v_fmac_f64_e32 v[82:83], v[90:91], v[86:87]
	buffer_load_dword v87, off, s[0:3], 0 offset:300
	buffer_load_dword v86, off, s[0:3], 0 offset:296
	s_waitcnt vmcnt(0)
	v_fmac_f64_e32 v[82:83], v[86:87], v[88:89]
	buffer_load_dword v87, off, s[0:3], 0 offset:308
	buffer_load_dword v86, off, s[0:3], 0 offset:304
	ds_read_b64 v[88:89], v84 offset:624
	s_waitcnt vmcnt(0) lgkmcnt(0)
	v_fmac_f64_e32 v[82:83], v[86:87], v[88:89]
	v_add_f64 v[80:81], v[80:81], -v[82:83]
	buffer_store_dword v81, off, s[0:3], 0 offset:108
	buffer_store_dword v80, off, s[0:3], 0 offset:104
	s_and_saveexec_b64 s[4:5], vcc
	s_cbranch_execz .LBB38_217
; %bb.216:
	buffer_load_dword v80, off, s[0:3], 0 offset:96
	buffer_load_dword v81, off, s[0:3], 0 offset:100
	s_waitcnt vmcnt(0)
	ds_write_b64 v1, v[80:81]
	buffer_store_dword v84, off, s[0:3], 0 offset:96
	buffer_store_dword v84, off, s[0:3], 0 offset:100
.LBB38_217:
	s_or_b64 exec, exec, s[4:5]
	s_waitcnt lgkmcnt(0)
	; wave barrier
	s_waitcnt lgkmcnt(0)
	buffer_load_dword v80, off, s[0:3], 0 offset:96
	buffer_load_dword v81, off, s[0:3], 0 offset:100
	buffer_load_dword v82, off, s[0:3], 0 offset:104
	buffer_load_dword v83, off, s[0:3], 0 offset:108
	buffer_load_dword v90, off, s[0:3], 0 offset:112
	buffer_load_dword v91, off, s[0:3], 0 offset:116
	buffer_load_dword v92, off, s[0:3], 0 offset:120
	buffer_load_dword v93, off, s[0:3], 0 offset:124
	buffer_load_dword v94, off, s[0:3], 0 offset:128
	buffer_load_dword v95, off, s[0:3], 0 offset:132
	buffer_load_dword v96, off, s[0:3], 0 offset:136
	buffer_load_dword v97, off, s[0:3], 0 offset:140
	buffer_load_dword v98, off, s[0:3], 0 offset:144
	buffer_load_dword v99, off, s[0:3], 0 offset:148
	buffer_load_dword v100, off, s[0:3], 0 offset:152
	buffer_load_dword v101, off, s[0:3], 0 offset:156
	ds_read2_b64 v[86:89], v84 offset0:53 offset1:54
	v_cmp_lt_u32_e32 vcc, 11, v0
	s_waitcnt vmcnt(12) lgkmcnt(0)
	v_fma_f64 v[82:83], v[82:83], v[86:87], 0
	s_waitcnt vmcnt(10)
	v_fmac_f64_e32 v[82:83], v[90:91], v[88:89]
	ds_read2_b64 v[86:89], v84 offset0:55 offset1:56
	s_waitcnt vmcnt(8) lgkmcnt(0)
	v_fmac_f64_e32 v[82:83], v[92:93], v[86:87]
	s_waitcnt vmcnt(6)
	v_fmac_f64_e32 v[82:83], v[94:95], v[88:89]
	ds_read2_b64 v[86:89], v84 offset0:57 offset1:58
	s_waitcnt vmcnt(4) lgkmcnt(0)
	v_fmac_f64_e32 v[82:83], v[96:97], v[86:87]
	;; [unrolled: 5-line block ×3, first 2 shown]
	buffer_load_dword v87, off, s[0:3], 0 offset:164
	buffer_load_dword v86, off, s[0:3], 0 offset:160
	buffer_load_dword v91, off, s[0:3], 0 offset:172
	buffer_load_dword v90, off, s[0:3], 0 offset:168
	s_waitcnt vmcnt(2)
	v_fmac_f64_e32 v[82:83], v[86:87], v[88:89]
	ds_read2_b64 v[86:89], v84 offset0:61 offset1:62
	s_waitcnt vmcnt(0) lgkmcnt(0)
	v_fmac_f64_e32 v[82:83], v[90:91], v[86:87]
	buffer_load_dword v87, off, s[0:3], 0 offset:180
	buffer_load_dword v86, off, s[0:3], 0 offset:176
	buffer_load_dword v91, off, s[0:3], 0 offset:188
	buffer_load_dword v90, off, s[0:3], 0 offset:184
	s_waitcnt vmcnt(2)
	v_fmac_f64_e32 v[82:83], v[86:87], v[88:89]
	ds_read2_b64 v[86:89], v84 offset0:63 offset1:64
	s_waitcnt vmcnt(0) lgkmcnt(0)
	v_fmac_f64_e32 v[82:83], v[90:91], v[86:87]
	buffer_load_dword v87, off, s[0:3], 0 offset:196
	buffer_load_dword v86, off, s[0:3], 0 offset:192
	buffer_load_dword v91, off, s[0:3], 0 offset:204
	buffer_load_dword v90, off, s[0:3], 0 offset:200
	s_waitcnt vmcnt(2)
	v_fmac_f64_e32 v[82:83], v[86:87], v[88:89]
	ds_read2_b64 v[86:89], v84 offset0:65 offset1:66
	s_waitcnt vmcnt(0) lgkmcnt(0)
	v_fmac_f64_e32 v[82:83], v[90:91], v[86:87]
	buffer_load_dword v87, off, s[0:3], 0 offset:212
	buffer_load_dword v86, off, s[0:3], 0 offset:208
	buffer_load_dword v91, off, s[0:3], 0 offset:220
	buffer_load_dword v90, off, s[0:3], 0 offset:216
	s_waitcnt vmcnt(2)
	v_fmac_f64_e32 v[82:83], v[86:87], v[88:89]
	ds_read2_b64 v[86:89], v84 offset0:67 offset1:68
	s_waitcnt vmcnt(0) lgkmcnt(0)
	v_fmac_f64_e32 v[82:83], v[90:91], v[86:87]
	buffer_load_dword v87, off, s[0:3], 0 offset:228
	buffer_load_dword v86, off, s[0:3], 0 offset:224
	buffer_load_dword v91, off, s[0:3], 0 offset:236
	buffer_load_dword v90, off, s[0:3], 0 offset:232
	s_waitcnt vmcnt(2)
	v_fmac_f64_e32 v[82:83], v[86:87], v[88:89]
	ds_read2_b64 v[86:89], v84 offset0:69 offset1:70
	s_waitcnt vmcnt(0) lgkmcnt(0)
	v_fmac_f64_e32 v[82:83], v[90:91], v[86:87]
	buffer_load_dword v87, off, s[0:3], 0 offset:244
	buffer_load_dword v86, off, s[0:3], 0 offset:240
	buffer_load_dword v91, off, s[0:3], 0 offset:252
	buffer_load_dword v90, off, s[0:3], 0 offset:248
	s_waitcnt vmcnt(2)
	v_fmac_f64_e32 v[82:83], v[86:87], v[88:89]
	ds_read2_b64 v[86:89], v84 offset0:71 offset1:72
	s_waitcnt vmcnt(0) lgkmcnt(0)
	v_fmac_f64_e32 v[82:83], v[90:91], v[86:87]
	buffer_load_dword v87, off, s[0:3], 0 offset:260
	buffer_load_dword v86, off, s[0:3], 0 offset:256
	buffer_load_dword v91, off, s[0:3], 0 offset:268
	buffer_load_dword v90, off, s[0:3], 0 offset:264
	s_waitcnt vmcnt(2)
	v_fmac_f64_e32 v[82:83], v[86:87], v[88:89]
	ds_read2_b64 v[86:89], v84 offset0:73 offset1:74
	s_waitcnt vmcnt(0) lgkmcnt(0)
	v_fmac_f64_e32 v[82:83], v[90:91], v[86:87]
	buffer_load_dword v87, off, s[0:3], 0 offset:276
	buffer_load_dword v86, off, s[0:3], 0 offset:272
	buffer_load_dword v91, off, s[0:3], 0 offset:284
	buffer_load_dword v90, off, s[0:3], 0 offset:280
	s_waitcnt vmcnt(2)
	v_fmac_f64_e32 v[82:83], v[86:87], v[88:89]
	ds_read2_b64 v[86:89], v84 offset0:75 offset1:76
	s_waitcnt vmcnt(0) lgkmcnt(0)
	v_fmac_f64_e32 v[82:83], v[90:91], v[86:87]
	buffer_load_dword v87, off, s[0:3], 0 offset:292
	buffer_load_dword v86, off, s[0:3], 0 offset:288
	s_waitcnt vmcnt(0)
	v_fmac_f64_e32 v[82:83], v[86:87], v[88:89]
	buffer_load_dword v89, off, s[0:3], 0 offset:300
	buffer_load_dword v88, off, s[0:3], 0 offset:296
	ds_read2_b64 v[84:87], v84 offset0:77 offset1:78
	s_waitcnt vmcnt(0) lgkmcnt(0)
	v_fmac_f64_e32 v[82:83], v[88:89], v[84:85]
	buffer_load_dword v85, off, s[0:3], 0 offset:308
	buffer_load_dword v84, off, s[0:3], 0 offset:304
	s_waitcnt vmcnt(0)
	v_fmac_f64_e32 v[82:83], v[84:85], v[86:87]
	v_add_f64 v[80:81], v[80:81], -v[82:83]
	buffer_store_dword v81, off, s[0:3], 0 offset:100
	buffer_store_dword v80, off, s[0:3], 0 offset:96
	s_and_saveexec_b64 s[4:5], vcc
	s_cbranch_execz .LBB38_219
; %bb.218:
	buffer_load_dword v80, off, s[0:3], 0 offset:88
	buffer_load_dword v81, off, s[0:3], 0 offset:92
	v_mov_b32_e32 v82, 0
	buffer_store_dword v82, off, s[0:3], 0 offset:88
	buffer_store_dword v82, off, s[0:3], 0 offset:92
	s_waitcnt vmcnt(2)
	ds_write_b64 v1, v[80:81]
.LBB38_219:
	s_or_b64 exec, exec, s[4:5]
	s_waitcnt lgkmcnt(0)
	; wave barrier
	s_waitcnt lgkmcnt(0)
	buffer_load_dword v80, off, s[0:3], 0 offset:88
	buffer_load_dword v81, off, s[0:3], 0 offset:92
	buffer_load_dword v82, off, s[0:3], 0 offset:96
	buffer_load_dword v83, off, s[0:3], 0 offset:100
	buffer_load_dword v102, off, s[0:3], 0 offset:104
	buffer_load_dword v103, off, s[0:3], 0 offset:108
	buffer_load_dword v104, off, s[0:3], 0 offset:112
	buffer_load_dword v105, off, s[0:3], 0 offset:116
	buffer_load_dword v106, off, s[0:3], 0 offset:120
	buffer_load_dword v107, off, s[0:3], 0 offset:124
	buffer_load_dword v108, off, s[0:3], 0 offset:128
	buffer_load_dword v109, off, s[0:3], 0 offset:132
	buffer_load_dword v110, off, s[0:3], 0 offset:136
	buffer_load_dword v111, off, s[0:3], 0 offset:140
	buffer_load_dword v112, off, s[0:3], 0 offset:144
	buffer_load_dword v113, off, s[0:3], 0 offset:148
	v_mov_b32_e32 v84, 0
	ds_read_b128 v[86:89], v84 offset:416
	ds_read_b128 v[90:93], v84 offset:432
	;; [unrolled: 1-line block ×4, first 2 shown]
	v_cmp_lt_u32_e32 vcc, 10, v0
	s_waitcnt vmcnt(12) lgkmcnt(3)
	v_fma_f64 v[82:83], v[82:83], v[86:87], 0
	buffer_load_dword v87, off, s[0:3], 0 offset:156
	buffer_load_dword v86, off, s[0:3], 0 offset:152
	s_waitcnt vmcnt(12)
	v_fmac_f64_e32 v[82:83], v[102:103], v[88:89]
	s_waitcnt vmcnt(10) lgkmcnt(2)
	v_fmac_f64_e32 v[82:83], v[104:105], v[90:91]
	buffer_load_dword v91, off, s[0:3], 0 offset:164
	buffer_load_dword v90, off, s[0:3], 0 offset:160
	s_waitcnt vmcnt(10)
	v_fmac_f64_e32 v[82:83], v[106:107], v[92:93]
	s_waitcnt vmcnt(8) lgkmcnt(1)
	v_fmac_f64_e32 v[82:83], v[108:109], v[94:95]
	s_waitcnt vmcnt(6)
	v_fmac_f64_e32 v[82:83], v[110:111], v[96:97]
	s_waitcnt vmcnt(4) lgkmcnt(0)
	v_fmac_f64_e32 v[82:83], v[112:113], v[98:99]
	s_waitcnt vmcnt(2)
	v_fmac_f64_e32 v[82:83], v[86:87], v[100:101]
	ds_read_b128 v[86:89], v84 offset:480
	s_waitcnt vmcnt(0) lgkmcnt(0)
	v_fmac_f64_e32 v[82:83], v[90:91], v[86:87]
	buffer_load_dword v87, off, s[0:3], 0 offset:172
	buffer_load_dword v86, off, s[0:3], 0 offset:168
	buffer_load_dword v91, off, s[0:3], 0 offset:180
	buffer_load_dword v90, off, s[0:3], 0 offset:176
	s_waitcnt vmcnt(2)
	v_fmac_f64_e32 v[82:83], v[86:87], v[88:89]
	ds_read_b128 v[86:89], v84 offset:496
	s_waitcnt vmcnt(0) lgkmcnt(0)
	v_fmac_f64_e32 v[82:83], v[90:91], v[86:87]
	buffer_load_dword v87, off, s[0:3], 0 offset:188
	buffer_load_dword v86, off, s[0:3], 0 offset:184
	buffer_load_dword v91, off, s[0:3], 0 offset:196
	buffer_load_dword v90, off, s[0:3], 0 offset:192
	;; [unrolled: 9-line block ×8, first 2 shown]
	s_waitcnt vmcnt(2)
	v_fmac_f64_e32 v[82:83], v[86:87], v[88:89]
	ds_read_b128 v[86:89], v84 offset:608
	s_waitcnt vmcnt(0) lgkmcnt(0)
	v_fmac_f64_e32 v[82:83], v[90:91], v[86:87]
	buffer_load_dword v87, off, s[0:3], 0 offset:300
	buffer_load_dword v86, off, s[0:3], 0 offset:296
	s_waitcnt vmcnt(0)
	v_fmac_f64_e32 v[82:83], v[86:87], v[88:89]
	buffer_load_dword v87, off, s[0:3], 0 offset:308
	buffer_load_dword v86, off, s[0:3], 0 offset:304
	ds_read_b64 v[88:89], v84 offset:624
	s_waitcnt vmcnt(0) lgkmcnt(0)
	v_fmac_f64_e32 v[82:83], v[86:87], v[88:89]
	v_add_f64 v[80:81], v[80:81], -v[82:83]
	buffer_store_dword v81, off, s[0:3], 0 offset:92
	buffer_store_dword v80, off, s[0:3], 0 offset:88
	s_and_saveexec_b64 s[4:5], vcc
	s_cbranch_execz .LBB38_221
; %bb.220:
	buffer_load_dword v80, off, s[0:3], 0 offset:80
	buffer_load_dword v81, off, s[0:3], 0 offset:84
	s_waitcnt vmcnt(0)
	ds_write_b64 v1, v[80:81]
	buffer_store_dword v84, off, s[0:3], 0 offset:80
	buffer_store_dword v84, off, s[0:3], 0 offset:84
.LBB38_221:
	s_or_b64 exec, exec, s[4:5]
	s_waitcnt lgkmcnt(0)
	; wave barrier
	s_waitcnt lgkmcnt(0)
	buffer_load_dword v80, off, s[0:3], 0 offset:80
	buffer_load_dword v81, off, s[0:3], 0 offset:84
	;; [unrolled: 1-line block ×16, first 2 shown]
	ds_read2_b64 v[86:89], v84 offset0:51 offset1:52
	v_cmp_lt_u32_e32 vcc, 9, v0
	s_waitcnt vmcnt(12) lgkmcnt(0)
	v_fma_f64 v[82:83], v[82:83], v[86:87], 0
	s_waitcnt vmcnt(10)
	v_fmac_f64_e32 v[82:83], v[90:91], v[88:89]
	ds_read2_b64 v[86:89], v84 offset0:53 offset1:54
	s_waitcnt vmcnt(8) lgkmcnt(0)
	v_fmac_f64_e32 v[82:83], v[92:93], v[86:87]
	s_waitcnt vmcnt(6)
	v_fmac_f64_e32 v[82:83], v[94:95], v[88:89]
	ds_read2_b64 v[86:89], v84 offset0:55 offset1:56
	s_waitcnt vmcnt(4) lgkmcnt(0)
	v_fmac_f64_e32 v[82:83], v[96:97], v[86:87]
	;; [unrolled: 5-line block ×3, first 2 shown]
	buffer_load_dword v87, off, s[0:3], 0 offset:148
	buffer_load_dword v86, off, s[0:3], 0 offset:144
	buffer_load_dword v91, off, s[0:3], 0 offset:156
	buffer_load_dword v90, off, s[0:3], 0 offset:152
	s_waitcnt vmcnt(2)
	v_fmac_f64_e32 v[82:83], v[86:87], v[88:89]
	ds_read2_b64 v[86:89], v84 offset0:59 offset1:60
	s_waitcnt vmcnt(0) lgkmcnt(0)
	v_fmac_f64_e32 v[82:83], v[90:91], v[86:87]
	buffer_load_dword v87, off, s[0:3], 0 offset:164
	buffer_load_dword v86, off, s[0:3], 0 offset:160
	buffer_load_dword v91, off, s[0:3], 0 offset:172
	buffer_load_dword v90, off, s[0:3], 0 offset:168
	s_waitcnt vmcnt(2)
	v_fmac_f64_e32 v[82:83], v[86:87], v[88:89]
	ds_read2_b64 v[86:89], v84 offset0:61 offset1:62
	s_waitcnt vmcnt(0) lgkmcnt(0)
	v_fmac_f64_e32 v[82:83], v[90:91], v[86:87]
	;; [unrolled: 9-line block ×9, first 2 shown]
	buffer_load_dword v87, off, s[0:3], 0 offset:292
	buffer_load_dword v86, off, s[0:3], 0 offset:288
	s_waitcnt vmcnt(0)
	v_fmac_f64_e32 v[82:83], v[86:87], v[88:89]
	buffer_load_dword v89, off, s[0:3], 0 offset:300
	buffer_load_dword v88, off, s[0:3], 0 offset:296
	ds_read2_b64 v[84:87], v84 offset0:77 offset1:78
	s_waitcnt vmcnt(0) lgkmcnt(0)
	v_fmac_f64_e32 v[82:83], v[88:89], v[84:85]
	buffer_load_dword v85, off, s[0:3], 0 offset:308
	buffer_load_dword v84, off, s[0:3], 0 offset:304
	s_waitcnt vmcnt(0)
	v_fmac_f64_e32 v[82:83], v[84:85], v[86:87]
	v_add_f64 v[80:81], v[80:81], -v[82:83]
	buffer_store_dword v81, off, s[0:3], 0 offset:84
	buffer_store_dword v80, off, s[0:3], 0 offset:80
	s_and_saveexec_b64 s[4:5], vcc
	s_cbranch_execz .LBB38_223
; %bb.222:
	buffer_load_dword v80, off, s[0:3], 0 offset:72
	buffer_load_dword v81, off, s[0:3], 0 offset:76
	v_mov_b32_e32 v82, 0
	buffer_store_dword v82, off, s[0:3], 0 offset:72
	buffer_store_dword v82, off, s[0:3], 0 offset:76
	s_waitcnt vmcnt(2)
	ds_write_b64 v1, v[80:81]
.LBB38_223:
	s_or_b64 exec, exec, s[4:5]
	s_waitcnt lgkmcnt(0)
	; wave barrier
	s_waitcnt lgkmcnt(0)
	buffer_load_dword v80, off, s[0:3], 0 offset:72
	buffer_load_dword v81, off, s[0:3], 0 offset:76
	;; [unrolled: 1-line block ×16, first 2 shown]
	v_mov_b32_e32 v84, 0
	ds_read_b128 v[86:89], v84 offset:400
	ds_read_b128 v[90:93], v84 offset:416
	;; [unrolled: 1-line block ×4, first 2 shown]
	v_cmp_lt_u32_e32 vcc, 8, v0
	s_waitcnt vmcnt(12) lgkmcnt(3)
	v_fma_f64 v[82:83], v[82:83], v[86:87], 0
	buffer_load_dword v87, off, s[0:3], 0 offset:140
	buffer_load_dword v86, off, s[0:3], 0 offset:136
	s_waitcnt vmcnt(12)
	v_fmac_f64_e32 v[82:83], v[102:103], v[88:89]
	s_waitcnt vmcnt(10) lgkmcnt(2)
	v_fmac_f64_e32 v[82:83], v[104:105], v[90:91]
	buffer_load_dword v91, off, s[0:3], 0 offset:148
	buffer_load_dword v90, off, s[0:3], 0 offset:144
	s_waitcnt vmcnt(10)
	v_fmac_f64_e32 v[82:83], v[106:107], v[92:93]
	s_waitcnt vmcnt(8) lgkmcnt(1)
	v_fmac_f64_e32 v[82:83], v[108:109], v[94:95]
	s_waitcnt vmcnt(6)
	v_fmac_f64_e32 v[82:83], v[110:111], v[96:97]
	s_waitcnt vmcnt(4) lgkmcnt(0)
	v_fmac_f64_e32 v[82:83], v[112:113], v[98:99]
	s_waitcnt vmcnt(2)
	v_fmac_f64_e32 v[82:83], v[86:87], v[100:101]
	ds_read_b128 v[86:89], v84 offset:464
	s_waitcnt vmcnt(0) lgkmcnt(0)
	v_fmac_f64_e32 v[82:83], v[90:91], v[86:87]
	buffer_load_dword v87, off, s[0:3], 0 offset:156
	buffer_load_dword v86, off, s[0:3], 0 offset:152
	buffer_load_dword v91, off, s[0:3], 0 offset:164
	buffer_load_dword v90, off, s[0:3], 0 offset:160
	s_waitcnt vmcnt(2)
	v_fmac_f64_e32 v[82:83], v[86:87], v[88:89]
	ds_read_b128 v[86:89], v84 offset:480
	s_waitcnt vmcnt(0) lgkmcnt(0)
	v_fmac_f64_e32 v[82:83], v[90:91], v[86:87]
	buffer_load_dword v87, off, s[0:3], 0 offset:172
	buffer_load_dword v86, off, s[0:3], 0 offset:168
	buffer_load_dword v91, off, s[0:3], 0 offset:180
	buffer_load_dword v90, off, s[0:3], 0 offset:176
	;; [unrolled: 9-line block ×9, first 2 shown]
	s_waitcnt vmcnt(2)
	v_fmac_f64_e32 v[82:83], v[86:87], v[88:89]
	ds_read_b128 v[86:89], v84 offset:608
	s_waitcnt vmcnt(0) lgkmcnt(0)
	v_fmac_f64_e32 v[82:83], v[90:91], v[86:87]
	buffer_load_dword v87, off, s[0:3], 0 offset:300
	buffer_load_dword v86, off, s[0:3], 0 offset:296
	s_waitcnt vmcnt(0)
	v_fmac_f64_e32 v[82:83], v[86:87], v[88:89]
	buffer_load_dword v87, off, s[0:3], 0 offset:308
	buffer_load_dword v86, off, s[0:3], 0 offset:304
	ds_read_b64 v[88:89], v84 offset:624
	s_waitcnt vmcnt(0) lgkmcnt(0)
	v_fmac_f64_e32 v[82:83], v[86:87], v[88:89]
	v_add_f64 v[80:81], v[80:81], -v[82:83]
	buffer_store_dword v81, off, s[0:3], 0 offset:76
	buffer_store_dword v80, off, s[0:3], 0 offset:72
	s_and_saveexec_b64 s[4:5], vcc
	s_cbranch_execz .LBB38_225
; %bb.224:
	buffer_load_dword v80, off, s[0:3], 0 offset:64
	buffer_load_dword v81, off, s[0:3], 0 offset:68
	s_waitcnt vmcnt(0)
	ds_write_b64 v1, v[80:81]
	buffer_store_dword v84, off, s[0:3], 0 offset:64
	buffer_store_dword v84, off, s[0:3], 0 offset:68
.LBB38_225:
	s_or_b64 exec, exec, s[4:5]
	s_waitcnt lgkmcnt(0)
	; wave barrier
	s_waitcnt lgkmcnt(0)
	buffer_load_dword v80, off, s[0:3], 0 offset:64
	buffer_load_dword v81, off, s[0:3], 0 offset:68
	;; [unrolled: 1-line block ×16, first 2 shown]
	ds_read2_b64 v[86:89], v84 offset0:49 offset1:50
	v_cmp_lt_u32_e32 vcc, 7, v0
	s_waitcnt vmcnt(12) lgkmcnt(0)
	v_fma_f64 v[82:83], v[82:83], v[86:87], 0
	s_waitcnt vmcnt(10)
	v_fmac_f64_e32 v[82:83], v[90:91], v[88:89]
	ds_read2_b64 v[86:89], v84 offset0:51 offset1:52
	s_waitcnt vmcnt(8) lgkmcnt(0)
	v_fmac_f64_e32 v[82:83], v[92:93], v[86:87]
	s_waitcnt vmcnt(6)
	v_fmac_f64_e32 v[82:83], v[94:95], v[88:89]
	ds_read2_b64 v[86:89], v84 offset0:53 offset1:54
	s_waitcnt vmcnt(4) lgkmcnt(0)
	v_fmac_f64_e32 v[82:83], v[96:97], v[86:87]
	;; [unrolled: 5-line block ×3, first 2 shown]
	buffer_load_dword v87, off, s[0:3], 0 offset:132
	buffer_load_dword v86, off, s[0:3], 0 offset:128
	buffer_load_dword v91, off, s[0:3], 0 offset:140
	buffer_load_dword v90, off, s[0:3], 0 offset:136
	s_waitcnt vmcnt(2)
	v_fmac_f64_e32 v[82:83], v[86:87], v[88:89]
	ds_read2_b64 v[86:89], v84 offset0:57 offset1:58
	s_waitcnt vmcnt(0) lgkmcnt(0)
	v_fmac_f64_e32 v[82:83], v[90:91], v[86:87]
	buffer_load_dword v87, off, s[0:3], 0 offset:148
	buffer_load_dword v86, off, s[0:3], 0 offset:144
	buffer_load_dword v91, off, s[0:3], 0 offset:156
	buffer_load_dword v90, off, s[0:3], 0 offset:152
	s_waitcnt vmcnt(2)
	v_fmac_f64_e32 v[82:83], v[86:87], v[88:89]
	ds_read2_b64 v[86:89], v84 offset0:59 offset1:60
	s_waitcnt vmcnt(0) lgkmcnt(0)
	v_fmac_f64_e32 v[82:83], v[90:91], v[86:87]
	;; [unrolled: 9-line block ×10, first 2 shown]
	buffer_load_dword v87, off, s[0:3], 0 offset:292
	buffer_load_dword v86, off, s[0:3], 0 offset:288
	s_waitcnt vmcnt(0)
	v_fmac_f64_e32 v[82:83], v[86:87], v[88:89]
	buffer_load_dword v89, off, s[0:3], 0 offset:300
	buffer_load_dword v88, off, s[0:3], 0 offset:296
	ds_read2_b64 v[84:87], v84 offset0:77 offset1:78
	s_waitcnt vmcnt(0) lgkmcnt(0)
	v_fmac_f64_e32 v[82:83], v[88:89], v[84:85]
	buffer_load_dword v85, off, s[0:3], 0 offset:308
	buffer_load_dword v84, off, s[0:3], 0 offset:304
	s_waitcnt vmcnt(0)
	v_fmac_f64_e32 v[82:83], v[84:85], v[86:87]
	v_add_f64 v[80:81], v[80:81], -v[82:83]
	buffer_store_dword v81, off, s[0:3], 0 offset:68
	buffer_store_dword v80, off, s[0:3], 0 offset:64
	s_and_saveexec_b64 s[4:5], vcc
	s_cbranch_execz .LBB38_227
; %bb.226:
	buffer_load_dword v80, off, s[0:3], 0 offset:56
	buffer_load_dword v81, off, s[0:3], 0 offset:60
	v_mov_b32_e32 v82, 0
	buffer_store_dword v82, off, s[0:3], 0 offset:56
	buffer_store_dword v82, off, s[0:3], 0 offset:60
	s_waitcnt vmcnt(2)
	ds_write_b64 v1, v[80:81]
.LBB38_227:
	s_or_b64 exec, exec, s[4:5]
	s_waitcnt lgkmcnt(0)
	; wave barrier
	s_waitcnt lgkmcnt(0)
	buffer_load_dword v80, off, s[0:3], 0 offset:56
	buffer_load_dword v81, off, s[0:3], 0 offset:60
	buffer_load_dword v82, off, s[0:3], 0 offset:64
	buffer_load_dword v83, off, s[0:3], 0 offset:68
	buffer_load_dword v102, off, s[0:3], 0 offset:72
	buffer_load_dword v103, off, s[0:3], 0 offset:76
	buffer_load_dword v104, off, s[0:3], 0 offset:80
	buffer_load_dword v105, off, s[0:3], 0 offset:84
	buffer_load_dword v106, off, s[0:3], 0 offset:88
	buffer_load_dword v107, off, s[0:3], 0 offset:92
	buffer_load_dword v108, off, s[0:3], 0 offset:96
	buffer_load_dword v109, off, s[0:3], 0 offset:100
	buffer_load_dword v110, off, s[0:3], 0 offset:104
	buffer_load_dword v111, off, s[0:3], 0 offset:108
	buffer_load_dword v112, off, s[0:3], 0 offset:112
	buffer_load_dword v113, off, s[0:3], 0 offset:116
	v_mov_b32_e32 v84, 0
	ds_read_b128 v[86:89], v84 offset:384
	ds_read_b128 v[90:93], v84 offset:400
	;; [unrolled: 1-line block ×4, first 2 shown]
	v_cmp_lt_u32_e32 vcc, 6, v0
	s_waitcnt vmcnt(12) lgkmcnt(3)
	v_fma_f64 v[82:83], v[82:83], v[86:87], 0
	buffer_load_dword v87, off, s[0:3], 0 offset:124
	buffer_load_dword v86, off, s[0:3], 0 offset:120
	s_waitcnt vmcnt(12)
	v_fmac_f64_e32 v[82:83], v[102:103], v[88:89]
	s_waitcnt vmcnt(10) lgkmcnt(2)
	v_fmac_f64_e32 v[82:83], v[104:105], v[90:91]
	buffer_load_dword v91, off, s[0:3], 0 offset:132
	buffer_load_dword v90, off, s[0:3], 0 offset:128
	s_waitcnt vmcnt(10)
	v_fmac_f64_e32 v[82:83], v[106:107], v[92:93]
	s_waitcnt vmcnt(8) lgkmcnt(1)
	v_fmac_f64_e32 v[82:83], v[108:109], v[94:95]
	s_waitcnt vmcnt(6)
	v_fmac_f64_e32 v[82:83], v[110:111], v[96:97]
	s_waitcnt vmcnt(4) lgkmcnt(0)
	v_fmac_f64_e32 v[82:83], v[112:113], v[98:99]
	s_waitcnt vmcnt(2)
	v_fmac_f64_e32 v[82:83], v[86:87], v[100:101]
	ds_read_b128 v[86:89], v84 offset:448
	s_waitcnt vmcnt(0) lgkmcnt(0)
	v_fmac_f64_e32 v[82:83], v[90:91], v[86:87]
	buffer_load_dword v87, off, s[0:3], 0 offset:140
	buffer_load_dword v86, off, s[0:3], 0 offset:136
	buffer_load_dword v91, off, s[0:3], 0 offset:148
	buffer_load_dword v90, off, s[0:3], 0 offset:144
	s_waitcnt vmcnt(2)
	v_fmac_f64_e32 v[82:83], v[86:87], v[88:89]
	ds_read_b128 v[86:89], v84 offset:464
	s_waitcnt vmcnt(0) lgkmcnt(0)
	v_fmac_f64_e32 v[82:83], v[90:91], v[86:87]
	buffer_load_dword v87, off, s[0:3], 0 offset:156
	buffer_load_dword v86, off, s[0:3], 0 offset:152
	buffer_load_dword v91, off, s[0:3], 0 offset:164
	buffer_load_dword v90, off, s[0:3], 0 offset:160
	;; [unrolled: 9-line block ×10, first 2 shown]
	s_waitcnt vmcnt(2)
	v_fmac_f64_e32 v[82:83], v[86:87], v[88:89]
	ds_read_b128 v[86:89], v84 offset:608
	s_waitcnt vmcnt(0) lgkmcnt(0)
	v_fmac_f64_e32 v[82:83], v[90:91], v[86:87]
	buffer_load_dword v87, off, s[0:3], 0 offset:300
	buffer_load_dword v86, off, s[0:3], 0 offset:296
	s_waitcnt vmcnt(0)
	v_fmac_f64_e32 v[82:83], v[86:87], v[88:89]
	buffer_load_dword v87, off, s[0:3], 0 offset:308
	buffer_load_dword v86, off, s[0:3], 0 offset:304
	ds_read_b64 v[88:89], v84 offset:624
	s_waitcnt vmcnt(0) lgkmcnt(0)
	v_fmac_f64_e32 v[82:83], v[86:87], v[88:89]
	v_add_f64 v[80:81], v[80:81], -v[82:83]
	buffer_store_dword v81, off, s[0:3], 0 offset:60
	buffer_store_dword v80, off, s[0:3], 0 offset:56
	s_and_saveexec_b64 s[4:5], vcc
	s_cbranch_execz .LBB38_229
; %bb.228:
	buffer_load_dword v80, off, s[0:3], 0 offset:48
	buffer_load_dword v81, off, s[0:3], 0 offset:52
	s_waitcnt vmcnt(0)
	ds_write_b64 v1, v[80:81]
	buffer_store_dword v84, off, s[0:3], 0 offset:48
	buffer_store_dword v84, off, s[0:3], 0 offset:52
.LBB38_229:
	s_or_b64 exec, exec, s[4:5]
	s_waitcnt lgkmcnt(0)
	; wave barrier
	s_waitcnt lgkmcnt(0)
	buffer_load_dword v80, off, s[0:3], 0 offset:48
	buffer_load_dword v81, off, s[0:3], 0 offset:52
	;; [unrolled: 1-line block ×16, first 2 shown]
	ds_read2_b64 v[86:89], v84 offset0:47 offset1:48
	v_cmp_lt_u32_e32 vcc, 5, v0
	s_waitcnt vmcnt(12) lgkmcnt(0)
	v_fma_f64 v[82:83], v[82:83], v[86:87], 0
	s_waitcnt vmcnt(10)
	v_fmac_f64_e32 v[82:83], v[90:91], v[88:89]
	ds_read2_b64 v[86:89], v84 offset0:49 offset1:50
	s_waitcnt vmcnt(8) lgkmcnt(0)
	v_fmac_f64_e32 v[82:83], v[92:93], v[86:87]
	s_waitcnt vmcnt(6)
	v_fmac_f64_e32 v[82:83], v[94:95], v[88:89]
	ds_read2_b64 v[86:89], v84 offset0:51 offset1:52
	s_waitcnt vmcnt(4) lgkmcnt(0)
	v_fmac_f64_e32 v[82:83], v[96:97], v[86:87]
	;; [unrolled: 5-line block ×3, first 2 shown]
	buffer_load_dword v87, off, s[0:3], 0 offset:116
	buffer_load_dword v86, off, s[0:3], 0 offset:112
	buffer_load_dword v91, off, s[0:3], 0 offset:124
	buffer_load_dword v90, off, s[0:3], 0 offset:120
	s_waitcnt vmcnt(2)
	v_fmac_f64_e32 v[82:83], v[86:87], v[88:89]
	ds_read2_b64 v[86:89], v84 offset0:55 offset1:56
	s_waitcnt vmcnt(0) lgkmcnt(0)
	v_fmac_f64_e32 v[82:83], v[90:91], v[86:87]
	buffer_load_dword v87, off, s[0:3], 0 offset:132
	buffer_load_dword v86, off, s[0:3], 0 offset:128
	buffer_load_dword v91, off, s[0:3], 0 offset:140
	buffer_load_dword v90, off, s[0:3], 0 offset:136
	s_waitcnt vmcnt(2)
	v_fmac_f64_e32 v[82:83], v[86:87], v[88:89]
	ds_read2_b64 v[86:89], v84 offset0:57 offset1:58
	s_waitcnt vmcnt(0) lgkmcnt(0)
	v_fmac_f64_e32 v[82:83], v[90:91], v[86:87]
	buffer_load_dword v87, off, s[0:3], 0 offset:148
	buffer_load_dword v86, off, s[0:3], 0 offset:144
	buffer_load_dword v91, off, s[0:3], 0 offset:156
	buffer_load_dword v90, off, s[0:3], 0 offset:152
	s_waitcnt vmcnt(2)
	v_fmac_f64_e32 v[82:83], v[86:87], v[88:89]
	ds_read2_b64 v[86:89], v84 offset0:59 offset1:60
	s_waitcnt vmcnt(0) lgkmcnt(0)
	v_fmac_f64_e32 v[82:83], v[90:91], v[86:87]
	buffer_load_dword v87, off, s[0:3], 0 offset:164
	buffer_load_dword v86, off, s[0:3], 0 offset:160
	buffer_load_dword v91, off, s[0:3], 0 offset:172
	buffer_load_dword v90, off, s[0:3], 0 offset:168
	s_waitcnt vmcnt(2)
	v_fmac_f64_e32 v[82:83], v[86:87], v[88:89]
	ds_read2_b64 v[86:89], v84 offset0:61 offset1:62
	s_waitcnt vmcnt(0) lgkmcnt(0)
	v_fmac_f64_e32 v[82:83], v[90:91], v[86:87]
	buffer_load_dword v87, off, s[0:3], 0 offset:180
	buffer_load_dword v86, off, s[0:3], 0 offset:176
	buffer_load_dword v91, off, s[0:3], 0 offset:188
	buffer_load_dword v90, off, s[0:3], 0 offset:184
	s_waitcnt vmcnt(2)
	v_fmac_f64_e32 v[82:83], v[86:87], v[88:89]
	ds_read2_b64 v[86:89], v84 offset0:63 offset1:64
	s_waitcnt vmcnt(0) lgkmcnt(0)
	v_fmac_f64_e32 v[82:83], v[90:91], v[86:87]
	buffer_load_dword v87, off, s[0:3], 0 offset:196
	buffer_load_dword v86, off, s[0:3], 0 offset:192
	buffer_load_dword v91, off, s[0:3], 0 offset:204
	buffer_load_dword v90, off, s[0:3], 0 offset:200
	s_waitcnt vmcnt(2)
	v_fmac_f64_e32 v[82:83], v[86:87], v[88:89]
	ds_read2_b64 v[86:89], v84 offset0:65 offset1:66
	s_waitcnt vmcnt(0) lgkmcnt(0)
	v_fmac_f64_e32 v[82:83], v[90:91], v[86:87]
	buffer_load_dword v87, off, s[0:3], 0 offset:212
	buffer_load_dword v86, off, s[0:3], 0 offset:208
	buffer_load_dword v91, off, s[0:3], 0 offset:220
	buffer_load_dword v90, off, s[0:3], 0 offset:216
	s_waitcnt vmcnt(2)
	v_fmac_f64_e32 v[82:83], v[86:87], v[88:89]
	ds_read2_b64 v[86:89], v84 offset0:67 offset1:68
	s_waitcnt vmcnt(0) lgkmcnt(0)
	v_fmac_f64_e32 v[82:83], v[90:91], v[86:87]
	buffer_load_dword v87, off, s[0:3], 0 offset:228
	buffer_load_dword v86, off, s[0:3], 0 offset:224
	buffer_load_dword v91, off, s[0:3], 0 offset:236
	buffer_load_dword v90, off, s[0:3], 0 offset:232
	s_waitcnt vmcnt(2)
	v_fmac_f64_e32 v[82:83], v[86:87], v[88:89]
	ds_read2_b64 v[86:89], v84 offset0:69 offset1:70
	s_waitcnt vmcnt(0) lgkmcnt(0)
	v_fmac_f64_e32 v[82:83], v[90:91], v[86:87]
	buffer_load_dword v87, off, s[0:3], 0 offset:244
	buffer_load_dword v86, off, s[0:3], 0 offset:240
	buffer_load_dword v91, off, s[0:3], 0 offset:252
	buffer_load_dword v90, off, s[0:3], 0 offset:248
	s_waitcnt vmcnt(2)
	v_fmac_f64_e32 v[82:83], v[86:87], v[88:89]
	ds_read2_b64 v[86:89], v84 offset0:71 offset1:72
	s_waitcnt vmcnt(0) lgkmcnt(0)
	v_fmac_f64_e32 v[82:83], v[90:91], v[86:87]
	buffer_load_dword v87, off, s[0:3], 0 offset:260
	buffer_load_dword v86, off, s[0:3], 0 offset:256
	buffer_load_dword v91, off, s[0:3], 0 offset:268
	buffer_load_dword v90, off, s[0:3], 0 offset:264
	s_waitcnt vmcnt(2)
	v_fmac_f64_e32 v[82:83], v[86:87], v[88:89]
	ds_read2_b64 v[86:89], v84 offset0:73 offset1:74
	s_waitcnt vmcnt(0) lgkmcnt(0)
	v_fmac_f64_e32 v[82:83], v[90:91], v[86:87]
	buffer_load_dword v87, off, s[0:3], 0 offset:276
	buffer_load_dword v86, off, s[0:3], 0 offset:272
	buffer_load_dword v91, off, s[0:3], 0 offset:284
	buffer_load_dword v90, off, s[0:3], 0 offset:280
	s_waitcnt vmcnt(2)
	v_fmac_f64_e32 v[82:83], v[86:87], v[88:89]
	ds_read2_b64 v[86:89], v84 offset0:75 offset1:76
	s_waitcnt vmcnt(0) lgkmcnt(0)
	v_fmac_f64_e32 v[82:83], v[90:91], v[86:87]
	buffer_load_dword v87, off, s[0:3], 0 offset:292
	buffer_load_dword v86, off, s[0:3], 0 offset:288
	s_waitcnt vmcnt(0)
	v_fmac_f64_e32 v[82:83], v[86:87], v[88:89]
	buffer_load_dword v89, off, s[0:3], 0 offset:300
	buffer_load_dword v88, off, s[0:3], 0 offset:296
	ds_read2_b64 v[84:87], v84 offset0:77 offset1:78
	s_waitcnt vmcnt(0) lgkmcnt(0)
	v_fmac_f64_e32 v[82:83], v[88:89], v[84:85]
	buffer_load_dword v85, off, s[0:3], 0 offset:308
	buffer_load_dword v84, off, s[0:3], 0 offset:304
	s_waitcnt vmcnt(0)
	v_fmac_f64_e32 v[82:83], v[84:85], v[86:87]
	v_add_f64 v[80:81], v[80:81], -v[82:83]
	buffer_store_dword v81, off, s[0:3], 0 offset:52
	buffer_store_dword v80, off, s[0:3], 0 offset:48
	s_and_saveexec_b64 s[4:5], vcc
	s_cbranch_execz .LBB38_231
; %bb.230:
	buffer_load_dword v80, off, s[0:3], 0 offset:40
	buffer_load_dword v81, off, s[0:3], 0 offset:44
	v_mov_b32_e32 v82, 0
	buffer_store_dword v82, off, s[0:3], 0 offset:40
	buffer_store_dword v82, off, s[0:3], 0 offset:44
	s_waitcnt vmcnt(2)
	ds_write_b64 v1, v[80:81]
.LBB38_231:
	s_or_b64 exec, exec, s[4:5]
	s_waitcnt lgkmcnt(0)
	; wave barrier
	s_waitcnt lgkmcnt(0)
	buffer_load_dword v80, off, s[0:3], 0 offset:40
	buffer_load_dword v81, off, s[0:3], 0 offset:44
	buffer_load_dword v82, off, s[0:3], 0 offset:48
	buffer_load_dword v83, off, s[0:3], 0 offset:52
	buffer_load_dword v102, off, s[0:3], 0 offset:56
	buffer_load_dword v103, off, s[0:3], 0 offset:60
	buffer_load_dword v104, off, s[0:3], 0 offset:64
	buffer_load_dword v105, off, s[0:3], 0 offset:68
	buffer_load_dword v106, off, s[0:3], 0 offset:72
	buffer_load_dword v107, off, s[0:3], 0 offset:76
	buffer_load_dword v108, off, s[0:3], 0 offset:80
	buffer_load_dword v109, off, s[0:3], 0 offset:84
	buffer_load_dword v110, off, s[0:3], 0 offset:88
	buffer_load_dword v111, off, s[0:3], 0 offset:92
	buffer_load_dword v112, off, s[0:3], 0 offset:96
	buffer_load_dword v113, off, s[0:3], 0 offset:100
	v_mov_b32_e32 v84, 0
	ds_read_b128 v[86:89], v84 offset:368
	ds_read_b128 v[90:93], v84 offset:384
	;; [unrolled: 1-line block ×4, first 2 shown]
	v_cmp_lt_u32_e32 vcc, 4, v0
	s_waitcnt vmcnt(12) lgkmcnt(3)
	v_fma_f64 v[82:83], v[82:83], v[86:87], 0
	buffer_load_dword v87, off, s[0:3], 0 offset:108
	buffer_load_dword v86, off, s[0:3], 0 offset:104
	s_waitcnt vmcnt(12)
	v_fmac_f64_e32 v[82:83], v[102:103], v[88:89]
	s_waitcnt vmcnt(10) lgkmcnt(2)
	v_fmac_f64_e32 v[82:83], v[104:105], v[90:91]
	buffer_load_dword v91, off, s[0:3], 0 offset:116
	buffer_load_dword v90, off, s[0:3], 0 offset:112
	s_waitcnt vmcnt(10)
	v_fmac_f64_e32 v[82:83], v[106:107], v[92:93]
	s_waitcnt vmcnt(8) lgkmcnt(1)
	v_fmac_f64_e32 v[82:83], v[108:109], v[94:95]
	s_waitcnt vmcnt(6)
	v_fmac_f64_e32 v[82:83], v[110:111], v[96:97]
	s_waitcnt vmcnt(4) lgkmcnt(0)
	v_fmac_f64_e32 v[82:83], v[112:113], v[98:99]
	s_waitcnt vmcnt(2)
	v_fmac_f64_e32 v[82:83], v[86:87], v[100:101]
	ds_read_b128 v[86:89], v84 offset:432
	s_waitcnt vmcnt(0) lgkmcnt(0)
	v_fmac_f64_e32 v[82:83], v[90:91], v[86:87]
	buffer_load_dword v87, off, s[0:3], 0 offset:124
	buffer_load_dword v86, off, s[0:3], 0 offset:120
	buffer_load_dword v91, off, s[0:3], 0 offset:132
	buffer_load_dword v90, off, s[0:3], 0 offset:128
	s_waitcnt vmcnt(2)
	v_fmac_f64_e32 v[82:83], v[86:87], v[88:89]
	ds_read_b128 v[86:89], v84 offset:448
	s_waitcnt vmcnt(0) lgkmcnt(0)
	v_fmac_f64_e32 v[82:83], v[90:91], v[86:87]
	buffer_load_dword v87, off, s[0:3], 0 offset:140
	buffer_load_dword v86, off, s[0:3], 0 offset:136
	buffer_load_dword v91, off, s[0:3], 0 offset:148
	buffer_load_dword v90, off, s[0:3], 0 offset:144
	;; [unrolled: 9-line block ×11, first 2 shown]
	s_waitcnt vmcnt(2)
	v_fmac_f64_e32 v[82:83], v[86:87], v[88:89]
	ds_read_b128 v[86:89], v84 offset:608
	s_waitcnt vmcnt(0) lgkmcnt(0)
	v_fmac_f64_e32 v[82:83], v[90:91], v[86:87]
	buffer_load_dword v87, off, s[0:3], 0 offset:300
	buffer_load_dword v86, off, s[0:3], 0 offset:296
	s_waitcnt vmcnt(0)
	v_fmac_f64_e32 v[82:83], v[86:87], v[88:89]
	buffer_load_dword v87, off, s[0:3], 0 offset:308
	buffer_load_dword v86, off, s[0:3], 0 offset:304
	ds_read_b64 v[88:89], v84 offset:624
	s_waitcnt vmcnt(0) lgkmcnt(0)
	v_fmac_f64_e32 v[82:83], v[86:87], v[88:89]
	v_add_f64 v[80:81], v[80:81], -v[82:83]
	buffer_store_dword v81, off, s[0:3], 0 offset:44
	buffer_store_dword v80, off, s[0:3], 0 offset:40
	s_and_saveexec_b64 s[4:5], vcc
	s_cbranch_execz .LBB38_233
; %bb.232:
	buffer_load_dword v80, off, s[0:3], 0 offset:32
	buffer_load_dword v81, off, s[0:3], 0 offset:36
	s_waitcnt vmcnt(0)
	ds_write_b64 v1, v[80:81]
	buffer_store_dword v84, off, s[0:3], 0 offset:32
	buffer_store_dword v84, off, s[0:3], 0 offset:36
.LBB38_233:
	s_or_b64 exec, exec, s[4:5]
	s_waitcnt lgkmcnt(0)
	; wave barrier
	s_waitcnt lgkmcnt(0)
	buffer_load_dword v80, off, s[0:3], 0 offset:32
	buffer_load_dword v81, off, s[0:3], 0 offset:36
	;; [unrolled: 1-line block ×16, first 2 shown]
	ds_read2_b64 v[86:89], v84 offset0:45 offset1:46
	v_cmp_lt_u32_e32 vcc, 3, v0
	s_waitcnt vmcnt(12) lgkmcnt(0)
	v_fma_f64 v[82:83], v[82:83], v[86:87], 0
	s_waitcnt vmcnt(10)
	v_fmac_f64_e32 v[82:83], v[90:91], v[88:89]
	ds_read2_b64 v[86:89], v84 offset0:47 offset1:48
	s_waitcnt vmcnt(8) lgkmcnt(0)
	v_fmac_f64_e32 v[82:83], v[92:93], v[86:87]
	s_waitcnt vmcnt(6)
	v_fmac_f64_e32 v[82:83], v[94:95], v[88:89]
	ds_read2_b64 v[86:89], v84 offset0:49 offset1:50
	s_waitcnt vmcnt(4) lgkmcnt(0)
	v_fmac_f64_e32 v[82:83], v[96:97], v[86:87]
	;; [unrolled: 5-line block ×3, first 2 shown]
	buffer_load_dword v87, off, s[0:3], 0 offset:100
	buffer_load_dword v86, off, s[0:3], 0 offset:96
	buffer_load_dword v91, off, s[0:3], 0 offset:108
	buffer_load_dword v90, off, s[0:3], 0 offset:104
	s_waitcnt vmcnt(2)
	v_fmac_f64_e32 v[82:83], v[86:87], v[88:89]
	ds_read2_b64 v[86:89], v84 offset0:53 offset1:54
	s_waitcnt vmcnt(0) lgkmcnt(0)
	v_fmac_f64_e32 v[82:83], v[90:91], v[86:87]
	buffer_load_dword v87, off, s[0:3], 0 offset:116
	buffer_load_dword v86, off, s[0:3], 0 offset:112
	buffer_load_dword v91, off, s[0:3], 0 offset:124
	buffer_load_dword v90, off, s[0:3], 0 offset:120
	s_waitcnt vmcnt(2)
	v_fmac_f64_e32 v[82:83], v[86:87], v[88:89]
	ds_read2_b64 v[86:89], v84 offset0:55 offset1:56
	s_waitcnt vmcnt(0) lgkmcnt(0)
	v_fmac_f64_e32 v[82:83], v[90:91], v[86:87]
	;; [unrolled: 9-line block ×12, first 2 shown]
	buffer_load_dword v87, off, s[0:3], 0 offset:292
	buffer_load_dword v86, off, s[0:3], 0 offset:288
	s_waitcnt vmcnt(0)
	v_fmac_f64_e32 v[82:83], v[86:87], v[88:89]
	buffer_load_dword v89, off, s[0:3], 0 offset:300
	buffer_load_dword v88, off, s[0:3], 0 offset:296
	ds_read2_b64 v[84:87], v84 offset0:77 offset1:78
	s_waitcnt vmcnt(0) lgkmcnt(0)
	v_fmac_f64_e32 v[82:83], v[88:89], v[84:85]
	buffer_load_dword v85, off, s[0:3], 0 offset:308
	buffer_load_dword v84, off, s[0:3], 0 offset:304
	s_waitcnt vmcnt(0)
	v_fmac_f64_e32 v[82:83], v[84:85], v[86:87]
	v_add_f64 v[80:81], v[80:81], -v[82:83]
	buffer_store_dword v81, off, s[0:3], 0 offset:36
	buffer_store_dword v80, off, s[0:3], 0 offset:32
	s_and_saveexec_b64 s[4:5], vcc
	s_cbranch_execz .LBB38_235
; %bb.234:
	buffer_load_dword v80, off, s[0:3], 0 offset:24
	buffer_load_dword v81, off, s[0:3], 0 offset:28
	v_mov_b32_e32 v82, 0
	buffer_store_dword v82, off, s[0:3], 0 offset:24
	buffer_store_dword v82, off, s[0:3], 0 offset:28
	s_waitcnt vmcnt(2)
	ds_write_b64 v1, v[80:81]
.LBB38_235:
	s_or_b64 exec, exec, s[4:5]
	s_waitcnt lgkmcnt(0)
	; wave barrier
	s_waitcnt lgkmcnt(0)
	buffer_load_dword v80, off, s[0:3], 0 offset:24
	buffer_load_dword v81, off, s[0:3], 0 offset:28
	;; [unrolled: 1-line block ×16, first 2 shown]
	v_mov_b32_e32 v84, 0
	ds_read_b128 v[86:89], v84 offset:352
	ds_read_b128 v[90:93], v84 offset:368
	;; [unrolled: 1-line block ×4, first 2 shown]
	v_cmp_lt_u32_e32 vcc, 2, v0
	s_waitcnt vmcnt(12) lgkmcnt(3)
	v_fma_f64 v[82:83], v[82:83], v[86:87], 0
	buffer_load_dword v87, off, s[0:3], 0 offset:92
	buffer_load_dword v86, off, s[0:3], 0 offset:88
	s_waitcnt vmcnt(12)
	v_fmac_f64_e32 v[82:83], v[102:103], v[88:89]
	s_waitcnt vmcnt(10) lgkmcnt(2)
	v_fmac_f64_e32 v[82:83], v[104:105], v[90:91]
	buffer_load_dword v91, off, s[0:3], 0 offset:100
	buffer_load_dword v90, off, s[0:3], 0 offset:96
	s_waitcnt vmcnt(10)
	v_fmac_f64_e32 v[82:83], v[106:107], v[92:93]
	s_waitcnt vmcnt(8) lgkmcnt(1)
	v_fmac_f64_e32 v[82:83], v[108:109], v[94:95]
	s_waitcnt vmcnt(6)
	v_fmac_f64_e32 v[82:83], v[110:111], v[96:97]
	s_waitcnt vmcnt(4) lgkmcnt(0)
	v_fmac_f64_e32 v[82:83], v[112:113], v[98:99]
	s_waitcnt vmcnt(2)
	v_fmac_f64_e32 v[82:83], v[86:87], v[100:101]
	ds_read_b128 v[86:89], v84 offset:416
	s_waitcnt vmcnt(0) lgkmcnt(0)
	v_fmac_f64_e32 v[82:83], v[90:91], v[86:87]
	buffer_load_dword v87, off, s[0:3], 0 offset:108
	buffer_load_dword v86, off, s[0:3], 0 offset:104
	buffer_load_dword v91, off, s[0:3], 0 offset:116
	buffer_load_dword v90, off, s[0:3], 0 offset:112
	s_waitcnt vmcnt(2)
	v_fmac_f64_e32 v[82:83], v[86:87], v[88:89]
	ds_read_b128 v[86:89], v84 offset:432
	s_waitcnt vmcnt(0) lgkmcnt(0)
	v_fmac_f64_e32 v[82:83], v[90:91], v[86:87]
	buffer_load_dword v87, off, s[0:3], 0 offset:124
	buffer_load_dword v86, off, s[0:3], 0 offset:120
	buffer_load_dword v91, off, s[0:3], 0 offset:132
	buffer_load_dword v90, off, s[0:3], 0 offset:128
	;; [unrolled: 9-line block ×12, first 2 shown]
	s_waitcnt vmcnt(2)
	v_fmac_f64_e32 v[82:83], v[86:87], v[88:89]
	ds_read_b128 v[86:89], v84 offset:608
	s_waitcnt vmcnt(0) lgkmcnt(0)
	v_fmac_f64_e32 v[82:83], v[90:91], v[86:87]
	buffer_load_dword v87, off, s[0:3], 0 offset:300
	buffer_load_dword v86, off, s[0:3], 0 offset:296
	s_waitcnt vmcnt(0)
	v_fmac_f64_e32 v[82:83], v[86:87], v[88:89]
	buffer_load_dword v87, off, s[0:3], 0 offset:308
	buffer_load_dword v86, off, s[0:3], 0 offset:304
	ds_read_b64 v[88:89], v84 offset:624
	s_waitcnt vmcnt(0) lgkmcnt(0)
	v_fmac_f64_e32 v[82:83], v[86:87], v[88:89]
	v_add_f64 v[80:81], v[80:81], -v[82:83]
	buffer_store_dword v81, off, s[0:3], 0 offset:28
	buffer_store_dword v80, off, s[0:3], 0 offset:24
	s_and_saveexec_b64 s[4:5], vcc
	s_cbranch_execz .LBB38_237
; %bb.236:
	buffer_load_dword v80, off, s[0:3], 0 offset:16
	buffer_load_dword v81, off, s[0:3], 0 offset:20
	s_waitcnt vmcnt(0)
	ds_write_b64 v1, v[80:81]
	buffer_store_dword v84, off, s[0:3], 0 offset:16
	buffer_store_dword v84, off, s[0:3], 0 offset:20
.LBB38_237:
	s_or_b64 exec, exec, s[4:5]
	s_waitcnt lgkmcnt(0)
	; wave barrier
	s_waitcnt lgkmcnt(0)
	buffer_load_dword v80, off, s[0:3], 0 offset:16
	buffer_load_dword v81, off, s[0:3], 0 offset:20
	;; [unrolled: 1-line block ×16, first 2 shown]
	ds_read2_b64 v[86:89], v84 offset0:43 offset1:44
	v_cmp_lt_u32_e32 vcc, 1, v0
	s_waitcnt vmcnt(12) lgkmcnt(0)
	v_fma_f64 v[82:83], v[82:83], v[86:87], 0
	s_waitcnt vmcnt(10)
	v_fmac_f64_e32 v[82:83], v[90:91], v[88:89]
	ds_read2_b64 v[86:89], v84 offset0:45 offset1:46
	s_waitcnt vmcnt(8) lgkmcnt(0)
	v_fmac_f64_e32 v[82:83], v[92:93], v[86:87]
	s_waitcnt vmcnt(6)
	v_fmac_f64_e32 v[82:83], v[94:95], v[88:89]
	ds_read2_b64 v[86:89], v84 offset0:47 offset1:48
	s_waitcnt vmcnt(4) lgkmcnt(0)
	v_fmac_f64_e32 v[82:83], v[96:97], v[86:87]
	;; [unrolled: 5-line block ×3, first 2 shown]
	buffer_load_dword v87, off, s[0:3], 0 offset:84
	buffer_load_dword v86, off, s[0:3], 0 offset:80
	buffer_load_dword v91, off, s[0:3], 0 offset:92
	buffer_load_dword v90, off, s[0:3], 0 offset:88
	s_waitcnt vmcnt(2)
	v_fmac_f64_e32 v[82:83], v[86:87], v[88:89]
	ds_read2_b64 v[86:89], v84 offset0:51 offset1:52
	s_waitcnt vmcnt(0) lgkmcnt(0)
	v_fmac_f64_e32 v[82:83], v[90:91], v[86:87]
	buffer_load_dword v87, off, s[0:3], 0 offset:100
	buffer_load_dword v86, off, s[0:3], 0 offset:96
	buffer_load_dword v91, off, s[0:3], 0 offset:108
	buffer_load_dword v90, off, s[0:3], 0 offset:104
	s_waitcnt vmcnt(2)
	v_fmac_f64_e32 v[82:83], v[86:87], v[88:89]
	ds_read2_b64 v[86:89], v84 offset0:53 offset1:54
	s_waitcnt vmcnt(0) lgkmcnt(0)
	v_fmac_f64_e32 v[82:83], v[90:91], v[86:87]
	;; [unrolled: 9-line block ×13, first 2 shown]
	buffer_load_dword v87, off, s[0:3], 0 offset:292
	buffer_load_dword v86, off, s[0:3], 0 offset:288
	s_waitcnt vmcnt(0)
	v_fmac_f64_e32 v[82:83], v[86:87], v[88:89]
	buffer_load_dword v89, off, s[0:3], 0 offset:300
	buffer_load_dword v88, off, s[0:3], 0 offset:296
	ds_read2_b64 v[84:87], v84 offset0:77 offset1:78
	s_waitcnt vmcnt(0) lgkmcnt(0)
	v_fmac_f64_e32 v[82:83], v[88:89], v[84:85]
	buffer_load_dword v85, off, s[0:3], 0 offset:308
	buffer_load_dword v84, off, s[0:3], 0 offset:304
	s_waitcnt vmcnt(0)
	v_fmac_f64_e32 v[82:83], v[84:85], v[86:87]
	v_add_f64 v[80:81], v[80:81], -v[82:83]
	buffer_store_dword v81, off, s[0:3], 0 offset:20
	buffer_store_dword v80, off, s[0:3], 0 offset:16
	s_and_saveexec_b64 s[4:5], vcc
	s_cbranch_execz .LBB38_239
; %bb.238:
	buffer_load_dword v80, off, s[0:3], 0 offset:8
	buffer_load_dword v81, off, s[0:3], 0 offset:12
	v_mov_b32_e32 v82, 0
	buffer_store_dword v82, off, s[0:3], 0 offset:8
	buffer_store_dword v82, off, s[0:3], 0 offset:12
	s_waitcnt vmcnt(2)
	ds_write_b64 v1, v[80:81]
.LBB38_239:
	s_or_b64 exec, exec, s[4:5]
	s_waitcnt lgkmcnt(0)
	; wave barrier
	s_waitcnt lgkmcnt(0)
	buffer_load_dword v80, off, s[0:3], 0 offset:8
	buffer_load_dword v81, off, s[0:3], 0 offset:12
	;; [unrolled: 1-line block ×16, first 2 shown]
	v_mov_b32_e32 v84, 0
	ds_read_b128 v[86:89], v84 offset:336
	ds_read_b128 v[90:93], v84 offset:352
	;; [unrolled: 1-line block ×4, first 2 shown]
	v_cmp_ne_u32_e32 vcc, 0, v0
	s_waitcnt vmcnt(12) lgkmcnt(3)
	v_fma_f64 v[82:83], v[82:83], v[86:87], 0
	buffer_load_dword v87, off, s[0:3], 0 offset:76
	buffer_load_dword v86, off, s[0:3], 0 offset:72
	s_waitcnt vmcnt(12)
	v_fmac_f64_e32 v[82:83], v[102:103], v[88:89]
	s_waitcnt vmcnt(10) lgkmcnt(2)
	v_fmac_f64_e32 v[82:83], v[104:105], v[90:91]
	buffer_load_dword v91, off, s[0:3], 0 offset:84
	buffer_load_dword v90, off, s[0:3], 0 offset:80
	s_waitcnt vmcnt(10)
	v_fmac_f64_e32 v[82:83], v[106:107], v[92:93]
	s_waitcnt vmcnt(8) lgkmcnt(1)
	v_fmac_f64_e32 v[82:83], v[108:109], v[94:95]
	s_waitcnt vmcnt(6)
	v_fmac_f64_e32 v[82:83], v[110:111], v[96:97]
	s_waitcnt vmcnt(4) lgkmcnt(0)
	v_fmac_f64_e32 v[82:83], v[112:113], v[98:99]
	s_waitcnt vmcnt(2)
	v_fmac_f64_e32 v[82:83], v[86:87], v[100:101]
	ds_read_b128 v[86:89], v84 offset:400
	s_waitcnt vmcnt(0) lgkmcnt(0)
	v_fmac_f64_e32 v[82:83], v[90:91], v[86:87]
	buffer_load_dword v87, off, s[0:3], 0 offset:92
	buffer_load_dword v86, off, s[0:3], 0 offset:88
	buffer_load_dword v91, off, s[0:3], 0 offset:100
	buffer_load_dword v90, off, s[0:3], 0 offset:96
	s_waitcnt vmcnt(2)
	v_fmac_f64_e32 v[82:83], v[86:87], v[88:89]
	ds_read_b128 v[86:89], v84 offset:416
	s_waitcnt vmcnt(0) lgkmcnt(0)
	v_fmac_f64_e32 v[82:83], v[90:91], v[86:87]
	buffer_load_dword v87, off, s[0:3], 0 offset:108
	buffer_load_dword v86, off, s[0:3], 0 offset:104
	buffer_load_dword v91, off, s[0:3], 0 offset:116
	buffer_load_dword v90, off, s[0:3], 0 offset:112
	;; [unrolled: 9-line block ×13, first 2 shown]
	s_waitcnt vmcnt(2)
	v_fmac_f64_e32 v[82:83], v[86:87], v[88:89]
	ds_read_b128 v[86:89], v84 offset:608
	s_waitcnt vmcnt(0) lgkmcnt(0)
	v_fmac_f64_e32 v[82:83], v[90:91], v[86:87]
	buffer_load_dword v87, off, s[0:3], 0 offset:300
	buffer_load_dword v86, off, s[0:3], 0 offset:296
	s_waitcnt vmcnt(0)
	v_fmac_f64_e32 v[82:83], v[86:87], v[88:89]
	buffer_load_dword v87, off, s[0:3], 0 offset:308
	buffer_load_dword v86, off, s[0:3], 0 offset:304
	ds_read_b64 v[88:89], v84 offset:624
	s_waitcnt vmcnt(0) lgkmcnt(0)
	v_fmac_f64_e32 v[82:83], v[86:87], v[88:89]
	v_add_f64 v[80:81], v[80:81], -v[82:83]
	buffer_store_dword v81, off, s[0:3], 0 offset:12
	buffer_store_dword v80, off, s[0:3], 0 offset:8
	s_and_saveexec_b64 s[4:5], vcc
	s_cbranch_execz .LBB38_241
; %bb.240:
	buffer_load_dword v80, off, s[0:3], 0
	buffer_load_dword v81, off, s[0:3], 0 offset:4
	s_waitcnt vmcnt(0)
	ds_write_b64 v1, v[80:81]
	buffer_store_dword v84, off, s[0:3], 0
	buffer_store_dword v84, off, s[0:3], 0 offset:4
.LBB38_241:
	s_or_b64 exec, exec, s[4:5]
	s_waitcnt lgkmcnt(0)
	; wave barrier
	s_waitcnt lgkmcnt(0)
	buffer_load_dword v0, off, s[0:3], 0
	buffer_load_dword v1, off, s[0:3], 0 offset:4
	buffer_load_dword v86, off, s[0:3], 0 offset:8
	buffer_load_dword v87, off, s[0:3], 0 offset:12
	buffer_load_dword v88, off, s[0:3], 0 offset:16
	buffer_load_dword v89, off, s[0:3], 0 offset:20
	buffer_load_dword v90, off, s[0:3], 0 offset:24
	buffer_load_dword v91, off, s[0:3], 0 offset:28
	buffer_load_dword v92, off, s[0:3], 0 offset:32
	buffer_load_dword v93, off, s[0:3], 0 offset:36
	buffer_load_dword v94, off, s[0:3], 0 offset:40
	buffer_load_dword v95, off, s[0:3], 0 offset:44
	buffer_load_dword v96, off, s[0:3], 0 offset:48
	buffer_load_dword v97, off, s[0:3], 0 offset:52
	buffer_load_dword v98, off, s[0:3], 0 offset:56
	buffer_load_dword v99, off, s[0:3], 0 offset:60
	ds_read2_b64 v[80:83], v84 offset0:41 offset1:42
	s_and_b64 vcc, exec, s[20:21]
	s_waitcnt vmcnt(12) lgkmcnt(0)
	v_fma_f64 v[80:81], v[86:87], v[80:81], 0
	s_waitcnt vmcnt(10)
	v_fmac_f64_e32 v[80:81], v[88:89], v[82:83]
	ds_read2_b64 v[86:89], v84 offset0:43 offset1:44
	s_waitcnt vmcnt(8) lgkmcnt(0)
	v_fmac_f64_e32 v[80:81], v[90:91], v[86:87]
	s_waitcnt vmcnt(6)
	v_fmac_f64_e32 v[80:81], v[92:93], v[88:89]
	ds_read2_b64 v[86:89], v84 offset0:45 offset1:46
	s_waitcnt vmcnt(4) lgkmcnt(0)
	v_fmac_f64_e32 v[80:81], v[94:95], v[86:87]
	s_waitcnt vmcnt(2)
	v_fmac_f64_e32 v[80:81], v[96:97], v[88:89]
	ds_read2_b64 v[86:89], v84 offset0:47 offset1:48
	buffer_load_dword v83, off, s[0:3], 0 offset:68
	buffer_load_dword v82, off, s[0:3], 0 offset:64
	s_waitcnt vmcnt(2) lgkmcnt(0)
	v_fmac_f64_e32 v[80:81], v[98:99], v[86:87]
	s_waitcnt vmcnt(0)
	v_fmac_f64_e32 v[80:81], v[82:83], v[88:89]
	buffer_load_dword v83, off, s[0:3], 0 offset:76
	buffer_load_dword v82, off, s[0:3], 0 offset:72
	ds_read2_b64 v[86:89], v84 offset0:49 offset1:50
	s_waitcnt vmcnt(0) lgkmcnt(0)
	v_fmac_f64_e32 v[80:81], v[82:83], v[86:87]
	buffer_load_dword v83, off, s[0:3], 0 offset:84
	buffer_load_dword v82, off, s[0:3], 0 offset:80
	s_waitcnt vmcnt(0)
	v_fmac_f64_e32 v[80:81], v[82:83], v[88:89]
	buffer_load_dword v83, off, s[0:3], 0 offset:92
	buffer_load_dword v82, off, s[0:3], 0 offset:88
	ds_read2_b64 v[86:89], v84 offset0:51 offset1:52
	s_waitcnt vmcnt(0) lgkmcnt(0)
	v_fmac_f64_e32 v[80:81], v[82:83], v[86:87]
	buffer_load_dword v83, off, s[0:3], 0 offset:100
	buffer_load_dword v82, off, s[0:3], 0 offset:96
	;; [unrolled: 9-line block ×15, first 2 shown]
	s_waitcnt vmcnt(0)
	v_fmac_f64_e32 v[80:81], v[84:85], v[86:87]
	v_add_f64 v[0:1], v[0:1], -v[80:81]
	buffer_store_dword v1, off, s[0:3], 0 offset:4
	buffer_store_dword v0, off, s[0:3], 0
	s_cbranch_vccz .LBB38_319
; %bb.242:
	v_pk_mov_b32 v[0:1], s[10:11], s[10:11] op_sel:[0,1]
	flat_load_dword v0, v[0:1] offset:148
	s_waitcnt vmcnt(0) lgkmcnt(0)
	v_add_u32_e32 v0, -1, v0
	v_cmp_ne_u32_e32 vcc, 37, v0
	s_and_saveexec_b64 s[4:5], vcc
	s_cbranch_execz .LBB38_244
; %bb.243:
	v_mov_b32_e32 v1, 0
	v_lshl_add_u32 v0, v0, 3, v1
	buffer_load_dword v1, v0, s[0:3], 0 offen
	buffer_load_dword v80, v0, s[0:3], 0 offen offset:4
	s_waitcnt vmcnt(1)
	buffer_store_dword v1, off, s[0:3], 0 offset:296
	s_waitcnt vmcnt(1)
	buffer_store_dword v80, off, s[0:3], 0 offset:300
	buffer_store_dword v82, v0, s[0:3], 0 offen
	buffer_store_dword v83, v0, s[0:3], 0 offen offset:4
.LBB38_244:
	s_or_b64 exec, exec, s[4:5]
	v_pk_mov_b32 v[0:1], s[10:11], s[10:11] op_sel:[0,1]
	flat_load_dword v0, v[0:1] offset:144
	s_waitcnt vmcnt(0) lgkmcnt(0)
	v_add_u32_e32 v0, -1, v0
	v_cmp_ne_u32_e32 vcc, 36, v0
	s_and_saveexec_b64 s[4:5], vcc
	s_cbranch_execz .LBB38_246
; %bb.245:
	v_mov_b32_e32 v1, 0
	v_lshl_add_u32 v0, v0, 3, v1
	buffer_load_dword v1, v0, s[0:3], 0 offen
	buffer_load_dword v80, v0, s[0:3], 0 offen offset:4
	buffer_load_dword v81, off, s[0:3], 0 offset:292
	buffer_load_dword v82, off, s[0:3], 0 offset:288
	s_waitcnt vmcnt(3)
	buffer_store_dword v1, off, s[0:3], 0 offset:288
	s_waitcnt vmcnt(3)
	buffer_store_dword v80, off, s[0:3], 0 offset:292
	s_waitcnt vmcnt(3)
	buffer_store_dword v81, v0, s[0:3], 0 offen offset:4
	s_waitcnt vmcnt(3)
	buffer_store_dword v82, v0, s[0:3], 0 offen
.LBB38_246:
	s_or_b64 exec, exec, s[4:5]
	v_pk_mov_b32 v[0:1], s[10:11], s[10:11] op_sel:[0,1]
	flat_load_dword v0, v[0:1] offset:140
	s_waitcnt vmcnt(0) lgkmcnt(0)
	v_add_u32_e32 v0, -1, v0
	v_cmp_ne_u32_e32 vcc, 35, v0
	s_and_saveexec_b64 s[4:5], vcc
	s_cbranch_execz .LBB38_248
; %bb.247:
	v_mov_b32_e32 v1, 0
	v_lshl_add_u32 v0, v0, 3, v1
	buffer_load_dword v1, v0, s[0:3], 0 offen
	buffer_load_dword v80, v0, s[0:3], 0 offen offset:4
	buffer_load_dword v81, off, s[0:3], 0 offset:280
	buffer_load_dword v82, off, s[0:3], 0 offset:284
	s_waitcnt vmcnt(3)
	buffer_store_dword v1, off, s[0:3], 0 offset:280
	s_waitcnt vmcnt(3)
	buffer_store_dword v80, off, s[0:3], 0 offset:284
	s_waitcnt vmcnt(3)
	buffer_store_dword v81, v0, s[0:3], 0 offen
	s_waitcnt vmcnt(3)
	buffer_store_dword v82, v0, s[0:3], 0 offen offset:4
.LBB38_248:
	s_or_b64 exec, exec, s[4:5]
	v_pk_mov_b32 v[0:1], s[10:11], s[10:11] op_sel:[0,1]
	flat_load_dword v0, v[0:1] offset:136
	s_waitcnt vmcnt(0) lgkmcnt(0)
	v_add_u32_e32 v0, -1, v0
	v_cmp_ne_u32_e32 vcc, 34, v0
	s_and_saveexec_b64 s[4:5], vcc
	s_cbranch_execz .LBB38_250
; %bb.249:
	v_mov_b32_e32 v1, 0
	v_lshl_add_u32 v0, v0, 3, v1
	buffer_load_dword v1, v0, s[0:3], 0 offen
	buffer_load_dword v80, v0, s[0:3], 0 offen offset:4
	buffer_load_dword v81, off, s[0:3], 0 offset:276
	buffer_load_dword v82, off, s[0:3], 0 offset:272
	s_waitcnt vmcnt(3)
	buffer_store_dword v1, off, s[0:3], 0 offset:272
	s_waitcnt vmcnt(3)
	buffer_store_dword v80, off, s[0:3], 0 offset:276
	s_waitcnt vmcnt(3)
	buffer_store_dword v81, v0, s[0:3], 0 offen offset:4
	s_waitcnt vmcnt(3)
	buffer_store_dword v82, v0, s[0:3], 0 offen
.LBB38_250:
	s_or_b64 exec, exec, s[4:5]
	v_pk_mov_b32 v[0:1], s[10:11], s[10:11] op_sel:[0,1]
	flat_load_dword v0, v[0:1] offset:132
	s_waitcnt vmcnt(0) lgkmcnt(0)
	v_add_u32_e32 v0, -1, v0
	v_cmp_ne_u32_e32 vcc, 33, v0
	s_and_saveexec_b64 s[4:5], vcc
	s_cbranch_execz .LBB38_252
; %bb.251:
	v_mov_b32_e32 v1, 0
	v_lshl_add_u32 v0, v0, 3, v1
	buffer_load_dword v1, v0, s[0:3], 0 offen
	buffer_load_dword v80, v0, s[0:3], 0 offen offset:4
	buffer_load_dword v81, off, s[0:3], 0 offset:264
	buffer_load_dword v82, off, s[0:3], 0 offset:268
	s_waitcnt vmcnt(3)
	buffer_store_dword v1, off, s[0:3], 0 offset:264
	s_waitcnt vmcnt(3)
	buffer_store_dword v80, off, s[0:3], 0 offset:268
	s_waitcnt vmcnt(3)
	buffer_store_dword v81, v0, s[0:3], 0 offen
	s_waitcnt vmcnt(3)
	buffer_store_dword v82, v0, s[0:3], 0 offen offset:4
.LBB38_252:
	s_or_b64 exec, exec, s[4:5]
	v_pk_mov_b32 v[0:1], s[10:11], s[10:11] op_sel:[0,1]
	flat_load_dword v0, v[0:1] offset:128
	s_waitcnt vmcnt(0) lgkmcnt(0)
	v_add_u32_e32 v0, -1, v0
	v_cmp_ne_u32_e32 vcc, 32, v0
	s_and_saveexec_b64 s[4:5], vcc
	s_cbranch_execz .LBB38_254
; %bb.253:
	v_mov_b32_e32 v1, 0
	v_lshl_add_u32 v0, v0, 3, v1
	buffer_load_dword v1, v0, s[0:3], 0 offen
	buffer_load_dword v80, v0, s[0:3], 0 offen offset:4
	buffer_load_dword v81, off, s[0:3], 0 offset:260
	buffer_load_dword v82, off, s[0:3], 0 offset:256
	s_waitcnt vmcnt(3)
	buffer_store_dword v1, off, s[0:3], 0 offset:256
	s_waitcnt vmcnt(3)
	buffer_store_dword v80, off, s[0:3], 0 offset:260
	s_waitcnt vmcnt(3)
	buffer_store_dword v81, v0, s[0:3], 0 offen offset:4
	s_waitcnt vmcnt(3)
	buffer_store_dword v82, v0, s[0:3], 0 offen
.LBB38_254:
	s_or_b64 exec, exec, s[4:5]
	v_pk_mov_b32 v[0:1], s[10:11], s[10:11] op_sel:[0,1]
	flat_load_dword v0, v[0:1] offset:124
	s_waitcnt vmcnt(0) lgkmcnt(0)
	v_add_u32_e32 v0, -1, v0
	v_cmp_ne_u32_e32 vcc, 31, v0
	s_and_saveexec_b64 s[4:5], vcc
	s_cbranch_execz .LBB38_256
; %bb.255:
	v_mov_b32_e32 v1, 0
	v_lshl_add_u32 v0, v0, 3, v1
	buffer_load_dword v1, v0, s[0:3], 0 offen
	buffer_load_dword v80, v0, s[0:3], 0 offen offset:4
	buffer_load_dword v81, off, s[0:3], 0 offset:248
	buffer_load_dword v82, off, s[0:3], 0 offset:252
	s_waitcnt vmcnt(3)
	buffer_store_dword v1, off, s[0:3], 0 offset:248
	s_waitcnt vmcnt(3)
	buffer_store_dword v80, off, s[0:3], 0 offset:252
	s_waitcnt vmcnt(3)
	buffer_store_dword v81, v0, s[0:3], 0 offen
	s_waitcnt vmcnt(3)
	buffer_store_dword v82, v0, s[0:3], 0 offen offset:4
.LBB38_256:
	s_or_b64 exec, exec, s[4:5]
	v_pk_mov_b32 v[0:1], s[10:11], s[10:11] op_sel:[0,1]
	flat_load_dword v0, v[0:1] offset:120
	s_waitcnt vmcnt(0) lgkmcnt(0)
	v_add_u32_e32 v0, -1, v0
	v_cmp_ne_u32_e32 vcc, 30, v0
	s_and_saveexec_b64 s[4:5], vcc
	s_cbranch_execz .LBB38_258
; %bb.257:
	v_mov_b32_e32 v1, 0
	v_lshl_add_u32 v0, v0, 3, v1
	buffer_load_dword v1, v0, s[0:3], 0 offen
	buffer_load_dword v80, v0, s[0:3], 0 offen offset:4
	buffer_load_dword v81, off, s[0:3], 0 offset:244
	buffer_load_dword v82, off, s[0:3], 0 offset:240
	s_waitcnt vmcnt(3)
	buffer_store_dword v1, off, s[0:3], 0 offset:240
	s_waitcnt vmcnt(3)
	buffer_store_dword v80, off, s[0:3], 0 offset:244
	s_waitcnt vmcnt(3)
	buffer_store_dword v81, v0, s[0:3], 0 offen offset:4
	s_waitcnt vmcnt(3)
	buffer_store_dword v82, v0, s[0:3], 0 offen
.LBB38_258:
	s_or_b64 exec, exec, s[4:5]
	v_pk_mov_b32 v[0:1], s[10:11], s[10:11] op_sel:[0,1]
	flat_load_dword v0, v[0:1] offset:116
	s_waitcnt vmcnt(0) lgkmcnt(0)
	v_add_u32_e32 v0, -1, v0
	v_cmp_ne_u32_e32 vcc, 29, v0
	s_and_saveexec_b64 s[4:5], vcc
	s_cbranch_execz .LBB38_260
; %bb.259:
	v_mov_b32_e32 v1, 0
	v_lshl_add_u32 v0, v0, 3, v1
	buffer_load_dword v1, v0, s[0:3], 0 offen
	buffer_load_dword v80, v0, s[0:3], 0 offen offset:4
	buffer_load_dword v81, off, s[0:3], 0 offset:232
	buffer_load_dword v82, off, s[0:3], 0 offset:236
	s_waitcnt vmcnt(3)
	buffer_store_dword v1, off, s[0:3], 0 offset:232
	s_waitcnt vmcnt(3)
	buffer_store_dword v80, off, s[0:3], 0 offset:236
	s_waitcnt vmcnt(3)
	buffer_store_dword v81, v0, s[0:3], 0 offen
	s_waitcnt vmcnt(3)
	buffer_store_dword v82, v0, s[0:3], 0 offen offset:4
.LBB38_260:
	s_or_b64 exec, exec, s[4:5]
	v_pk_mov_b32 v[0:1], s[10:11], s[10:11] op_sel:[0,1]
	flat_load_dword v0, v[0:1] offset:112
	s_waitcnt vmcnt(0) lgkmcnt(0)
	v_add_u32_e32 v0, -1, v0
	v_cmp_ne_u32_e32 vcc, 28, v0
	s_and_saveexec_b64 s[4:5], vcc
	s_cbranch_execz .LBB38_262
; %bb.261:
	v_mov_b32_e32 v1, 0
	v_lshl_add_u32 v0, v0, 3, v1
	buffer_load_dword v1, v0, s[0:3], 0 offen
	buffer_load_dword v80, v0, s[0:3], 0 offen offset:4
	buffer_load_dword v81, off, s[0:3], 0 offset:228
	buffer_load_dword v82, off, s[0:3], 0 offset:224
	s_waitcnt vmcnt(3)
	buffer_store_dword v1, off, s[0:3], 0 offset:224
	s_waitcnt vmcnt(3)
	buffer_store_dword v80, off, s[0:3], 0 offset:228
	s_waitcnt vmcnt(3)
	buffer_store_dword v81, v0, s[0:3], 0 offen offset:4
	s_waitcnt vmcnt(3)
	buffer_store_dword v82, v0, s[0:3], 0 offen
.LBB38_262:
	s_or_b64 exec, exec, s[4:5]
	v_pk_mov_b32 v[0:1], s[10:11], s[10:11] op_sel:[0,1]
	flat_load_dword v0, v[0:1] offset:108
	s_waitcnt vmcnt(0) lgkmcnt(0)
	v_add_u32_e32 v0, -1, v0
	v_cmp_ne_u32_e32 vcc, 27, v0
	s_and_saveexec_b64 s[4:5], vcc
	s_cbranch_execz .LBB38_264
; %bb.263:
	v_mov_b32_e32 v1, 0
	v_lshl_add_u32 v0, v0, 3, v1
	buffer_load_dword v1, v0, s[0:3], 0 offen
	buffer_load_dword v80, v0, s[0:3], 0 offen offset:4
	buffer_load_dword v81, off, s[0:3], 0 offset:216
	buffer_load_dword v82, off, s[0:3], 0 offset:220
	s_waitcnt vmcnt(3)
	buffer_store_dword v1, off, s[0:3], 0 offset:216
	s_waitcnt vmcnt(3)
	buffer_store_dword v80, off, s[0:3], 0 offset:220
	s_waitcnt vmcnt(3)
	buffer_store_dword v81, v0, s[0:3], 0 offen
	s_waitcnt vmcnt(3)
	buffer_store_dword v82, v0, s[0:3], 0 offen offset:4
.LBB38_264:
	s_or_b64 exec, exec, s[4:5]
	v_pk_mov_b32 v[0:1], s[10:11], s[10:11] op_sel:[0,1]
	flat_load_dword v0, v[0:1] offset:104
	s_waitcnt vmcnt(0) lgkmcnt(0)
	v_add_u32_e32 v0, -1, v0
	v_cmp_ne_u32_e32 vcc, 26, v0
	s_and_saveexec_b64 s[4:5], vcc
	s_cbranch_execz .LBB38_266
; %bb.265:
	v_mov_b32_e32 v1, 0
	v_lshl_add_u32 v0, v0, 3, v1
	buffer_load_dword v1, v0, s[0:3], 0 offen
	buffer_load_dword v80, v0, s[0:3], 0 offen offset:4
	buffer_load_dword v81, off, s[0:3], 0 offset:212
	buffer_load_dword v82, off, s[0:3], 0 offset:208
	s_waitcnt vmcnt(3)
	buffer_store_dword v1, off, s[0:3], 0 offset:208
	s_waitcnt vmcnt(3)
	buffer_store_dword v80, off, s[0:3], 0 offset:212
	s_waitcnt vmcnt(3)
	buffer_store_dword v81, v0, s[0:3], 0 offen offset:4
	s_waitcnt vmcnt(3)
	buffer_store_dword v82, v0, s[0:3], 0 offen
.LBB38_266:
	s_or_b64 exec, exec, s[4:5]
	v_pk_mov_b32 v[0:1], s[10:11], s[10:11] op_sel:[0,1]
	flat_load_dword v0, v[0:1] offset:100
	s_waitcnt vmcnt(0) lgkmcnt(0)
	v_add_u32_e32 v0, -1, v0
	v_cmp_ne_u32_e32 vcc, 25, v0
	s_and_saveexec_b64 s[4:5], vcc
	s_cbranch_execz .LBB38_268
; %bb.267:
	v_mov_b32_e32 v1, 0
	v_lshl_add_u32 v0, v0, 3, v1
	buffer_load_dword v1, v0, s[0:3], 0 offen
	buffer_load_dword v80, v0, s[0:3], 0 offen offset:4
	buffer_load_dword v81, off, s[0:3], 0 offset:200
	buffer_load_dword v82, off, s[0:3], 0 offset:204
	s_waitcnt vmcnt(3)
	buffer_store_dword v1, off, s[0:3], 0 offset:200
	s_waitcnt vmcnt(3)
	buffer_store_dword v80, off, s[0:3], 0 offset:204
	s_waitcnt vmcnt(3)
	buffer_store_dword v81, v0, s[0:3], 0 offen
	s_waitcnt vmcnt(3)
	buffer_store_dword v82, v0, s[0:3], 0 offen offset:4
.LBB38_268:
	s_or_b64 exec, exec, s[4:5]
	v_pk_mov_b32 v[0:1], s[10:11], s[10:11] op_sel:[0,1]
	flat_load_dword v0, v[0:1] offset:96
	s_waitcnt vmcnt(0) lgkmcnt(0)
	v_add_u32_e32 v0, -1, v0
	v_cmp_ne_u32_e32 vcc, 24, v0
	s_and_saveexec_b64 s[4:5], vcc
	s_cbranch_execz .LBB38_270
; %bb.269:
	v_mov_b32_e32 v1, 0
	v_lshl_add_u32 v0, v0, 3, v1
	buffer_load_dword v1, v0, s[0:3], 0 offen
	buffer_load_dword v80, v0, s[0:3], 0 offen offset:4
	buffer_load_dword v81, off, s[0:3], 0 offset:196
	buffer_load_dword v82, off, s[0:3], 0 offset:192
	s_waitcnt vmcnt(3)
	buffer_store_dword v1, off, s[0:3], 0 offset:192
	s_waitcnt vmcnt(3)
	buffer_store_dword v80, off, s[0:3], 0 offset:196
	s_waitcnt vmcnt(3)
	buffer_store_dword v81, v0, s[0:3], 0 offen offset:4
	s_waitcnt vmcnt(3)
	buffer_store_dword v82, v0, s[0:3], 0 offen
.LBB38_270:
	s_or_b64 exec, exec, s[4:5]
	v_pk_mov_b32 v[0:1], s[10:11], s[10:11] op_sel:[0,1]
	flat_load_dword v0, v[0:1] offset:92
	s_waitcnt vmcnt(0) lgkmcnt(0)
	v_add_u32_e32 v0, -1, v0
	v_cmp_ne_u32_e32 vcc, 23, v0
	s_and_saveexec_b64 s[4:5], vcc
	s_cbranch_execz .LBB38_272
; %bb.271:
	v_mov_b32_e32 v1, 0
	v_lshl_add_u32 v0, v0, 3, v1
	buffer_load_dword v1, v0, s[0:3], 0 offen
	buffer_load_dword v80, v0, s[0:3], 0 offen offset:4
	buffer_load_dword v81, off, s[0:3], 0 offset:184
	buffer_load_dword v82, off, s[0:3], 0 offset:188
	s_waitcnt vmcnt(3)
	buffer_store_dword v1, off, s[0:3], 0 offset:184
	s_waitcnt vmcnt(3)
	buffer_store_dword v80, off, s[0:3], 0 offset:188
	s_waitcnt vmcnt(3)
	buffer_store_dword v81, v0, s[0:3], 0 offen
	s_waitcnt vmcnt(3)
	buffer_store_dword v82, v0, s[0:3], 0 offen offset:4
.LBB38_272:
	s_or_b64 exec, exec, s[4:5]
	v_pk_mov_b32 v[0:1], s[10:11], s[10:11] op_sel:[0,1]
	flat_load_dword v0, v[0:1] offset:88
	s_waitcnt vmcnt(0) lgkmcnt(0)
	v_add_u32_e32 v0, -1, v0
	v_cmp_ne_u32_e32 vcc, 22, v0
	s_and_saveexec_b64 s[4:5], vcc
	s_cbranch_execz .LBB38_274
; %bb.273:
	v_mov_b32_e32 v1, 0
	v_lshl_add_u32 v0, v0, 3, v1
	buffer_load_dword v1, v0, s[0:3], 0 offen
	buffer_load_dword v80, v0, s[0:3], 0 offen offset:4
	buffer_load_dword v81, off, s[0:3], 0 offset:180
	buffer_load_dword v82, off, s[0:3], 0 offset:176
	s_waitcnt vmcnt(3)
	buffer_store_dword v1, off, s[0:3], 0 offset:176
	s_waitcnt vmcnt(3)
	buffer_store_dword v80, off, s[0:3], 0 offset:180
	s_waitcnt vmcnt(3)
	buffer_store_dword v81, v0, s[0:3], 0 offen offset:4
	s_waitcnt vmcnt(3)
	buffer_store_dword v82, v0, s[0:3], 0 offen
.LBB38_274:
	s_or_b64 exec, exec, s[4:5]
	v_pk_mov_b32 v[0:1], s[10:11], s[10:11] op_sel:[0,1]
	flat_load_dword v0, v[0:1] offset:84
	s_waitcnt vmcnt(0) lgkmcnt(0)
	v_add_u32_e32 v0, -1, v0
	v_cmp_ne_u32_e32 vcc, 21, v0
	s_and_saveexec_b64 s[4:5], vcc
	s_cbranch_execz .LBB38_276
; %bb.275:
	v_mov_b32_e32 v1, 0
	v_lshl_add_u32 v0, v0, 3, v1
	buffer_load_dword v1, v0, s[0:3], 0 offen
	buffer_load_dword v80, v0, s[0:3], 0 offen offset:4
	buffer_load_dword v81, off, s[0:3], 0 offset:168
	buffer_load_dword v82, off, s[0:3], 0 offset:172
	s_waitcnt vmcnt(3)
	buffer_store_dword v1, off, s[0:3], 0 offset:168
	s_waitcnt vmcnt(3)
	buffer_store_dword v80, off, s[0:3], 0 offset:172
	s_waitcnt vmcnt(3)
	buffer_store_dword v81, v0, s[0:3], 0 offen
	s_waitcnt vmcnt(3)
	buffer_store_dword v82, v0, s[0:3], 0 offen offset:4
.LBB38_276:
	s_or_b64 exec, exec, s[4:5]
	v_pk_mov_b32 v[0:1], s[10:11], s[10:11] op_sel:[0,1]
	flat_load_dword v0, v[0:1] offset:80
	s_waitcnt vmcnt(0) lgkmcnt(0)
	v_add_u32_e32 v0, -1, v0
	v_cmp_ne_u32_e32 vcc, 20, v0
	s_and_saveexec_b64 s[4:5], vcc
	s_cbranch_execz .LBB38_278
; %bb.277:
	v_mov_b32_e32 v1, 0
	v_lshl_add_u32 v0, v0, 3, v1
	buffer_load_dword v1, v0, s[0:3], 0 offen
	buffer_load_dword v80, v0, s[0:3], 0 offen offset:4
	buffer_load_dword v81, off, s[0:3], 0 offset:164
	buffer_load_dword v82, off, s[0:3], 0 offset:160
	s_waitcnt vmcnt(3)
	buffer_store_dword v1, off, s[0:3], 0 offset:160
	s_waitcnt vmcnt(3)
	buffer_store_dword v80, off, s[0:3], 0 offset:164
	s_waitcnt vmcnt(3)
	buffer_store_dword v81, v0, s[0:3], 0 offen offset:4
	s_waitcnt vmcnt(3)
	buffer_store_dword v82, v0, s[0:3], 0 offen
.LBB38_278:
	s_or_b64 exec, exec, s[4:5]
	v_pk_mov_b32 v[0:1], s[10:11], s[10:11] op_sel:[0,1]
	flat_load_dword v0, v[0:1] offset:76
	s_waitcnt vmcnt(0) lgkmcnt(0)
	v_add_u32_e32 v0, -1, v0
	v_cmp_ne_u32_e32 vcc, 19, v0
	s_and_saveexec_b64 s[4:5], vcc
	s_cbranch_execz .LBB38_280
; %bb.279:
	v_mov_b32_e32 v1, 0
	v_lshl_add_u32 v0, v0, 3, v1
	buffer_load_dword v1, v0, s[0:3], 0 offen
	buffer_load_dword v80, v0, s[0:3], 0 offen offset:4
	buffer_load_dword v81, off, s[0:3], 0 offset:152
	buffer_load_dword v82, off, s[0:3], 0 offset:156
	s_waitcnt vmcnt(3)
	buffer_store_dword v1, off, s[0:3], 0 offset:152
	s_waitcnt vmcnt(3)
	buffer_store_dword v80, off, s[0:3], 0 offset:156
	s_waitcnt vmcnt(3)
	buffer_store_dword v81, v0, s[0:3], 0 offen
	s_waitcnt vmcnt(3)
	buffer_store_dword v82, v0, s[0:3], 0 offen offset:4
.LBB38_280:
	s_or_b64 exec, exec, s[4:5]
	v_pk_mov_b32 v[0:1], s[10:11], s[10:11] op_sel:[0,1]
	flat_load_dword v0, v[0:1] offset:72
	s_waitcnt vmcnt(0) lgkmcnt(0)
	v_add_u32_e32 v0, -1, v0
	v_cmp_ne_u32_e32 vcc, 18, v0
	s_and_saveexec_b64 s[4:5], vcc
	s_cbranch_execz .LBB38_282
; %bb.281:
	v_mov_b32_e32 v1, 0
	v_lshl_add_u32 v0, v0, 3, v1
	buffer_load_dword v1, v0, s[0:3], 0 offen
	buffer_load_dword v80, v0, s[0:3], 0 offen offset:4
	buffer_load_dword v81, off, s[0:3], 0 offset:148
	buffer_load_dword v82, off, s[0:3], 0 offset:144
	s_waitcnt vmcnt(3)
	buffer_store_dword v1, off, s[0:3], 0 offset:144
	s_waitcnt vmcnt(3)
	buffer_store_dword v80, off, s[0:3], 0 offset:148
	s_waitcnt vmcnt(3)
	buffer_store_dword v81, v0, s[0:3], 0 offen offset:4
	s_waitcnt vmcnt(3)
	buffer_store_dword v82, v0, s[0:3], 0 offen
.LBB38_282:
	s_or_b64 exec, exec, s[4:5]
	v_pk_mov_b32 v[0:1], s[10:11], s[10:11] op_sel:[0,1]
	flat_load_dword v0, v[0:1] offset:68
	s_waitcnt vmcnt(0) lgkmcnt(0)
	v_add_u32_e32 v0, -1, v0
	v_cmp_ne_u32_e32 vcc, 17, v0
	s_and_saveexec_b64 s[4:5], vcc
	s_cbranch_execz .LBB38_284
; %bb.283:
	v_mov_b32_e32 v1, 0
	v_lshl_add_u32 v0, v0, 3, v1
	buffer_load_dword v1, v0, s[0:3], 0 offen
	buffer_load_dword v80, v0, s[0:3], 0 offen offset:4
	buffer_load_dword v81, off, s[0:3], 0 offset:136
	buffer_load_dword v82, off, s[0:3], 0 offset:140
	s_waitcnt vmcnt(3)
	buffer_store_dword v1, off, s[0:3], 0 offset:136
	s_waitcnt vmcnt(3)
	buffer_store_dword v80, off, s[0:3], 0 offset:140
	s_waitcnt vmcnt(3)
	buffer_store_dword v81, v0, s[0:3], 0 offen
	s_waitcnt vmcnt(3)
	buffer_store_dword v82, v0, s[0:3], 0 offen offset:4
.LBB38_284:
	s_or_b64 exec, exec, s[4:5]
	v_pk_mov_b32 v[0:1], s[10:11], s[10:11] op_sel:[0,1]
	flat_load_dword v0, v[0:1] offset:64
	s_waitcnt vmcnt(0) lgkmcnt(0)
	v_add_u32_e32 v0, -1, v0
	v_cmp_ne_u32_e32 vcc, 16, v0
	s_and_saveexec_b64 s[4:5], vcc
	s_cbranch_execz .LBB38_286
; %bb.285:
	v_mov_b32_e32 v1, 0
	v_lshl_add_u32 v0, v0, 3, v1
	buffer_load_dword v1, v0, s[0:3], 0 offen
	buffer_load_dword v80, v0, s[0:3], 0 offen offset:4
	buffer_load_dword v81, off, s[0:3], 0 offset:132
	buffer_load_dword v82, off, s[0:3], 0 offset:128
	s_waitcnt vmcnt(3)
	buffer_store_dword v1, off, s[0:3], 0 offset:128
	s_waitcnt vmcnt(3)
	buffer_store_dword v80, off, s[0:3], 0 offset:132
	s_waitcnt vmcnt(3)
	buffer_store_dword v81, v0, s[0:3], 0 offen offset:4
	s_waitcnt vmcnt(3)
	buffer_store_dword v82, v0, s[0:3], 0 offen
.LBB38_286:
	s_or_b64 exec, exec, s[4:5]
	v_pk_mov_b32 v[0:1], s[10:11], s[10:11] op_sel:[0,1]
	flat_load_dword v0, v[0:1] offset:60
	s_waitcnt vmcnt(0) lgkmcnt(0)
	v_add_u32_e32 v0, -1, v0
	v_cmp_ne_u32_e32 vcc, 15, v0
	s_and_saveexec_b64 s[4:5], vcc
	s_cbranch_execz .LBB38_288
; %bb.287:
	v_mov_b32_e32 v1, 0
	v_lshl_add_u32 v0, v0, 3, v1
	buffer_load_dword v1, v0, s[0:3], 0 offen
	buffer_load_dword v80, v0, s[0:3], 0 offen offset:4
	buffer_load_dword v81, off, s[0:3], 0 offset:120
	buffer_load_dword v82, off, s[0:3], 0 offset:124
	s_waitcnt vmcnt(3)
	buffer_store_dword v1, off, s[0:3], 0 offset:120
	s_waitcnt vmcnt(3)
	buffer_store_dword v80, off, s[0:3], 0 offset:124
	s_waitcnt vmcnt(3)
	buffer_store_dword v81, v0, s[0:3], 0 offen
	s_waitcnt vmcnt(3)
	buffer_store_dword v82, v0, s[0:3], 0 offen offset:4
.LBB38_288:
	s_or_b64 exec, exec, s[4:5]
	v_pk_mov_b32 v[0:1], s[10:11], s[10:11] op_sel:[0,1]
	flat_load_dword v0, v[0:1] offset:56
	s_waitcnt vmcnt(0) lgkmcnt(0)
	v_add_u32_e32 v0, -1, v0
	v_cmp_ne_u32_e32 vcc, 14, v0
	s_and_saveexec_b64 s[4:5], vcc
	s_cbranch_execz .LBB38_290
; %bb.289:
	v_mov_b32_e32 v1, 0
	v_lshl_add_u32 v0, v0, 3, v1
	buffer_load_dword v1, v0, s[0:3], 0 offen
	buffer_load_dword v80, v0, s[0:3], 0 offen offset:4
	buffer_load_dword v81, off, s[0:3], 0 offset:116
	buffer_load_dword v82, off, s[0:3], 0 offset:112
	s_waitcnt vmcnt(3)
	buffer_store_dword v1, off, s[0:3], 0 offset:112
	s_waitcnt vmcnt(3)
	buffer_store_dword v80, off, s[0:3], 0 offset:116
	s_waitcnt vmcnt(3)
	buffer_store_dword v81, v0, s[0:3], 0 offen offset:4
	s_waitcnt vmcnt(3)
	buffer_store_dword v82, v0, s[0:3], 0 offen
.LBB38_290:
	s_or_b64 exec, exec, s[4:5]
	v_pk_mov_b32 v[0:1], s[10:11], s[10:11] op_sel:[0,1]
	flat_load_dword v0, v[0:1] offset:52
	s_waitcnt vmcnt(0) lgkmcnt(0)
	v_add_u32_e32 v0, -1, v0
	v_cmp_ne_u32_e32 vcc, 13, v0
	s_and_saveexec_b64 s[4:5], vcc
	s_cbranch_execz .LBB38_292
; %bb.291:
	v_mov_b32_e32 v1, 0
	v_lshl_add_u32 v0, v0, 3, v1
	buffer_load_dword v1, v0, s[0:3], 0 offen
	buffer_load_dword v80, v0, s[0:3], 0 offen offset:4
	buffer_load_dword v81, off, s[0:3], 0 offset:104
	buffer_load_dword v82, off, s[0:3], 0 offset:108
	s_waitcnt vmcnt(3)
	buffer_store_dword v1, off, s[0:3], 0 offset:104
	s_waitcnt vmcnt(3)
	buffer_store_dword v80, off, s[0:3], 0 offset:108
	s_waitcnt vmcnt(3)
	buffer_store_dword v81, v0, s[0:3], 0 offen
	s_waitcnt vmcnt(3)
	buffer_store_dword v82, v0, s[0:3], 0 offen offset:4
.LBB38_292:
	s_or_b64 exec, exec, s[4:5]
	v_pk_mov_b32 v[0:1], s[10:11], s[10:11] op_sel:[0,1]
	flat_load_dword v0, v[0:1] offset:48
	s_waitcnt vmcnt(0) lgkmcnt(0)
	v_add_u32_e32 v0, -1, v0
	v_cmp_ne_u32_e32 vcc, 12, v0
	s_and_saveexec_b64 s[4:5], vcc
	s_cbranch_execz .LBB38_294
; %bb.293:
	v_mov_b32_e32 v1, 0
	v_lshl_add_u32 v0, v0, 3, v1
	buffer_load_dword v1, v0, s[0:3], 0 offen
	buffer_load_dword v80, v0, s[0:3], 0 offen offset:4
	buffer_load_dword v81, off, s[0:3], 0 offset:100
	buffer_load_dword v82, off, s[0:3], 0 offset:96
	s_waitcnt vmcnt(3)
	buffer_store_dword v1, off, s[0:3], 0 offset:96
	s_waitcnt vmcnt(3)
	buffer_store_dword v80, off, s[0:3], 0 offset:100
	s_waitcnt vmcnt(3)
	buffer_store_dword v81, v0, s[0:3], 0 offen offset:4
	s_waitcnt vmcnt(3)
	buffer_store_dword v82, v0, s[0:3], 0 offen
.LBB38_294:
	s_or_b64 exec, exec, s[4:5]
	v_pk_mov_b32 v[0:1], s[10:11], s[10:11] op_sel:[0,1]
	flat_load_dword v0, v[0:1] offset:44
	s_waitcnt vmcnt(0) lgkmcnt(0)
	v_add_u32_e32 v0, -1, v0
	v_cmp_ne_u32_e32 vcc, 11, v0
	s_and_saveexec_b64 s[4:5], vcc
	s_cbranch_execz .LBB38_296
; %bb.295:
	v_mov_b32_e32 v1, 0
	v_lshl_add_u32 v0, v0, 3, v1
	buffer_load_dword v1, v0, s[0:3], 0 offen
	buffer_load_dword v80, v0, s[0:3], 0 offen offset:4
	buffer_load_dword v81, off, s[0:3], 0 offset:88
	buffer_load_dword v82, off, s[0:3], 0 offset:92
	s_waitcnt vmcnt(3)
	buffer_store_dword v1, off, s[0:3], 0 offset:88
	s_waitcnt vmcnt(3)
	buffer_store_dword v80, off, s[0:3], 0 offset:92
	s_waitcnt vmcnt(3)
	buffer_store_dword v81, v0, s[0:3], 0 offen
	s_waitcnt vmcnt(3)
	buffer_store_dword v82, v0, s[0:3], 0 offen offset:4
.LBB38_296:
	s_or_b64 exec, exec, s[4:5]
	v_pk_mov_b32 v[0:1], s[10:11], s[10:11] op_sel:[0,1]
	flat_load_dword v0, v[0:1] offset:40
	s_waitcnt vmcnt(0) lgkmcnt(0)
	v_add_u32_e32 v0, -1, v0
	v_cmp_ne_u32_e32 vcc, 10, v0
	s_and_saveexec_b64 s[4:5], vcc
	s_cbranch_execz .LBB38_298
; %bb.297:
	v_mov_b32_e32 v1, 0
	v_lshl_add_u32 v0, v0, 3, v1
	buffer_load_dword v1, v0, s[0:3], 0 offen
	buffer_load_dword v80, v0, s[0:3], 0 offen offset:4
	buffer_load_dword v81, off, s[0:3], 0 offset:84
	buffer_load_dword v82, off, s[0:3], 0 offset:80
	s_waitcnt vmcnt(3)
	buffer_store_dword v1, off, s[0:3], 0 offset:80
	s_waitcnt vmcnt(3)
	buffer_store_dword v80, off, s[0:3], 0 offset:84
	s_waitcnt vmcnt(3)
	buffer_store_dword v81, v0, s[0:3], 0 offen offset:4
	s_waitcnt vmcnt(3)
	buffer_store_dword v82, v0, s[0:3], 0 offen
.LBB38_298:
	s_or_b64 exec, exec, s[4:5]
	v_pk_mov_b32 v[0:1], s[10:11], s[10:11] op_sel:[0,1]
	flat_load_dword v0, v[0:1] offset:36
	s_waitcnt vmcnt(0) lgkmcnt(0)
	v_add_u32_e32 v0, -1, v0
	v_cmp_ne_u32_e32 vcc, 9, v0
	s_and_saveexec_b64 s[4:5], vcc
	s_cbranch_execz .LBB38_300
; %bb.299:
	v_mov_b32_e32 v1, 0
	v_lshl_add_u32 v0, v0, 3, v1
	buffer_load_dword v1, v0, s[0:3], 0 offen
	buffer_load_dword v80, v0, s[0:3], 0 offen offset:4
	buffer_load_dword v81, off, s[0:3], 0 offset:72
	buffer_load_dword v82, off, s[0:3], 0 offset:76
	s_waitcnt vmcnt(3)
	buffer_store_dword v1, off, s[0:3], 0 offset:72
	s_waitcnt vmcnt(3)
	buffer_store_dword v80, off, s[0:3], 0 offset:76
	s_waitcnt vmcnt(3)
	buffer_store_dword v81, v0, s[0:3], 0 offen
	s_waitcnt vmcnt(3)
	buffer_store_dword v82, v0, s[0:3], 0 offen offset:4
.LBB38_300:
	s_or_b64 exec, exec, s[4:5]
	v_pk_mov_b32 v[0:1], s[10:11], s[10:11] op_sel:[0,1]
	flat_load_dword v0, v[0:1] offset:32
	s_waitcnt vmcnt(0) lgkmcnt(0)
	v_add_u32_e32 v0, -1, v0
	v_cmp_ne_u32_e32 vcc, 8, v0
	s_and_saveexec_b64 s[4:5], vcc
	s_cbranch_execz .LBB38_302
; %bb.301:
	v_mov_b32_e32 v1, 0
	v_lshl_add_u32 v0, v0, 3, v1
	buffer_load_dword v1, v0, s[0:3], 0 offen
	buffer_load_dword v80, v0, s[0:3], 0 offen offset:4
	buffer_load_dword v81, off, s[0:3], 0 offset:68
	buffer_load_dword v82, off, s[0:3], 0 offset:64
	s_waitcnt vmcnt(3)
	buffer_store_dword v1, off, s[0:3], 0 offset:64
	s_waitcnt vmcnt(3)
	buffer_store_dword v80, off, s[0:3], 0 offset:68
	s_waitcnt vmcnt(3)
	buffer_store_dword v81, v0, s[0:3], 0 offen offset:4
	s_waitcnt vmcnt(3)
	buffer_store_dword v82, v0, s[0:3], 0 offen
.LBB38_302:
	s_or_b64 exec, exec, s[4:5]
	v_pk_mov_b32 v[0:1], s[10:11], s[10:11] op_sel:[0,1]
	flat_load_dword v0, v[0:1] offset:28
	s_waitcnt vmcnt(0) lgkmcnt(0)
	v_add_u32_e32 v0, -1, v0
	v_cmp_ne_u32_e32 vcc, 7, v0
	s_and_saveexec_b64 s[4:5], vcc
	s_cbranch_execz .LBB38_304
; %bb.303:
	v_mov_b32_e32 v1, 0
	v_lshl_add_u32 v0, v0, 3, v1
	buffer_load_dword v1, v0, s[0:3], 0 offen
	buffer_load_dword v80, v0, s[0:3], 0 offen offset:4
	buffer_load_dword v81, off, s[0:3], 0 offset:56
	buffer_load_dword v82, off, s[0:3], 0 offset:60
	s_waitcnt vmcnt(3)
	buffer_store_dword v1, off, s[0:3], 0 offset:56
	s_waitcnt vmcnt(3)
	buffer_store_dword v80, off, s[0:3], 0 offset:60
	s_waitcnt vmcnt(3)
	buffer_store_dword v81, v0, s[0:3], 0 offen
	s_waitcnt vmcnt(3)
	buffer_store_dword v82, v0, s[0:3], 0 offen offset:4
.LBB38_304:
	s_or_b64 exec, exec, s[4:5]
	v_pk_mov_b32 v[0:1], s[10:11], s[10:11] op_sel:[0,1]
	flat_load_dword v0, v[0:1] offset:24
	s_waitcnt vmcnt(0) lgkmcnt(0)
	v_add_u32_e32 v0, -1, v0
	v_cmp_ne_u32_e32 vcc, 6, v0
	s_and_saveexec_b64 s[4:5], vcc
	s_cbranch_execz .LBB38_306
; %bb.305:
	v_mov_b32_e32 v1, 0
	v_lshl_add_u32 v0, v0, 3, v1
	buffer_load_dword v1, v0, s[0:3], 0 offen
	buffer_load_dword v80, v0, s[0:3], 0 offen offset:4
	buffer_load_dword v81, off, s[0:3], 0 offset:52
	buffer_load_dword v82, off, s[0:3], 0 offset:48
	s_waitcnt vmcnt(3)
	buffer_store_dword v1, off, s[0:3], 0 offset:48
	s_waitcnt vmcnt(3)
	buffer_store_dword v80, off, s[0:3], 0 offset:52
	s_waitcnt vmcnt(3)
	buffer_store_dword v81, v0, s[0:3], 0 offen offset:4
	s_waitcnt vmcnt(3)
	buffer_store_dword v82, v0, s[0:3], 0 offen
.LBB38_306:
	s_or_b64 exec, exec, s[4:5]
	v_pk_mov_b32 v[0:1], s[10:11], s[10:11] op_sel:[0,1]
	flat_load_dword v0, v[0:1] offset:20
	s_waitcnt vmcnt(0) lgkmcnt(0)
	v_add_u32_e32 v0, -1, v0
	v_cmp_ne_u32_e32 vcc, 5, v0
	s_and_saveexec_b64 s[4:5], vcc
	s_cbranch_execz .LBB38_308
; %bb.307:
	v_mov_b32_e32 v1, 0
	v_lshl_add_u32 v0, v0, 3, v1
	buffer_load_dword v1, v0, s[0:3], 0 offen
	buffer_load_dword v80, v0, s[0:3], 0 offen offset:4
	buffer_load_dword v81, off, s[0:3], 0 offset:40
	buffer_load_dword v82, off, s[0:3], 0 offset:44
	s_waitcnt vmcnt(3)
	buffer_store_dword v1, off, s[0:3], 0 offset:40
	s_waitcnt vmcnt(3)
	buffer_store_dword v80, off, s[0:3], 0 offset:44
	s_waitcnt vmcnt(3)
	buffer_store_dword v81, v0, s[0:3], 0 offen
	s_waitcnt vmcnt(3)
	buffer_store_dword v82, v0, s[0:3], 0 offen offset:4
.LBB38_308:
	s_or_b64 exec, exec, s[4:5]
	v_pk_mov_b32 v[0:1], s[10:11], s[10:11] op_sel:[0,1]
	flat_load_dword v0, v[0:1] offset:16
	s_waitcnt vmcnt(0) lgkmcnt(0)
	v_add_u32_e32 v0, -1, v0
	v_cmp_ne_u32_e32 vcc, 4, v0
	s_and_saveexec_b64 s[4:5], vcc
	s_cbranch_execz .LBB38_310
; %bb.309:
	v_mov_b32_e32 v1, 0
	v_lshl_add_u32 v0, v0, 3, v1
	buffer_load_dword v1, v0, s[0:3], 0 offen
	buffer_load_dword v80, v0, s[0:3], 0 offen offset:4
	buffer_load_dword v81, off, s[0:3], 0 offset:36
	buffer_load_dword v82, off, s[0:3], 0 offset:32
	s_waitcnt vmcnt(3)
	buffer_store_dword v1, off, s[0:3], 0 offset:32
	s_waitcnt vmcnt(3)
	buffer_store_dword v80, off, s[0:3], 0 offset:36
	s_waitcnt vmcnt(3)
	buffer_store_dword v81, v0, s[0:3], 0 offen offset:4
	s_waitcnt vmcnt(3)
	buffer_store_dword v82, v0, s[0:3], 0 offen
.LBB38_310:
	s_or_b64 exec, exec, s[4:5]
	v_pk_mov_b32 v[0:1], s[10:11], s[10:11] op_sel:[0,1]
	flat_load_dword v0, v[0:1] offset:12
	s_waitcnt vmcnt(0) lgkmcnt(0)
	v_add_u32_e32 v0, -1, v0
	v_cmp_ne_u32_e32 vcc, 3, v0
	s_and_saveexec_b64 s[4:5], vcc
	s_cbranch_execz .LBB38_312
; %bb.311:
	v_mov_b32_e32 v1, 0
	v_lshl_add_u32 v0, v0, 3, v1
	buffer_load_dword v1, v0, s[0:3], 0 offen
	buffer_load_dword v80, v0, s[0:3], 0 offen offset:4
	buffer_load_dword v81, off, s[0:3], 0 offset:24
	buffer_load_dword v82, off, s[0:3], 0 offset:28
	s_waitcnt vmcnt(3)
	buffer_store_dword v1, off, s[0:3], 0 offset:24
	s_waitcnt vmcnt(3)
	buffer_store_dword v80, off, s[0:3], 0 offset:28
	s_waitcnt vmcnt(3)
	buffer_store_dword v81, v0, s[0:3], 0 offen
	s_waitcnt vmcnt(3)
	buffer_store_dword v82, v0, s[0:3], 0 offen offset:4
.LBB38_312:
	s_or_b64 exec, exec, s[4:5]
	v_pk_mov_b32 v[0:1], s[10:11], s[10:11] op_sel:[0,1]
	flat_load_dword v0, v[0:1] offset:8
	s_waitcnt vmcnt(0) lgkmcnt(0)
	v_add_u32_e32 v0, -1, v0
	v_cmp_ne_u32_e32 vcc, 2, v0
	s_and_saveexec_b64 s[4:5], vcc
	s_cbranch_execz .LBB38_314
; %bb.313:
	v_mov_b32_e32 v1, 0
	v_lshl_add_u32 v0, v0, 3, v1
	buffer_load_dword v1, v0, s[0:3], 0 offen
	buffer_load_dword v80, v0, s[0:3], 0 offen offset:4
	buffer_load_dword v81, off, s[0:3], 0 offset:20
	buffer_load_dword v82, off, s[0:3], 0 offset:16
	s_waitcnt vmcnt(3)
	buffer_store_dword v1, off, s[0:3], 0 offset:16
	s_waitcnt vmcnt(3)
	buffer_store_dword v80, off, s[0:3], 0 offset:20
	s_waitcnt vmcnt(3)
	buffer_store_dword v81, v0, s[0:3], 0 offen offset:4
	s_waitcnt vmcnt(3)
	buffer_store_dword v82, v0, s[0:3], 0 offen
.LBB38_314:
	s_or_b64 exec, exec, s[4:5]
	v_pk_mov_b32 v[0:1], s[10:11], s[10:11] op_sel:[0,1]
	flat_load_dword v0, v[0:1] offset:4
	s_waitcnt vmcnt(0) lgkmcnt(0)
	v_add_u32_e32 v0, -1, v0
	v_cmp_ne_u32_e32 vcc, 1, v0
	s_and_saveexec_b64 s[4:5], vcc
	s_cbranch_execz .LBB38_316
; %bb.315:
	v_mov_b32_e32 v1, 0
	v_lshl_add_u32 v0, v0, 3, v1
	buffer_load_dword v1, v0, s[0:3], 0 offen
	buffer_load_dword v80, v0, s[0:3], 0 offen offset:4
	buffer_load_dword v81, off, s[0:3], 0 offset:8
	buffer_load_dword v82, off, s[0:3], 0 offset:12
	s_waitcnt vmcnt(3)
	buffer_store_dword v1, off, s[0:3], 0 offset:8
	s_waitcnt vmcnt(3)
	buffer_store_dword v80, off, s[0:3], 0 offset:12
	s_waitcnt vmcnt(3)
	buffer_store_dword v81, v0, s[0:3], 0 offen
	s_waitcnt vmcnt(3)
	buffer_store_dword v82, v0, s[0:3], 0 offen offset:4
.LBB38_316:
	s_or_b64 exec, exec, s[4:5]
	v_pk_mov_b32 v[0:1], s[10:11], s[10:11] op_sel:[0,1]
	flat_load_dword v80, v[0:1]
	s_nop 0
	buffer_load_dword v0, off, s[0:3], 0
	buffer_load_dword v1, off, s[0:3], 0 offset:4
	s_waitcnt vmcnt(0) lgkmcnt(0)
	v_add_u32_e32 v80, -1, v80
	v_cmp_ne_u32_e32 vcc, 0, v80
	s_and_saveexec_b64 s[4:5], vcc
	s_cbranch_execz .LBB38_318
; %bb.317:
	v_mov_b32_e32 v81, 0
	v_lshl_add_u32 v80, v80, 3, v81
	buffer_load_dword v81, v80, s[0:3], 0 offen offset:4
	buffer_load_dword v82, v80, s[0:3], 0 offen
	s_waitcnt vmcnt(1)
	buffer_store_dword v81, off, s[0:3], 0 offset:4
	s_waitcnt vmcnt(1)
	buffer_store_dword v82, off, s[0:3], 0
	buffer_store_dword v1, v80, s[0:3], 0 offen offset:4
	buffer_store_dword v0, v80, s[0:3], 0 offen
	buffer_load_dword v0, off, s[0:3], 0
	s_nop 0
	buffer_load_dword v1, off, s[0:3], 0 offset:4
.LBB38_318:
	s_or_b64 exec, exec, s[4:5]
.LBB38_319:
	s_waitcnt vmcnt(0)
	global_store_dwordx2 v[78:79], v[0:1], off
	buffer_load_dword v0, off, s[0:3], 0 offset:8
	s_nop 0
	buffer_load_dword v1, off, s[0:3], 0 offset:12
	buffer_load_dword v78, off, s[0:3], 0 offset:16
	;; [unrolled: 1-line block ×15, first 2 shown]
	s_waitcnt vmcnt(14)
	global_store_dwordx2 v[76:77], v[0:1], off
	s_waitcnt vmcnt(13)
	global_store_dwordx2 v[2:3], v[78:79], off
	;; [unrolled: 2-line block ×8, first 2 shown]
	buffer_load_dword v0, off, s[0:3], 0 offset:72
	buffer_load_dword v1, off, s[0:3], 0 offset:76
	s_waitcnt vmcnt(0)
	global_store_dwordx2 v[14:15], v[0:1], off
	buffer_load_dword v0, off, s[0:3], 0 offset:80
	s_nop 0
	buffer_load_dword v1, off, s[0:3], 0 offset:84
	s_waitcnt vmcnt(0)
	global_store_dwordx2 v[16:17], v[0:1], off
	buffer_load_dword v0, off, s[0:3], 0 offset:88
	s_nop 0
	;; [unrolled: 5-line block ×29, first 2 shown]
	buffer_load_dword v1, off, s[0:3], 0 offset:308
	s_waitcnt vmcnt(0)
	global_store_dwordx2 v[60:61], v[0:1], off
	s_endpgm
	.section	.rodata,"a",@progbits
	.p2align	6, 0x0
	.amdhsa_kernel _ZN9rocsolver6v33100L18getri_kernel_smallILi39EdPdEEvT1_iilPiilS4_bb
		.amdhsa_group_segment_fixed_size 632
		.amdhsa_private_segment_fixed_size 320
		.amdhsa_kernarg_size 60
		.amdhsa_user_sgpr_count 8
		.amdhsa_user_sgpr_private_segment_buffer 1
		.amdhsa_user_sgpr_dispatch_ptr 0
		.amdhsa_user_sgpr_queue_ptr 0
		.amdhsa_user_sgpr_kernarg_segment_ptr 1
		.amdhsa_user_sgpr_dispatch_id 0
		.amdhsa_user_sgpr_flat_scratch_init 1
		.amdhsa_user_sgpr_kernarg_preload_length 0
		.amdhsa_user_sgpr_kernarg_preload_offset 0
		.amdhsa_user_sgpr_private_segment_size 0
		.amdhsa_uses_dynamic_stack 0
		.amdhsa_system_sgpr_private_segment_wavefront_offset 1
		.amdhsa_system_sgpr_workgroup_id_x 1
		.amdhsa_system_sgpr_workgroup_id_y 0
		.amdhsa_system_sgpr_workgroup_id_z 0
		.amdhsa_system_sgpr_workgroup_info 0
		.amdhsa_system_vgpr_workitem_id 0
		.amdhsa_next_free_vgpr 124
		.amdhsa_next_free_sgpr 23
		.amdhsa_accum_offset 124
		.amdhsa_reserve_vcc 1
		.amdhsa_reserve_flat_scratch 1
		.amdhsa_float_round_mode_32 0
		.amdhsa_float_round_mode_16_64 0
		.amdhsa_float_denorm_mode_32 3
		.amdhsa_float_denorm_mode_16_64 3
		.amdhsa_dx10_clamp 1
		.amdhsa_ieee_mode 1
		.amdhsa_fp16_overflow 0
		.amdhsa_tg_split 0
		.amdhsa_exception_fp_ieee_invalid_op 0
		.amdhsa_exception_fp_denorm_src 0
		.amdhsa_exception_fp_ieee_div_zero 0
		.amdhsa_exception_fp_ieee_overflow 0
		.amdhsa_exception_fp_ieee_underflow 0
		.amdhsa_exception_fp_ieee_inexact 0
		.amdhsa_exception_int_div_zero 0
	.end_amdhsa_kernel
	.section	.text._ZN9rocsolver6v33100L18getri_kernel_smallILi39EdPdEEvT1_iilPiilS4_bb,"axG",@progbits,_ZN9rocsolver6v33100L18getri_kernel_smallILi39EdPdEEvT1_iilPiilS4_bb,comdat
.Lfunc_end38:
	.size	_ZN9rocsolver6v33100L18getri_kernel_smallILi39EdPdEEvT1_iilPiilS4_bb, .Lfunc_end38-_ZN9rocsolver6v33100L18getri_kernel_smallILi39EdPdEEvT1_iilPiilS4_bb
                                        ; -- End function
	.section	.AMDGPU.csdata,"",@progbits
; Kernel info:
; codeLenInByte = 41280
; NumSgprs: 29
; NumVgprs: 124
; NumAgprs: 0
; TotalNumVgprs: 124
; ScratchSize: 320
; MemoryBound: 0
; FloatMode: 240
; IeeeMode: 1
; LDSByteSize: 632 bytes/workgroup (compile time only)
; SGPRBlocks: 3
; VGPRBlocks: 15
; NumSGPRsForWavesPerEU: 29
; NumVGPRsForWavesPerEU: 124
; AccumOffset: 124
; Occupancy: 4
; WaveLimiterHint : 1
; COMPUTE_PGM_RSRC2:SCRATCH_EN: 1
; COMPUTE_PGM_RSRC2:USER_SGPR: 8
; COMPUTE_PGM_RSRC2:TRAP_HANDLER: 0
; COMPUTE_PGM_RSRC2:TGID_X_EN: 1
; COMPUTE_PGM_RSRC2:TGID_Y_EN: 0
; COMPUTE_PGM_RSRC2:TGID_Z_EN: 0
; COMPUTE_PGM_RSRC2:TIDIG_COMP_CNT: 0
; COMPUTE_PGM_RSRC3_GFX90A:ACCUM_OFFSET: 30
; COMPUTE_PGM_RSRC3_GFX90A:TG_SPLIT: 0
	.section	.text._ZN9rocsolver6v33100L18getri_kernel_smallILi40EdPdEEvT1_iilPiilS4_bb,"axG",@progbits,_ZN9rocsolver6v33100L18getri_kernel_smallILi40EdPdEEvT1_iilPiilS4_bb,comdat
	.globl	_ZN9rocsolver6v33100L18getri_kernel_smallILi40EdPdEEvT1_iilPiilS4_bb ; -- Begin function _ZN9rocsolver6v33100L18getri_kernel_smallILi40EdPdEEvT1_iilPiilS4_bb
	.p2align	8
	.type	_ZN9rocsolver6v33100L18getri_kernel_smallILi40EdPdEEvT1_iilPiilS4_bb,@function
_ZN9rocsolver6v33100L18getri_kernel_smallILi40EdPdEEvT1_iilPiilS4_bb: ; @_ZN9rocsolver6v33100L18getri_kernel_smallILi40EdPdEEvT1_iilPiilS4_bb
; %bb.0:
	s_add_u32 flat_scratch_lo, s6, s9
	s_addc_u32 flat_scratch_hi, s7, 0
	s_add_u32 s0, s0, s9
	s_addc_u32 s1, s1, 0
	v_cmp_gt_u32_e32 vcc, 40, v0
	s_and_saveexec_b64 s[6:7], vcc
	s_cbranch_execz .LBB39_168
; %bb.1:
	s_load_dword s22, s[4:5], 0x38
	s_load_dwordx4 s[16:19], s[4:5], 0x10
	s_load_dwordx4 s[12:15], s[4:5], 0x28
                                        ; implicit-def: $sgpr10_sgpr11
	s_waitcnt lgkmcnt(0)
	s_bitcmp1_b32 s22, 8
	s_cselect_b64 s[20:21], -1, 0
	s_ashr_i32 s9, s8, 31
	s_bfe_u32 s6, s22, 0x10008
	s_cmp_eq_u32 s6, 0
	s_cbranch_scc1 .LBB39_3
; %bb.2:
	s_load_dword s6, s[4:5], 0x20
	s_mul_i32 s7, s8, s13
	s_mul_hi_u32 s10, s8, s12
	s_mul_i32 s11, s9, s12
	s_add_i32 s10, s10, s7
	s_add_i32 s11, s10, s11
	s_mul_i32 s10, s8, s12
	s_waitcnt lgkmcnt(0)
	s_ashr_i32 s7, s6, 31
	s_lshl_b64 s[10:11], s[10:11], 2
	s_add_u32 s10, s18, s10
	s_addc_u32 s11, s19, s11
	s_lshl_b64 s[6:7], s[6:7], 2
	s_add_u32 s10, s10, s6
	s_addc_u32 s11, s11, s7
.LBB39_3:
	s_load_dwordx4 s[4:7], s[4:5], 0x0
	s_mul_i32 s12, s8, s17
	s_mul_hi_u32 s13, s8, s16
	s_add_i32 s17, s13, s12
	s_waitcnt lgkmcnt(0)
	s_ashr_i32 s13, s6, 31
	s_mov_b32 s12, s6
	s_mul_i32 s6, s9, s16
	s_add_i32 s17, s17, s6
	s_mul_i32 s16, s8, s16
	s_lshl_b64 s[16:17], s[16:17], 3
	s_add_u32 s6, s4, s16
	s_addc_u32 s16, s5, s17
	s_lshl_b64 s[4:5], s[12:13], 3
	s_add_u32 s4, s6, s4
	s_addc_u32 s5, s16, s5
	s_add_i32 s6, s7, s7
	v_add_u32_e32 v4, s6, v0
	v_ashrrev_i32_e32 v5, 31, v4
	v_lshlrev_b64 v[2:3], 3, v[4:5]
	v_add_u32_e32 v6, s7, v4
	v_mov_b32_e32 v1, s5
	v_add_co_u32_e32 v2, vcc, s4, v2
	v_ashrrev_i32_e32 v7, 31, v6
	v_addc_co_u32_e32 v3, vcc, v1, v3, vcc
	v_lshlrev_b64 v[4:5], 3, v[6:7]
	v_add_u32_e32 v8, s7, v6
	v_add_co_u32_e32 v4, vcc, s4, v4
	v_ashrrev_i32_e32 v9, 31, v8
	v_addc_co_u32_e32 v5, vcc, v1, v5, vcc
	v_lshlrev_b64 v[6:7], 3, v[8:9]
	v_add_u32_e32 v10, s7, v8
	;; [unrolled: 5-line block ×5, first 2 shown]
	v_add_co_u32_e32 v12, vcc, s4, v12
	v_ashrrev_i32_e32 v15, 31, v14
	v_addc_co_u32_e32 v13, vcc, v1, v13, vcc
	v_lshlrev_b64 v[16:17], 3, v[14:15]
	v_add_co_u32_e32 v18, vcc, s4, v16
	v_add_u32_e32 v16, s7, v14
	v_addc_co_u32_e32 v19, vcc, v1, v17, vcc
	v_ashrrev_i32_e32 v17, 31, v16
	v_lshlrev_b64 v[14:15], 3, v[16:17]
	v_add_u32_e32 v20, s7, v16
	v_add_co_u32_e32 v14, vcc, s4, v14
	v_ashrrev_i32_e32 v21, 31, v20
	v_addc_co_u32_e32 v15, vcc, v1, v15, vcc
	v_lshlrev_b64 v[16:17], 3, v[20:21]
	v_add_u32_e32 v22, s7, v20
	v_add_co_u32_e32 v16, vcc, s4, v16
	v_ashrrev_i32_e32 v23, 31, v22
	v_addc_co_u32_e32 v17, vcc, v1, v17, vcc
	;; [unrolled: 5-line block ×22, first 2 shown]
	v_lshlrev_b64 v[60:61], 3, v[62:63]
	v_add_co_u32_e32 v60, vcc, s4, v60
	v_add_u32_e32 v64, s7, v62
	v_addc_co_u32_e32 v61, vcc, v1, v61, vcc
	v_ashrrev_i32_e32 v65, 31, v64
	v_lshlrev_b32_e32 v1, 3, v0
	v_lshlrev_b64 v[62:63], 3, v[64:65]
	v_mov_b32_e32 v65, s5
	v_add_co_u32_e32 v80, vcc, s4, v1
	s_ashr_i32 s13, s7, 31
	s_mov_b32 s12, s7
	v_addc_co_u32_e32 v81, vcc, 0, v65, vcc
	s_lshl_b64 s[12:13], s[12:13], 3
	v_mov_b32_e32 v65, s13
	v_add_co_u32_e32 v78, vcc, s12, v80
	v_addc_co_u32_e32 v79, vcc, v81, v65, vcc
	global_load_dwordx2 v[82:83], v1, s[4:5]
	global_load_dwordx2 v[84:85], v[78:79], off
	global_load_dwordx2 v[86:87], v[2:3], off
	;; [unrolled: 1-line block ×18, first 2 shown]
	v_add_u32_e32 v64, s7, v64
	v_mov_b32_e32 v66, s5
	v_add_co_u32_e32 v62, vcc, s4, v62
	v_ashrrev_i32_e32 v65, 31, v64
	v_addc_co_u32_e32 v63, vcc, v66, v63, vcc
	v_lshlrev_b64 v[66:67], 3, v[64:65]
	v_add_u32_e32 v64, s7, v64
	v_mov_b32_e32 v68, s5
	v_add_co_u32_e32 v66, vcc, s4, v66
	v_ashrrev_i32_e32 v65, 31, v64
	v_addc_co_u32_e32 v67, vcc, v68, v67, vcc
	v_lshlrev_b64 v[68:69], 3, v[64:65]
	;; [unrolled: 6-line block ×7, first 2 shown]
	v_add_co_u32_e32 v64, vcc, s4, v64
	v_addc_co_u32_e32 v65, vcc, v120, v65, vcc
	global_load_dwordx2 v[120:121], v[64:65], off
	s_waitcnt vmcnt(19)
	buffer_store_dword v83, off, s[0:3], 0 offset:4
	buffer_store_dword v82, off, s[0:3], 0
	s_waitcnt vmcnt(20)
	buffer_store_dword v85, off, s[0:3], 0 offset:12
	buffer_store_dword v84, off, s[0:3], 0 offset:8
	s_waitcnt vmcnt(21)
	buffer_store_dword v87, off, s[0:3], 0 offset:20
	buffer_store_dword v86, off, s[0:3], 0 offset:16
	;; [unrolled: 3-line block ×8, first 2 shown]
	s_waitcnt vmcnt(28)
	buffer_store_dword v100, off, s[0:3], 0 offset:72
	global_load_dwordx2 v[82:83], v[36:37], off
	global_load_dwordx2 v[84:85], v[38:39], off
	;; [unrolled: 1-line block ×10, first 2 shown]
	s_bitcmp0_b32 s22, 0
	buffer_store_dword v101, off, s[0:3], 0 offset:76
	global_load_dwordx2 v[100:101], v[54:55], off
	s_mov_b64 s[6:7], -1
	s_waitcnt vmcnt(40)
	buffer_store_dword v102, off, s[0:3], 0 offset:80
	buffer_store_dword v103, off, s[0:3], 0 offset:84
	global_load_dwordx2 v[102:103], v[56:57], off
	s_waitcnt vmcnt(42)
	buffer_store_dword v104, off, s[0:3], 0 offset:88
	buffer_store_dword v105, off, s[0:3], 0 offset:92
	global_load_dwordx2 v[104:105], v[58:59], off
	;; [unrolled: 4-line block ×9, first 2 shown]
	s_waitcnt vmcnt(38)
	buffer_store_dword v83, off, s[0:3], 0 offset:156
	buffer_store_dword v82, off, s[0:3], 0 offset:152
	s_waitcnt vmcnt(39)
	buffer_store_dword v85, off, s[0:3], 0 offset:164
	buffer_store_dword v84, off, s[0:3], 0 offset:160
	s_waitcnt vmcnt(40)
	buffer_store_dword v86, off, s[0:3], 0 offset:168
	buffer_store_dword v87, off, s[0:3], 0 offset:172
	s_waitcnt vmcnt(41)
	buffer_store_dword v88, off, s[0:3], 0 offset:176
	buffer_store_dword v89, off, s[0:3], 0 offset:180
	s_waitcnt vmcnt(42)
	buffer_store_dword v90, off, s[0:3], 0 offset:184
	buffer_store_dword v91, off, s[0:3], 0 offset:188
	s_waitcnt vmcnt(43)
	buffer_store_dword v92, off, s[0:3], 0 offset:192
	buffer_store_dword v93, off, s[0:3], 0 offset:196
	s_waitcnt vmcnt(44)
	buffer_store_dword v95, off, s[0:3], 0 offset:204
	buffer_store_dword v94, off, s[0:3], 0 offset:200
	s_waitcnt vmcnt(45)
	buffer_store_dword v97, off, s[0:3], 0 offset:212
	buffer_store_dword v96, off, s[0:3], 0 offset:208
	s_waitcnt vmcnt(46)
	buffer_store_dword v98, off, s[0:3], 0 offset:216
	buffer_store_dword v99, off, s[0:3], 0 offset:220
	s_waitcnt vmcnt(45)
	buffer_store_dword v100, off, s[0:3], 0 offset:224
	buffer_store_dword v101, off, s[0:3], 0 offset:228
	s_waitcnt vmcnt(44)
	buffer_store_dword v102, off, s[0:3], 0 offset:232
	buffer_store_dword v103, off, s[0:3], 0 offset:236
	s_waitcnt vmcnt(43)
	buffer_store_dword v104, off, s[0:3], 0 offset:240
	buffer_store_dword v105, off, s[0:3], 0 offset:244
	s_waitcnt vmcnt(42)
	buffer_store_dword v107, off, s[0:3], 0 offset:252
	buffer_store_dword v106, off, s[0:3], 0 offset:248
	s_waitcnt vmcnt(41)
	buffer_store_dword v109, off, s[0:3], 0 offset:260
	buffer_store_dword v108, off, s[0:3], 0 offset:256
	s_waitcnt vmcnt(40)
	buffer_store_dword v110, off, s[0:3], 0 offset:264
	buffer_store_dword v111, off, s[0:3], 0 offset:268
	s_waitcnt vmcnt(39)
	buffer_store_dword v112, off, s[0:3], 0 offset:272
	buffer_store_dword v113, off, s[0:3], 0 offset:276
	s_waitcnt vmcnt(38)
	buffer_store_dword v114, off, s[0:3], 0 offset:280
	buffer_store_dword v115, off, s[0:3], 0 offset:284
	s_waitcnt vmcnt(37)
	buffer_store_dword v116, off, s[0:3], 0 offset:288
	buffer_store_dword v117, off, s[0:3], 0 offset:292
	buffer_store_dword v123, off, s[0:3], 0 offset:300
	buffer_store_dword v122, off, s[0:3], 0 offset:296
	s_waitcnt vmcnt(38)
	buffer_store_dword v119, off, s[0:3], 0 offset:308
	buffer_store_dword v118, off, s[0:3], 0 offset:304
	buffer_store_dword v120, off, s[0:3], 0 offset:312
	buffer_store_dword v121, off, s[0:3], 0 offset:316
	s_cbranch_scc1 .LBB39_166
; %bb.4:
	v_cmp_eq_u32_e64 s[4:5], 0, v0
	s_and_saveexec_b64 s[6:7], s[4:5]
	s_cbranch_execz .LBB39_6
; %bb.5:
	v_mov_b32_e32 v82, 0
	ds_write_b32 v82, v82 offset:640
.LBB39_6:
	s_or_b64 exec, exec, s[6:7]
	v_mov_b32_e32 v82, 0
	v_lshl_add_u32 v82, v0, 3, v82
	s_waitcnt lgkmcnt(0)
	; wave barrier
	s_waitcnt lgkmcnt(0)
	buffer_load_dword v84, v82, s[0:3], 0 offen
	buffer_load_dword v85, v82, s[0:3], 0 offen offset:4
	s_waitcnt vmcnt(0)
	v_cmp_eq_f64_e32 vcc, 0, v[84:85]
	s_and_saveexec_b64 s[12:13], vcc
	s_cbranch_execz .LBB39_10
; %bb.7:
	v_mov_b32_e32 v83, 0
	ds_read_b32 v85, v83 offset:640
	v_add_u32_e32 v84, 1, v0
	s_waitcnt lgkmcnt(0)
	v_readfirstlane_b32 s6, v85
	s_cmp_eq_u32 s6, 0
	s_cselect_b64 s[16:17], -1, 0
	v_cmp_gt_i32_e32 vcc, s6, v84
	s_or_b64 s[16:17], s[16:17], vcc
	s_and_b64 exec, exec, s[16:17]
	s_cbranch_execz .LBB39_10
; %bb.8:
	s_mov_b64 s[16:17], 0
	v_mov_b32_e32 v85, s6
.LBB39_9:                               ; =>This Inner Loop Header: Depth=1
	ds_cmpst_rtn_b32 v85, v83, v85, v84 offset:640
	s_waitcnt lgkmcnt(0)
	v_cmp_ne_u32_e32 vcc, 0, v85
	v_cmp_le_i32_e64 s[6:7], v85, v84
	s_and_b64 s[6:7], vcc, s[6:7]
	s_and_b64 s[6:7], exec, s[6:7]
	s_or_b64 s[16:17], s[6:7], s[16:17]
	s_andn2_b64 exec, exec, s[16:17]
	s_cbranch_execnz .LBB39_9
.LBB39_10:
	s_or_b64 exec, exec, s[12:13]
	v_mov_b32_e32 v84, 0
	s_waitcnt lgkmcnt(0)
	; wave barrier
	ds_read_b32 v83, v84 offset:640
	s_and_saveexec_b64 s[6:7], s[4:5]
	s_cbranch_execz .LBB39_12
; %bb.11:
	s_lshl_b64 s[12:13], s[8:9], 2
	s_add_u32 s12, s14, s12
	s_addc_u32 s13, s15, s13
	s_waitcnt lgkmcnt(0)
	global_store_dword v84, v83, s[12:13]
.LBB39_12:
	s_or_b64 exec, exec, s[6:7]
	s_waitcnt lgkmcnt(0)
	v_cmp_ne_u32_e32 vcc, 0, v83
	s_mov_b64 s[6:7], 0
	s_cbranch_vccnz .LBB39_166
; %bb.13:
	buffer_load_dword v84, v82, s[0:3], 0 offen
	buffer_load_dword v85, v82, s[0:3], 0 offen offset:4
	s_waitcnt vmcnt(0)
	v_div_scale_f64 v[86:87], s[6:7], v[84:85], v[84:85], 1.0
	v_rcp_f64_e32 v[88:89], v[86:87]
	v_div_scale_f64 v[90:91], vcc, 1.0, v[84:85], 1.0
	v_fma_f64 v[92:93], -v[86:87], v[88:89], 1.0
	v_fmac_f64_e32 v[88:89], v[88:89], v[92:93]
	v_fma_f64 v[92:93], -v[86:87], v[88:89], 1.0
	v_fmac_f64_e32 v[88:89], v[88:89], v[92:93]
	v_mul_f64 v[92:93], v[90:91], v[88:89]
	v_fma_f64 v[86:87], -v[86:87], v[92:93], v[90:91]
	v_div_fmas_f64 v[86:87], v[86:87], v[88:89], v[92:93]
	v_div_fixup_f64 v[86:87], v[86:87], v[84:85], 1.0
	buffer_store_dword v87, v82, s[0:3], 0 offen offset:4
	buffer_store_dword v86, v82, s[0:3], 0 offen
	buffer_load_dword v89, off, s[0:3], 0 offset:12
	buffer_load_dword v88, off, s[0:3], 0 offset:8
	v_add_u32_e32 v84, 0x140, v1
	v_xor_b32_e32 v87, 0x80000000, v87
	s_waitcnt vmcnt(0)
	ds_write2_b64 v1, v[86:87], v[88:89] offset1:40
	s_waitcnt lgkmcnt(0)
	; wave barrier
	s_waitcnt lgkmcnt(0)
	s_and_saveexec_b64 s[6:7], s[4:5]
	s_cbranch_execz .LBB39_15
; %bb.14:
	buffer_load_dword v86, v82, s[0:3], 0 offen
	buffer_load_dword v87, v82, s[0:3], 0 offen offset:4
	v_mov_b32_e32 v83, 0
	ds_read_b64 v[88:89], v84
	ds_read_b64 v[90:91], v83 offset:8
	s_waitcnt vmcnt(0) lgkmcnt(1)
	v_fma_f64 v[86:87], v[86:87], v[88:89], 0
	s_waitcnt lgkmcnt(0)
	v_mul_f64 v[86:87], v[86:87], v[90:91]
	buffer_store_dword v86, off, s[0:3], 0 offset:8
	buffer_store_dword v87, off, s[0:3], 0 offset:12
.LBB39_15:
	s_or_b64 exec, exec, s[6:7]
	s_waitcnt lgkmcnt(0)
	; wave barrier
	buffer_load_dword v86, off, s[0:3], 0 offset:16
	buffer_load_dword v87, off, s[0:3], 0 offset:20
	v_cmp_gt_u32_e32 vcc, 2, v0
	s_waitcnt vmcnt(0)
	ds_write_b64 v84, v[86:87]
	s_waitcnt lgkmcnt(0)
	; wave barrier
	s_waitcnt lgkmcnt(0)
	s_and_saveexec_b64 s[6:7], vcc
	s_cbranch_execz .LBB39_17
; %bb.16:
	buffer_load_dword v83, v82, s[0:3], 0 offen offset:4
	buffer_load_dword v90, off, s[0:3], 0 offset:8
	s_nop 0
	buffer_load_dword v82, v82, s[0:3], 0 offen
	s_nop 0
	buffer_load_dword v91, off, s[0:3], 0 offset:12
	ds_read_b64 v[92:93], v84
	v_mov_b32_e32 v85, 0
	ds_read2_b64 v[86:89], v85 offset0:2 offset1:41
	s_waitcnt vmcnt(1) lgkmcnt(1)
	v_fma_f64 v[82:83], v[82:83], v[92:93], 0
	s_waitcnt vmcnt(0) lgkmcnt(0)
	v_fma_f64 v[88:89], v[90:91], v[88:89], v[82:83]
	v_cndmask_b32_e64 v83, v83, v89, s[4:5]
	v_cndmask_b32_e64 v82, v82, v88, s[4:5]
	v_mul_f64 v[82:83], v[82:83], v[86:87]
	buffer_store_dword v83, off, s[0:3], 0 offset:20
	buffer_store_dword v82, off, s[0:3], 0 offset:16
.LBB39_17:
	s_or_b64 exec, exec, s[6:7]
	s_waitcnt lgkmcnt(0)
	; wave barrier
	buffer_load_dword v82, off, s[0:3], 0 offset:24
	buffer_load_dword v83, off, s[0:3], 0 offset:28
	v_cmp_gt_u32_e32 vcc, 3, v0
	v_add_u32_e32 v85, -1, v0
	s_waitcnt vmcnt(0)
	ds_write_b64 v84, v[82:83]
	s_waitcnt lgkmcnt(0)
	; wave barrier
	s_waitcnt lgkmcnt(0)
	s_and_saveexec_b64 s[4:5], vcc
	s_cbranch_execz .LBB39_21
; %bb.18:
	v_add_u32_e32 v86, -1, v0
	v_add_u32_e32 v87, 0x140, v1
	v_add_u32_e32 v88, 0, v1
	s_mov_b64 s[6:7], 0
	v_pk_mov_b32 v[82:83], 0, 0
.LBB39_19:                              ; =>This Inner Loop Header: Depth=1
	buffer_load_dword v90, v88, s[0:3], 0 offen
	buffer_load_dword v91, v88, s[0:3], 0 offen offset:4
	ds_read_b64 v[92:93], v87
	v_add_u32_e32 v86, 1, v86
	v_cmp_lt_u32_e32 vcc, 1, v86
	v_add_u32_e32 v87, 8, v87
	v_add_u32_e32 v88, 8, v88
	s_or_b64 s[6:7], vcc, s[6:7]
	s_waitcnt vmcnt(0) lgkmcnt(0)
	v_fmac_f64_e32 v[82:83], v[90:91], v[92:93]
	s_andn2_b64 exec, exec, s[6:7]
	s_cbranch_execnz .LBB39_19
; %bb.20:
	s_or_b64 exec, exec, s[6:7]
	v_mov_b32_e32 v86, 0
	ds_read_b64 v[86:87], v86 offset:24
	s_waitcnt lgkmcnt(0)
	v_mul_f64 v[82:83], v[82:83], v[86:87]
	buffer_store_dword v83, off, s[0:3], 0 offset:28
	buffer_store_dword v82, off, s[0:3], 0 offset:24
.LBB39_21:
	s_or_b64 exec, exec, s[4:5]
	s_waitcnt lgkmcnt(0)
	; wave barrier
	buffer_load_dword v82, off, s[0:3], 0 offset:32
	buffer_load_dword v83, off, s[0:3], 0 offset:36
	v_cmp_gt_u32_e32 vcc, 4, v0
	s_waitcnt vmcnt(0)
	ds_write_b64 v84, v[82:83]
	s_waitcnt lgkmcnt(0)
	; wave barrier
	s_waitcnt lgkmcnt(0)
	s_and_saveexec_b64 s[4:5], vcc
	s_cbranch_execz .LBB39_25
; %bb.22:
	v_add_u32_e32 v86, -1, v0
	v_add_u32_e32 v87, 0x140, v1
	v_add_u32_e32 v88, 0, v1
	s_mov_b64 s[6:7], 0
	v_pk_mov_b32 v[82:83], 0, 0
.LBB39_23:                              ; =>This Inner Loop Header: Depth=1
	buffer_load_dword v90, v88, s[0:3], 0 offen
	buffer_load_dword v91, v88, s[0:3], 0 offen offset:4
	ds_read_b64 v[92:93], v87
	v_add_u32_e32 v86, 1, v86
	v_cmp_lt_u32_e32 vcc, 2, v86
	v_add_u32_e32 v87, 8, v87
	v_add_u32_e32 v88, 8, v88
	s_or_b64 s[6:7], vcc, s[6:7]
	s_waitcnt vmcnt(0) lgkmcnt(0)
	v_fmac_f64_e32 v[82:83], v[90:91], v[92:93]
	s_andn2_b64 exec, exec, s[6:7]
	s_cbranch_execnz .LBB39_23
; %bb.24:
	s_or_b64 exec, exec, s[6:7]
	v_mov_b32_e32 v86, 0
	ds_read_b64 v[86:87], v86 offset:32
	s_waitcnt lgkmcnt(0)
	v_mul_f64 v[82:83], v[82:83], v[86:87]
	buffer_store_dword v83, off, s[0:3], 0 offset:36
	buffer_store_dword v82, off, s[0:3], 0 offset:32
.LBB39_25:
	s_or_b64 exec, exec, s[4:5]
	s_waitcnt lgkmcnt(0)
	; wave barrier
	buffer_load_dword v82, off, s[0:3], 0 offset:40
	buffer_load_dword v83, off, s[0:3], 0 offset:44
	v_cmp_gt_u32_e32 vcc, 5, v0
	;; [unrolled: 41-line block ×21, first 2 shown]
	s_waitcnt vmcnt(0)
	ds_write_b64 v84, v[82:83]
	s_waitcnt lgkmcnt(0)
	; wave barrier
	s_waitcnt lgkmcnt(0)
	s_and_saveexec_b64 s[4:5], vcc
	s_cbranch_execz .LBB39_105
; %bb.102:
	v_add_u32_e32 v86, -1, v0
	v_add_u32_e32 v87, 0x140, v1
	v_add_u32_e32 v88, 0, v1
	s_mov_b64 s[6:7], 0
	v_pk_mov_b32 v[82:83], 0, 0
.LBB39_103:                             ; =>This Inner Loop Header: Depth=1
	buffer_load_dword v90, v88, s[0:3], 0 offen
	buffer_load_dword v91, v88, s[0:3], 0 offen offset:4
	ds_read_b64 v[92:93], v87
	v_add_u32_e32 v86, 1, v86
	v_cmp_lt_u32_e32 vcc, 22, v86
	v_add_u32_e32 v87, 8, v87
	v_add_u32_e32 v88, 8, v88
	s_or_b64 s[6:7], vcc, s[6:7]
	s_waitcnt vmcnt(0) lgkmcnt(0)
	v_fmac_f64_e32 v[82:83], v[90:91], v[92:93]
	s_andn2_b64 exec, exec, s[6:7]
	s_cbranch_execnz .LBB39_103
; %bb.104:
	s_or_b64 exec, exec, s[6:7]
	v_mov_b32_e32 v86, 0
	ds_read_b64 v[86:87], v86 offset:192
	s_waitcnt lgkmcnt(0)
	v_mul_f64 v[82:83], v[82:83], v[86:87]
	buffer_store_dword v83, off, s[0:3], 0 offset:196
	buffer_store_dword v82, off, s[0:3], 0 offset:192
.LBB39_105:
	s_or_b64 exec, exec, s[4:5]
	s_waitcnt lgkmcnt(0)
	; wave barrier
	buffer_load_dword v82, off, s[0:3], 0 offset:200
	buffer_load_dword v83, off, s[0:3], 0 offset:204
	v_cmp_gt_u32_e32 vcc, 25, v0
	s_waitcnt vmcnt(0)
	ds_write_b64 v84, v[82:83]
	s_waitcnt lgkmcnt(0)
	; wave barrier
	s_waitcnt lgkmcnt(0)
	s_and_saveexec_b64 s[4:5], vcc
	s_cbranch_execz .LBB39_109
; %bb.106:
	v_add_u32_e32 v86, -1, v0
	v_add_u32_e32 v87, 0x140, v1
	v_add_u32_e32 v88, 0, v1
	s_mov_b64 s[6:7], 0
	v_pk_mov_b32 v[82:83], 0, 0
.LBB39_107:                             ; =>This Inner Loop Header: Depth=1
	buffer_load_dword v90, v88, s[0:3], 0 offen
	buffer_load_dword v91, v88, s[0:3], 0 offen offset:4
	ds_read_b64 v[92:93], v87
	v_add_u32_e32 v86, 1, v86
	v_cmp_lt_u32_e32 vcc, 23, v86
	v_add_u32_e32 v87, 8, v87
	v_add_u32_e32 v88, 8, v88
	s_or_b64 s[6:7], vcc, s[6:7]
	s_waitcnt vmcnt(0) lgkmcnt(0)
	v_fmac_f64_e32 v[82:83], v[90:91], v[92:93]
	s_andn2_b64 exec, exec, s[6:7]
	s_cbranch_execnz .LBB39_107
; %bb.108:
	s_or_b64 exec, exec, s[6:7]
	v_mov_b32_e32 v86, 0
	ds_read_b64 v[86:87], v86 offset:200
	s_waitcnt lgkmcnt(0)
	v_mul_f64 v[82:83], v[82:83], v[86:87]
	buffer_store_dword v83, off, s[0:3], 0 offset:204
	buffer_store_dword v82, off, s[0:3], 0 offset:200
.LBB39_109:
	s_or_b64 exec, exec, s[4:5]
	s_waitcnt lgkmcnt(0)
	; wave barrier
	buffer_load_dword v82, off, s[0:3], 0 offset:208
	buffer_load_dword v83, off, s[0:3], 0 offset:212
	v_cmp_gt_u32_e32 vcc, 26, v0
	;; [unrolled: 41-line block ×14, first 2 shown]
	s_waitcnt vmcnt(0)
	ds_write_b64 v84, v[82:83]
	s_waitcnt lgkmcnt(0)
	; wave barrier
	s_waitcnt lgkmcnt(0)
	s_and_saveexec_b64 s[4:5], vcc
	s_cbranch_execz .LBB39_161
; %bb.158:
	v_add_u32_e32 v86, -1, v0
	v_add_u32_e32 v87, 0x140, v1
	v_add_u32_e32 v88, 0, v1
	s_mov_b64 s[6:7], 0
	v_pk_mov_b32 v[82:83], 0, 0
.LBB39_159:                             ; =>This Inner Loop Header: Depth=1
	buffer_load_dword v90, v88, s[0:3], 0 offen
	buffer_load_dword v91, v88, s[0:3], 0 offen offset:4
	ds_read_b64 v[92:93], v87
	v_add_u32_e32 v86, 1, v86
	v_cmp_lt_u32_e32 vcc, 36, v86
	v_add_u32_e32 v87, 8, v87
	v_add_u32_e32 v88, 8, v88
	s_or_b64 s[6:7], vcc, s[6:7]
	s_waitcnt vmcnt(0) lgkmcnt(0)
	v_fmac_f64_e32 v[82:83], v[90:91], v[92:93]
	s_andn2_b64 exec, exec, s[6:7]
	s_cbranch_execnz .LBB39_159
; %bb.160:
	s_or_b64 exec, exec, s[6:7]
	v_mov_b32_e32 v86, 0
	ds_read_b64 v[86:87], v86 offset:304
	s_waitcnt lgkmcnt(0)
	v_mul_f64 v[82:83], v[82:83], v[86:87]
	buffer_store_dword v83, off, s[0:3], 0 offset:308
	buffer_store_dword v82, off, s[0:3], 0 offset:304
.LBB39_161:
	s_or_b64 exec, exec, s[4:5]
	s_waitcnt lgkmcnt(0)
	; wave barrier
	buffer_load_dword v82, off, s[0:3], 0 offset:312
	buffer_load_dword v83, off, s[0:3], 0 offset:316
	v_cmp_ne_u32_e32 vcc, 39, v0
	s_waitcnt vmcnt(0)
	ds_write_b64 v84, v[82:83]
	s_waitcnt lgkmcnt(0)
	; wave barrier
	s_waitcnt lgkmcnt(0)
	s_and_saveexec_b64 s[4:5], vcc
	s_cbranch_execz .LBB39_165
; %bb.162:
	v_add_u32_e32 v84, 0x140, v1
	v_add_u32_e32 v1, 0, v1
	s_mov_b64 s[6:7], 0
	v_pk_mov_b32 v[82:83], 0, 0
.LBB39_163:                             ; =>This Inner Loop Header: Depth=1
	buffer_load_dword v86, v1, s[0:3], 0 offen
	buffer_load_dword v87, v1, s[0:3], 0 offen offset:4
	ds_read_b64 v[88:89], v84
	v_add_u32_e32 v85, 1, v85
	v_cmp_lt_u32_e32 vcc, 37, v85
	v_add_u32_e32 v84, 8, v84
	v_add_u32_e32 v1, 8, v1
	s_or_b64 s[6:7], vcc, s[6:7]
	s_waitcnt vmcnt(0) lgkmcnt(0)
	v_fmac_f64_e32 v[82:83], v[86:87], v[88:89]
	s_andn2_b64 exec, exec, s[6:7]
	s_cbranch_execnz .LBB39_163
; %bb.164:
	s_or_b64 exec, exec, s[6:7]
	v_mov_b32_e32 v1, 0
	ds_read_b64 v[84:85], v1 offset:312
	s_waitcnt lgkmcnt(0)
	v_mul_f64 v[82:83], v[82:83], v[84:85]
	buffer_store_dword v83, off, s[0:3], 0 offset:316
	buffer_store_dword v82, off, s[0:3], 0 offset:312
.LBB39_165:
	s_or_b64 exec, exec, s[4:5]
	s_mov_b64 s[6:7], -1
	s_waitcnt lgkmcnt(0)
	; wave barrier
.LBB39_166:
	s_and_b64 vcc, exec, s[6:7]
	s_cbranch_vccz .LBB39_168
; %bb.167:
	s_lshl_b64 s[4:5], s[8:9], 2
	s_add_u32 s4, s14, s4
	s_addc_u32 s5, s15, s5
	v_mov_b32_e32 v1, 0
	global_load_dword v1, v1, s[4:5]
	s_waitcnt vmcnt(0)
	v_cmp_ne_u32_e32 vcc, 0, v1
	s_cbranch_vccz .LBB39_169
.LBB39_168:
	s_endpgm
.LBB39_169:
	v_mov_b32_e32 v1, 0x140
	v_lshl_add_u32 v1, v0, 3, v1
	v_cmp_eq_u32_e32 vcc, 39, v0
	s_and_saveexec_b64 s[4:5], vcc
	s_cbranch_execz .LBB39_171
; %bb.170:
	buffer_load_dword v82, off, s[0:3], 0 offset:304
	buffer_load_dword v83, off, s[0:3], 0 offset:308
	v_mov_b32_e32 v84, 0
	buffer_store_dword v84, off, s[0:3], 0 offset:304
	buffer_store_dword v84, off, s[0:3], 0 offset:308
	s_waitcnt vmcnt(2)
	ds_write_b64 v1, v[82:83]
.LBB39_171:
	s_or_b64 exec, exec, s[4:5]
	s_waitcnt lgkmcnt(0)
	; wave barrier
	s_waitcnt lgkmcnt(0)
	buffer_load_dword v84, off, s[0:3], 0 offset:312
	buffer_load_dword v85, off, s[0:3], 0 offset:316
	;; [unrolled: 1-line block ×4, first 2 shown]
	v_mov_b32_e32 v82, 0
	ds_read_b64 v[88:89], v82 offset:632
	v_cmp_lt_u32_e32 vcc, 37, v0
	s_waitcnt vmcnt(2) lgkmcnt(0)
	v_fma_f64 v[84:85], v[84:85], v[88:89], 0
	s_waitcnt vmcnt(0)
	v_add_f64 v[84:85], v[86:87], -v[84:85]
	buffer_store_dword v84, off, s[0:3], 0 offset:304
	buffer_store_dword v85, off, s[0:3], 0 offset:308
	s_and_saveexec_b64 s[4:5], vcc
	s_cbranch_execz .LBB39_173
; %bb.172:
	buffer_load_dword v84, off, s[0:3], 0 offset:296
	buffer_load_dword v85, off, s[0:3], 0 offset:300
	s_waitcnt vmcnt(0)
	ds_write_b64 v1, v[84:85]
	buffer_store_dword v82, off, s[0:3], 0 offset:296
	buffer_store_dword v82, off, s[0:3], 0 offset:300
.LBB39_173:
	s_or_b64 exec, exec, s[4:5]
	s_waitcnt lgkmcnt(0)
	; wave barrier
	s_waitcnt lgkmcnt(0)
	buffer_load_dword v86, off, s[0:3], 0 offset:304
	buffer_load_dword v87, off, s[0:3], 0 offset:308
	;; [unrolled: 1-line block ×6, first 2 shown]
	ds_read_b128 v[82:85], v82 offset:624
	v_cmp_lt_u32_e32 vcc, 36, v0
	s_waitcnt vmcnt(4) lgkmcnt(0)
	v_fma_f64 v[82:83], v[86:87], v[82:83], 0
	s_waitcnt vmcnt(2)
	v_fmac_f64_e32 v[82:83], v[88:89], v[84:85]
	s_waitcnt vmcnt(0)
	v_add_f64 v[82:83], v[90:91], -v[82:83]
	buffer_store_dword v82, off, s[0:3], 0 offset:296
	buffer_store_dword v83, off, s[0:3], 0 offset:300
	s_and_saveexec_b64 s[4:5], vcc
	s_cbranch_execz .LBB39_175
; %bb.174:
	buffer_load_dword v82, off, s[0:3], 0 offset:288
	buffer_load_dword v83, off, s[0:3], 0 offset:292
	v_mov_b32_e32 v84, 0
	buffer_store_dword v84, off, s[0:3], 0 offset:288
	buffer_store_dword v84, off, s[0:3], 0 offset:292
	s_waitcnt vmcnt(2)
	ds_write_b64 v1, v[82:83]
.LBB39_175:
	s_or_b64 exec, exec, s[4:5]
	s_waitcnt lgkmcnt(0)
	; wave barrier
	s_waitcnt lgkmcnt(0)
	buffer_load_dword v88, off, s[0:3], 0 offset:296
	buffer_load_dword v89, off, s[0:3], 0 offset:300
	;; [unrolled: 1-line block ×8, first 2 shown]
	v_mov_b32_e32 v82, 0
	ds_read2_b64 v[84:87], v82 offset0:77 offset1:78
	ds_read_b64 v[96:97], v82 offset:632
	v_cmp_lt_u32_e32 vcc, 35, v0
	s_waitcnt vmcnt(6) lgkmcnt(1)
	v_fma_f64 v[84:85], v[88:89], v[84:85], 0
	s_waitcnt vmcnt(4)
	v_fmac_f64_e32 v[84:85], v[90:91], v[86:87]
	s_waitcnt vmcnt(2) lgkmcnt(0)
	v_fmac_f64_e32 v[84:85], v[92:93], v[96:97]
	s_waitcnt vmcnt(0)
	v_add_f64 v[84:85], v[94:95], -v[84:85]
	buffer_store_dword v84, off, s[0:3], 0 offset:288
	buffer_store_dword v85, off, s[0:3], 0 offset:292
	s_and_saveexec_b64 s[4:5], vcc
	s_cbranch_execz .LBB39_177
; %bb.176:
	buffer_load_dword v84, off, s[0:3], 0 offset:280
	buffer_load_dword v85, off, s[0:3], 0 offset:284
	s_waitcnt vmcnt(0)
	ds_write_b64 v1, v[84:85]
	buffer_store_dword v82, off, s[0:3], 0 offset:280
	buffer_store_dword v82, off, s[0:3], 0 offset:284
.LBB39_177:
	s_or_b64 exec, exec, s[4:5]
	s_waitcnt lgkmcnt(0)
	; wave barrier
	s_waitcnt lgkmcnt(0)
	buffer_load_dword v92, off, s[0:3], 0 offset:288
	buffer_load_dword v93, off, s[0:3], 0 offset:292
	buffer_load_dword v94, off, s[0:3], 0 offset:296
	buffer_load_dword v95, off, s[0:3], 0 offset:300
	buffer_load_dword v96, off, s[0:3], 0 offset:304
	buffer_load_dword v97, off, s[0:3], 0 offset:308
	buffer_load_dword v98, off, s[0:3], 0 offset:312
	buffer_load_dword v99, off, s[0:3], 0 offset:316
	buffer_load_dword v100, off, s[0:3], 0 offset:280
	buffer_load_dword v101, off, s[0:3], 0 offset:284
	ds_read_b128 v[84:87], v82 offset:608
	ds_read_b128 v[88:91], v82 offset:624
	v_cmp_lt_u32_e32 vcc, 34, v0
	s_waitcnt vmcnt(8) lgkmcnt(1)
	v_fma_f64 v[82:83], v[92:93], v[84:85], 0
	s_waitcnt vmcnt(6)
	v_fmac_f64_e32 v[82:83], v[94:95], v[86:87]
	s_waitcnt vmcnt(4) lgkmcnt(0)
	v_fmac_f64_e32 v[82:83], v[96:97], v[88:89]
	s_waitcnt vmcnt(2)
	v_fmac_f64_e32 v[82:83], v[98:99], v[90:91]
	s_waitcnt vmcnt(0)
	v_add_f64 v[82:83], v[100:101], -v[82:83]
	buffer_store_dword v82, off, s[0:3], 0 offset:280
	buffer_store_dword v83, off, s[0:3], 0 offset:284
	s_and_saveexec_b64 s[4:5], vcc
	s_cbranch_execz .LBB39_179
; %bb.178:
	buffer_load_dword v82, off, s[0:3], 0 offset:272
	buffer_load_dword v83, off, s[0:3], 0 offset:276
	v_mov_b32_e32 v84, 0
	buffer_store_dword v84, off, s[0:3], 0 offset:272
	buffer_store_dword v84, off, s[0:3], 0 offset:276
	s_waitcnt vmcnt(2)
	ds_write_b64 v1, v[82:83]
.LBB39_179:
	s_or_b64 exec, exec, s[4:5]
	s_waitcnt lgkmcnt(0)
	; wave barrier
	s_waitcnt lgkmcnt(0)
	buffer_load_dword v92, off, s[0:3], 0 offset:280
	buffer_load_dword v93, off, s[0:3], 0 offset:284
	;; [unrolled: 1-line block ×12, first 2 shown]
	v_mov_b32_e32 v82, 0
	ds_read2_b64 v[84:87], v82 offset0:75 offset1:76
	ds_read2_b64 v[88:91], v82 offset0:77 offset1:78
	ds_read_b64 v[104:105], v82 offset:632
	v_cmp_lt_u32_e32 vcc, 33, v0
	s_waitcnt vmcnt(10) lgkmcnt(2)
	v_fma_f64 v[84:85], v[92:93], v[84:85], 0
	s_waitcnt vmcnt(8)
	v_fmac_f64_e32 v[84:85], v[94:95], v[86:87]
	s_waitcnt vmcnt(6) lgkmcnt(1)
	v_fmac_f64_e32 v[84:85], v[96:97], v[88:89]
	s_waitcnt vmcnt(4)
	v_fmac_f64_e32 v[84:85], v[98:99], v[90:91]
	s_waitcnt vmcnt(2) lgkmcnt(0)
	v_fmac_f64_e32 v[84:85], v[100:101], v[104:105]
	s_waitcnt vmcnt(0)
	v_add_f64 v[84:85], v[102:103], -v[84:85]
	buffer_store_dword v84, off, s[0:3], 0 offset:272
	buffer_store_dword v85, off, s[0:3], 0 offset:276
	s_and_saveexec_b64 s[4:5], vcc
	s_cbranch_execz .LBB39_181
; %bb.180:
	buffer_load_dword v84, off, s[0:3], 0 offset:264
	buffer_load_dword v85, off, s[0:3], 0 offset:268
	s_waitcnt vmcnt(0)
	ds_write_b64 v1, v[84:85]
	buffer_store_dword v82, off, s[0:3], 0 offset:264
	buffer_store_dword v82, off, s[0:3], 0 offset:268
.LBB39_181:
	s_or_b64 exec, exec, s[4:5]
	s_waitcnt lgkmcnt(0)
	; wave barrier
	s_waitcnt lgkmcnt(0)
	buffer_load_dword v96, off, s[0:3], 0 offset:272
	buffer_load_dword v97, off, s[0:3], 0 offset:276
	;; [unrolled: 1-line block ×14, first 2 shown]
	ds_read_b128 v[84:87], v82 offset:592
	ds_read_b128 v[88:91], v82 offset:608
	;; [unrolled: 1-line block ×3, first 2 shown]
	v_cmp_lt_u32_e32 vcc, 32, v0
	s_waitcnt vmcnt(12) lgkmcnt(2)
	v_fma_f64 v[82:83], v[96:97], v[84:85], 0
	s_waitcnt vmcnt(10)
	v_fmac_f64_e32 v[82:83], v[98:99], v[86:87]
	s_waitcnt vmcnt(8) lgkmcnt(1)
	v_fmac_f64_e32 v[82:83], v[100:101], v[88:89]
	s_waitcnt vmcnt(6)
	v_fmac_f64_e32 v[82:83], v[102:103], v[90:91]
	s_waitcnt vmcnt(4) lgkmcnt(0)
	v_fmac_f64_e32 v[82:83], v[104:105], v[92:93]
	s_waitcnt vmcnt(2)
	v_fmac_f64_e32 v[82:83], v[106:107], v[94:95]
	s_waitcnt vmcnt(0)
	v_add_f64 v[82:83], v[108:109], -v[82:83]
	buffer_store_dword v82, off, s[0:3], 0 offset:264
	buffer_store_dword v83, off, s[0:3], 0 offset:268
	s_and_saveexec_b64 s[4:5], vcc
	s_cbranch_execz .LBB39_183
; %bb.182:
	buffer_load_dword v82, off, s[0:3], 0 offset:256
	buffer_load_dword v83, off, s[0:3], 0 offset:260
	v_mov_b32_e32 v84, 0
	buffer_store_dword v84, off, s[0:3], 0 offset:256
	buffer_store_dword v84, off, s[0:3], 0 offset:260
	s_waitcnt vmcnt(2)
	ds_write_b64 v1, v[82:83]
.LBB39_183:
	s_or_b64 exec, exec, s[4:5]
	s_waitcnt lgkmcnt(0)
	; wave barrier
	s_waitcnt lgkmcnt(0)
	buffer_load_dword v96, off, s[0:3], 0 offset:264
	buffer_load_dword v97, off, s[0:3], 0 offset:268
	;; [unrolled: 1-line block ×16, first 2 shown]
	v_mov_b32_e32 v82, 0
	ds_read2_b64 v[84:87], v82 offset0:73 offset1:74
	ds_read2_b64 v[88:91], v82 offset0:75 offset1:76
	;; [unrolled: 1-line block ×3, first 2 shown]
	ds_read_b64 v[112:113], v82 offset:632
	v_cmp_lt_u32_e32 vcc, 31, v0
	s_waitcnt vmcnt(14) lgkmcnt(3)
	v_fma_f64 v[84:85], v[96:97], v[84:85], 0
	s_waitcnt vmcnt(12)
	v_fmac_f64_e32 v[84:85], v[98:99], v[86:87]
	s_waitcnt vmcnt(10) lgkmcnt(2)
	v_fmac_f64_e32 v[84:85], v[100:101], v[88:89]
	s_waitcnt vmcnt(8)
	v_fmac_f64_e32 v[84:85], v[102:103], v[90:91]
	s_waitcnt vmcnt(6) lgkmcnt(1)
	v_fmac_f64_e32 v[84:85], v[104:105], v[92:93]
	;; [unrolled: 4-line block ×3, first 2 shown]
	s_waitcnt vmcnt(0)
	v_add_f64 v[84:85], v[110:111], -v[84:85]
	buffer_store_dword v84, off, s[0:3], 0 offset:256
	buffer_store_dword v85, off, s[0:3], 0 offset:260
	s_and_saveexec_b64 s[4:5], vcc
	s_cbranch_execz .LBB39_185
; %bb.184:
	buffer_load_dword v84, off, s[0:3], 0 offset:248
	buffer_load_dword v85, off, s[0:3], 0 offset:252
	s_waitcnt vmcnt(0)
	ds_write_b64 v1, v[84:85]
	buffer_store_dword v82, off, s[0:3], 0 offset:248
	buffer_store_dword v82, off, s[0:3], 0 offset:252
.LBB39_185:
	s_or_b64 exec, exec, s[4:5]
	s_waitcnt lgkmcnt(0)
	; wave barrier
	s_waitcnt lgkmcnt(0)
	buffer_load_dword v100, off, s[0:3], 0 offset:256
	buffer_load_dword v101, off, s[0:3], 0 offset:260
	;; [unrolled: 1-line block ×18, first 2 shown]
	ds_read_b128 v[84:87], v82 offset:576
	ds_read_b128 v[88:91], v82 offset:592
	;; [unrolled: 1-line block ×4, first 2 shown]
	v_cmp_lt_u32_e32 vcc, 30, v0
	s_waitcnt vmcnt(16) lgkmcnt(3)
	v_fma_f64 v[82:83], v[100:101], v[84:85], 0
	s_waitcnt vmcnt(14)
	v_fmac_f64_e32 v[82:83], v[102:103], v[86:87]
	s_waitcnt vmcnt(12) lgkmcnt(2)
	v_fmac_f64_e32 v[82:83], v[104:105], v[88:89]
	s_waitcnt vmcnt(10)
	v_fmac_f64_e32 v[82:83], v[106:107], v[90:91]
	s_waitcnt vmcnt(8) lgkmcnt(1)
	v_fmac_f64_e32 v[82:83], v[108:109], v[92:93]
	;; [unrolled: 4-line block ×3, first 2 shown]
	s_waitcnt vmcnt(2)
	v_fmac_f64_e32 v[82:83], v[114:115], v[98:99]
	s_waitcnt vmcnt(0)
	v_add_f64 v[82:83], v[116:117], -v[82:83]
	buffer_store_dword v82, off, s[0:3], 0 offset:248
	buffer_store_dword v83, off, s[0:3], 0 offset:252
	s_and_saveexec_b64 s[4:5], vcc
	s_cbranch_execz .LBB39_187
; %bb.186:
	buffer_load_dword v82, off, s[0:3], 0 offset:240
	buffer_load_dword v83, off, s[0:3], 0 offset:244
	v_mov_b32_e32 v84, 0
	buffer_store_dword v84, off, s[0:3], 0 offset:240
	buffer_store_dword v84, off, s[0:3], 0 offset:244
	s_waitcnt vmcnt(2)
	ds_write_b64 v1, v[82:83]
.LBB39_187:
	s_or_b64 exec, exec, s[4:5]
	s_waitcnt lgkmcnt(0)
	; wave barrier
	s_waitcnt lgkmcnt(0)
	buffer_load_dword v100, off, s[0:3], 0 offset:248
	buffer_load_dword v101, off, s[0:3], 0 offset:252
	;; [unrolled: 1-line block ×20, first 2 shown]
	v_mov_b32_e32 v82, 0
	ds_read2_b64 v[84:87], v82 offset0:71 offset1:72
	ds_read2_b64 v[88:91], v82 offset0:73 offset1:74
	;; [unrolled: 1-line block ×4, first 2 shown]
	ds_read_b64 v[120:121], v82 offset:632
	v_cmp_lt_u32_e32 vcc, 29, v0
	s_waitcnt vmcnt(18) lgkmcnt(4)
	v_fma_f64 v[84:85], v[100:101], v[84:85], 0
	s_waitcnt vmcnt(16)
	v_fmac_f64_e32 v[84:85], v[102:103], v[86:87]
	s_waitcnt vmcnt(14) lgkmcnt(3)
	v_fmac_f64_e32 v[84:85], v[104:105], v[88:89]
	s_waitcnt vmcnt(12)
	v_fmac_f64_e32 v[84:85], v[106:107], v[90:91]
	s_waitcnt vmcnt(10) lgkmcnt(2)
	v_fmac_f64_e32 v[84:85], v[108:109], v[92:93]
	;; [unrolled: 4-line block ×3, first 2 shown]
	s_waitcnt vmcnt(2)
	v_fmac_f64_e32 v[84:85], v[116:117], v[98:99]
	s_waitcnt lgkmcnt(0)
	v_fmac_f64_e32 v[84:85], v[114:115], v[120:121]
	s_waitcnt vmcnt(0)
	v_add_f64 v[84:85], v[118:119], -v[84:85]
	buffer_store_dword v84, off, s[0:3], 0 offset:240
	buffer_store_dword v85, off, s[0:3], 0 offset:244
	s_and_saveexec_b64 s[4:5], vcc
	s_cbranch_execz .LBB39_189
; %bb.188:
	buffer_load_dword v84, off, s[0:3], 0 offset:232
	buffer_load_dword v85, off, s[0:3], 0 offset:236
	s_waitcnt vmcnt(0)
	ds_write_b64 v1, v[84:85]
	buffer_store_dword v82, off, s[0:3], 0 offset:232
	buffer_store_dword v82, off, s[0:3], 0 offset:236
.LBB39_189:
	s_or_b64 exec, exec, s[4:5]
	s_waitcnt lgkmcnt(0)
	; wave barrier
	s_waitcnt lgkmcnt(0)
	buffer_load_dword v104, off, s[0:3], 0 offset:240
	buffer_load_dword v105, off, s[0:3], 0 offset:244
	;; [unrolled: 1-line block ×22, first 2 shown]
	ds_read_b128 v[84:87], v82 offset:560
	ds_read_b128 v[88:91], v82 offset:576
	;; [unrolled: 1-line block ×5, first 2 shown]
	v_cmp_lt_u32_e32 vcc, 28, v0
	s_waitcnt vmcnt(20) lgkmcnt(4)
	v_fma_f64 v[82:83], v[104:105], v[84:85], 0
	s_waitcnt vmcnt(18)
	v_fmac_f64_e32 v[82:83], v[106:107], v[86:87]
	s_waitcnt vmcnt(16) lgkmcnt(3)
	v_fmac_f64_e32 v[82:83], v[108:109], v[88:89]
	s_waitcnt vmcnt(14)
	v_fmac_f64_e32 v[82:83], v[110:111], v[90:91]
	s_waitcnt vmcnt(12) lgkmcnt(2)
	v_fmac_f64_e32 v[82:83], v[112:113], v[92:93]
	s_waitcnt vmcnt(10)
	v_fmac_f64_e32 v[82:83], v[114:115], v[94:95]
	s_waitcnt vmcnt(8) lgkmcnt(1)
	v_fmac_f64_e32 v[82:83], v[116:117], v[96:97]
	s_waitcnt vmcnt(3)
	v_fmac_f64_e32 v[82:83], v[122:123], v[98:99]
	s_waitcnt lgkmcnt(0)
	v_fmac_f64_e32 v[82:83], v[120:121], v[100:101]
	s_waitcnt vmcnt(2)
	v_fmac_f64_e32 v[82:83], v[118:119], v[102:103]
	s_waitcnt vmcnt(0)
	v_add_f64 v[82:83], v[124:125], -v[82:83]
	buffer_store_dword v82, off, s[0:3], 0 offset:232
	buffer_store_dword v83, off, s[0:3], 0 offset:236
	s_and_saveexec_b64 s[4:5], vcc
	s_cbranch_execz .LBB39_191
; %bb.190:
	buffer_load_dword v82, off, s[0:3], 0 offset:224
	buffer_load_dword v83, off, s[0:3], 0 offset:228
	v_mov_b32_e32 v84, 0
	buffer_store_dword v84, off, s[0:3], 0 offset:224
	buffer_store_dword v84, off, s[0:3], 0 offset:228
	s_waitcnt vmcnt(2)
	ds_write_b64 v1, v[82:83]
.LBB39_191:
	s_or_b64 exec, exec, s[4:5]
	s_waitcnt lgkmcnt(0)
	; wave barrier
	s_waitcnt lgkmcnt(0)
	buffer_load_dword v88, off, s[0:3], 0 offset:224
	buffer_load_dword v89, off, s[0:3], 0 offset:228
	;; [unrolled: 1-line block ×16, first 2 shown]
	v_mov_b32_e32 v82, 0
	ds_read2_b64 v[84:87], v82 offset0:69 offset1:70
	v_cmp_lt_u32_e32 vcc, 27, v0
	s_waitcnt vmcnt(12) lgkmcnt(0)
	v_fma_f64 v[90:91], v[90:91], v[84:85], 0
	s_waitcnt vmcnt(10)
	v_fmac_f64_e32 v[90:91], v[92:93], v[86:87]
	ds_read2_b64 v[84:87], v82 offset0:71 offset1:72
	s_waitcnt vmcnt(8) lgkmcnt(0)
	v_fmac_f64_e32 v[90:91], v[94:95], v[84:85]
	s_waitcnt vmcnt(6)
	v_fmac_f64_e32 v[90:91], v[96:97], v[86:87]
	ds_read2_b64 v[84:87], v82 offset0:73 offset1:74
	s_waitcnt vmcnt(4) lgkmcnt(0)
	v_fmac_f64_e32 v[90:91], v[98:99], v[84:85]
	;; [unrolled: 5-line block ×3, first 2 shown]
	buffer_load_dword v85, off, s[0:3], 0 offset:292
	buffer_load_dword v84, off, s[0:3], 0 offset:288
	;; [unrolled: 1-line block ×4, first 2 shown]
	s_waitcnt vmcnt(2)
	v_fmac_f64_e32 v[90:91], v[84:85], v[86:87]
	ds_read2_b64 v[84:87], v82 offset0:77 offset1:78
	s_waitcnt vmcnt(0) lgkmcnt(0)
	v_fmac_f64_e32 v[90:91], v[92:93], v[84:85]
	buffer_load_dword v85, off, s[0:3], 0 offset:308
	buffer_load_dword v84, off, s[0:3], 0 offset:304
	s_waitcnt vmcnt(0)
	v_fmac_f64_e32 v[90:91], v[84:85], v[86:87]
	buffer_load_dword v85, off, s[0:3], 0 offset:316
	buffer_load_dword v84, off, s[0:3], 0 offset:312
	ds_read_b64 v[86:87], v82 offset:632
	s_waitcnt vmcnt(0) lgkmcnt(0)
	v_fmac_f64_e32 v[90:91], v[84:85], v[86:87]
	v_add_f64 v[84:85], v[88:89], -v[90:91]
	buffer_store_dword v85, off, s[0:3], 0 offset:228
	buffer_store_dword v84, off, s[0:3], 0 offset:224
	s_and_saveexec_b64 s[4:5], vcc
	s_cbranch_execz .LBB39_193
; %bb.192:
	buffer_load_dword v84, off, s[0:3], 0 offset:216
	buffer_load_dword v85, off, s[0:3], 0 offset:220
	s_waitcnt vmcnt(0)
	ds_write_b64 v1, v[84:85]
	buffer_store_dword v82, off, s[0:3], 0 offset:216
	buffer_store_dword v82, off, s[0:3], 0 offset:220
.LBB39_193:
	s_or_b64 exec, exec, s[4:5]
	s_waitcnt lgkmcnt(0)
	; wave barrier
	s_waitcnt lgkmcnt(0)
	buffer_load_dword v100, off, s[0:3], 0 offset:216
	buffer_load_dword v101, off, s[0:3], 0 offset:220
	;; [unrolled: 1-line block ×16, first 2 shown]
	ds_read_b128 v[84:87], v82 offset:544
	ds_read_b128 v[88:91], v82 offset:560
	;; [unrolled: 1-line block ×4, first 2 shown]
	v_cmp_lt_u32_e32 vcc, 26, v0
	s_waitcnt vmcnt(12) lgkmcnt(3)
	v_fma_f64 v[102:103], v[102:103], v[84:85], 0
	buffer_load_dword v85, off, s[0:3], 0 offset:284
	buffer_load_dword v84, off, s[0:3], 0 offset:280
	s_waitcnt vmcnt(12)
	v_fmac_f64_e32 v[102:103], v[104:105], v[86:87]
	s_waitcnt vmcnt(10) lgkmcnt(2)
	v_fmac_f64_e32 v[102:103], v[106:107], v[88:89]
	buffer_load_dword v89, off, s[0:3], 0 offset:292
	buffer_load_dword v88, off, s[0:3], 0 offset:288
	s_waitcnt vmcnt(10)
	v_fmac_f64_e32 v[102:103], v[108:109], v[90:91]
	s_waitcnt vmcnt(8) lgkmcnt(1)
	v_fmac_f64_e32 v[102:103], v[110:111], v[92:93]
	s_waitcnt vmcnt(6)
	v_fmac_f64_e32 v[102:103], v[112:113], v[94:95]
	s_waitcnt vmcnt(4) lgkmcnt(0)
	v_fmac_f64_e32 v[102:103], v[114:115], v[96:97]
	s_waitcnt vmcnt(2)
	v_fmac_f64_e32 v[102:103], v[84:85], v[98:99]
	ds_read_b128 v[84:87], v82 offset:608
	s_waitcnt vmcnt(0) lgkmcnt(0)
	v_fmac_f64_e32 v[102:103], v[88:89], v[84:85]
	buffer_load_dword v85, off, s[0:3], 0 offset:300
	buffer_load_dword v84, off, s[0:3], 0 offset:296
	s_waitcnt vmcnt(0)
	v_fmac_f64_e32 v[102:103], v[84:85], v[86:87]
	buffer_load_dword v87, off, s[0:3], 0 offset:308
	buffer_load_dword v86, off, s[0:3], 0 offset:304
	ds_read_b128 v[82:85], v82 offset:624
	s_waitcnt vmcnt(0) lgkmcnt(0)
	v_fmac_f64_e32 v[102:103], v[86:87], v[82:83]
	buffer_load_dword v83, off, s[0:3], 0 offset:316
	buffer_load_dword v82, off, s[0:3], 0 offset:312
	s_waitcnt vmcnt(0)
	v_fmac_f64_e32 v[102:103], v[82:83], v[84:85]
	v_add_f64 v[82:83], v[100:101], -v[102:103]
	buffer_store_dword v83, off, s[0:3], 0 offset:220
	buffer_store_dword v82, off, s[0:3], 0 offset:216
	s_and_saveexec_b64 s[4:5], vcc
	s_cbranch_execz .LBB39_195
; %bb.194:
	buffer_load_dword v82, off, s[0:3], 0 offset:208
	buffer_load_dword v83, off, s[0:3], 0 offset:212
	v_mov_b32_e32 v84, 0
	buffer_store_dword v84, off, s[0:3], 0 offset:208
	buffer_store_dword v84, off, s[0:3], 0 offset:212
	s_waitcnt vmcnt(2)
	ds_write_b64 v1, v[82:83]
.LBB39_195:
	s_or_b64 exec, exec, s[4:5]
	s_waitcnt lgkmcnt(0)
	; wave barrier
	s_waitcnt lgkmcnt(0)
	buffer_load_dword v88, off, s[0:3], 0 offset:208
	buffer_load_dword v89, off, s[0:3], 0 offset:212
	;; [unrolled: 1-line block ×16, first 2 shown]
	v_mov_b32_e32 v82, 0
	ds_read2_b64 v[84:87], v82 offset0:67 offset1:68
	v_cmp_lt_u32_e32 vcc, 25, v0
	s_waitcnt vmcnt(12) lgkmcnt(0)
	v_fma_f64 v[90:91], v[90:91], v[84:85], 0
	s_waitcnt vmcnt(10)
	v_fmac_f64_e32 v[90:91], v[92:93], v[86:87]
	ds_read2_b64 v[84:87], v82 offset0:69 offset1:70
	s_waitcnt vmcnt(8) lgkmcnt(0)
	v_fmac_f64_e32 v[90:91], v[94:95], v[84:85]
	s_waitcnt vmcnt(6)
	v_fmac_f64_e32 v[90:91], v[96:97], v[86:87]
	ds_read2_b64 v[84:87], v82 offset0:71 offset1:72
	s_waitcnt vmcnt(4) lgkmcnt(0)
	v_fmac_f64_e32 v[90:91], v[98:99], v[84:85]
	s_waitcnt vmcnt(2)
	v_fmac_f64_e32 v[90:91], v[100:101], v[86:87]
	ds_read2_b64 v[84:87], v82 offset0:73 offset1:74
	s_waitcnt vmcnt(0) lgkmcnt(0)
	v_fmac_f64_e32 v[90:91], v[102:103], v[84:85]
	buffer_load_dword v85, off, s[0:3], 0 offset:276
	buffer_load_dword v84, off, s[0:3], 0 offset:272
	;; [unrolled: 1-line block ×4, first 2 shown]
	s_waitcnt vmcnt(2)
	v_fmac_f64_e32 v[90:91], v[84:85], v[86:87]
	ds_read2_b64 v[84:87], v82 offset0:75 offset1:76
	s_waitcnt vmcnt(0) lgkmcnt(0)
	v_fmac_f64_e32 v[90:91], v[92:93], v[84:85]
	buffer_load_dword v85, off, s[0:3], 0 offset:292
	buffer_load_dword v84, off, s[0:3], 0 offset:288
	buffer_load_dword v93, off, s[0:3], 0 offset:300
	buffer_load_dword v92, off, s[0:3], 0 offset:296
	s_waitcnt vmcnt(2)
	v_fmac_f64_e32 v[90:91], v[84:85], v[86:87]
	ds_read2_b64 v[84:87], v82 offset0:77 offset1:78
	s_waitcnt vmcnt(0) lgkmcnt(0)
	v_fmac_f64_e32 v[90:91], v[92:93], v[84:85]
	buffer_load_dword v85, off, s[0:3], 0 offset:308
	buffer_load_dword v84, off, s[0:3], 0 offset:304
	s_waitcnt vmcnt(0)
	v_fmac_f64_e32 v[90:91], v[84:85], v[86:87]
	buffer_load_dword v85, off, s[0:3], 0 offset:316
	buffer_load_dword v84, off, s[0:3], 0 offset:312
	ds_read_b64 v[86:87], v82 offset:632
	s_waitcnt vmcnt(0) lgkmcnt(0)
	v_fmac_f64_e32 v[90:91], v[84:85], v[86:87]
	v_add_f64 v[84:85], v[88:89], -v[90:91]
	buffer_store_dword v85, off, s[0:3], 0 offset:212
	buffer_store_dword v84, off, s[0:3], 0 offset:208
	s_and_saveexec_b64 s[4:5], vcc
	s_cbranch_execz .LBB39_197
; %bb.196:
	buffer_load_dword v84, off, s[0:3], 0 offset:200
	buffer_load_dword v85, off, s[0:3], 0 offset:204
	s_waitcnt vmcnt(0)
	ds_write_b64 v1, v[84:85]
	buffer_store_dword v82, off, s[0:3], 0 offset:200
	buffer_store_dword v82, off, s[0:3], 0 offset:204
.LBB39_197:
	s_or_b64 exec, exec, s[4:5]
	s_waitcnt lgkmcnt(0)
	; wave barrier
	s_waitcnt lgkmcnt(0)
	buffer_load_dword v100, off, s[0:3], 0 offset:200
	buffer_load_dword v101, off, s[0:3], 0 offset:204
	;; [unrolled: 1-line block ×16, first 2 shown]
	ds_read_b128 v[84:87], v82 offset:528
	ds_read_b128 v[88:91], v82 offset:544
	;; [unrolled: 1-line block ×4, first 2 shown]
	v_cmp_lt_u32_e32 vcc, 24, v0
	s_waitcnt vmcnt(12) lgkmcnt(3)
	v_fma_f64 v[102:103], v[102:103], v[84:85], 0
	buffer_load_dword v85, off, s[0:3], 0 offset:268
	buffer_load_dword v84, off, s[0:3], 0 offset:264
	s_waitcnt vmcnt(12)
	v_fmac_f64_e32 v[102:103], v[104:105], v[86:87]
	s_waitcnt vmcnt(10) lgkmcnt(2)
	v_fmac_f64_e32 v[102:103], v[106:107], v[88:89]
	buffer_load_dword v89, off, s[0:3], 0 offset:276
	buffer_load_dword v88, off, s[0:3], 0 offset:272
	s_waitcnt vmcnt(10)
	v_fmac_f64_e32 v[102:103], v[108:109], v[90:91]
	s_waitcnt vmcnt(8) lgkmcnt(1)
	v_fmac_f64_e32 v[102:103], v[110:111], v[92:93]
	s_waitcnt vmcnt(6)
	v_fmac_f64_e32 v[102:103], v[112:113], v[94:95]
	s_waitcnt vmcnt(4) lgkmcnt(0)
	v_fmac_f64_e32 v[102:103], v[114:115], v[96:97]
	s_waitcnt vmcnt(2)
	v_fmac_f64_e32 v[102:103], v[84:85], v[98:99]
	ds_read_b128 v[84:87], v82 offset:592
	s_waitcnt vmcnt(0) lgkmcnt(0)
	v_fmac_f64_e32 v[102:103], v[88:89], v[84:85]
	buffer_load_dword v85, off, s[0:3], 0 offset:284
	buffer_load_dword v84, off, s[0:3], 0 offset:280
	;; [unrolled: 1-line block ×4, first 2 shown]
	s_waitcnt vmcnt(2)
	v_fmac_f64_e32 v[102:103], v[84:85], v[86:87]
	ds_read_b128 v[84:87], v82 offset:608
	s_waitcnt vmcnt(0) lgkmcnt(0)
	v_fmac_f64_e32 v[102:103], v[88:89], v[84:85]
	buffer_load_dword v85, off, s[0:3], 0 offset:300
	buffer_load_dword v84, off, s[0:3], 0 offset:296
	s_waitcnt vmcnt(0)
	v_fmac_f64_e32 v[102:103], v[84:85], v[86:87]
	buffer_load_dword v87, off, s[0:3], 0 offset:308
	buffer_load_dword v86, off, s[0:3], 0 offset:304
	ds_read_b128 v[82:85], v82 offset:624
	s_waitcnt vmcnt(0) lgkmcnt(0)
	v_fmac_f64_e32 v[102:103], v[86:87], v[82:83]
	buffer_load_dword v83, off, s[0:3], 0 offset:316
	buffer_load_dword v82, off, s[0:3], 0 offset:312
	s_waitcnt vmcnt(0)
	v_fmac_f64_e32 v[102:103], v[82:83], v[84:85]
	v_add_f64 v[82:83], v[100:101], -v[102:103]
	buffer_store_dword v83, off, s[0:3], 0 offset:204
	buffer_store_dword v82, off, s[0:3], 0 offset:200
	s_and_saveexec_b64 s[4:5], vcc
	s_cbranch_execz .LBB39_199
; %bb.198:
	buffer_load_dword v82, off, s[0:3], 0 offset:192
	buffer_load_dword v83, off, s[0:3], 0 offset:196
	v_mov_b32_e32 v84, 0
	buffer_store_dword v84, off, s[0:3], 0 offset:192
	buffer_store_dword v84, off, s[0:3], 0 offset:196
	s_waitcnt vmcnt(2)
	ds_write_b64 v1, v[82:83]
.LBB39_199:
	s_or_b64 exec, exec, s[4:5]
	s_waitcnt lgkmcnt(0)
	; wave barrier
	s_waitcnt lgkmcnt(0)
	buffer_load_dword v88, off, s[0:3], 0 offset:192
	buffer_load_dword v89, off, s[0:3], 0 offset:196
	;; [unrolled: 1-line block ×16, first 2 shown]
	v_mov_b32_e32 v82, 0
	ds_read2_b64 v[84:87], v82 offset0:65 offset1:66
	v_cmp_lt_u32_e32 vcc, 23, v0
	s_waitcnt vmcnt(12) lgkmcnt(0)
	v_fma_f64 v[90:91], v[90:91], v[84:85], 0
	s_waitcnt vmcnt(10)
	v_fmac_f64_e32 v[90:91], v[92:93], v[86:87]
	ds_read2_b64 v[84:87], v82 offset0:67 offset1:68
	s_waitcnt vmcnt(8) lgkmcnt(0)
	v_fmac_f64_e32 v[90:91], v[94:95], v[84:85]
	s_waitcnt vmcnt(6)
	v_fmac_f64_e32 v[90:91], v[96:97], v[86:87]
	ds_read2_b64 v[84:87], v82 offset0:69 offset1:70
	s_waitcnt vmcnt(4) lgkmcnt(0)
	v_fmac_f64_e32 v[90:91], v[98:99], v[84:85]
	;; [unrolled: 5-line block ×3, first 2 shown]
	buffer_load_dword v85, off, s[0:3], 0 offset:260
	buffer_load_dword v84, off, s[0:3], 0 offset:256
	buffer_load_dword v93, off, s[0:3], 0 offset:268
	buffer_load_dword v92, off, s[0:3], 0 offset:264
	s_waitcnt vmcnt(2)
	v_fmac_f64_e32 v[90:91], v[84:85], v[86:87]
	ds_read2_b64 v[84:87], v82 offset0:73 offset1:74
	s_waitcnt vmcnt(0) lgkmcnt(0)
	v_fmac_f64_e32 v[90:91], v[92:93], v[84:85]
	buffer_load_dword v85, off, s[0:3], 0 offset:276
	buffer_load_dword v84, off, s[0:3], 0 offset:272
	buffer_load_dword v93, off, s[0:3], 0 offset:284
	buffer_load_dword v92, off, s[0:3], 0 offset:280
	s_waitcnt vmcnt(2)
	v_fmac_f64_e32 v[90:91], v[84:85], v[86:87]
	ds_read2_b64 v[84:87], v82 offset0:75 offset1:76
	s_waitcnt vmcnt(0) lgkmcnt(0)
	v_fmac_f64_e32 v[90:91], v[92:93], v[84:85]
	;; [unrolled: 9-line block ×3, first 2 shown]
	buffer_load_dword v85, off, s[0:3], 0 offset:308
	buffer_load_dword v84, off, s[0:3], 0 offset:304
	s_waitcnt vmcnt(0)
	v_fmac_f64_e32 v[90:91], v[84:85], v[86:87]
	buffer_load_dword v85, off, s[0:3], 0 offset:316
	buffer_load_dword v84, off, s[0:3], 0 offset:312
	ds_read_b64 v[86:87], v82 offset:632
	s_waitcnt vmcnt(0) lgkmcnt(0)
	v_fmac_f64_e32 v[90:91], v[84:85], v[86:87]
	v_add_f64 v[84:85], v[88:89], -v[90:91]
	buffer_store_dword v85, off, s[0:3], 0 offset:196
	buffer_store_dword v84, off, s[0:3], 0 offset:192
	s_and_saveexec_b64 s[4:5], vcc
	s_cbranch_execz .LBB39_201
; %bb.200:
	buffer_load_dword v84, off, s[0:3], 0 offset:184
	buffer_load_dword v85, off, s[0:3], 0 offset:188
	s_waitcnt vmcnt(0)
	ds_write_b64 v1, v[84:85]
	buffer_store_dword v82, off, s[0:3], 0 offset:184
	buffer_store_dword v82, off, s[0:3], 0 offset:188
.LBB39_201:
	s_or_b64 exec, exec, s[4:5]
	s_waitcnt lgkmcnt(0)
	; wave barrier
	s_waitcnt lgkmcnt(0)
	buffer_load_dword v100, off, s[0:3], 0 offset:184
	buffer_load_dword v101, off, s[0:3], 0 offset:188
	;; [unrolled: 1-line block ×16, first 2 shown]
	ds_read_b128 v[84:87], v82 offset:512
	ds_read_b128 v[88:91], v82 offset:528
	;; [unrolled: 1-line block ×4, first 2 shown]
	v_cmp_lt_u32_e32 vcc, 22, v0
	s_waitcnt vmcnt(12) lgkmcnt(3)
	v_fma_f64 v[102:103], v[102:103], v[84:85], 0
	buffer_load_dword v85, off, s[0:3], 0 offset:252
	buffer_load_dword v84, off, s[0:3], 0 offset:248
	s_waitcnt vmcnt(12)
	v_fmac_f64_e32 v[102:103], v[104:105], v[86:87]
	s_waitcnt vmcnt(10) lgkmcnt(2)
	v_fmac_f64_e32 v[102:103], v[106:107], v[88:89]
	buffer_load_dword v89, off, s[0:3], 0 offset:260
	buffer_load_dword v88, off, s[0:3], 0 offset:256
	s_waitcnt vmcnt(10)
	v_fmac_f64_e32 v[102:103], v[108:109], v[90:91]
	s_waitcnt vmcnt(8) lgkmcnt(1)
	v_fmac_f64_e32 v[102:103], v[110:111], v[92:93]
	s_waitcnt vmcnt(6)
	v_fmac_f64_e32 v[102:103], v[112:113], v[94:95]
	s_waitcnt vmcnt(4) lgkmcnt(0)
	v_fmac_f64_e32 v[102:103], v[114:115], v[96:97]
	s_waitcnt vmcnt(2)
	v_fmac_f64_e32 v[102:103], v[84:85], v[98:99]
	ds_read_b128 v[84:87], v82 offset:576
	s_waitcnt vmcnt(0) lgkmcnt(0)
	v_fmac_f64_e32 v[102:103], v[88:89], v[84:85]
	buffer_load_dword v85, off, s[0:3], 0 offset:268
	buffer_load_dword v84, off, s[0:3], 0 offset:264
	;; [unrolled: 1-line block ×4, first 2 shown]
	s_waitcnt vmcnt(2)
	v_fmac_f64_e32 v[102:103], v[84:85], v[86:87]
	ds_read_b128 v[84:87], v82 offset:592
	s_waitcnt vmcnt(0) lgkmcnt(0)
	v_fmac_f64_e32 v[102:103], v[88:89], v[84:85]
	buffer_load_dword v85, off, s[0:3], 0 offset:284
	buffer_load_dword v84, off, s[0:3], 0 offset:280
	;; [unrolled: 1-line block ×4, first 2 shown]
	s_waitcnt vmcnt(2)
	v_fmac_f64_e32 v[102:103], v[84:85], v[86:87]
	ds_read_b128 v[84:87], v82 offset:608
	s_waitcnt vmcnt(0) lgkmcnt(0)
	v_fmac_f64_e32 v[102:103], v[88:89], v[84:85]
	buffer_load_dword v85, off, s[0:3], 0 offset:300
	buffer_load_dword v84, off, s[0:3], 0 offset:296
	s_waitcnt vmcnt(0)
	v_fmac_f64_e32 v[102:103], v[84:85], v[86:87]
	buffer_load_dword v87, off, s[0:3], 0 offset:308
	buffer_load_dword v86, off, s[0:3], 0 offset:304
	ds_read_b128 v[82:85], v82 offset:624
	s_waitcnt vmcnt(0) lgkmcnt(0)
	v_fmac_f64_e32 v[102:103], v[86:87], v[82:83]
	buffer_load_dword v83, off, s[0:3], 0 offset:316
	buffer_load_dword v82, off, s[0:3], 0 offset:312
	s_waitcnt vmcnt(0)
	v_fmac_f64_e32 v[102:103], v[82:83], v[84:85]
	v_add_f64 v[82:83], v[100:101], -v[102:103]
	buffer_store_dword v83, off, s[0:3], 0 offset:188
	buffer_store_dword v82, off, s[0:3], 0 offset:184
	s_and_saveexec_b64 s[4:5], vcc
	s_cbranch_execz .LBB39_203
; %bb.202:
	buffer_load_dword v82, off, s[0:3], 0 offset:176
	buffer_load_dword v83, off, s[0:3], 0 offset:180
	v_mov_b32_e32 v84, 0
	buffer_store_dword v84, off, s[0:3], 0 offset:176
	buffer_store_dword v84, off, s[0:3], 0 offset:180
	s_waitcnt vmcnt(2)
	ds_write_b64 v1, v[82:83]
.LBB39_203:
	s_or_b64 exec, exec, s[4:5]
	s_waitcnt lgkmcnt(0)
	; wave barrier
	s_waitcnt lgkmcnt(0)
	buffer_load_dword v82, off, s[0:3], 0 offset:176
	buffer_load_dword v83, off, s[0:3], 0 offset:180
	;; [unrolled: 1-line block ×16, first 2 shown]
	v_mov_b32_e32 v86, 0
	ds_read2_b64 v[88:91], v86 offset0:63 offset1:64
	v_cmp_lt_u32_e32 vcc, 21, v0
	s_waitcnt vmcnt(12) lgkmcnt(0)
	v_fma_f64 v[84:85], v[84:85], v[88:89], 0
	s_waitcnt vmcnt(10)
	v_fmac_f64_e32 v[84:85], v[92:93], v[90:91]
	ds_read2_b64 v[88:91], v86 offset0:65 offset1:66
	s_waitcnt vmcnt(8) lgkmcnt(0)
	v_fmac_f64_e32 v[84:85], v[94:95], v[88:89]
	s_waitcnt vmcnt(6)
	v_fmac_f64_e32 v[84:85], v[96:97], v[90:91]
	ds_read2_b64 v[88:91], v86 offset0:67 offset1:68
	s_waitcnt vmcnt(4) lgkmcnt(0)
	v_fmac_f64_e32 v[84:85], v[98:99], v[88:89]
	;; [unrolled: 5-line block ×3, first 2 shown]
	buffer_load_dword v89, off, s[0:3], 0 offset:244
	buffer_load_dword v88, off, s[0:3], 0 offset:240
	buffer_load_dword v93, off, s[0:3], 0 offset:252
	buffer_load_dword v92, off, s[0:3], 0 offset:248
	s_waitcnt vmcnt(2)
	v_fmac_f64_e32 v[84:85], v[88:89], v[90:91]
	ds_read2_b64 v[88:91], v86 offset0:71 offset1:72
	s_waitcnt vmcnt(0) lgkmcnt(0)
	v_fmac_f64_e32 v[84:85], v[92:93], v[88:89]
	buffer_load_dword v89, off, s[0:3], 0 offset:260
	buffer_load_dword v88, off, s[0:3], 0 offset:256
	buffer_load_dword v93, off, s[0:3], 0 offset:268
	buffer_load_dword v92, off, s[0:3], 0 offset:264
	s_waitcnt vmcnt(2)
	v_fmac_f64_e32 v[84:85], v[88:89], v[90:91]
	ds_read2_b64 v[88:91], v86 offset0:73 offset1:74
	s_waitcnt vmcnt(0) lgkmcnt(0)
	v_fmac_f64_e32 v[84:85], v[92:93], v[88:89]
	;; [unrolled: 9-line block ×4, first 2 shown]
	buffer_load_dword v89, off, s[0:3], 0 offset:308
	buffer_load_dword v88, off, s[0:3], 0 offset:304
	s_waitcnt vmcnt(0)
	v_fmac_f64_e32 v[84:85], v[88:89], v[90:91]
	buffer_load_dword v89, off, s[0:3], 0 offset:316
	buffer_load_dword v88, off, s[0:3], 0 offset:312
	ds_read_b64 v[90:91], v86 offset:632
	s_waitcnt vmcnt(0) lgkmcnt(0)
	v_fmac_f64_e32 v[84:85], v[88:89], v[90:91]
	v_add_f64 v[82:83], v[82:83], -v[84:85]
	buffer_store_dword v83, off, s[0:3], 0 offset:180
	buffer_store_dword v82, off, s[0:3], 0 offset:176
	s_and_saveexec_b64 s[4:5], vcc
	s_cbranch_execz .LBB39_205
; %bb.204:
	buffer_load_dword v82, off, s[0:3], 0 offset:168
	buffer_load_dword v83, off, s[0:3], 0 offset:172
	s_waitcnt vmcnt(0)
	ds_write_b64 v1, v[82:83]
	buffer_store_dword v86, off, s[0:3], 0 offset:168
	buffer_store_dword v86, off, s[0:3], 0 offset:172
.LBB39_205:
	s_or_b64 exec, exec, s[4:5]
	s_waitcnt lgkmcnt(0)
	; wave barrier
	s_waitcnt lgkmcnt(0)
	buffer_load_dword v82, off, s[0:3], 0 offset:168
	buffer_load_dword v83, off, s[0:3], 0 offset:172
	;; [unrolled: 1-line block ×16, first 2 shown]
	ds_read_b128 v[88:91], v86 offset:496
	ds_read_b128 v[92:95], v86 offset:512
	;; [unrolled: 1-line block ×4, first 2 shown]
	v_cmp_lt_u32_e32 vcc, 20, v0
	s_waitcnt vmcnt(12) lgkmcnt(3)
	v_fma_f64 v[84:85], v[84:85], v[88:89], 0
	buffer_load_dword v89, off, s[0:3], 0 offset:236
	buffer_load_dword v88, off, s[0:3], 0 offset:232
	s_waitcnt vmcnt(12)
	v_fmac_f64_e32 v[84:85], v[104:105], v[90:91]
	s_waitcnt vmcnt(10) lgkmcnt(2)
	v_fmac_f64_e32 v[84:85], v[106:107], v[92:93]
	buffer_load_dword v93, off, s[0:3], 0 offset:244
	buffer_load_dword v92, off, s[0:3], 0 offset:240
	s_waitcnt vmcnt(10)
	v_fmac_f64_e32 v[84:85], v[108:109], v[94:95]
	s_waitcnt vmcnt(8) lgkmcnt(1)
	v_fmac_f64_e32 v[84:85], v[110:111], v[96:97]
	s_waitcnt vmcnt(6)
	v_fmac_f64_e32 v[84:85], v[112:113], v[98:99]
	s_waitcnt vmcnt(4) lgkmcnt(0)
	v_fmac_f64_e32 v[84:85], v[114:115], v[100:101]
	s_waitcnt vmcnt(2)
	v_fmac_f64_e32 v[84:85], v[88:89], v[102:103]
	ds_read_b128 v[88:91], v86 offset:560
	s_waitcnt vmcnt(0) lgkmcnt(0)
	v_fmac_f64_e32 v[84:85], v[92:93], v[88:89]
	buffer_load_dword v89, off, s[0:3], 0 offset:252
	buffer_load_dword v88, off, s[0:3], 0 offset:248
	buffer_load_dword v93, off, s[0:3], 0 offset:260
	buffer_load_dword v92, off, s[0:3], 0 offset:256
	s_waitcnt vmcnt(2)
	v_fmac_f64_e32 v[84:85], v[88:89], v[90:91]
	ds_read_b128 v[88:91], v86 offset:576
	s_waitcnt vmcnt(0) lgkmcnt(0)
	v_fmac_f64_e32 v[84:85], v[92:93], v[88:89]
	buffer_load_dword v89, off, s[0:3], 0 offset:268
	buffer_load_dword v88, off, s[0:3], 0 offset:264
	buffer_load_dword v93, off, s[0:3], 0 offset:276
	buffer_load_dword v92, off, s[0:3], 0 offset:272
	;; [unrolled: 9-line block ×3, first 2 shown]
	s_waitcnt vmcnt(2)
	v_fmac_f64_e32 v[84:85], v[88:89], v[90:91]
	ds_read_b128 v[88:91], v86 offset:608
	s_waitcnt vmcnt(0) lgkmcnt(0)
	v_fmac_f64_e32 v[84:85], v[92:93], v[88:89]
	buffer_load_dword v89, off, s[0:3], 0 offset:300
	buffer_load_dword v88, off, s[0:3], 0 offset:296
	s_waitcnt vmcnt(0)
	v_fmac_f64_e32 v[84:85], v[88:89], v[90:91]
	buffer_load_dword v91, off, s[0:3], 0 offset:308
	buffer_load_dword v90, off, s[0:3], 0 offset:304
	ds_read_b128 v[86:89], v86 offset:624
	s_waitcnt vmcnt(0) lgkmcnt(0)
	v_fmac_f64_e32 v[84:85], v[90:91], v[86:87]
	buffer_load_dword v87, off, s[0:3], 0 offset:316
	buffer_load_dword v86, off, s[0:3], 0 offset:312
	s_waitcnt vmcnt(0)
	v_fmac_f64_e32 v[84:85], v[86:87], v[88:89]
	v_add_f64 v[82:83], v[82:83], -v[84:85]
	buffer_store_dword v83, off, s[0:3], 0 offset:172
	buffer_store_dword v82, off, s[0:3], 0 offset:168
	s_and_saveexec_b64 s[4:5], vcc
	s_cbranch_execz .LBB39_207
; %bb.206:
	buffer_load_dword v82, off, s[0:3], 0 offset:160
	buffer_load_dword v83, off, s[0:3], 0 offset:164
	v_mov_b32_e32 v84, 0
	buffer_store_dword v84, off, s[0:3], 0 offset:160
	buffer_store_dword v84, off, s[0:3], 0 offset:164
	s_waitcnt vmcnt(2)
	ds_write_b64 v1, v[82:83]
.LBB39_207:
	s_or_b64 exec, exec, s[4:5]
	s_waitcnt lgkmcnt(0)
	; wave barrier
	s_waitcnt lgkmcnt(0)
	buffer_load_dword v82, off, s[0:3], 0 offset:160
	buffer_load_dword v83, off, s[0:3], 0 offset:164
	;; [unrolled: 1-line block ×16, first 2 shown]
	v_mov_b32_e32 v86, 0
	ds_read2_b64 v[88:91], v86 offset0:61 offset1:62
	v_cmp_lt_u32_e32 vcc, 19, v0
	s_waitcnt vmcnt(12) lgkmcnt(0)
	v_fma_f64 v[84:85], v[84:85], v[88:89], 0
	s_waitcnt vmcnt(10)
	v_fmac_f64_e32 v[84:85], v[92:93], v[90:91]
	ds_read2_b64 v[88:91], v86 offset0:63 offset1:64
	s_waitcnt vmcnt(8) lgkmcnt(0)
	v_fmac_f64_e32 v[84:85], v[94:95], v[88:89]
	s_waitcnt vmcnt(6)
	v_fmac_f64_e32 v[84:85], v[96:97], v[90:91]
	ds_read2_b64 v[88:91], v86 offset0:65 offset1:66
	s_waitcnt vmcnt(4) lgkmcnt(0)
	v_fmac_f64_e32 v[84:85], v[98:99], v[88:89]
	;; [unrolled: 5-line block ×3, first 2 shown]
	buffer_load_dword v89, off, s[0:3], 0 offset:228
	buffer_load_dword v88, off, s[0:3], 0 offset:224
	buffer_load_dword v93, off, s[0:3], 0 offset:236
	buffer_load_dword v92, off, s[0:3], 0 offset:232
	s_waitcnt vmcnt(2)
	v_fmac_f64_e32 v[84:85], v[88:89], v[90:91]
	ds_read2_b64 v[88:91], v86 offset0:69 offset1:70
	s_waitcnt vmcnt(0) lgkmcnt(0)
	v_fmac_f64_e32 v[84:85], v[92:93], v[88:89]
	buffer_load_dword v89, off, s[0:3], 0 offset:244
	buffer_load_dword v88, off, s[0:3], 0 offset:240
	buffer_load_dword v93, off, s[0:3], 0 offset:252
	buffer_load_dword v92, off, s[0:3], 0 offset:248
	s_waitcnt vmcnt(2)
	v_fmac_f64_e32 v[84:85], v[88:89], v[90:91]
	ds_read2_b64 v[88:91], v86 offset0:71 offset1:72
	s_waitcnt vmcnt(0) lgkmcnt(0)
	v_fmac_f64_e32 v[84:85], v[92:93], v[88:89]
	;; [unrolled: 9-line block ×5, first 2 shown]
	buffer_load_dword v89, off, s[0:3], 0 offset:308
	buffer_load_dword v88, off, s[0:3], 0 offset:304
	s_waitcnt vmcnt(0)
	v_fmac_f64_e32 v[84:85], v[88:89], v[90:91]
	buffer_load_dword v89, off, s[0:3], 0 offset:316
	buffer_load_dword v88, off, s[0:3], 0 offset:312
	ds_read_b64 v[90:91], v86 offset:632
	s_waitcnt vmcnt(0) lgkmcnt(0)
	v_fmac_f64_e32 v[84:85], v[88:89], v[90:91]
	v_add_f64 v[82:83], v[82:83], -v[84:85]
	buffer_store_dword v83, off, s[0:3], 0 offset:164
	buffer_store_dword v82, off, s[0:3], 0 offset:160
	s_and_saveexec_b64 s[4:5], vcc
	s_cbranch_execz .LBB39_209
; %bb.208:
	buffer_load_dword v82, off, s[0:3], 0 offset:152
	buffer_load_dword v83, off, s[0:3], 0 offset:156
	s_waitcnt vmcnt(0)
	ds_write_b64 v1, v[82:83]
	buffer_store_dword v86, off, s[0:3], 0 offset:152
	buffer_store_dword v86, off, s[0:3], 0 offset:156
.LBB39_209:
	s_or_b64 exec, exec, s[4:5]
	s_waitcnt lgkmcnt(0)
	; wave barrier
	s_waitcnt lgkmcnt(0)
	buffer_load_dword v82, off, s[0:3], 0 offset:152
	buffer_load_dword v83, off, s[0:3], 0 offset:156
	;; [unrolled: 1-line block ×16, first 2 shown]
	ds_read_b128 v[88:91], v86 offset:480
	ds_read_b128 v[92:95], v86 offset:496
	;; [unrolled: 1-line block ×4, first 2 shown]
	v_cmp_lt_u32_e32 vcc, 18, v0
	s_waitcnt vmcnt(12) lgkmcnt(3)
	v_fma_f64 v[84:85], v[84:85], v[88:89], 0
	buffer_load_dword v89, off, s[0:3], 0 offset:220
	buffer_load_dword v88, off, s[0:3], 0 offset:216
	s_waitcnt vmcnt(12)
	v_fmac_f64_e32 v[84:85], v[104:105], v[90:91]
	s_waitcnt vmcnt(10) lgkmcnt(2)
	v_fmac_f64_e32 v[84:85], v[106:107], v[92:93]
	buffer_load_dword v93, off, s[0:3], 0 offset:228
	buffer_load_dword v92, off, s[0:3], 0 offset:224
	s_waitcnt vmcnt(10)
	v_fmac_f64_e32 v[84:85], v[108:109], v[94:95]
	s_waitcnt vmcnt(8) lgkmcnt(1)
	v_fmac_f64_e32 v[84:85], v[110:111], v[96:97]
	s_waitcnt vmcnt(6)
	v_fmac_f64_e32 v[84:85], v[112:113], v[98:99]
	s_waitcnt vmcnt(4) lgkmcnt(0)
	v_fmac_f64_e32 v[84:85], v[114:115], v[100:101]
	s_waitcnt vmcnt(2)
	v_fmac_f64_e32 v[84:85], v[88:89], v[102:103]
	ds_read_b128 v[88:91], v86 offset:544
	s_waitcnt vmcnt(0) lgkmcnt(0)
	v_fmac_f64_e32 v[84:85], v[92:93], v[88:89]
	buffer_load_dword v89, off, s[0:3], 0 offset:236
	buffer_load_dword v88, off, s[0:3], 0 offset:232
	buffer_load_dword v93, off, s[0:3], 0 offset:244
	buffer_load_dword v92, off, s[0:3], 0 offset:240
	s_waitcnt vmcnt(2)
	v_fmac_f64_e32 v[84:85], v[88:89], v[90:91]
	ds_read_b128 v[88:91], v86 offset:560
	s_waitcnt vmcnt(0) lgkmcnt(0)
	v_fmac_f64_e32 v[84:85], v[92:93], v[88:89]
	buffer_load_dword v89, off, s[0:3], 0 offset:252
	buffer_load_dword v88, off, s[0:3], 0 offset:248
	buffer_load_dword v93, off, s[0:3], 0 offset:260
	buffer_load_dword v92, off, s[0:3], 0 offset:256
	;; [unrolled: 9-line block ×4, first 2 shown]
	s_waitcnt vmcnt(2)
	v_fmac_f64_e32 v[84:85], v[88:89], v[90:91]
	ds_read_b128 v[88:91], v86 offset:608
	s_waitcnt vmcnt(0) lgkmcnt(0)
	v_fmac_f64_e32 v[84:85], v[92:93], v[88:89]
	buffer_load_dword v89, off, s[0:3], 0 offset:300
	buffer_load_dword v88, off, s[0:3], 0 offset:296
	s_waitcnt vmcnt(0)
	v_fmac_f64_e32 v[84:85], v[88:89], v[90:91]
	buffer_load_dword v91, off, s[0:3], 0 offset:308
	buffer_load_dword v90, off, s[0:3], 0 offset:304
	ds_read_b128 v[86:89], v86 offset:624
	s_waitcnt vmcnt(0) lgkmcnt(0)
	v_fmac_f64_e32 v[84:85], v[90:91], v[86:87]
	buffer_load_dword v87, off, s[0:3], 0 offset:316
	buffer_load_dword v86, off, s[0:3], 0 offset:312
	s_waitcnt vmcnt(0)
	v_fmac_f64_e32 v[84:85], v[86:87], v[88:89]
	v_add_f64 v[82:83], v[82:83], -v[84:85]
	buffer_store_dword v83, off, s[0:3], 0 offset:156
	buffer_store_dword v82, off, s[0:3], 0 offset:152
	s_and_saveexec_b64 s[4:5], vcc
	s_cbranch_execz .LBB39_211
; %bb.210:
	buffer_load_dword v82, off, s[0:3], 0 offset:144
	buffer_load_dword v83, off, s[0:3], 0 offset:148
	v_mov_b32_e32 v84, 0
	buffer_store_dword v84, off, s[0:3], 0 offset:144
	buffer_store_dword v84, off, s[0:3], 0 offset:148
	s_waitcnt vmcnt(2)
	ds_write_b64 v1, v[82:83]
.LBB39_211:
	s_or_b64 exec, exec, s[4:5]
	s_waitcnt lgkmcnt(0)
	; wave barrier
	s_waitcnt lgkmcnt(0)
	buffer_load_dword v82, off, s[0:3], 0 offset:144
	buffer_load_dword v83, off, s[0:3], 0 offset:148
	;; [unrolled: 1-line block ×16, first 2 shown]
	v_mov_b32_e32 v86, 0
	ds_read2_b64 v[88:91], v86 offset0:59 offset1:60
	v_cmp_lt_u32_e32 vcc, 17, v0
	s_waitcnt vmcnt(12) lgkmcnt(0)
	v_fma_f64 v[84:85], v[84:85], v[88:89], 0
	s_waitcnt vmcnt(10)
	v_fmac_f64_e32 v[84:85], v[92:93], v[90:91]
	ds_read2_b64 v[88:91], v86 offset0:61 offset1:62
	s_waitcnt vmcnt(8) lgkmcnt(0)
	v_fmac_f64_e32 v[84:85], v[94:95], v[88:89]
	s_waitcnt vmcnt(6)
	v_fmac_f64_e32 v[84:85], v[96:97], v[90:91]
	ds_read2_b64 v[88:91], v86 offset0:63 offset1:64
	s_waitcnt vmcnt(4) lgkmcnt(0)
	v_fmac_f64_e32 v[84:85], v[98:99], v[88:89]
	;; [unrolled: 5-line block ×3, first 2 shown]
	buffer_load_dword v89, off, s[0:3], 0 offset:212
	buffer_load_dword v88, off, s[0:3], 0 offset:208
	buffer_load_dword v93, off, s[0:3], 0 offset:220
	buffer_load_dword v92, off, s[0:3], 0 offset:216
	s_waitcnt vmcnt(2)
	v_fmac_f64_e32 v[84:85], v[88:89], v[90:91]
	ds_read2_b64 v[88:91], v86 offset0:67 offset1:68
	s_waitcnt vmcnt(0) lgkmcnt(0)
	v_fmac_f64_e32 v[84:85], v[92:93], v[88:89]
	buffer_load_dword v89, off, s[0:3], 0 offset:228
	buffer_load_dword v88, off, s[0:3], 0 offset:224
	buffer_load_dword v93, off, s[0:3], 0 offset:236
	buffer_load_dword v92, off, s[0:3], 0 offset:232
	s_waitcnt vmcnt(2)
	v_fmac_f64_e32 v[84:85], v[88:89], v[90:91]
	ds_read2_b64 v[88:91], v86 offset0:69 offset1:70
	s_waitcnt vmcnt(0) lgkmcnt(0)
	v_fmac_f64_e32 v[84:85], v[92:93], v[88:89]
	;; [unrolled: 9-line block ×6, first 2 shown]
	buffer_load_dword v89, off, s[0:3], 0 offset:308
	buffer_load_dword v88, off, s[0:3], 0 offset:304
	s_waitcnt vmcnt(0)
	v_fmac_f64_e32 v[84:85], v[88:89], v[90:91]
	buffer_load_dword v89, off, s[0:3], 0 offset:316
	buffer_load_dword v88, off, s[0:3], 0 offset:312
	ds_read_b64 v[90:91], v86 offset:632
	s_waitcnt vmcnt(0) lgkmcnt(0)
	v_fmac_f64_e32 v[84:85], v[88:89], v[90:91]
	v_add_f64 v[82:83], v[82:83], -v[84:85]
	buffer_store_dword v83, off, s[0:3], 0 offset:148
	buffer_store_dword v82, off, s[0:3], 0 offset:144
	s_and_saveexec_b64 s[4:5], vcc
	s_cbranch_execz .LBB39_213
; %bb.212:
	buffer_load_dword v82, off, s[0:3], 0 offset:136
	buffer_load_dword v83, off, s[0:3], 0 offset:140
	s_waitcnt vmcnt(0)
	ds_write_b64 v1, v[82:83]
	buffer_store_dword v86, off, s[0:3], 0 offset:136
	buffer_store_dword v86, off, s[0:3], 0 offset:140
.LBB39_213:
	s_or_b64 exec, exec, s[4:5]
	s_waitcnt lgkmcnt(0)
	; wave barrier
	s_waitcnt lgkmcnt(0)
	buffer_load_dword v82, off, s[0:3], 0 offset:136
	buffer_load_dword v83, off, s[0:3], 0 offset:140
	;; [unrolled: 1-line block ×16, first 2 shown]
	ds_read_b128 v[88:91], v86 offset:464
	ds_read_b128 v[92:95], v86 offset:480
	;; [unrolled: 1-line block ×4, first 2 shown]
	v_cmp_lt_u32_e32 vcc, 16, v0
	s_waitcnt vmcnt(12) lgkmcnt(3)
	v_fma_f64 v[84:85], v[84:85], v[88:89], 0
	buffer_load_dword v89, off, s[0:3], 0 offset:204
	buffer_load_dword v88, off, s[0:3], 0 offset:200
	s_waitcnt vmcnt(12)
	v_fmac_f64_e32 v[84:85], v[104:105], v[90:91]
	s_waitcnt vmcnt(10) lgkmcnt(2)
	v_fmac_f64_e32 v[84:85], v[106:107], v[92:93]
	buffer_load_dword v93, off, s[0:3], 0 offset:212
	buffer_load_dword v92, off, s[0:3], 0 offset:208
	s_waitcnt vmcnt(10)
	v_fmac_f64_e32 v[84:85], v[108:109], v[94:95]
	s_waitcnt vmcnt(8) lgkmcnt(1)
	v_fmac_f64_e32 v[84:85], v[110:111], v[96:97]
	s_waitcnt vmcnt(6)
	v_fmac_f64_e32 v[84:85], v[112:113], v[98:99]
	s_waitcnt vmcnt(4) lgkmcnt(0)
	v_fmac_f64_e32 v[84:85], v[114:115], v[100:101]
	s_waitcnt vmcnt(2)
	v_fmac_f64_e32 v[84:85], v[88:89], v[102:103]
	ds_read_b128 v[88:91], v86 offset:528
	s_waitcnt vmcnt(0) lgkmcnt(0)
	v_fmac_f64_e32 v[84:85], v[92:93], v[88:89]
	buffer_load_dword v89, off, s[0:3], 0 offset:220
	buffer_load_dword v88, off, s[0:3], 0 offset:216
	buffer_load_dword v93, off, s[0:3], 0 offset:228
	buffer_load_dword v92, off, s[0:3], 0 offset:224
	s_waitcnt vmcnt(2)
	v_fmac_f64_e32 v[84:85], v[88:89], v[90:91]
	ds_read_b128 v[88:91], v86 offset:544
	s_waitcnt vmcnt(0) lgkmcnt(0)
	v_fmac_f64_e32 v[84:85], v[92:93], v[88:89]
	buffer_load_dword v89, off, s[0:3], 0 offset:236
	buffer_load_dword v88, off, s[0:3], 0 offset:232
	buffer_load_dword v93, off, s[0:3], 0 offset:244
	buffer_load_dword v92, off, s[0:3], 0 offset:240
	;; [unrolled: 9-line block ×5, first 2 shown]
	s_waitcnt vmcnt(2)
	v_fmac_f64_e32 v[84:85], v[88:89], v[90:91]
	ds_read_b128 v[88:91], v86 offset:608
	s_waitcnt vmcnt(0) lgkmcnt(0)
	v_fmac_f64_e32 v[84:85], v[92:93], v[88:89]
	buffer_load_dword v89, off, s[0:3], 0 offset:300
	buffer_load_dword v88, off, s[0:3], 0 offset:296
	s_waitcnt vmcnt(0)
	v_fmac_f64_e32 v[84:85], v[88:89], v[90:91]
	buffer_load_dword v91, off, s[0:3], 0 offset:308
	buffer_load_dword v90, off, s[0:3], 0 offset:304
	ds_read_b128 v[86:89], v86 offset:624
	s_waitcnt vmcnt(0) lgkmcnt(0)
	v_fmac_f64_e32 v[84:85], v[90:91], v[86:87]
	buffer_load_dword v87, off, s[0:3], 0 offset:316
	buffer_load_dword v86, off, s[0:3], 0 offset:312
	s_waitcnt vmcnt(0)
	v_fmac_f64_e32 v[84:85], v[86:87], v[88:89]
	v_add_f64 v[82:83], v[82:83], -v[84:85]
	buffer_store_dword v83, off, s[0:3], 0 offset:140
	buffer_store_dword v82, off, s[0:3], 0 offset:136
	s_and_saveexec_b64 s[4:5], vcc
	s_cbranch_execz .LBB39_215
; %bb.214:
	buffer_load_dword v82, off, s[0:3], 0 offset:128
	buffer_load_dword v83, off, s[0:3], 0 offset:132
	v_mov_b32_e32 v84, 0
	buffer_store_dword v84, off, s[0:3], 0 offset:128
	buffer_store_dword v84, off, s[0:3], 0 offset:132
	s_waitcnt vmcnt(2)
	ds_write_b64 v1, v[82:83]
.LBB39_215:
	s_or_b64 exec, exec, s[4:5]
	s_waitcnt lgkmcnt(0)
	; wave barrier
	s_waitcnt lgkmcnt(0)
	buffer_load_dword v82, off, s[0:3], 0 offset:128
	buffer_load_dword v83, off, s[0:3], 0 offset:132
	;; [unrolled: 1-line block ×16, first 2 shown]
	v_mov_b32_e32 v86, 0
	ds_read2_b64 v[88:91], v86 offset0:57 offset1:58
	v_cmp_lt_u32_e32 vcc, 15, v0
	s_waitcnt vmcnt(12) lgkmcnt(0)
	v_fma_f64 v[84:85], v[84:85], v[88:89], 0
	s_waitcnt vmcnt(10)
	v_fmac_f64_e32 v[84:85], v[92:93], v[90:91]
	ds_read2_b64 v[88:91], v86 offset0:59 offset1:60
	s_waitcnt vmcnt(8) lgkmcnt(0)
	v_fmac_f64_e32 v[84:85], v[94:95], v[88:89]
	s_waitcnt vmcnt(6)
	v_fmac_f64_e32 v[84:85], v[96:97], v[90:91]
	ds_read2_b64 v[88:91], v86 offset0:61 offset1:62
	s_waitcnt vmcnt(4) lgkmcnt(0)
	v_fmac_f64_e32 v[84:85], v[98:99], v[88:89]
	;; [unrolled: 5-line block ×3, first 2 shown]
	buffer_load_dword v89, off, s[0:3], 0 offset:196
	buffer_load_dword v88, off, s[0:3], 0 offset:192
	buffer_load_dword v93, off, s[0:3], 0 offset:204
	buffer_load_dword v92, off, s[0:3], 0 offset:200
	s_waitcnt vmcnt(2)
	v_fmac_f64_e32 v[84:85], v[88:89], v[90:91]
	ds_read2_b64 v[88:91], v86 offset0:65 offset1:66
	s_waitcnt vmcnt(0) lgkmcnt(0)
	v_fmac_f64_e32 v[84:85], v[92:93], v[88:89]
	buffer_load_dword v89, off, s[0:3], 0 offset:212
	buffer_load_dword v88, off, s[0:3], 0 offset:208
	buffer_load_dword v93, off, s[0:3], 0 offset:220
	buffer_load_dword v92, off, s[0:3], 0 offset:216
	s_waitcnt vmcnt(2)
	v_fmac_f64_e32 v[84:85], v[88:89], v[90:91]
	ds_read2_b64 v[88:91], v86 offset0:67 offset1:68
	s_waitcnt vmcnt(0) lgkmcnt(0)
	v_fmac_f64_e32 v[84:85], v[92:93], v[88:89]
	;; [unrolled: 9-line block ×7, first 2 shown]
	buffer_load_dword v89, off, s[0:3], 0 offset:308
	buffer_load_dword v88, off, s[0:3], 0 offset:304
	s_waitcnt vmcnt(0)
	v_fmac_f64_e32 v[84:85], v[88:89], v[90:91]
	buffer_load_dword v89, off, s[0:3], 0 offset:316
	buffer_load_dword v88, off, s[0:3], 0 offset:312
	ds_read_b64 v[90:91], v86 offset:632
	s_waitcnt vmcnt(0) lgkmcnt(0)
	v_fmac_f64_e32 v[84:85], v[88:89], v[90:91]
	v_add_f64 v[82:83], v[82:83], -v[84:85]
	buffer_store_dword v83, off, s[0:3], 0 offset:132
	buffer_store_dword v82, off, s[0:3], 0 offset:128
	s_and_saveexec_b64 s[4:5], vcc
	s_cbranch_execz .LBB39_217
; %bb.216:
	buffer_load_dword v82, off, s[0:3], 0 offset:120
	buffer_load_dword v83, off, s[0:3], 0 offset:124
	s_waitcnt vmcnt(0)
	ds_write_b64 v1, v[82:83]
	buffer_store_dword v86, off, s[0:3], 0 offset:120
	buffer_store_dword v86, off, s[0:3], 0 offset:124
.LBB39_217:
	s_or_b64 exec, exec, s[4:5]
	s_waitcnt lgkmcnt(0)
	; wave barrier
	s_waitcnt lgkmcnt(0)
	buffer_load_dword v82, off, s[0:3], 0 offset:120
	buffer_load_dword v83, off, s[0:3], 0 offset:124
	;; [unrolled: 1-line block ×16, first 2 shown]
	ds_read_b128 v[88:91], v86 offset:448
	ds_read_b128 v[92:95], v86 offset:464
	;; [unrolled: 1-line block ×4, first 2 shown]
	v_cmp_lt_u32_e32 vcc, 14, v0
	s_waitcnt vmcnt(12) lgkmcnt(3)
	v_fma_f64 v[84:85], v[84:85], v[88:89], 0
	buffer_load_dword v89, off, s[0:3], 0 offset:188
	buffer_load_dword v88, off, s[0:3], 0 offset:184
	s_waitcnt vmcnt(12)
	v_fmac_f64_e32 v[84:85], v[104:105], v[90:91]
	s_waitcnt vmcnt(10) lgkmcnt(2)
	v_fmac_f64_e32 v[84:85], v[106:107], v[92:93]
	buffer_load_dword v93, off, s[0:3], 0 offset:196
	buffer_load_dword v92, off, s[0:3], 0 offset:192
	s_waitcnt vmcnt(10)
	v_fmac_f64_e32 v[84:85], v[108:109], v[94:95]
	s_waitcnt vmcnt(8) lgkmcnt(1)
	v_fmac_f64_e32 v[84:85], v[110:111], v[96:97]
	s_waitcnt vmcnt(6)
	v_fmac_f64_e32 v[84:85], v[112:113], v[98:99]
	s_waitcnt vmcnt(4) lgkmcnt(0)
	v_fmac_f64_e32 v[84:85], v[114:115], v[100:101]
	s_waitcnt vmcnt(2)
	v_fmac_f64_e32 v[84:85], v[88:89], v[102:103]
	ds_read_b128 v[88:91], v86 offset:512
	s_waitcnt vmcnt(0) lgkmcnt(0)
	v_fmac_f64_e32 v[84:85], v[92:93], v[88:89]
	buffer_load_dword v89, off, s[0:3], 0 offset:204
	buffer_load_dword v88, off, s[0:3], 0 offset:200
	buffer_load_dword v93, off, s[0:3], 0 offset:212
	buffer_load_dword v92, off, s[0:3], 0 offset:208
	s_waitcnt vmcnt(2)
	v_fmac_f64_e32 v[84:85], v[88:89], v[90:91]
	ds_read_b128 v[88:91], v86 offset:528
	s_waitcnt vmcnt(0) lgkmcnt(0)
	v_fmac_f64_e32 v[84:85], v[92:93], v[88:89]
	buffer_load_dword v89, off, s[0:3], 0 offset:220
	buffer_load_dword v88, off, s[0:3], 0 offset:216
	buffer_load_dword v93, off, s[0:3], 0 offset:228
	buffer_load_dword v92, off, s[0:3], 0 offset:224
	;; [unrolled: 9-line block ×6, first 2 shown]
	s_waitcnt vmcnt(2)
	v_fmac_f64_e32 v[84:85], v[88:89], v[90:91]
	ds_read_b128 v[88:91], v86 offset:608
	s_waitcnt vmcnt(0) lgkmcnt(0)
	v_fmac_f64_e32 v[84:85], v[92:93], v[88:89]
	buffer_load_dword v89, off, s[0:3], 0 offset:300
	buffer_load_dword v88, off, s[0:3], 0 offset:296
	s_waitcnt vmcnt(0)
	v_fmac_f64_e32 v[84:85], v[88:89], v[90:91]
	buffer_load_dword v91, off, s[0:3], 0 offset:308
	buffer_load_dword v90, off, s[0:3], 0 offset:304
	ds_read_b128 v[86:89], v86 offset:624
	s_waitcnt vmcnt(0) lgkmcnt(0)
	v_fmac_f64_e32 v[84:85], v[90:91], v[86:87]
	buffer_load_dword v87, off, s[0:3], 0 offset:316
	buffer_load_dword v86, off, s[0:3], 0 offset:312
	s_waitcnt vmcnt(0)
	v_fmac_f64_e32 v[84:85], v[86:87], v[88:89]
	v_add_f64 v[82:83], v[82:83], -v[84:85]
	buffer_store_dword v83, off, s[0:3], 0 offset:124
	buffer_store_dword v82, off, s[0:3], 0 offset:120
	s_and_saveexec_b64 s[4:5], vcc
	s_cbranch_execz .LBB39_219
; %bb.218:
	buffer_load_dword v82, off, s[0:3], 0 offset:112
	buffer_load_dword v83, off, s[0:3], 0 offset:116
	v_mov_b32_e32 v84, 0
	buffer_store_dword v84, off, s[0:3], 0 offset:112
	buffer_store_dword v84, off, s[0:3], 0 offset:116
	s_waitcnt vmcnt(2)
	ds_write_b64 v1, v[82:83]
.LBB39_219:
	s_or_b64 exec, exec, s[4:5]
	s_waitcnt lgkmcnt(0)
	; wave barrier
	s_waitcnt lgkmcnt(0)
	buffer_load_dword v82, off, s[0:3], 0 offset:112
	buffer_load_dword v83, off, s[0:3], 0 offset:116
	;; [unrolled: 1-line block ×16, first 2 shown]
	v_mov_b32_e32 v86, 0
	ds_read2_b64 v[88:91], v86 offset0:55 offset1:56
	v_cmp_lt_u32_e32 vcc, 13, v0
	s_waitcnt vmcnt(12) lgkmcnt(0)
	v_fma_f64 v[84:85], v[84:85], v[88:89], 0
	s_waitcnt vmcnt(10)
	v_fmac_f64_e32 v[84:85], v[92:93], v[90:91]
	ds_read2_b64 v[88:91], v86 offset0:57 offset1:58
	s_waitcnt vmcnt(8) lgkmcnt(0)
	v_fmac_f64_e32 v[84:85], v[94:95], v[88:89]
	s_waitcnt vmcnt(6)
	v_fmac_f64_e32 v[84:85], v[96:97], v[90:91]
	ds_read2_b64 v[88:91], v86 offset0:59 offset1:60
	s_waitcnt vmcnt(4) lgkmcnt(0)
	v_fmac_f64_e32 v[84:85], v[98:99], v[88:89]
	;; [unrolled: 5-line block ×3, first 2 shown]
	buffer_load_dword v89, off, s[0:3], 0 offset:180
	buffer_load_dword v88, off, s[0:3], 0 offset:176
	buffer_load_dword v93, off, s[0:3], 0 offset:188
	buffer_load_dword v92, off, s[0:3], 0 offset:184
	s_waitcnt vmcnt(2)
	v_fmac_f64_e32 v[84:85], v[88:89], v[90:91]
	ds_read2_b64 v[88:91], v86 offset0:63 offset1:64
	s_waitcnt vmcnt(0) lgkmcnt(0)
	v_fmac_f64_e32 v[84:85], v[92:93], v[88:89]
	buffer_load_dword v89, off, s[0:3], 0 offset:196
	buffer_load_dword v88, off, s[0:3], 0 offset:192
	buffer_load_dword v93, off, s[0:3], 0 offset:204
	buffer_load_dword v92, off, s[0:3], 0 offset:200
	s_waitcnt vmcnt(2)
	v_fmac_f64_e32 v[84:85], v[88:89], v[90:91]
	ds_read2_b64 v[88:91], v86 offset0:65 offset1:66
	s_waitcnt vmcnt(0) lgkmcnt(0)
	v_fmac_f64_e32 v[84:85], v[92:93], v[88:89]
	;; [unrolled: 9-line block ×8, first 2 shown]
	buffer_load_dword v89, off, s[0:3], 0 offset:308
	buffer_load_dword v88, off, s[0:3], 0 offset:304
	s_waitcnt vmcnt(0)
	v_fmac_f64_e32 v[84:85], v[88:89], v[90:91]
	buffer_load_dword v89, off, s[0:3], 0 offset:316
	buffer_load_dword v88, off, s[0:3], 0 offset:312
	ds_read_b64 v[90:91], v86 offset:632
	s_waitcnt vmcnt(0) lgkmcnt(0)
	v_fmac_f64_e32 v[84:85], v[88:89], v[90:91]
	v_add_f64 v[82:83], v[82:83], -v[84:85]
	buffer_store_dword v83, off, s[0:3], 0 offset:116
	buffer_store_dword v82, off, s[0:3], 0 offset:112
	s_and_saveexec_b64 s[4:5], vcc
	s_cbranch_execz .LBB39_221
; %bb.220:
	buffer_load_dword v82, off, s[0:3], 0 offset:104
	buffer_load_dword v83, off, s[0:3], 0 offset:108
	s_waitcnt vmcnt(0)
	ds_write_b64 v1, v[82:83]
	buffer_store_dword v86, off, s[0:3], 0 offset:104
	buffer_store_dword v86, off, s[0:3], 0 offset:108
.LBB39_221:
	s_or_b64 exec, exec, s[4:5]
	s_waitcnt lgkmcnt(0)
	; wave barrier
	s_waitcnt lgkmcnt(0)
	buffer_load_dword v82, off, s[0:3], 0 offset:104
	buffer_load_dword v83, off, s[0:3], 0 offset:108
	;; [unrolled: 1-line block ×16, first 2 shown]
	ds_read_b128 v[88:91], v86 offset:432
	ds_read_b128 v[92:95], v86 offset:448
	;; [unrolled: 1-line block ×4, first 2 shown]
	v_cmp_lt_u32_e32 vcc, 12, v0
	s_waitcnt vmcnt(12) lgkmcnt(3)
	v_fma_f64 v[84:85], v[84:85], v[88:89], 0
	buffer_load_dword v89, off, s[0:3], 0 offset:172
	buffer_load_dword v88, off, s[0:3], 0 offset:168
	s_waitcnt vmcnt(12)
	v_fmac_f64_e32 v[84:85], v[104:105], v[90:91]
	s_waitcnt vmcnt(10) lgkmcnt(2)
	v_fmac_f64_e32 v[84:85], v[106:107], v[92:93]
	buffer_load_dword v93, off, s[0:3], 0 offset:180
	buffer_load_dword v92, off, s[0:3], 0 offset:176
	s_waitcnt vmcnt(10)
	v_fmac_f64_e32 v[84:85], v[108:109], v[94:95]
	s_waitcnt vmcnt(8) lgkmcnt(1)
	v_fmac_f64_e32 v[84:85], v[110:111], v[96:97]
	s_waitcnt vmcnt(6)
	v_fmac_f64_e32 v[84:85], v[112:113], v[98:99]
	s_waitcnt vmcnt(4) lgkmcnt(0)
	v_fmac_f64_e32 v[84:85], v[114:115], v[100:101]
	s_waitcnt vmcnt(2)
	v_fmac_f64_e32 v[84:85], v[88:89], v[102:103]
	ds_read_b128 v[88:91], v86 offset:496
	s_waitcnt vmcnt(0) lgkmcnt(0)
	v_fmac_f64_e32 v[84:85], v[92:93], v[88:89]
	buffer_load_dword v89, off, s[0:3], 0 offset:188
	buffer_load_dword v88, off, s[0:3], 0 offset:184
	buffer_load_dword v93, off, s[0:3], 0 offset:196
	buffer_load_dword v92, off, s[0:3], 0 offset:192
	s_waitcnt vmcnt(2)
	v_fmac_f64_e32 v[84:85], v[88:89], v[90:91]
	ds_read_b128 v[88:91], v86 offset:512
	s_waitcnt vmcnt(0) lgkmcnt(0)
	v_fmac_f64_e32 v[84:85], v[92:93], v[88:89]
	buffer_load_dword v89, off, s[0:3], 0 offset:204
	buffer_load_dword v88, off, s[0:3], 0 offset:200
	buffer_load_dword v93, off, s[0:3], 0 offset:212
	buffer_load_dword v92, off, s[0:3], 0 offset:208
	;; [unrolled: 9-line block ×7, first 2 shown]
	s_waitcnt vmcnt(2)
	v_fmac_f64_e32 v[84:85], v[88:89], v[90:91]
	ds_read_b128 v[88:91], v86 offset:608
	s_waitcnt vmcnt(0) lgkmcnt(0)
	v_fmac_f64_e32 v[84:85], v[92:93], v[88:89]
	buffer_load_dword v89, off, s[0:3], 0 offset:300
	buffer_load_dword v88, off, s[0:3], 0 offset:296
	s_waitcnt vmcnt(0)
	v_fmac_f64_e32 v[84:85], v[88:89], v[90:91]
	buffer_load_dword v91, off, s[0:3], 0 offset:308
	buffer_load_dword v90, off, s[0:3], 0 offset:304
	ds_read_b128 v[86:89], v86 offset:624
	s_waitcnt vmcnt(0) lgkmcnt(0)
	v_fmac_f64_e32 v[84:85], v[90:91], v[86:87]
	buffer_load_dword v87, off, s[0:3], 0 offset:316
	buffer_load_dword v86, off, s[0:3], 0 offset:312
	s_waitcnt vmcnt(0)
	v_fmac_f64_e32 v[84:85], v[86:87], v[88:89]
	v_add_f64 v[82:83], v[82:83], -v[84:85]
	buffer_store_dword v83, off, s[0:3], 0 offset:108
	buffer_store_dword v82, off, s[0:3], 0 offset:104
	s_and_saveexec_b64 s[4:5], vcc
	s_cbranch_execz .LBB39_223
; %bb.222:
	buffer_load_dword v82, off, s[0:3], 0 offset:96
	buffer_load_dword v83, off, s[0:3], 0 offset:100
	v_mov_b32_e32 v84, 0
	buffer_store_dword v84, off, s[0:3], 0 offset:96
	buffer_store_dword v84, off, s[0:3], 0 offset:100
	s_waitcnt vmcnt(2)
	ds_write_b64 v1, v[82:83]
.LBB39_223:
	s_or_b64 exec, exec, s[4:5]
	s_waitcnt lgkmcnt(0)
	; wave barrier
	s_waitcnt lgkmcnt(0)
	buffer_load_dword v82, off, s[0:3], 0 offset:96
	buffer_load_dword v83, off, s[0:3], 0 offset:100
	;; [unrolled: 1-line block ×16, first 2 shown]
	v_mov_b32_e32 v86, 0
	ds_read2_b64 v[88:91], v86 offset0:53 offset1:54
	v_cmp_lt_u32_e32 vcc, 11, v0
	s_waitcnt vmcnt(12) lgkmcnt(0)
	v_fma_f64 v[84:85], v[84:85], v[88:89], 0
	s_waitcnt vmcnt(10)
	v_fmac_f64_e32 v[84:85], v[92:93], v[90:91]
	ds_read2_b64 v[88:91], v86 offset0:55 offset1:56
	s_waitcnt vmcnt(8) lgkmcnt(0)
	v_fmac_f64_e32 v[84:85], v[94:95], v[88:89]
	s_waitcnt vmcnt(6)
	v_fmac_f64_e32 v[84:85], v[96:97], v[90:91]
	ds_read2_b64 v[88:91], v86 offset0:57 offset1:58
	s_waitcnt vmcnt(4) lgkmcnt(0)
	v_fmac_f64_e32 v[84:85], v[98:99], v[88:89]
	;; [unrolled: 5-line block ×3, first 2 shown]
	buffer_load_dword v89, off, s[0:3], 0 offset:164
	buffer_load_dword v88, off, s[0:3], 0 offset:160
	buffer_load_dword v93, off, s[0:3], 0 offset:172
	buffer_load_dword v92, off, s[0:3], 0 offset:168
	s_waitcnt vmcnt(2)
	v_fmac_f64_e32 v[84:85], v[88:89], v[90:91]
	ds_read2_b64 v[88:91], v86 offset0:61 offset1:62
	s_waitcnt vmcnt(0) lgkmcnt(0)
	v_fmac_f64_e32 v[84:85], v[92:93], v[88:89]
	buffer_load_dword v89, off, s[0:3], 0 offset:180
	buffer_load_dword v88, off, s[0:3], 0 offset:176
	buffer_load_dword v93, off, s[0:3], 0 offset:188
	buffer_load_dword v92, off, s[0:3], 0 offset:184
	s_waitcnt vmcnt(2)
	v_fmac_f64_e32 v[84:85], v[88:89], v[90:91]
	ds_read2_b64 v[88:91], v86 offset0:63 offset1:64
	s_waitcnt vmcnt(0) lgkmcnt(0)
	v_fmac_f64_e32 v[84:85], v[92:93], v[88:89]
	;; [unrolled: 9-line block ×9, first 2 shown]
	buffer_load_dword v89, off, s[0:3], 0 offset:308
	buffer_load_dword v88, off, s[0:3], 0 offset:304
	s_waitcnt vmcnt(0)
	v_fmac_f64_e32 v[84:85], v[88:89], v[90:91]
	buffer_load_dword v89, off, s[0:3], 0 offset:316
	buffer_load_dword v88, off, s[0:3], 0 offset:312
	ds_read_b64 v[90:91], v86 offset:632
	s_waitcnt vmcnt(0) lgkmcnt(0)
	v_fmac_f64_e32 v[84:85], v[88:89], v[90:91]
	v_add_f64 v[82:83], v[82:83], -v[84:85]
	buffer_store_dword v83, off, s[0:3], 0 offset:100
	buffer_store_dword v82, off, s[0:3], 0 offset:96
	s_and_saveexec_b64 s[4:5], vcc
	s_cbranch_execz .LBB39_225
; %bb.224:
	buffer_load_dword v82, off, s[0:3], 0 offset:88
	buffer_load_dword v83, off, s[0:3], 0 offset:92
	s_waitcnt vmcnt(0)
	ds_write_b64 v1, v[82:83]
	buffer_store_dword v86, off, s[0:3], 0 offset:88
	buffer_store_dword v86, off, s[0:3], 0 offset:92
.LBB39_225:
	s_or_b64 exec, exec, s[4:5]
	s_waitcnt lgkmcnt(0)
	; wave barrier
	s_waitcnt lgkmcnt(0)
	buffer_load_dword v82, off, s[0:3], 0 offset:88
	buffer_load_dword v83, off, s[0:3], 0 offset:92
	;; [unrolled: 1-line block ×16, first 2 shown]
	ds_read_b128 v[88:91], v86 offset:416
	ds_read_b128 v[92:95], v86 offset:432
	;; [unrolled: 1-line block ×4, first 2 shown]
	v_cmp_lt_u32_e32 vcc, 10, v0
	s_waitcnt vmcnt(12) lgkmcnt(3)
	v_fma_f64 v[84:85], v[84:85], v[88:89], 0
	buffer_load_dword v89, off, s[0:3], 0 offset:156
	buffer_load_dword v88, off, s[0:3], 0 offset:152
	s_waitcnt vmcnt(12)
	v_fmac_f64_e32 v[84:85], v[104:105], v[90:91]
	s_waitcnt vmcnt(10) lgkmcnt(2)
	v_fmac_f64_e32 v[84:85], v[106:107], v[92:93]
	buffer_load_dword v93, off, s[0:3], 0 offset:164
	buffer_load_dword v92, off, s[0:3], 0 offset:160
	s_waitcnt vmcnt(10)
	v_fmac_f64_e32 v[84:85], v[108:109], v[94:95]
	s_waitcnt vmcnt(8) lgkmcnt(1)
	v_fmac_f64_e32 v[84:85], v[110:111], v[96:97]
	s_waitcnt vmcnt(6)
	v_fmac_f64_e32 v[84:85], v[112:113], v[98:99]
	s_waitcnt vmcnt(4) lgkmcnt(0)
	v_fmac_f64_e32 v[84:85], v[114:115], v[100:101]
	s_waitcnt vmcnt(2)
	v_fmac_f64_e32 v[84:85], v[88:89], v[102:103]
	ds_read_b128 v[88:91], v86 offset:480
	s_waitcnt vmcnt(0) lgkmcnt(0)
	v_fmac_f64_e32 v[84:85], v[92:93], v[88:89]
	buffer_load_dword v89, off, s[0:3], 0 offset:172
	buffer_load_dword v88, off, s[0:3], 0 offset:168
	buffer_load_dword v93, off, s[0:3], 0 offset:180
	buffer_load_dword v92, off, s[0:3], 0 offset:176
	s_waitcnt vmcnt(2)
	v_fmac_f64_e32 v[84:85], v[88:89], v[90:91]
	ds_read_b128 v[88:91], v86 offset:496
	s_waitcnt vmcnt(0) lgkmcnt(0)
	v_fmac_f64_e32 v[84:85], v[92:93], v[88:89]
	buffer_load_dword v89, off, s[0:3], 0 offset:188
	buffer_load_dword v88, off, s[0:3], 0 offset:184
	buffer_load_dword v93, off, s[0:3], 0 offset:196
	buffer_load_dword v92, off, s[0:3], 0 offset:192
	;; [unrolled: 9-line block ×8, first 2 shown]
	s_waitcnt vmcnt(2)
	v_fmac_f64_e32 v[84:85], v[88:89], v[90:91]
	ds_read_b128 v[88:91], v86 offset:608
	s_waitcnt vmcnt(0) lgkmcnt(0)
	v_fmac_f64_e32 v[84:85], v[92:93], v[88:89]
	buffer_load_dword v89, off, s[0:3], 0 offset:300
	buffer_load_dword v88, off, s[0:3], 0 offset:296
	s_waitcnt vmcnt(0)
	v_fmac_f64_e32 v[84:85], v[88:89], v[90:91]
	buffer_load_dword v91, off, s[0:3], 0 offset:308
	buffer_load_dword v90, off, s[0:3], 0 offset:304
	ds_read_b128 v[86:89], v86 offset:624
	s_waitcnt vmcnt(0) lgkmcnt(0)
	v_fmac_f64_e32 v[84:85], v[90:91], v[86:87]
	buffer_load_dword v87, off, s[0:3], 0 offset:316
	buffer_load_dword v86, off, s[0:3], 0 offset:312
	s_waitcnt vmcnt(0)
	v_fmac_f64_e32 v[84:85], v[86:87], v[88:89]
	v_add_f64 v[82:83], v[82:83], -v[84:85]
	buffer_store_dword v83, off, s[0:3], 0 offset:92
	buffer_store_dword v82, off, s[0:3], 0 offset:88
	s_and_saveexec_b64 s[4:5], vcc
	s_cbranch_execz .LBB39_227
; %bb.226:
	buffer_load_dword v82, off, s[0:3], 0 offset:80
	buffer_load_dword v83, off, s[0:3], 0 offset:84
	v_mov_b32_e32 v84, 0
	buffer_store_dword v84, off, s[0:3], 0 offset:80
	buffer_store_dword v84, off, s[0:3], 0 offset:84
	s_waitcnt vmcnt(2)
	ds_write_b64 v1, v[82:83]
.LBB39_227:
	s_or_b64 exec, exec, s[4:5]
	s_waitcnt lgkmcnt(0)
	; wave barrier
	s_waitcnt lgkmcnt(0)
	buffer_load_dword v82, off, s[0:3], 0 offset:80
	buffer_load_dword v83, off, s[0:3], 0 offset:84
	;; [unrolled: 1-line block ×16, first 2 shown]
	v_mov_b32_e32 v86, 0
	ds_read2_b64 v[88:91], v86 offset0:51 offset1:52
	v_cmp_lt_u32_e32 vcc, 9, v0
	s_waitcnt vmcnt(12) lgkmcnt(0)
	v_fma_f64 v[84:85], v[84:85], v[88:89], 0
	s_waitcnt vmcnt(10)
	v_fmac_f64_e32 v[84:85], v[92:93], v[90:91]
	ds_read2_b64 v[88:91], v86 offset0:53 offset1:54
	s_waitcnt vmcnt(8) lgkmcnt(0)
	v_fmac_f64_e32 v[84:85], v[94:95], v[88:89]
	s_waitcnt vmcnt(6)
	v_fmac_f64_e32 v[84:85], v[96:97], v[90:91]
	ds_read2_b64 v[88:91], v86 offset0:55 offset1:56
	s_waitcnt vmcnt(4) lgkmcnt(0)
	v_fmac_f64_e32 v[84:85], v[98:99], v[88:89]
	s_waitcnt vmcnt(2)
	v_fmac_f64_e32 v[84:85], v[100:101], v[90:91]
	ds_read2_b64 v[88:91], v86 offset0:57 offset1:58
	s_waitcnt vmcnt(0) lgkmcnt(0)
	v_fmac_f64_e32 v[84:85], v[102:103], v[88:89]
	buffer_load_dword v89, off, s[0:3], 0 offset:148
	buffer_load_dword v88, off, s[0:3], 0 offset:144
	buffer_load_dword v93, off, s[0:3], 0 offset:156
	buffer_load_dword v92, off, s[0:3], 0 offset:152
	s_waitcnt vmcnt(2)
	v_fmac_f64_e32 v[84:85], v[88:89], v[90:91]
	ds_read2_b64 v[88:91], v86 offset0:59 offset1:60
	s_waitcnt vmcnt(0) lgkmcnt(0)
	v_fmac_f64_e32 v[84:85], v[92:93], v[88:89]
	buffer_load_dword v89, off, s[0:3], 0 offset:164
	buffer_load_dword v88, off, s[0:3], 0 offset:160
	buffer_load_dword v93, off, s[0:3], 0 offset:172
	buffer_load_dword v92, off, s[0:3], 0 offset:168
	s_waitcnt vmcnt(2)
	v_fmac_f64_e32 v[84:85], v[88:89], v[90:91]
	ds_read2_b64 v[88:91], v86 offset0:61 offset1:62
	s_waitcnt vmcnt(0) lgkmcnt(0)
	v_fmac_f64_e32 v[84:85], v[92:93], v[88:89]
	buffer_load_dword v89, off, s[0:3], 0 offset:180
	buffer_load_dword v88, off, s[0:3], 0 offset:176
	buffer_load_dword v93, off, s[0:3], 0 offset:188
	buffer_load_dword v92, off, s[0:3], 0 offset:184
	s_waitcnt vmcnt(2)
	v_fmac_f64_e32 v[84:85], v[88:89], v[90:91]
	ds_read2_b64 v[88:91], v86 offset0:63 offset1:64
	s_waitcnt vmcnt(0) lgkmcnt(0)
	v_fmac_f64_e32 v[84:85], v[92:93], v[88:89]
	buffer_load_dword v89, off, s[0:3], 0 offset:196
	buffer_load_dword v88, off, s[0:3], 0 offset:192
	buffer_load_dword v93, off, s[0:3], 0 offset:204
	buffer_load_dword v92, off, s[0:3], 0 offset:200
	s_waitcnt vmcnt(2)
	v_fmac_f64_e32 v[84:85], v[88:89], v[90:91]
	ds_read2_b64 v[88:91], v86 offset0:65 offset1:66
	s_waitcnt vmcnt(0) lgkmcnt(0)
	v_fmac_f64_e32 v[84:85], v[92:93], v[88:89]
	buffer_load_dword v89, off, s[0:3], 0 offset:212
	buffer_load_dword v88, off, s[0:3], 0 offset:208
	buffer_load_dword v93, off, s[0:3], 0 offset:220
	buffer_load_dword v92, off, s[0:3], 0 offset:216
	s_waitcnt vmcnt(2)
	v_fmac_f64_e32 v[84:85], v[88:89], v[90:91]
	ds_read2_b64 v[88:91], v86 offset0:67 offset1:68
	s_waitcnt vmcnt(0) lgkmcnt(0)
	v_fmac_f64_e32 v[84:85], v[92:93], v[88:89]
	buffer_load_dword v89, off, s[0:3], 0 offset:228
	buffer_load_dword v88, off, s[0:3], 0 offset:224
	buffer_load_dword v93, off, s[0:3], 0 offset:236
	buffer_load_dword v92, off, s[0:3], 0 offset:232
	s_waitcnt vmcnt(2)
	v_fmac_f64_e32 v[84:85], v[88:89], v[90:91]
	ds_read2_b64 v[88:91], v86 offset0:69 offset1:70
	s_waitcnt vmcnt(0) lgkmcnt(0)
	v_fmac_f64_e32 v[84:85], v[92:93], v[88:89]
	buffer_load_dword v89, off, s[0:3], 0 offset:244
	buffer_load_dword v88, off, s[0:3], 0 offset:240
	buffer_load_dword v93, off, s[0:3], 0 offset:252
	buffer_load_dword v92, off, s[0:3], 0 offset:248
	s_waitcnt vmcnt(2)
	v_fmac_f64_e32 v[84:85], v[88:89], v[90:91]
	ds_read2_b64 v[88:91], v86 offset0:71 offset1:72
	s_waitcnt vmcnt(0) lgkmcnt(0)
	v_fmac_f64_e32 v[84:85], v[92:93], v[88:89]
	buffer_load_dword v89, off, s[0:3], 0 offset:260
	buffer_load_dword v88, off, s[0:3], 0 offset:256
	buffer_load_dword v93, off, s[0:3], 0 offset:268
	buffer_load_dword v92, off, s[0:3], 0 offset:264
	s_waitcnt vmcnt(2)
	v_fmac_f64_e32 v[84:85], v[88:89], v[90:91]
	ds_read2_b64 v[88:91], v86 offset0:73 offset1:74
	s_waitcnt vmcnt(0) lgkmcnt(0)
	v_fmac_f64_e32 v[84:85], v[92:93], v[88:89]
	buffer_load_dword v89, off, s[0:3], 0 offset:276
	buffer_load_dword v88, off, s[0:3], 0 offset:272
	buffer_load_dword v93, off, s[0:3], 0 offset:284
	buffer_load_dword v92, off, s[0:3], 0 offset:280
	s_waitcnt vmcnt(2)
	v_fmac_f64_e32 v[84:85], v[88:89], v[90:91]
	ds_read2_b64 v[88:91], v86 offset0:75 offset1:76
	s_waitcnt vmcnt(0) lgkmcnt(0)
	v_fmac_f64_e32 v[84:85], v[92:93], v[88:89]
	buffer_load_dword v89, off, s[0:3], 0 offset:292
	buffer_load_dword v88, off, s[0:3], 0 offset:288
	buffer_load_dword v93, off, s[0:3], 0 offset:300
	buffer_load_dword v92, off, s[0:3], 0 offset:296
	s_waitcnt vmcnt(2)
	v_fmac_f64_e32 v[84:85], v[88:89], v[90:91]
	ds_read2_b64 v[88:91], v86 offset0:77 offset1:78
	s_waitcnt vmcnt(0) lgkmcnt(0)
	v_fmac_f64_e32 v[84:85], v[92:93], v[88:89]
	buffer_load_dword v89, off, s[0:3], 0 offset:308
	buffer_load_dword v88, off, s[0:3], 0 offset:304
	s_waitcnt vmcnt(0)
	v_fmac_f64_e32 v[84:85], v[88:89], v[90:91]
	buffer_load_dword v89, off, s[0:3], 0 offset:316
	buffer_load_dword v88, off, s[0:3], 0 offset:312
	ds_read_b64 v[90:91], v86 offset:632
	s_waitcnt vmcnt(0) lgkmcnt(0)
	v_fmac_f64_e32 v[84:85], v[88:89], v[90:91]
	v_add_f64 v[82:83], v[82:83], -v[84:85]
	buffer_store_dword v83, off, s[0:3], 0 offset:84
	buffer_store_dword v82, off, s[0:3], 0 offset:80
	s_and_saveexec_b64 s[4:5], vcc
	s_cbranch_execz .LBB39_229
; %bb.228:
	buffer_load_dword v82, off, s[0:3], 0 offset:72
	buffer_load_dword v83, off, s[0:3], 0 offset:76
	s_waitcnt vmcnt(0)
	ds_write_b64 v1, v[82:83]
	buffer_store_dword v86, off, s[0:3], 0 offset:72
	buffer_store_dword v86, off, s[0:3], 0 offset:76
.LBB39_229:
	s_or_b64 exec, exec, s[4:5]
	s_waitcnt lgkmcnt(0)
	; wave barrier
	s_waitcnt lgkmcnt(0)
	buffer_load_dword v82, off, s[0:3], 0 offset:72
	buffer_load_dword v83, off, s[0:3], 0 offset:76
	;; [unrolled: 1-line block ×16, first 2 shown]
	ds_read_b128 v[88:91], v86 offset:400
	ds_read_b128 v[92:95], v86 offset:416
	;; [unrolled: 1-line block ×4, first 2 shown]
	v_cmp_lt_u32_e32 vcc, 8, v0
	s_waitcnt vmcnt(12) lgkmcnt(3)
	v_fma_f64 v[84:85], v[84:85], v[88:89], 0
	buffer_load_dword v89, off, s[0:3], 0 offset:140
	buffer_load_dword v88, off, s[0:3], 0 offset:136
	s_waitcnt vmcnt(12)
	v_fmac_f64_e32 v[84:85], v[104:105], v[90:91]
	s_waitcnt vmcnt(10) lgkmcnt(2)
	v_fmac_f64_e32 v[84:85], v[106:107], v[92:93]
	buffer_load_dword v93, off, s[0:3], 0 offset:148
	buffer_load_dword v92, off, s[0:3], 0 offset:144
	s_waitcnt vmcnt(10)
	v_fmac_f64_e32 v[84:85], v[108:109], v[94:95]
	s_waitcnt vmcnt(8) lgkmcnt(1)
	v_fmac_f64_e32 v[84:85], v[110:111], v[96:97]
	s_waitcnt vmcnt(6)
	v_fmac_f64_e32 v[84:85], v[112:113], v[98:99]
	s_waitcnt vmcnt(4) lgkmcnt(0)
	v_fmac_f64_e32 v[84:85], v[114:115], v[100:101]
	s_waitcnt vmcnt(2)
	v_fmac_f64_e32 v[84:85], v[88:89], v[102:103]
	ds_read_b128 v[88:91], v86 offset:464
	s_waitcnt vmcnt(0) lgkmcnt(0)
	v_fmac_f64_e32 v[84:85], v[92:93], v[88:89]
	buffer_load_dword v89, off, s[0:3], 0 offset:156
	buffer_load_dword v88, off, s[0:3], 0 offset:152
	buffer_load_dword v93, off, s[0:3], 0 offset:164
	buffer_load_dword v92, off, s[0:3], 0 offset:160
	s_waitcnt vmcnt(2)
	v_fmac_f64_e32 v[84:85], v[88:89], v[90:91]
	ds_read_b128 v[88:91], v86 offset:480
	s_waitcnt vmcnt(0) lgkmcnt(0)
	v_fmac_f64_e32 v[84:85], v[92:93], v[88:89]
	buffer_load_dword v89, off, s[0:3], 0 offset:172
	buffer_load_dword v88, off, s[0:3], 0 offset:168
	buffer_load_dword v93, off, s[0:3], 0 offset:180
	buffer_load_dword v92, off, s[0:3], 0 offset:176
	;; [unrolled: 9-line block ×9, first 2 shown]
	s_waitcnt vmcnt(2)
	v_fmac_f64_e32 v[84:85], v[88:89], v[90:91]
	ds_read_b128 v[88:91], v86 offset:608
	s_waitcnt vmcnt(0) lgkmcnt(0)
	v_fmac_f64_e32 v[84:85], v[92:93], v[88:89]
	buffer_load_dword v89, off, s[0:3], 0 offset:300
	buffer_load_dword v88, off, s[0:3], 0 offset:296
	s_waitcnt vmcnt(0)
	v_fmac_f64_e32 v[84:85], v[88:89], v[90:91]
	buffer_load_dword v91, off, s[0:3], 0 offset:308
	buffer_load_dword v90, off, s[0:3], 0 offset:304
	ds_read_b128 v[86:89], v86 offset:624
	s_waitcnt vmcnt(0) lgkmcnt(0)
	v_fmac_f64_e32 v[84:85], v[90:91], v[86:87]
	buffer_load_dword v87, off, s[0:3], 0 offset:316
	buffer_load_dword v86, off, s[0:3], 0 offset:312
	s_waitcnt vmcnt(0)
	v_fmac_f64_e32 v[84:85], v[86:87], v[88:89]
	v_add_f64 v[82:83], v[82:83], -v[84:85]
	buffer_store_dword v83, off, s[0:3], 0 offset:76
	buffer_store_dword v82, off, s[0:3], 0 offset:72
	s_and_saveexec_b64 s[4:5], vcc
	s_cbranch_execz .LBB39_231
; %bb.230:
	buffer_load_dword v82, off, s[0:3], 0 offset:64
	buffer_load_dword v83, off, s[0:3], 0 offset:68
	v_mov_b32_e32 v84, 0
	buffer_store_dword v84, off, s[0:3], 0 offset:64
	buffer_store_dword v84, off, s[0:3], 0 offset:68
	s_waitcnt vmcnt(2)
	ds_write_b64 v1, v[82:83]
.LBB39_231:
	s_or_b64 exec, exec, s[4:5]
	s_waitcnt lgkmcnt(0)
	; wave barrier
	s_waitcnt lgkmcnt(0)
	buffer_load_dword v82, off, s[0:3], 0 offset:64
	buffer_load_dword v83, off, s[0:3], 0 offset:68
	;; [unrolled: 1-line block ×16, first 2 shown]
	v_mov_b32_e32 v86, 0
	ds_read2_b64 v[88:91], v86 offset0:49 offset1:50
	v_cmp_lt_u32_e32 vcc, 7, v0
	s_waitcnt vmcnt(12) lgkmcnt(0)
	v_fma_f64 v[84:85], v[84:85], v[88:89], 0
	s_waitcnt vmcnt(10)
	v_fmac_f64_e32 v[84:85], v[92:93], v[90:91]
	ds_read2_b64 v[88:91], v86 offset0:51 offset1:52
	s_waitcnt vmcnt(8) lgkmcnt(0)
	v_fmac_f64_e32 v[84:85], v[94:95], v[88:89]
	s_waitcnt vmcnt(6)
	v_fmac_f64_e32 v[84:85], v[96:97], v[90:91]
	ds_read2_b64 v[88:91], v86 offset0:53 offset1:54
	s_waitcnt vmcnt(4) lgkmcnt(0)
	v_fmac_f64_e32 v[84:85], v[98:99], v[88:89]
	;; [unrolled: 5-line block ×3, first 2 shown]
	buffer_load_dword v89, off, s[0:3], 0 offset:132
	buffer_load_dword v88, off, s[0:3], 0 offset:128
	buffer_load_dword v93, off, s[0:3], 0 offset:140
	buffer_load_dword v92, off, s[0:3], 0 offset:136
	s_waitcnt vmcnt(2)
	v_fmac_f64_e32 v[84:85], v[88:89], v[90:91]
	ds_read2_b64 v[88:91], v86 offset0:57 offset1:58
	s_waitcnt vmcnt(0) lgkmcnt(0)
	v_fmac_f64_e32 v[84:85], v[92:93], v[88:89]
	buffer_load_dword v89, off, s[0:3], 0 offset:148
	buffer_load_dword v88, off, s[0:3], 0 offset:144
	buffer_load_dword v93, off, s[0:3], 0 offset:156
	buffer_load_dword v92, off, s[0:3], 0 offset:152
	s_waitcnt vmcnt(2)
	v_fmac_f64_e32 v[84:85], v[88:89], v[90:91]
	ds_read2_b64 v[88:91], v86 offset0:59 offset1:60
	s_waitcnt vmcnt(0) lgkmcnt(0)
	v_fmac_f64_e32 v[84:85], v[92:93], v[88:89]
	;; [unrolled: 9-line block ×11, first 2 shown]
	buffer_load_dword v89, off, s[0:3], 0 offset:308
	buffer_load_dword v88, off, s[0:3], 0 offset:304
	s_waitcnt vmcnt(0)
	v_fmac_f64_e32 v[84:85], v[88:89], v[90:91]
	buffer_load_dword v89, off, s[0:3], 0 offset:316
	buffer_load_dword v88, off, s[0:3], 0 offset:312
	ds_read_b64 v[90:91], v86 offset:632
	s_waitcnt vmcnt(0) lgkmcnt(0)
	v_fmac_f64_e32 v[84:85], v[88:89], v[90:91]
	v_add_f64 v[82:83], v[82:83], -v[84:85]
	buffer_store_dword v83, off, s[0:3], 0 offset:68
	buffer_store_dword v82, off, s[0:3], 0 offset:64
	s_and_saveexec_b64 s[4:5], vcc
	s_cbranch_execz .LBB39_233
; %bb.232:
	buffer_load_dword v82, off, s[0:3], 0 offset:56
	buffer_load_dword v83, off, s[0:3], 0 offset:60
	s_waitcnt vmcnt(0)
	ds_write_b64 v1, v[82:83]
	buffer_store_dword v86, off, s[0:3], 0 offset:56
	buffer_store_dword v86, off, s[0:3], 0 offset:60
.LBB39_233:
	s_or_b64 exec, exec, s[4:5]
	s_waitcnt lgkmcnt(0)
	; wave barrier
	s_waitcnt lgkmcnt(0)
	buffer_load_dword v82, off, s[0:3], 0 offset:56
	buffer_load_dword v83, off, s[0:3], 0 offset:60
	;; [unrolled: 1-line block ×16, first 2 shown]
	ds_read_b128 v[88:91], v86 offset:384
	ds_read_b128 v[92:95], v86 offset:400
	;; [unrolled: 1-line block ×4, first 2 shown]
	v_cmp_lt_u32_e32 vcc, 6, v0
	s_waitcnt vmcnt(12) lgkmcnt(3)
	v_fma_f64 v[84:85], v[84:85], v[88:89], 0
	buffer_load_dword v89, off, s[0:3], 0 offset:124
	buffer_load_dword v88, off, s[0:3], 0 offset:120
	s_waitcnt vmcnt(12)
	v_fmac_f64_e32 v[84:85], v[104:105], v[90:91]
	s_waitcnt vmcnt(10) lgkmcnt(2)
	v_fmac_f64_e32 v[84:85], v[106:107], v[92:93]
	buffer_load_dword v93, off, s[0:3], 0 offset:132
	buffer_load_dword v92, off, s[0:3], 0 offset:128
	s_waitcnt vmcnt(10)
	v_fmac_f64_e32 v[84:85], v[108:109], v[94:95]
	s_waitcnt vmcnt(8) lgkmcnt(1)
	v_fmac_f64_e32 v[84:85], v[110:111], v[96:97]
	s_waitcnt vmcnt(6)
	v_fmac_f64_e32 v[84:85], v[112:113], v[98:99]
	s_waitcnt vmcnt(4) lgkmcnt(0)
	v_fmac_f64_e32 v[84:85], v[114:115], v[100:101]
	s_waitcnt vmcnt(2)
	v_fmac_f64_e32 v[84:85], v[88:89], v[102:103]
	ds_read_b128 v[88:91], v86 offset:448
	s_waitcnt vmcnt(0) lgkmcnt(0)
	v_fmac_f64_e32 v[84:85], v[92:93], v[88:89]
	buffer_load_dword v89, off, s[0:3], 0 offset:140
	buffer_load_dword v88, off, s[0:3], 0 offset:136
	buffer_load_dword v93, off, s[0:3], 0 offset:148
	buffer_load_dword v92, off, s[0:3], 0 offset:144
	s_waitcnt vmcnt(2)
	v_fmac_f64_e32 v[84:85], v[88:89], v[90:91]
	ds_read_b128 v[88:91], v86 offset:464
	s_waitcnt vmcnt(0) lgkmcnt(0)
	v_fmac_f64_e32 v[84:85], v[92:93], v[88:89]
	buffer_load_dword v89, off, s[0:3], 0 offset:156
	buffer_load_dword v88, off, s[0:3], 0 offset:152
	buffer_load_dword v93, off, s[0:3], 0 offset:164
	buffer_load_dword v92, off, s[0:3], 0 offset:160
	;; [unrolled: 9-line block ×10, first 2 shown]
	s_waitcnt vmcnt(2)
	v_fmac_f64_e32 v[84:85], v[88:89], v[90:91]
	ds_read_b128 v[88:91], v86 offset:608
	s_waitcnt vmcnt(0) lgkmcnt(0)
	v_fmac_f64_e32 v[84:85], v[92:93], v[88:89]
	buffer_load_dword v89, off, s[0:3], 0 offset:300
	buffer_load_dword v88, off, s[0:3], 0 offset:296
	s_waitcnt vmcnt(0)
	v_fmac_f64_e32 v[84:85], v[88:89], v[90:91]
	buffer_load_dword v91, off, s[0:3], 0 offset:308
	buffer_load_dword v90, off, s[0:3], 0 offset:304
	ds_read_b128 v[86:89], v86 offset:624
	s_waitcnt vmcnt(0) lgkmcnt(0)
	v_fmac_f64_e32 v[84:85], v[90:91], v[86:87]
	buffer_load_dword v87, off, s[0:3], 0 offset:316
	buffer_load_dword v86, off, s[0:3], 0 offset:312
	s_waitcnt vmcnt(0)
	v_fmac_f64_e32 v[84:85], v[86:87], v[88:89]
	v_add_f64 v[82:83], v[82:83], -v[84:85]
	buffer_store_dword v83, off, s[0:3], 0 offset:60
	buffer_store_dword v82, off, s[0:3], 0 offset:56
	s_and_saveexec_b64 s[4:5], vcc
	s_cbranch_execz .LBB39_235
; %bb.234:
	buffer_load_dword v82, off, s[0:3], 0 offset:48
	buffer_load_dword v83, off, s[0:3], 0 offset:52
	v_mov_b32_e32 v84, 0
	buffer_store_dword v84, off, s[0:3], 0 offset:48
	buffer_store_dword v84, off, s[0:3], 0 offset:52
	s_waitcnt vmcnt(2)
	ds_write_b64 v1, v[82:83]
.LBB39_235:
	s_or_b64 exec, exec, s[4:5]
	s_waitcnt lgkmcnt(0)
	; wave barrier
	s_waitcnt lgkmcnt(0)
	buffer_load_dword v82, off, s[0:3], 0 offset:48
	buffer_load_dword v83, off, s[0:3], 0 offset:52
	;; [unrolled: 1-line block ×16, first 2 shown]
	v_mov_b32_e32 v86, 0
	ds_read2_b64 v[88:91], v86 offset0:47 offset1:48
	v_cmp_lt_u32_e32 vcc, 5, v0
	s_waitcnt vmcnt(12) lgkmcnt(0)
	v_fma_f64 v[84:85], v[84:85], v[88:89], 0
	s_waitcnt vmcnt(10)
	v_fmac_f64_e32 v[84:85], v[92:93], v[90:91]
	ds_read2_b64 v[88:91], v86 offset0:49 offset1:50
	s_waitcnt vmcnt(8) lgkmcnt(0)
	v_fmac_f64_e32 v[84:85], v[94:95], v[88:89]
	s_waitcnt vmcnt(6)
	v_fmac_f64_e32 v[84:85], v[96:97], v[90:91]
	ds_read2_b64 v[88:91], v86 offset0:51 offset1:52
	s_waitcnt vmcnt(4) lgkmcnt(0)
	v_fmac_f64_e32 v[84:85], v[98:99], v[88:89]
	;; [unrolled: 5-line block ×3, first 2 shown]
	buffer_load_dword v89, off, s[0:3], 0 offset:116
	buffer_load_dword v88, off, s[0:3], 0 offset:112
	buffer_load_dword v93, off, s[0:3], 0 offset:124
	buffer_load_dword v92, off, s[0:3], 0 offset:120
	s_waitcnt vmcnt(2)
	v_fmac_f64_e32 v[84:85], v[88:89], v[90:91]
	ds_read2_b64 v[88:91], v86 offset0:55 offset1:56
	s_waitcnt vmcnt(0) lgkmcnt(0)
	v_fmac_f64_e32 v[84:85], v[92:93], v[88:89]
	buffer_load_dword v89, off, s[0:3], 0 offset:132
	buffer_load_dword v88, off, s[0:3], 0 offset:128
	buffer_load_dword v93, off, s[0:3], 0 offset:140
	buffer_load_dword v92, off, s[0:3], 0 offset:136
	s_waitcnt vmcnt(2)
	v_fmac_f64_e32 v[84:85], v[88:89], v[90:91]
	ds_read2_b64 v[88:91], v86 offset0:57 offset1:58
	s_waitcnt vmcnt(0) lgkmcnt(0)
	v_fmac_f64_e32 v[84:85], v[92:93], v[88:89]
	;; [unrolled: 9-line block ×12, first 2 shown]
	buffer_load_dword v89, off, s[0:3], 0 offset:308
	buffer_load_dword v88, off, s[0:3], 0 offset:304
	s_waitcnt vmcnt(0)
	v_fmac_f64_e32 v[84:85], v[88:89], v[90:91]
	buffer_load_dword v89, off, s[0:3], 0 offset:316
	buffer_load_dword v88, off, s[0:3], 0 offset:312
	ds_read_b64 v[90:91], v86 offset:632
	s_waitcnt vmcnt(0) lgkmcnt(0)
	v_fmac_f64_e32 v[84:85], v[88:89], v[90:91]
	v_add_f64 v[82:83], v[82:83], -v[84:85]
	buffer_store_dword v83, off, s[0:3], 0 offset:52
	buffer_store_dword v82, off, s[0:3], 0 offset:48
	s_and_saveexec_b64 s[4:5], vcc
	s_cbranch_execz .LBB39_237
; %bb.236:
	buffer_load_dword v82, off, s[0:3], 0 offset:40
	buffer_load_dword v83, off, s[0:3], 0 offset:44
	s_waitcnt vmcnt(0)
	ds_write_b64 v1, v[82:83]
	buffer_store_dword v86, off, s[0:3], 0 offset:40
	buffer_store_dword v86, off, s[0:3], 0 offset:44
.LBB39_237:
	s_or_b64 exec, exec, s[4:5]
	s_waitcnt lgkmcnt(0)
	; wave barrier
	s_waitcnt lgkmcnt(0)
	buffer_load_dword v82, off, s[0:3], 0 offset:40
	buffer_load_dword v83, off, s[0:3], 0 offset:44
	;; [unrolled: 1-line block ×16, first 2 shown]
	ds_read_b128 v[88:91], v86 offset:368
	ds_read_b128 v[92:95], v86 offset:384
	;; [unrolled: 1-line block ×4, first 2 shown]
	v_cmp_lt_u32_e32 vcc, 4, v0
	s_waitcnt vmcnt(12) lgkmcnt(3)
	v_fma_f64 v[84:85], v[84:85], v[88:89], 0
	buffer_load_dword v89, off, s[0:3], 0 offset:108
	buffer_load_dword v88, off, s[0:3], 0 offset:104
	s_waitcnt vmcnt(12)
	v_fmac_f64_e32 v[84:85], v[104:105], v[90:91]
	s_waitcnt vmcnt(10) lgkmcnt(2)
	v_fmac_f64_e32 v[84:85], v[106:107], v[92:93]
	buffer_load_dword v93, off, s[0:3], 0 offset:116
	buffer_load_dword v92, off, s[0:3], 0 offset:112
	s_waitcnt vmcnt(10)
	v_fmac_f64_e32 v[84:85], v[108:109], v[94:95]
	s_waitcnt vmcnt(8) lgkmcnt(1)
	v_fmac_f64_e32 v[84:85], v[110:111], v[96:97]
	s_waitcnt vmcnt(6)
	v_fmac_f64_e32 v[84:85], v[112:113], v[98:99]
	s_waitcnt vmcnt(4) lgkmcnt(0)
	v_fmac_f64_e32 v[84:85], v[114:115], v[100:101]
	s_waitcnt vmcnt(2)
	v_fmac_f64_e32 v[84:85], v[88:89], v[102:103]
	ds_read_b128 v[88:91], v86 offset:432
	s_waitcnt vmcnt(0) lgkmcnt(0)
	v_fmac_f64_e32 v[84:85], v[92:93], v[88:89]
	buffer_load_dword v89, off, s[0:3], 0 offset:124
	buffer_load_dword v88, off, s[0:3], 0 offset:120
	buffer_load_dword v93, off, s[0:3], 0 offset:132
	buffer_load_dword v92, off, s[0:3], 0 offset:128
	s_waitcnt vmcnt(2)
	v_fmac_f64_e32 v[84:85], v[88:89], v[90:91]
	ds_read_b128 v[88:91], v86 offset:448
	s_waitcnt vmcnt(0) lgkmcnt(0)
	v_fmac_f64_e32 v[84:85], v[92:93], v[88:89]
	buffer_load_dword v89, off, s[0:3], 0 offset:140
	buffer_load_dword v88, off, s[0:3], 0 offset:136
	buffer_load_dword v93, off, s[0:3], 0 offset:148
	buffer_load_dword v92, off, s[0:3], 0 offset:144
	;; [unrolled: 9-line block ×11, first 2 shown]
	s_waitcnt vmcnt(2)
	v_fmac_f64_e32 v[84:85], v[88:89], v[90:91]
	ds_read_b128 v[88:91], v86 offset:608
	s_waitcnt vmcnt(0) lgkmcnt(0)
	v_fmac_f64_e32 v[84:85], v[92:93], v[88:89]
	buffer_load_dword v89, off, s[0:3], 0 offset:300
	buffer_load_dword v88, off, s[0:3], 0 offset:296
	s_waitcnt vmcnt(0)
	v_fmac_f64_e32 v[84:85], v[88:89], v[90:91]
	buffer_load_dword v91, off, s[0:3], 0 offset:308
	buffer_load_dword v90, off, s[0:3], 0 offset:304
	ds_read_b128 v[86:89], v86 offset:624
	s_waitcnt vmcnt(0) lgkmcnt(0)
	v_fmac_f64_e32 v[84:85], v[90:91], v[86:87]
	buffer_load_dword v87, off, s[0:3], 0 offset:316
	buffer_load_dword v86, off, s[0:3], 0 offset:312
	s_waitcnt vmcnt(0)
	v_fmac_f64_e32 v[84:85], v[86:87], v[88:89]
	v_add_f64 v[82:83], v[82:83], -v[84:85]
	buffer_store_dword v83, off, s[0:3], 0 offset:44
	buffer_store_dword v82, off, s[0:3], 0 offset:40
	s_and_saveexec_b64 s[4:5], vcc
	s_cbranch_execz .LBB39_239
; %bb.238:
	buffer_load_dword v82, off, s[0:3], 0 offset:32
	buffer_load_dword v83, off, s[0:3], 0 offset:36
	v_mov_b32_e32 v84, 0
	buffer_store_dword v84, off, s[0:3], 0 offset:32
	buffer_store_dword v84, off, s[0:3], 0 offset:36
	s_waitcnt vmcnt(2)
	ds_write_b64 v1, v[82:83]
.LBB39_239:
	s_or_b64 exec, exec, s[4:5]
	s_waitcnt lgkmcnt(0)
	; wave barrier
	s_waitcnt lgkmcnt(0)
	buffer_load_dword v82, off, s[0:3], 0 offset:32
	buffer_load_dword v83, off, s[0:3], 0 offset:36
	;; [unrolled: 1-line block ×16, first 2 shown]
	v_mov_b32_e32 v86, 0
	ds_read2_b64 v[88:91], v86 offset0:45 offset1:46
	v_cmp_lt_u32_e32 vcc, 3, v0
	s_waitcnt vmcnt(12) lgkmcnt(0)
	v_fma_f64 v[84:85], v[84:85], v[88:89], 0
	s_waitcnt vmcnt(10)
	v_fmac_f64_e32 v[84:85], v[92:93], v[90:91]
	ds_read2_b64 v[88:91], v86 offset0:47 offset1:48
	s_waitcnt vmcnt(8) lgkmcnt(0)
	v_fmac_f64_e32 v[84:85], v[94:95], v[88:89]
	s_waitcnt vmcnt(6)
	v_fmac_f64_e32 v[84:85], v[96:97], v[90:91]
	ds_read2_b64 v[88:91], v86 offset0:49 offset1:50
	s_waitcnt vmcnt(4) lgkmcnt(0)
	v_fmac_f64_e32 v[84:85], v[98:99], v[88:89]
	;; [unrolled: 5-line block ×3, first 2 shown]
	buffer_load_dword v89, off, s[0:3], 0 offset:100
	buffer_load_dword v88, off, s[0:3], 0 offset:96
	buffer_load_dword v93, off, s[0:3], 0 offset:108
	buffer_load_dword v92, off, s[0:3], 0 offset:104
	s_waitcnt vmcnt(2)
	v_fmac_f64_e32 v[84:85], v[88:89], v[90:91]
	ds_read2_b64 v[88:91], v86 offset0:53 offset1:54
	s_waitcnt vmcnt(0) lgkmcnt(0)
	v_fmac_f64_e32 v[84:85], v[92:93], v[88:89]
	buffer_load_dword v89, off, s[0:3], 0 offset:116
	buffer_load_dword v88, off, s[0:3], 0 offset:112
	buffer_load_dword v93, off, s[0:3], 0 offset:124
	buffer_load_dword v92, off, s[0:3], 0 offset:120
	s_waitcnt vmcnt(2)
	v_fmac_f64_e32 v[84:85], v[88:89], v[90:91]
	ds_read2_b64 v[88:91], v86 offset0:55 offset1:56
	s_waitcnt vmcnt(0) lgkmcnt(0)
	v_fmac_f64_e32 v[84:85], v[92:93], v[88:89]
	;; [unrolled: 9-line block ×13, first 2 shown]
	buffer_load_dword v89, off, s[0:3], 0 offset:308
	buffer_load_dword v88, off, s[0:3], 0 offset:304
	s_waitcnt vmcnt(0)
	v_fmac_f64_e32 v[84:85], v[88:89], v[90:91]
	buffer_load_dword v89, off, s[0:3], 0 offset:316
	buffer_load_dword v88, off, s[0:3], 0 offset:312
	ds_read_b64 v[90:91], v86 offset:632
	s_waitcnt vmcnt(0) lgkmcnt(0)
	v_fmac_f64_e32 v[84:85], v[88:89], v[90:91]
	v_add_f64 v[82:83], v[82:83], -v[84:85]
	buffer_store_dword v83, off, s[0:3], 0 offset:36
	buffer_store_dword v82, off, s[0:3], 0 offset:32
	s_and_saveexec_b64 s[4:5], vcc
	s_cbranch_execz .LBB39_241
; %bb.240:
	buffer_load_dword v82, off, s[0:3], 0 offset:24
	buffer_load_dword v83, off, s[0:3], 0 offset:28
	s_waitcnt vmcnt(0)
	ds_write_b64 v1, v[82:83]
	buffer_store_dword v86, off, s[0:3], 0 offset:24
	buffer_store_dword v86, off, s[0:3], 0 offset:28
.LBB39_241:
	s_or_b64 exec, exec, s[4:5]
	s_waitcnt lgkmcnt(0)
	; wave barrier
	s_waitcnt lgkmcnt(0)
	buffer_load_dword v82, off, s[0:3], 0 offset:24
	buffer_load_dword v83, off, s[0:3], 0 offset:28
	;; [unrolled: 1-line block ×16, first 2 shown]
	ds_read_b128 v[88:91], v86 offset:352
	ds_read_b128 v[92:95], v86 offset:368
	ds_read_b128 v[96:99], v86 offset:384
	ds_read_b128 v[100:103], v86 offset:400
	v_cmp_lt_u32_e32 vcc, 2, v0
	s_waitcnt vmcnt(12) lgkmcnt(3)
	v_fma_f64 v[84:85], v[84:85], v[88:89], 0
	buffer_load_dword v89, off, s[0:3], 0 offset:92
	buffer_load_dword v88, off, s[0:3], 0 offset:88
	s_waitcnt vmcnt(12)
	v_fmac_f64_e32 v[84:85], v[104:105], v[90:91]
	s_waitcnt vmcnt(10) lgkmcnt(2)
	v_fmac_f64_e32 v[84:85], v[106:107], v[92:93]
	buffer_load_dword v93, off, s[0:3], 0 offset:100
	buffer_load_dword v92, off, s[0:3], 0 offset:96
	s_waitcnt vmcnt(10)
	v_fmac_f64_e32 v[84:85], v[108:109], v[94:95]
	s_waitcnt vmcnt(8) lgkmcnt(1)
	v_fmac_f64_e32 v[84:85], v[110:111], v[96:97]
	s_waitcnt vmcnt(6)
	v_fmac_f64_e32 v[84:85], v[112:113], v[98:99]
	s_waitcnt vmcnt(4) lgkmcnt(0)
	v_fmac_f64_e32 v[84:85], v[114:115], v[100:101]
	s_waitcnt vmcnt(2)
	v_fmac_f64_e32 v[84:85], v[88:89], v[102:103]
	ds_read_b128 v[88:91], v86 offset:416
	s_waitcnt vmcnt(0) lgkmcnt(0)
	v_fmac_f64_e32 v[84:85], v[92:93], v[88:89]
	buffer_load_dword v89, off, s[0:3], 0 offset:108
	buffer_load_dword v88, off, s[0:3], 0 offset:104
	buffer_load_dword v93, off, s[0:3], 0 offset:116
	buffer_load_dword v92, off, s[0:3], 0 offset:112
	s_waitcnt vmcnt(2)
	v_fmac_f64_e32 v[84:85], v[88:89], v[90:91]
	ds_read_b128 v[88:91], v86 offset:432
	s_waitcnt vmcnt(0) lgkmcnt(0)
	v_fmac_f64_e32 v[84:85], v[92:93], v[88:89]
	buffer_load_dword v89, off, s[0:3], 0 offset:124
	buffer_load_dword v88, off, s[0:3], 0 offset:120
	buffer_load_dword v93, off, s[0:3], 0 offset:132
	buffer_load_dword v92, off, s[0:3], 0 offset:128
	;; [unrolled: 9-line block ×12, first 2 shown]
	s_waitcnt vmcnt(2)
	v_fmac_f64_e32 v[84:85], v[88:89], v[90:91]
	ds_read_b128 v[88:91], v86 offset:608
	s_waitcnt vmcnt(0) lgkmcnt(0)
	v_fmac_f64_e32 v[84:85], v[92:93], v[88:89]
	buffer_load_dword v89, off, s[0:3], 0 offset:300
	buffer_load_dword v88, off, s[0:3], 0 offset:296
	s_waitcnt vmcnt(0)
	v_fmac_f64_e32 v[84:85], v[88:89], v[90:91]
	buffer_load_dword v91, off, s[0:3], 0 offset:308
	buffer_load_dword v90, off, s[0:3], 0 offset:304
	ds_read_b128 v[86:89], v86 offset:624
	s_waitcnt vmcnt(0) lgkmcnt(0)
	v_fmac_f64_e32 v[84:85], v[90:91], v[86:87]
	buffer_load_dword v87, off, s[0:3], 0 offset:316
	buffer_load_dword v86, off, s[0:3], 0 offset:312
	s_waitcnt vmcnt(0)
	v_fmac_f64_e32 v[84:85], v[86:87], v[88:89]
	v_add_f64 v[82:83], v[82:83], -v[84:85]
	buffer_store_dword v83, off, s[0:3], 0 offset:28
	buffer_store_dword v82, off, s[0:3], 0 offset:24
	s_and_saveexec_b64 s[4:5], vcc
	s_cbranch_execz .LBB39_243
; %bb.242:
	buffer_load_dword v82, off, s[0:3], 0 offset:16
	buffer_load_dword v83, off, s[0:3], 0 offset:20
	v_mov_b32_e32 v84, 0
	buffer_store_dword v84, off, s[0:3], 0 offset:16
	buffer_store_dword v84, off, s[0:3], 0 offset:20
	s_waitcnt vmcnt(2)
	ds_write_b64 v1, v[82:83]
.LBB39_243:
	s_or_b64 exec, exec, s[4:5]
	s_waitcnt lgkmcnt(0)
	; wave barrier
	s_waitcnt lgkmcnt(0)
	buffer_load_dword v82, off, s[0:3], 0 offset:16
	buffer_load_dword v83, off, s[0:3], 0 offset:20
	;; [unrolled: 1-line block ×16, first 2 shown]
	v_mov_b32_e32 v86, 0
	ds_read2_b64 v[88:91], v86 offset0:43 offset1:44
	v_cmp_lt_u32_e32 vcc, 1, v0
	s_waitcnt vmcnt(12) lgkmcnt(0)
	v_fma_f64 v[84:85], v[84:85], v[88:89], 0
	s_waitcnt vmcnt(10)
	v_fmac_f64_e32 v[84:85], v[92:93], v[90:91]
	ds_read2_b64 v[88:91], v86 offset0:45 offset1:46
	s_waitcnt vmcnt(8) lgkmcnt(0)
	v_fmac_f64_e32 v[84:85], v[94:95], v[88:89]
	s_waitcnt vmcnt(6)
	v_fmac_f64_e32 v[84:85], v[96:97], v[90:91]
	ds_read2_b64 v[88:91], v86 offset0:47 offset1:48
	s_waitcnt vmcnt(4) lgkmcnt(0)
	v_fmac_f64_e32 v[84:85], v[98:99], v[88:89]
	;; [unrolled: 5-line block ×3, first 2 shown]
	buffer_load_dword v89, off, s[0:3], 0 offset:84
	buffer_load_dword v88, off, s[0:3], 0 offset:80
	buffer_load_dword v93, off, s[0:3], 0 offset:92
	buffer_load_dword v92, off, s[0:3], 0 offset:88
	s_waitcnt vmcnt(2)
	v_fmac_f64_e32 v[84:85], v[88:89], v[90:91]
	ds_read2_b64 v[88:91], v86 offset0:51 offset1:52
	s_waitcnt vmcnt(0) lgkmcnt(0)
	v_fmac_f64_e32 v[84:85], v[92:93], v[88:89]
	buffer_load_dword v89, off, s[0:3], 0 offset:100
	buffer_load_dword v88, off, s[0:3], 0 offset:96
	buffer_load_dword v93, off, s[0:3], 0 offset:108
	buffer_load_dword v92, off, s[0:3], 0 offset:104
	s_waitcnt vmcnt(2)
	v_fmac_f64_e32 v[84:85], v[88:89], v[90:91]
	ds_read2_b64 v[88:91], v86 offset0:53 offset1:54
	s_waitcnt vmcnt(0) lgkmcnt(0)
	v_fmac_f64_e32 v[84:85], v[92:93], v[88:89]
	;; [unrolled: 9-line block ×14, first 2 shown]
	buffer_load_dword v89, off, s[0:3], 0 offset:308
	buffer_load_dword v88, off, s[0:3], 0 offset:304
	s_waitcnt vmcnt(0)
	v_fmac_f64_e32 v[84:85], v[88:89], v[90:91]
	buffer_load_dword v89, off, s[0:3], 0 offset:316
	buffer_load_dword v88, off, s[0:3], 0 offset:312
	ds_read_b64 v[90:91], v86 offset:632
	s_waitcnt vmcnt(0) lgkmcnt(0)
	v_fmac_f64_e32 v[84:85], v[88:89], v[90:91]
	v_add_f64 v[82:83], v[82:83], -v[84:85]
	buffer_store_dword v83, off, s[0:3], 0 offset:20
	buffer_store_dword v82, off, s[0:3], 0 offset:16
	s_and_saveexec_b64 s[4:5], vcc
	s_cbranch_execz .LBB39_245
; %bb.244:
	buffer_load_dword v82, off, s[0:3], 0 offset:8
	buffer_load_dword v83, off, s[0:3], 0 offset:12
	s_waitcnt vmcnt(0)
	ds_write_b64 v1, v[82:83]
	buffer_store_dword v86, off, s[0:3], 0 offset:8
	buffer_store_dword v86, off, s[0:3], 0 offset:12
.LBB39_245:
	s_or_b64 exec, exec, s[4:5]
	s_waitcnt lgkmcnt(0)
	; wave barrier
	s_waitcnt lgkmcnt(0)
	buffer_load_dword v82, off, s[0:3], 0 offset:8
	buffer_load_dword v83, off, s[0:3], 0 offset:12
	;; [unrolled: 1-line block ×16, first 2 shown]
	ds_read_b128 v[88:91], v86 offset:336
	ds_read_b128 v[92:95], v86 offset:352
	;; [unrolled: 1-line block ×4, first 2 shown]
	v_cmp_ne_u32_e32 vcc, 0, v0
	s_waitcnt vmcnt(12) lgkmcnt(3)
	v_fma_f64 v[84:85], v[84:85], v[88:89], 0
	buffer_load_dword v89, off, s[0:3], 0 offset:76
	buffer_load_dword v88, off, s[0:3], 0 offset:72
	s_waitcnt vmcnt(12)
	v_fmac_f64_e32 v[84:85], v[104:105], v[90:91]
	s_waitcnt vmcnt(10) lgkmcnt(2)
	v_fmac_f64_e32 v[84:85], v[106:107], v[92:93]
	buffer_load_dword v93, off, s[0:3], 0 offset:84
	buffer_load_dword v92, off, s[0:3], 0 offset:80
	s_waitcnt vmcnt(10)
	v_fmac_f64_e32 v[84:85], v[108:109], v[94:95]
	s_waitcnt vmcnt(8) lgkmcnt(1)
	v_fmac_f64_e32 v[84:85], v[110:111], v[96:97]
	s_waitcnt vmcnt(6)
	v_fmac_f64_e32 v[84:85], v[112:113], v[98:99]
	s_waitcnt vmcnt(4) lgkmcnt(0)
	v_fmac_f64_e32 v[84:85], v[114:115], v[100:101]
	s_waitcnt vmcnt(2)
	v_fmac_f64_e32 v[84:85], v[88:89], v[102:103]
	ds_read_b128 v[88:91], v86 offset:400
	s_waitcnt vmcnt(0) lgkmcnt(0)
	v_fmac_f64_e32 v[84:85], v[92:93], v[88:89]
	buffer_load_dword v89, off, s[0:3], 0 offset:92
	buffer_load_dword v88, off, s[0:3], 0 offset:88
	buffer_load_dword v93, off, s[0:3], 0 offset:100
	buffer_load_dword v92, off, s[0:3], 0 offset:96
	s_waitcnt vmcnt(2)
	v_fmac_f64_e32 v[84:85], v[88:89], v[90:91]
	ds_read_b128 v[88:91], v86 offset:416
	s_waitcnt vmcnt(0) lgkmcnt(0)
	v_fmac_f64_e32 v[84:85], v[92:93], v[88:89]
	buffer_load_dword v89, off, s[0:3], 0 offset:108
	buffer_load_dword v88, off, s[0:3], 0 offset:104
	buffer_load_dword v93, off, s[0:3], 0 offset:116
	buffer_load_dword v92, off, s[0:3], 0 offset:112
	;; [unrolled: 9-line block ×13, first 2 shown]
	s_waitcnt vmcnt(2)
	v_fmac_f64_e32 v[84:85], v[88:89], v[90:91]
	ds_read_b128 v[88:91], v86 offset:608
	s_waitcnt vmcnt(0) lgkmcnt(0)
	v_fmac_f64_e32 v[84:85], v[92:93], v[88:89]
	buffer_load_dword v89, off, s[0:3], 0 offset:300
	buffer_load_dword v88, off, s[0:3], 0 offset:296
	s_waitcnt vmcnt(0)
	v_fmac_f64_e32 v[84:85], v[88:89], v[90:91]
	buffer_load_dword v91, off, s[0:3], 0 offset:308
	buffer_load_dword v90, off, s[0:3], 0 offset:304
	ds_read_b128 v[86:89], v86 offset:624
	s_waitcnt vmcnt(0) lgkmcnt(0)
	v_fmac_f64_e32 v[84:85], v[90:91], v[86:87]
	buffer_load_dword v87, off, s[0:3], 0 offset:316
	buffer_load_dword v86, off, s[0:3], 0 offset:312
	s_waitcnt vmcnt(0)
	v_fmac_f64_e32 v[84:85], v[86:87], v[88:89]
	v_add_f64 v[82:83], v[82:83], -v[84:85]
	buffer_store_dword v83, off, s[0:3], 0 offset:12
	buffer_store_dword v82, off, s[0:3], 0 offset:8
	s_and_saveexec_b64 s[4:5], vcc
	s_cbranch_execz .LBB39_247
; %bb.246:
	buffer_load_dword v82, off, s[0:3], 0
	buffer_load_dword v83, off, s[0:3], 0 offset:4
	v_mov_b32_e32 v0, 0
	buffer_store_dword v0, off, s[0:3], 0
	buffer_store_dword v0, off, s[0:3], 0 offset:4
	s_waitcnt vmcnt(2)
	ds_write_b64 v1, v[82:83]
.LBB39_247:
	s_or_b64 exec, exec, s[4:5]
	s_waitcnt lgkmcnt(0)
	; wave barrier
	s_waitcnt lgkmcnt(0)
	buffer_load_dword v0, off, s[0:3], 0
	buffer_load_dword v1, off, s[0:3], 0 offset:4
	buffer_load_dword v88, off, s[0:3], 0 offset:8
	buffer_load_dword v89, off, s[0:3], 0 offset:12
	buffer_load_dword v90, off, s[0:3], 0 offset:16
	buffer_load_dword v91, off, s[0:3], 0 offset:20
	buffer_load_dword v92, off, s[0:3], 0 offset:24
	buffer_load_dword v93, off, s[0:3], 0 offset:28
	buffer_load_dword v94, off, s[0:3], 0 offset:32
	buffer_load_dword v95, off, s[0:3], 0 offset:36
	buffer_load_dword v96, off, s[0:3], 0 offset:40
	buffer_load_dword v97, off, s[0:3], 0 offset:44
	buffer_load_dword v98, off, s[0:3], 0 offset:48
	buffer_load_dword v99, off, s[0:3], 0 offset:52
	buffer_load_dword v100, off, s[0:3], 0 offset:56
	buffer_load_dword v101, off, s[0:3], 0 offset:60
	v_mov_b32_e32 v86, 0
	ds_read2_b64 v[82:85], v86 offset0:41 offset1:42
	s_and_b64 vcc, exec, s[20:21]
	s_waitcnt vmcnt(12) lgkmcnt(0)
	v_fma_f64 v[82:83], v[88:89], v[82:83], 0
	s_waitcnt vmcnt(10)
	v_fmac_f64_e32 v[82:83], v[90:91], v[84:85]
	ds_read2_b64 v[88:91], v86 offset0:43 offset1:44
	s_waitcnt vmcnt(8) lgkmcnt(0)
	v_fmac_f64_e32 v[82:83], v[92:93], v[88:89]
	s_waitcnt vmcnt(6)
	v_fmac_f64_e32 v[82:83], v[94:95], v[90:91]
	ds_read2_b64 v[88:91], v86 offset0:45 offset1:46
	s_waitcnt vmcnt(4) lgkmcnt(0)
	v_fmac_f64_e32 v[82:83], v[96:97], v[88:89]
	s_waitcnt vmcnt(2)
	v_fmac_f64_e32 v[82:83], v[98:99], v[90:91]
	ds_read2_b64 v[88:91], v86 offset0:47 offset1:48
	buffer_load_dword v85, off, s[0:3], 0 offset:68
	buffer_load_dword v84, off, s[0:3], 0 offset:64
	s_waitcnt vmcnt(2) lgkmcnt(0)
	v_fmac_f64_e32 v[82:83], v[100:101], v[88:89]
	s_waitcnt vmcnt(0)
	v_fmac_f64_e32 v[82:83], v[84:85], v[90:91]
	buffer_load_dword v85, off, s[0:3], 0 offset:76
	buffer_load_dword v84, off, s[0:3], 0 offset:72
	ds_read2_b64 v[88:91], v86 offset0:49 offset1:50
	s_waitcnt vmcnt(0) lgkmcnt(0)
	v_fmac_f64_e32 v[82:83], v[84:85], v[88:89]
	buffer_load_dword v85, off, s[0:3], 0 offset:84
	buffer_load_dword v84, off, s[0:3], 0 offset:80
	s_waitcnt vmcnt(0)
	v_fmac_f64_e32 v[82:83], v[84:85], v[90:91]
	buffer_load_dword v85, off, s[0:3], 0 offset:92
	buffer_load_dword v84, off, s[0:3], 0 offset:88
	ds_read2_b64 v[88:91], v86 offset0:51 offset1:52
	s_waitcnt vmcnt(0) lgkmcnt(0)
	v_fmac_f64_e32 v[82:83], v[84:85], v[88:89]
	buffer_load_dword v85, off, s[0:3], 0 offset:100
	buffer_load_dword v84, off, s[0:3], 0 offset:96
	;; [unrolled: 9-line block ×15, first 2 shown]
	buffer_load_dword v89, off, s[0:3], 0 offset:316
	buffer_load_dword v88, off, s[0:3], 0 offset:312
	ds_read_b64 v[86:87], v86 offset:632
	s_waitcnt vmcnt(2)
	v_fmac_f64_e32 v[82:83], v[84:85], v[90:91]
	s_waitcnt vmcnt(0) lgkmcnt(0)
	v_fmac_f64_e32 v[82:83], v[88:89], v[86:87]
	v_add_f64 v[0:1], v[0:1], -v[82:83]
	buffer_store_dword v1, off, s[0:3], 0 offset:4
	buffer_store_dword v0, off, s[0:3], 0
	s_cbranch_vccz .LBB39_327
; %bb.248:
	v_pk_mov_b32 v[0:1], s[10:11], s[10:11] op_sel:[0,1]
	flat_load_dword v0, v[0:1] offset:152
	s_waitcnt vmcnt(0) lgkmcnt(0)
	v_add_u32_e32 v0, -1, v0
	v_cmp_ne_u32_e32 vcc, 38, v0
	s_and_saveexec_b64 s[4:5], vcc
	s_cbranch_execz .LBB39_250
; %bb.249:
	v_mov_b32_e32 v1, 0
	v_lshl_add_u32 v0, v0, 3, v1
	buffer_load_dword v1, v0, s[0:3], 0 offen offset:4
	buffer_load_dword v82, v0, s[0:3], 0 offen
	s_waitcnt vmcnt(1)
	buffer_store_dword v1, off, s[0:3], 0 offset:308
	s_waitcnt vmcnt(1)
	buffer_store_dword v82, off, s[0:3], 0 offset:304
	buffer_store_dword v85, v0, s[0:3], 0 offen offset:4
	buffer_store_dword v84, v0, s[0:3], 0 offen
.LBB39_250:
	s_or_b64 exec, exec, s[4:5]
	v_pk_mov_b32 v[0:1], s[10:11], s[10:11] op_sel:[0,1]
	flat_load_dword v0, v[0:1] offset:148
	s_waitcnt vmcnt(0) lgkmcnt(0)
	v_add_u32_e32 v0, -1, v0
	v_cmp_ne_u32_e32 vcc, 37, v0
	s_and_saveexec_b64 s[4:5], vcc
	s_cbranch_execz .LBB39_252
; %bb.251:
	v_mov_b32_e32 v1, 0
	v_lshl_add_u32 v0, v0, 3, v1
	buffer_load_dword v1, v0, s[0:3], 0 offen
	buffer_load_dword v82, v0, s[0:3], 0 offen offset:4
	buffer_load_dword v83, off, s[0:3], 0 offset:296
	buffer_load_dword v84, off, s[0:3], 0 offset:300
	s_waitcnt vmcnt(3)
	buffer_store_dword v1, off, s[0:3], 0 offset:296
	s_waitcnt vmcnt(3)
	buffer_store_dword v82, off, s[0:3], 0 offset:300
	s_waitcnt vmcnt(3)
	buffer_store_dword v83, v0, s[0:3], 0 offen
	s_waitcnt vmcnt(3)
	buffer_store_dword v84, v0, s[0:3], 0 offen offset:4
.LBB39_252:
	s_or_b64 exec, exec, s[4:5]
	v_pk_mov_b32 v[0:1], s[10:11], s[10:11] op_sel:[0,1]
	flat_load_dword v0, v[0:1] offset:144
	s_waitcnt vmcnt(0) lgkmcnt(0)
	v_add_u32_e32 v0, -1, v0
	v_cmp_ne_u32_e32 vcc, 36, v0
	s_and_saveexec_b64 s[4:5], vcc
	s_cbranch_execz .LBB39_254
; %bb.253:
	v_mov_b32_e32 v1, 0
	v_lshl_add_u32 v0, v0, 3, v1
	buffer_load_dword v1, v0, s[0:3], 0 offen
	buffer_load_dword v82, v0, s[0:3], 0 offen offset:4
	buffer_load_dword v83, off, s[0:3], 0 offset:292
	buffer_load_dword v84, off, s[0:3], 0 offset:288
	s_waitcnt vmcnt(3)
	buffer_store_dword v1, off, s[0:3], 0 offset:288
	s_waitcnt vmcnt(3)
	buffer_store_dword v82, off, s[0:3], 0 offset:292
	s_waitcnt vmcnt(3)
	buffer_store_dword v83, v0, s[0:3], 0 offen offset:4
	s_waitcnt vmcnt(3)
	buffer_store_dword v84, v0, s[0:3], 0 offen
.LBB39_254:
	s_or_b64 exec, exec, s[4:5]
	v_pk_mov_b32 v[0:1], s[10:11], s[10:11] op_sel:[0,1]
	flat_load_dword v0, v[0:1] offset:140
	s_waitcnt vmcnt(0) lgkmcnt(0)
	v_add_u32_e32 v0, -1, v0
	v_cmp_ne_u32_e32 vcc, 35, v0
	s_and_saveexec_b64 s[4:5], vcc
	s_cbranch_execz .LBB39_256
; %bb.255:
	v_mov_b32_e32 v1, 0
	v_lshl_add_u32 v0, v0, 3, v1
	buffer_load_dword v1, v0, s[0:3], 0 offen
	buffer_load_dword v82, v0, s[0:3], 0 offen offset:4
	buffer_load_dword v83, off, s[0:3], 0 offset:280
	buffer_load_dword v84, off, s[0:3], 0 offset:284
	s_waitcnt vmcnt(3)
	buffer_store_dword v1, off, s[0:3], 0 offset:280
	s_waitcnt vmcnt(3)
	buffer_store_dword v82, off, s[0:3], 0 offset:284
	s_waitcnt vmcnt(3)
	buffer_store_dword v83, v0, s[0:3], 0 offen
	s_waitcnt vmcnt(3)
	buffer_store_dword v84, v0, s[0:3], 0 offen offset:4
.LBB39_256:
	s_or_b64 exec, exec, s[4:5]
	v_pk_mov_b32 v[0:1], s[10:11], s[10:11] op_sel:[0,1]
	flat_load_dword v0, v[0:1] offset:136
	s_waitcnt vmcnt(0) lgkmcnt(0)
	v_add_u32_e32 v0, -1, v0
	v_cmp_ne_u32_e32 vcc, 34, v0
	s_and_saveexec_b64 s[4:5], vcc
	s_cbranch_execz .LBB39_258
; %bb.257:
	v_mov_b32_e32 v1, 0
	v_lshl_add_u32 v0, v0, 3, v1
	buffer_load_dword v1, v0, s[0:3], 0 offen
	buffer_load_dword v82, v0, s[0:3], 0 offen offset:4
	buffer_load_dword v83, off, s[0:3], 0 offset:276
	buffer_load_dword v84, off, s[0:3], 0 offset:272
	s_waitcnt vmcnt(3)
	buffer_store_dword v1, off, s[0:3], 0 offset:272
	s_waitcnt vmcnt(3)
	buffer_store_dword v82, off, s[0:3], 0 offset:276
	s_waitcnt vmcnt(3)
	buffer_store_dword v83, v0, s[0:3], 0 offen offset:4
	s_waitcnt vmcnt(3)
	buffer_store_dword v84, v0, s[0:3], 0 offen
.LBB39_258:
	;; [unrolled: 48-line block ×18, first 2 shown]
	s_or_b64 exec, exec, s[4:5]
	v_pk_mov_b32 v[0:1], s[10:11], s[10:11] op_sel:[0,1]
	flat_load_dword v0, v[0:1] offset:4
	s_waitcnt vmcnt(0) lgkmcnt(0)
	v_add_u32_e32 v0, -1, v0
	v_cmp_ne_u32_e32 vcc, 1, v0
	s_and_saveexec_b64 s[4:5], vcc
	s_cbranch_execz .LBB39_324
; %bb.323:
	v_mov_b32_e32 v1, 0
	v_lshl_add_u32 v0, v0, 3, v1
	buffer_load_dword v1, v0, s[0:3], 0 offen
	buffer_load_dword v82, v0, s[0:3], 0 offen offset:4
	buffer_load_dword v83, off, s[0:3], 0 offset:8
	buffer_load_dword v84, off, s[0:3], 0 offset:12
	s_waitcnt vmcnt(3)
	buffer_store_dword v1, off, s[0:3], 0 offset:8
	s_waitcnt vmcnt(3)
	buffer_store_dword v82, off, s[0:3], 0 offset:12
	s_waitcnt vmcnt(3)
	buffer_store_dword v83, v0, s[0:3], 0 offen
	s_waitcnt vmcnt(3)
	buffer_store_dword v84, v0, s[0:3], 0 offen offset:4
.LBB39_324:
	s_or_b64 exec, exec, s[4:5]
	v_pk_mov_b32 v[0:1], s[10:11], s[10:11] op_sel:[0,1]
	flat_load_dword v82, v[0:1]
	s_nop 0
	buffer_load_dword v0, off, s[0:3], 0
	buffer_load_dword v1, off, s[0:3], 0 offset:4
	s_waitcnt vmcnt(0) lgkmcnt(0)
	v_add_u32_e32 v82, -1, v82
	v_cmp_ne_u32_e32 vcc, 0, v82
	s_and_saveexec_b64 s[4:5], vcc
	s_cbranch_execz .LBB39_326
; %bb.325:
	v_mov_b32_e32 v83, 0
	v_lshl_add_u32 v82, v82, 3, v83
	buffer_load_dword v83, v82, s[0:3], 0 offen offset:4
	buffer_load_dword v84, v82, s[0:3], 0 offen
	s_waitcnt vmcnt(1)
	buffer_store_dword v83, off, s[0:3], 0 offset:4
	s_waitcnt vmcnt(1)
	buffer_store_dword v84, off, s[0:3], 0
	buffer_store_dword v1, v82, s[0:3], 0 offen offset:4
	buffer_store_dword v0, v82, s[0:3], 0 offen
	buffer_load_dword v0, off, s[0:3], 0
	s_nop 0
	buffer_load_dword v1, off, s[0:3], 0 offset:4
.LBB39_326:
	s_or_b64 exec, exec, s[4:5]
.LBB39_327:
	s_waitcnt vmcnt(0)
	global_store_dwordx2 v[80:81], v[0:1], off
	buffer_load_dword v0, off, s[0:3], 0 offset:8
	s_nop 0
	buffer_load_dword v1, off, s[0:3], 0 offset:12
	buffer_load_dword v80, off, s[0:3], 0 offset:16
	;; [unrolled: 1-line block ×15, first 2 shown]
	s_waitcnt vmcnt(14)
	global_store_dwordx2 v[78:79], v[0:1], off
	s_waitcnt vmcnt(13)
	global_store_dwordx2 v[2:3], v[80:81], off
	s_waitcnt vmcnt(12)
	global_store_dwordx2 v[4:5], v[82:83], off
	s_waitcnt vmcnt(11)
	global_store_dwordx2 v[6:7], v[84:85], off
	s_waitcnt vmcnt(10)
	global_store_dwordx2 v[8:9], v[86:87], off
	s_waitcnt vmcnt(9)
	global_store_dwordx2 v[10:11], v[88:89], off
	s_waitcnt vmcnt(8)
	global_store_dwordx2 v[12:13], v[90:91], off
	s_waitcnt vmcnt(7)
	global_store_dwordx2 v[18:19], v[92:93], off
	buffer_load_dword v0, off, s[0:3], 0 offset:72
	buffer_load_dword v1, off, s[0:3], 0 offset:76
	s_waitcnt vmcnt(0)
	global_store_dwordx2 v[14:15], v[0:1], off
	buffer_load_dword v0, off, s[0:3], 0 offset:80
	s_nop 0
	buffer_load_dword v1, off, s[0:3], 0 offset:84
	s_waitcnt vmcnt(0)
	global_store_dwordx2 v[16:17], v[0:1], off
	buffer_load_dword v0, off, s[0:3], 0 offset:88
	s_nop 0
	;; [unrolled: 5-line block ×30, first 2 shown]
	buffer_load_dword v1, off, s[0:3], 0 offset:316
	s_waitcnt vmcnt(0)
	global_store_dwordx2 v[64:65], v[0:1], off
	s_endpgm
	.section	.rodata,"a",@progbits
	.p2align	6, 0x0
	.amdhsa_kernel _ZN9rocsolver6v33100L18getri_kernel_smallILi40EdPdEEvT1_iilPiilS4_bb
		.amdhsa_group_segment_fixed_size 648
		.amdhsa_private_segment_fixed_size 336
		.amdhsa_kernarg_size 60
		.amdhsa_user_sgpr_count 8
		.amdhsa_user_sgpr_private_segment_buffer 1
		.amdhsa_user_sgpr_dispatch_ptr 0
		.amdhsa_user_sgpr_queue_ptr 0
		.amdhsa_user_sgpr_kernarg_segment_ptr 1
		.amdhsa_user_sgpr_dispatch_id 0
		.amdhsa_user_sgpr_flat_scratch_init 1
		.amdhsa_user_sgpr_kernarg_preload_length 0
		.amdhsa_user_sgpr_kernarg_preload_offset 0
		.amdhsa_user_sgpr_private_segment_size 0
		.amdhsa_uses_dynamic_stack 0
		.amdhsa_system_sgpr_private_segment_wavefront_offset 1
		.amdhsa_system_sgpr_workgroup_id_x 1
		.amdhsa_system_sgpr_workgroup_id_y 0
		.amdhsa_system_sgpr_workgroup_id_z 0
		.amdhsa_system_sgpr_workgroup_info 0
		.amdhsa_system_vgpr_workitem_id 0
		.amdhsa_next_free_vgpr 126
		.amdhsa_next_free_sgpr 23
		.amdhsa_accum_offset 128
		.amdhsa_reserve_vcc 1
		.amdhsa_reserve_flat_scratch 1
		.amdhsa_float_round_mode_32 0
		.amdhsa_float_round_mode_16_64 0
		.amdhsa_float_denorm_mode_32 3
		.amdhsa_float_denorm_mode_16_64 3
		.amdhsa_dx10_clamp 1
		.amdhsa_ieee_mode 1
		.amdhsa_fp16_overflow 0
		.amdhsa_tg_split 0
		.amdhsa_exception_fp_ieee_invalid_op 0
		.amdhsa_exception_fp_denorm_src 0
		.amdhsa_exception_fp_ieee_div_zero 0
		.amdhsa_exception_fp_ieee_overflow 0
		.amdhsa_exception_fp_ieee_underflow 0
		.amdhsa_exception_fp_ieee_inexact 0
		.amdhsa_exception_int_div_zero 0
	.end_amdhsa_kernel
	.section	.text._ZN9rocsolver6v33100L18getri_kernel_smallILi40EdPdEEvT1_iilPiilS4_bb,"axG",@progbits,_ZN9rocsolver6v33100L18getri_kernel_smallILi40EdPdEEvT1_iilPiilS4_bb,comdat
.Lfunc_end39:
	.size	_ZN9rocsolver6v33100L18getri_kernel_smallILi40EdPdEEvT1_iilPiilS4_bb, .Lfunc_end39-_ZN9rocsolver6v33100L18getri_kernel_smallILi40EdPdEEvT1_iilPiilS4_bb
                                        ; -- End function
	.section	.AMDGPU.csdata,"",@progbits
; Kernel info:
; codeLenInByte = 42912
; NumSgprs: 29
; NumVgprs: 126
; NumAgprs: 0
; TotalNumVgprs: 126
; ScratchSize: 336
; MemoryBound: 0
; FloatMode: 240
; IeeeMode: 1
; LDSByteSize: 648 bytes/workgroup (compile time only)
; SGPRBlocks: 3
; VGPRBlocks: 15
; NumSGPRsForWavesPerEU: 29
; NumVGPRsForWavesPerEU: 126
; AccumOffset: 128
; Occupancy: 4
; WaveLimiterHint : 1
; COMPUTE_PGM_RSRC2:SCRATCH_EN: 1
; COMPUTE_PGM_RSRC2:USER_SGPR: 8
; COMPUTE_PGM_RSRC2:TRAP_HANDLER: 0
; COMPUTE_PGM_RSRC2:TGID_X_EN: 1
; COMPUTE_PGM_RSRC2:TGID_Y_EN: 0
; COMPUTE_PGM_RSRC2:TGID_Z_EN: 0
; COMPUTE_PGM_RSRC2:TIDIG_COMP_CNT: 0
; COMPUTE_PGM_RSRC3_GFX90A:ACCUM_OFFSET: 31
; COMPUTE_PGM_RSRC3_GFX90A:TG_SPLIT: 0
	.section	.text._ZN9rocsolver6v33100L18getri_kernel_smallILi41EdPdEEvT1_iilPiilS4_bb,"axG",@progbits,_ZN9rocsolver6v33100L18getri_kernel_smallILi41EdPdEEvT1_iilPiilS4_bb,comdat
	.globl	_ZN9rocsolver6v33100L18getri_kernel_smallILi41EdPdEEvT1_iilPiilS4_bb ; -- Begin function _ZN9rocsolver6v33100L18getri_kernel_smallILi41EdPdEEvT1_iilPiilS4_bb
	.p2align	8
	.type	_ZN9rocsolver6v33100L18getri_kernel_smallILi41EdPdEEvT1_iilPiilS4_bb,@function
_ZN9rocsolver6v33100L18getri_kernel_smallILi41EdPdEEvT1_iilPiilS4_bb: ; @_ZN9rocsolver6v33100L18getri_kernel_smallILi41EdPdEEvT1_iilPiilS4_bb
; %bb.0:
	s_add_u32 flat_scratch_lo, s6, s9
	s_addc_u32 flat_scratch_hi, s7, 0
	s_add_u32 s0, s0, s9
	s_addc_u32 s1, s1, 0
	v_cmp_gt_u32_e32 vcc, 41, v0
	s_and_saveexec_b64 s[6:7], vcc
	s_cbranch_execz .LBB40_172
; %bb.1:
	s_load_dword s22, s[4:5], 0x38
	s_load_dwordx4 s[16:19], s[4:5], 0x10
	s_load_dwordx4 s[12:15], s[4:5], 0x28
                                        ; implicit-def: $sgpr10_sgpr11
	s_waitcnt lgkmcnt(0)
	s_bitcmp1_b32 s22, 8
	s_cselect_b64 s[20:21], -1, 0
	s_ashr_i32 s9, s8, 31
	s_bfe_u32 s6, s22, 0x10008
	s_cmp_eq_u32 s6, 0
	s_cbranch_scc1 .LBB40_3
; %bb.2:
	s_load_dword s6, s[4:5], 0x20
	s_mul_i32 s7, s8, s13
	s_mul_hi_u32 s10, s8, s12
	s_mul_i32 s11, s9, s12
	s_add_i32 s10, s10, s7
	s_add_i32 s11, s10, s11
	s_mul_i32 s10, s8, s12
	s_waitcnt lgkmcnt(0)
	s_ashr_i32 s7, s6, 31
	s_lshl_b64 s[10:11], s[10:11], 2
	s_add_u32 s10, s18, s10
	s_addc_u32 s11, s19, s11
	s_lshl_b64 s[6:7], s[6:7], 2
	s_add_u32 s10, s10, s6
	s_addc_u32 s11, s11, s7
.LBB40_3:
	s_load_dwordx4 s[4:7], s[4:5], 0x0
	s_mul_i32 s12, s8, s17
	s_mul_hi_u32 s13, s8, s16
	s_add_i32 s17, s13, s12
	s_waitcnt lgkmcnt(0)
	s_ashr_i32 s13, s6, 31
	s_mov_b32 s12, s6
	s_mul_i32 s6, s9, s16
	s_add_i32 s17, s17, s6
	s_mul_i32 s16, s8, s16
	s_lshl_b64 s[16:17], s[16:17], 3
	s_add_u32 s6, s4, s16
	s_addc_u32 s16, s5, s17
	s_lshl_b64 s[4:5], s[12:13], 3
	s_add_u32 s4, s6, s4
	s_addc_u32 s5, s16, s5
	s_add_i32 s6, s7, s7
	v_add_u32_e32 v4, s6, v0
	v_ashrrev_i32_e32 v5, 31, v4
	v_lshlrev_b64 v[2:3], 3, v[4:5]
	v_add_u32_e32 v6, s7, v4
	v_mov_b32_e32 v1, s5
	v_add_co_u32_e32 v2, vcc, s4, v2
	v_ashrrev_i32_e32 v7, 31, v6
	v_addc_co_u32_e32 v3, vcc, v1, v3, vcc
	v_lshlrev_b64 v[4:5], 3, v[6:7]
	v_add_u32_e32 v8, s7, v6
	v_add_co_u32_e32 v4, vcc, s4, v4
	v_ashrrev_i32_e32 v9, 31, v8
	v_addc_co_u32_e32 v5, vcc, v1, v5, vcc
	v_lshlrev_b64 v[6:7], 3, v[8:9]
	v_add_u32_e32 v10, s7, v8
	;; [unrolled: 5-line block ×5, first 2 shown]
	v_add_co_u32_e32 v12, vcc, s4, v12
	v_ashrrev_i32_e32 v15, 31, v14
	v_addc_co_u32_e32 v13, vcc, v1, v13, vcc
	v_lshlrev_b64 v[16:17], 3, v[14:15]
	v_add_co_u32_e32 v18, vcc, s4, v16
	v_add_u32_e32 v16, s7, v14
	v_addc_co_u32_e32 v19, vcc, v1, v17, vcc
	v_ashrrev_i32_e32 v17, 31, v16
	v_lshlrev_b64 v[14:15], 3, v[16:17]
	v_add_u32_e32 v20, s7, v16
	v_add_co_u32_e32 v14, vcc, s4, v14
	v_ashrrev_i32_e32 v21, 31, v20
	v_addc_co_u32_e32 v15, vcc, v1, v15, vcc
	v_lshlrev_b64 v[16:17], 3, v[20:21]
	v_add_u32_e32 v22, s7, v20
	v_add_co_u32_e32 v16, vcc, s4, v16
	v_ashrrev_i32_e32 v23, 31, v22
	v_addc_co_u32_e32 v17, vcc, v1, v17, vcc
	;; [unrolled: 5-line block ×25, first 2 shown]
	v_lshlrev_b64 v[66:67], 3, v[68:69]
	v_add_co_u32_e32 v66, vcc, s4, v66
	v_addc_co_u32_e32 v67, vcc, v1, v67, vcc
	v_lshlrev_b32_e32 v1, 3, v0
	global_load_dwordx2 v[84:85], v1, s[4:5]
	global_load_dwordx2 v[88:89], v[2:3], off
	global_load_dwordx2 v[90:91], v[4:5], off
	v_add_u32_e32 v70, s7, v68
	v_ashrrev_i32_e32 v71, 31, v70
	v_lshlrev_b64 v[68:69], 3, v[70:71]
	v_mov_b32_e32 v72, s5
	v_add_co_u32_e32 v68, vcc, s4, v68
	v_addc_co_u32_e32 v69, vcc, v72, v69, vcc
	v_add_u32_e32 v72, s7, v70
	v_ashrrev_i32_e32 v73, 31, v72
	v_lshlrev_b64 v[70:71], 3, v[72:73]
	v_mov_b32_e32 v74, s5
	v_add_co_u32_e32 v70, vcc, s4, v70
	v_addc_co_u32_e32 v71, vcc, v74, v71, vcc
	v_mov_b32_e32 v73, s5
	v_add_co_u32_e32 v82, vcc, s4, v1
	s_ashr_i32 s13, s7, 31
	s_mov_b32 s12, s7
	v_addc_co_u32_e32 v83, vcc, 0, v73, vcc
	s_lshl_b64 s[12:13], s[12:13], 3
	v_mov_b32_e32 v73, s13
	v_add_co_u32_e32 v80, vcc, s12, v82
	v_addc_co_u32_e32 v81, vcc, v83, v73, vcc
	global_load_dwordx2 v[86:87], v[80:81], off
	global_load_dwordx2 v[92:93], v[6:7], off
	;; [unrolled: 1-line block ×9, first 2 shown]
	v_add_u32_e32 v72, s7, v72
	global_load_dwordx2 v[108:109], v[22:23], off
	global_load_dwordx2 v[110:111], v[24:25], off
	v_ashrrev_i32_e32 v73, 31, v72
	v_lshlrev_b64 v[74:75], 3, v[72:73]
	v_add_u32_e32 v72, s7, v72
	v_mov_b32_e32 v76, s5
	v_add_co_u32_e32 v74, vcc, s4, v74
	v_ashrrev_i32_e32 v73, 31, v72
	v_addc_co_u32_e32 v75, vcc, v76, v75, vcc
	v_lshlrev_b64 v[76:77], 3, v[72:73]
	v_add_u32_e32 v72, s7, v72
	v_mov_b32_e32 v78, s5
	v_add_co_u32_e32 v76, vcc, s4, v76
	v_ashrrev_i32_e32 v73, 31, v72
	global_load_dwordx2 v[112:113], v[26:27], off
	global_load_dwordx2 v[114:115], v[28:29], off
	v_addc_co_u32_e32 v77, vcc, v78, v77, vcc
	v_lshlrev_b64 v[78:79], 3, v[72:73]
	v_mov_b32_e32 v116, s5
	v_add_co_u32_e32 v78, vcc, s4, v78
	v_addc_co_u32_e32 v79, vcc, v116, v79, vcc
	global_load_dwordx2 v[116:117], v[30:31], off
	global_load_dwordx2 v[118:119], v[32:33], off
	v_add_u32_e32 v72, s7, v72
	v_ashrrev_i32_e32 v73, 31, v72
	v_lshlrev_b64 v[72:73], 3, v[72:73]
	v_mov_b32_e32 v120, s5
	v_add_co_u32_e32 v72, vcc, s4, v72
	v_addc_co_u32_e32 v73, vcc, v120, v73, vcc
	global_load_dwordx2 v[120:121], v[34:35], off
	global_load_dwordx2 v[122:123], v[36:37], off
	s_waitcnt vmcnt(19)
	buffer_store_dword v85, off, s[0:3], 0 offset:4
	buffer_store_dword v84, off, s[0:3], 0
	global_load_dwordx2 v[84:85], v[38:39], off
	s_waitcnt vmcnt(19)
	buffer_store_dword v87, off, s[0:3], 0 offset:12
	buffer_store_dword v86, off, s[0:3], 0 offset:8
	;; [unrolled: 1-line block ×6, first 2 shown]
	s_waitcnt vmcnt(24)
	buffer_store_dword v93, off, s[0:3], 0 offset:36
	buffer_store_dword v92, off, s[0:3], 0 offset:32
	s_waitcnt vmcnt(25)
	buffer_store_dword v95, off, s[0:3], 0 offset:44
	buffer_store_dword v94, off, s[0:3], 0 offset:40
	;; [unrolled: 3-line block ×7, first 2 shown]
	buffer_store_dword v106, off, s[0:3], 0 offset:88
	global_load_dwordx2 v[86:87], v[40:41], off
	global_load_dwordx2 v[88:89], v[42:43], off
	;; [unrolled: 1-line block ×10, first 2 shown]
	s_bitcmp0_b32 s22, 0
	buffer_store_dword v107, off, s[0:3], 0 offset:92
	global_load_dwordx2 v[106:107], v[60:61], off
	s_mov_b64 s[6:7], -1
	s_waitcnt vmcnt(43)
	buffer_store_dword v108, off, s[0:3], 0 offset:96
	buffer_store_dword v109, off, s[0:3], 0 offset:100
	global_load_dwordx2 v[108:109], v[62:63], off
	s_waitcnt vmcnt(45)
	buffer_store_dword v110, off, s[0:3], 0 offset:104
	buffer_store_dword v111, off, s[0:3], 0 offset:108
	global_load_dwordx2 v[110:111], v[64:65], off
	;; [unrolled: 4-line block ×9, first 2 shown]
	s_waitcnt vmcnt(38)
	buffer_store_dword v86, off, s[0:3], 0 offset:168
	buffer_store_dword v87, off, s[0:3], 0 offset:172
	s_waitcnt vmcnt(39)
	buffer_store_dword v88, off, s[0:3], 0 offset:176
	buffer_store_dword v89, off, s[0:3], 0 offset:180
	;; [unrolled: 3-line block ×20, first 2 shown]
	s_cbranch_scc1 .LBB40_170
; %bb.4:
	v_cmp_eq_u32_e64 s[4:5], 0, v0
	s_and_saveexec_b64 s[6:7], s[4:5]
	s_cbranch_execz .LBB40_6
; %bb.5:
	v_mov_b32_e32 v84, 0
	ds_write_b32 v84, v84 offset:328
.LBB40_6:
	s_or_b64 exec, exec, s[6:7]
	v_mov_b32_e32 v84, 0
	v_lshl_add_u32 v84, v0, 3, v84
	s_waitcnt lgkmcnt(0)
	; wave barrier
	s_waitcnt lgkmcnt(0)
	buffer_load_dword v86, v84, s[0:3], 0 offen
	buffer_load_dword v87, v84, s[0:3], 0 offen offset:4
	s_waitcnt vmcnt(0)
	v_cmp_eq_f64_e32 vcc, 0, v[86:87]
	s_and_saveexec_b64 s[12:13], vcc
	s_cbranch_execz .LBB40_10
; %bb.7:
	v_mov_b32_e32 v85, 0
	ds_read_b32 v87, v85 offset:328
	v_add_u32_e32 v86, 1, v0
	s_waitcnt lgkmcnt(0)
	v_readfirstlane_b32 s6, v87
	s_cmp_eq_u32 s6, 0
	s_cselect_b64 s[16:17], -1, 0
	v_cmp_gt_i32_e32 vcc, s6, v86
	s_or_b64 s[16:17], s[16:17], vcc
	s_and_b64 exec, exec, s[16:17]
	s_cbranch_execz .LBB40_10
; %bb.8:
	s_mov_b64 s[16:17], 0
	v_mov_b32_e32 v87, s6
.LBB40_9:                               ; =>This Inner Loop Header: Depth=1
	ds_cmpst_rtn_b32 v87, v85, v87, v86 offset:328
	s_waitcnt lgkmcnt(0)
	v_cmp_ne_u32_e32 vcc, 0, v87
	v_cmp_le_i32_e64 s[6:7], v87, v86
	s_and_b64 s[6:7], vcc, s[6:7]
	s_and_b64 s[6:7], exec, s[6:7]
	s_or_b64 s[16:17], s[6:7], s[16:17]
	s_andn2_b64 exec, exec, s[16:17]
	s_cbranch_execnz .LBB40_9
.LBB40_10:
	s_or_b64 exec, exec, s[12:13]
	v_mov_b32_e32 v86, 0
	s_waitcnt lgkmcnt(0)
	; wave barrier
	ds_read_b32 v85, v86 offset:328
	s_and_saveexec_b64 s[6:7], s[4:5]
	s_cbranch_execz .LBB40_12
; %bb.11:
	s_lshl_b64 s[12:13], s[8:9], 2
	s_add_u32 s12, s14, s12
	s_addc_u32 s13, s15, s13
	s_waitcnt lgkmcnt(0)
	global_store_dword v86, v85, s[12:13]
.LBB40_12:
	s_or_b64 exec, exec, s[6:7]
	s_waitcnt lgkmcnt(0)
	v_cmp_ne_u32_e32 vcc, 0, v85
	s_mov_b64 s[6:7], 0
	s_cbranch_vccnz .LBB40_170
; %bb.13:
	buffer_load_dword v86, v84, s[0:3], 0 offen
	buffer_load_dword v87, v84, s[0:3], 0 offen offset:4
	s_waitcnt vmcnt(0)
	v_div_scale_f64 v[88:89], s[6:7], v[86:87], v[86:87], 1.0
	v_rcp_f64_e32 v[90:91], v[88:89]
	v_div_scale_f64 v[92:93], vcc, 1.0, v[86:87], 1.0
	v_fma_f64 v[94:95], -v[88:89], v[90:91], 1.0
	v_fmac_f64_e32 v[90:91], v[90:91], v[94:95]
	v_fma_f64 v[94:95], -v[88:89], v[90:91], 1.0
	v_fmac_f64_e32 v[90:91], v[90:91], v[94:95]
	v_mul_f64 v[94:95], v[92:93], v[90:91]
	v_fma_f64 v[88:89], -v[88:89], v[94:95], v[92:93]
	v_div_fmas_f64 v[88:89], v[88:89], v[90:91], v[94:95]
	v_div_fixup_f64 v[88:89], v[88:89], v[86:87], 1.0
	buffer_store_dword v89, v84, s[0:3], 0 offen offset:4
	buffer_store_dword v88, v84, s[0:3], 0 offen
	buffer_load_dword v91, off, s[0:3], 0 offset:12
	buffer_load_dword v90, off, s[0:3], 0 offset:8
	v_add_u32_e32 v86, 0x150, v1
	v_xor_b32_e32 v89, 0x80000000, v89
	s_waitcnt vmcnt(0)
	ds_write2_b64 v1, v[88:89], v[90:91] offset1:42
	s_waitcnt lgkmcnt(0)
	; wave barrier
	s_waitcnt lgkmcnt(0)
	s_and_saveexec_b64 s[6:7], s[4:5]
	s_cbranch_execz .LBB40_15
; %bb.14:
	buffer_load_dword v88, v84, s[0:3], 0 offen
	buffer_load_dword v89, v84, s[0:3], 0 offen offset:4
	v_mov_b32_e32 v85, 0
	ds_read_b64 v[90:91], v86
	ds_read_b64 v[92:93], v85 offset:8
	s_waitcnt vmcnt(0) lgkmcnt(1)
	v_fma_f64 v[88:89], v[88:89], v[90:91], 0
	s_waitcnt lgkmcnt(0)
	v_mul_f64 v[88:89], v[88:89], v[92:93]
	buffer_store_dword v88, off, s[0:3], 0 offset:8
	buffer_store_dword v89, off, s[0:3], 0 offset:12
.LBB40_15:
	s_or_b64 exec, exec, s[6:7]
	s_waitcnt lgkmcnt(0)
	; wave barrier
	buffer_load_dword v88, off, s[0:3], 0 offset:16
	buffer_load_dword v89, off, s[0:3], 0 offset:20
	v_cmp_gt_u32_e32 vcc, 2, v0
	s_waitcnt vmcnt(0)
	ds_write_b64 v86, v[88:89]
	s_waitcnt lgkmcnt(0)
	; wave barrier
	s_waitcnt lgkmcnt(0)
	s_and_saveexec_b64 s[6:7], vcc
	s_cbranch_execz .LBB40_17
; %bb.16:
	buffer_load_dword v85, v84, s[0:3], 0 offen offset:4
	buffer_load_dword v92, off, s[0:3], 0 offset:8
	s_nop 0
	buffer_load_dword v84, v84, s[0:3], 0 offen
	s_nop 0
	buffer_load_dword v93, off, s[0:3], 0 offset:12
	ds_read_b64 v[94:95], v86
	v_mov_b32_e32 v87, 0
	ds_read2_b64 v[88:91], v87 offset0:2 offset1:43
	s_waitcnt vmcnt(1) lgkmcnt(1)
	v_fma_f64 v[84:85], v[84:85], v[94:95], 0
	s_waitcnt vmcnt(0) lgkmcnt(0)
	v_fma_f64 v[90:91], v[92:93], v[90:91], v[84:85]
	v_cndmask_b32_e64 v85, v85, v91, s[4:5]
	v_cndmask_b32_e64 v84, v84, v90, s[4:5]
	v_mul_f64 v[84:85], v[84:85], v[88:89]
	buffer_store_dword v85, off, s[0:3], 0 offset:20
	buffer_store_dword v84, off, s[0:3], 0 offset:16
.LBB40_17:
	s_or_b64 exec, exec, s[6:7]
	s_waitcnt lgkmcnt(0)
	; wave barrier
	buffer_load_dword v84, off, s[0:3], 0 offset:24
	buffer_load_dword v85, off, s[0:3], 0 offset:28
	v_cmp_gt_u32_e32 vcc, 3, v0
	v_add_u32_e32 v87, -1, v0
	s_waitcnt vmcnt(0)
	ds_write_b64 v86, v[84:85]
	s_waitcnt lgkmcnt(0)
	; wave barrier
	s_waitcnt lgkmcnt(0)
	s_and_saveexec_b64 s[4:5], vcc
	s_cbranch_execz .LBB40_21
; %bb.18:
	v_add_u32_e32 v88, -1, v0
	v_add_u32_e32 v89, 0x150, v1
	v_add_u32_e32 v90, 0, v1
	s_mov_b64 s[6:7], 0
	v_pk_mov_b32 v[84:85], 0, 0
.LBB40_19:                              ; =>This Inner Loop Header: Depth=1
	buffer_load_dword v92, v90, s[0:3], 0 offen
	buffer_load_dword v93, v90, s[0:3], 0 offen offset:4
	ds_read_b64 v[94:95], v89
	v_add_u32_e32 v88, 1, v88
	v_cmp_lt_u32_e32 vcc, 1, v88
	v_add_u32_e32 v89, 8, v89
	v_add_u32_e32 v90, 8, v90
	s_or_b64 s[6:7], vcc, s[6:7]
	s_waitcnt vmcnt(0) lgkmcnt(0)
	v_fmac_f64_e32 v[84:85], v[92:93], v[94:95]
	s_andn2_b64 exec, exec, s[6:7]
	s_cbranch_execnz .LBB40_19
; %bb.20:
	s_or_b64 exec, exec, s[6:7]
	v_mov_b32_e32 v88, 0
	ds_read_b64 v[88:89], v88 offset:24
	s_waitcnt lgkmcnt(0)
	v_mul_f64 v[84:85], v[84:85], v[88:89]
	buffer_store_dword v85, off, s[0:3], 0 offset:28
	buffer_store_dword v84, off, s[0:3], 0 offset:24
.LBB40_21:
	s_or_b64 exec, exec, s[4:5]
	s_waitcnt lgkmcnt(0)
	; wave barrier
	buffer_load_dword v84, off, s[0:3], 0 offset:32
	buffer_load_dword v85, off, s[0:3], 0 offset:36
	v_cmp_gt_u32_e32 vcc, 4, v0
	s_waitcnt vmcnt(0)
	ds_write_b64 v86, v[84:85]
	s_waitcnt lgkmcnt(0)
	; wave barrier
	s_waitcnt lgkmcnt(0)
	s_and_saveexec_b64 s[4:5], vcc
	s_cbranch_execz .LBB40_25
; %bb.22:
	v_add_u32_e32 v88, -1, v0
	v_add_u32_e32 v89, 0x150, v1
	v_add_u32_e32 v90, 0, v1
	s_mov_b64 s[6:7], 0
	v_pk_mov_b32 v[84:85], 0, 0
.LBB40_23:                              ; =>This Inner Loop Header: Depth=1
	buffer_load_dword v92, v90, s[0:3], 0 offen
	buffer_load_dword v93, v90, s[0:3], 0 offen offset:4
	ds_read_b64 v[94:95], v89
	v_add_u32_e32 v88, 1, v88
	v_cmp_lt_u32_e32 vcc, 2, v88
	v_add_u32_e32 v89, 8, v89
	v_add_u32_e32 v90, 8, v90
	s_or_b64 s[6:7], vcc, s[6:7]
	s_waitcnt vmcnt(0) lgkmcnt(0)
	v_fmac_f64_e32 v[84:85], v[92:93], v[94:95]
	s_andn2_b64 exec, exec, s[6:7]
	s_cbranch_execnz .LBB40_23
; %bb.24:
	s_or_b64 exec, exec, s[6:7]
	v_mov_b32_e32 v88, 0
	ds_read_b64 v[88:89], v88 offset:32
	s_waitcnt lgkmcnt(0)
	v_mul_f64 v[84:85], v[84:85], v[88:89]
	buffer_store_dword v85, off, s[0:3], 0 offset:36
	buffer_store_dword v84, off, s[0:3], 0 offset:32
.LBB40_25:
	s_or_b64 exec, exec, s[4:5]
	s_waitcnt lgkmcnt(0)
	; wave barrier
	buffer_load_dword v84, off, s[0:3], 0 offset:40
	buffer_load_dword v85, off, s[0:3], 0 offset:44
	v_cmp_gt_u32_e32 vcc, 5, v0
	;; [unrolled: 41-line block ×21, first 2 shown]
	s_waitcnt vmcnt(0)
	ds_write_b64 v86, v[84:85]
	s_waitcnt lgkmcnt(0)
	; wave barrier
	s_waitcnt lgkmcnt(0)
	s_and_saveexec_b64 s[4:5], vcc
	s_cbranch_execz .LBB40_105
; %bb.102:
	v_add_u32_e32 v88, -1, v0
	v_add_u32_e32 v89, 0x150, v1
	v_add_u32_e32 v90, 0, v1
	s_mov_b64 s[6:7], 0
	v_pk_mov_b32 v[84:85], 0, 0
.LBB40_103:                             ; =>This Inner Loop Header: Depth=1
	buffer_load_dword v92, v90, s[0:3], 0 offen
	buffer_load_dword v93, v90, s[0:3], 0 offen offset:4
	ds_read_b64 v[94:95], v89
	v_add_u32_e32 v88, 1, v88
	v_cmp_lt_u32_e32 vcc, 22, v88
	v_add_u32_e32 v89, 8, v89
	v_add_u32_e32 v90, 8, v90
	s_or_b64 s[6:7], vcc, s[6:7]
	s_waitcnt vmcnt(0) lgkmcnt(0)
	v_fmac_f64_e32 v[84:85], v[92:93], v[94:95]
	s_andn2_b64 exec, exec, s[6:7]
	s_cbranch_execnz .LBB40_103
; %bb.104:
	s_or_b64 exec, exec, s[6:7]
	v_mov_b32_e32 v88, 0
	ds_read_b64 v[88:89], v88 offset:192
	s_waitcnt lgkmcnt(0)
	v_mul_f64 v[84:85], v[84:85], v[88:89]
	buffer_store_dword v85, off, s[0:3], 0 offset:196
	buffer_store_dword v84, off, s[0:3], 0 offset:192
.LBB40_105:
	s_or_b64 exec, exec, s[4:5]
	s_waitcnt lgkmcnt(0)
	; wave barrier
	buffer_load_dword v84, off, s[0:3], 0 offset:200
	buffer_load_dword v85, off, s[0:3], 0 offset:204
	v_cmp_gt_u32_e32 vcc, 25, v0
	s_waitcnt vmcnt(0)
	ds_write_b64 v86, v[84:85]
	s_waitcnt lgkmcnt(0)
	; wave barrier
	s_waitcnt lgkmcnt(0)
	s_and_saveexec_b64 s[4:5], vcc
	s_cbranch_execz .LBB40_109
; %bb.106:
	v_add_u32_e32 v88, -1, v0
	v_add_u32_e32 v89, 0x150, v1
	v_add_u32_e32 v90, 0, v1
	s_mov_b64 s[6:7], 0
	v_pk_mov_b32 v[84:85], 0, 0
.LBB40_107:                             ; =>This Inner Loop Header: Depth=1
	buffer_load_dword v92, v90, s[0:3], 0 offen
	buffer_load_dword v93, v90, s[0:3], 0 offen offset:4
	ds_read_b64 v[94:95], v89
	v_add_u32_e32 v88, 1, v88
	v_cmp_lt_u32_e32 vcc, 23, v88
	v_add_u32_e32 v89, 8, v89
	v_add_u32_e32 v90, 8, v90
	s_or_b64 s[6:7], vcc, s[6:7]
	s_waitcnt vmcnt(0) lgkmcnt(0)
	v_fmac_f64_e32 v[84:85], v[92:93], v[94:95]
	s_andn2_b64 exec, exec, s[6:7]
	s_cbranch_execnz .LBB40_107
; %bb.108:
	s_or_b64 exec, exec, s[6:7]
	v_mov_b32_e32 v88, 0
	ds_read_b64 v[88:89], v88 offset:200
	s_waitcnt lgkmcnt(0)
	v_mul_f64 v[84:85], v[84:85], v[88:89]
	buffer_store_dword v85, off, s[0:3], 0 offset:204
	buffer_store_dword v84, off, s[0:3], 0 offset:200
.LBB40_109:
	s_or_b64 exec, exec, s[4:5]
	s_waitcnt lgkmcnt(0)
	; wave barrier
	buffer_load_dword v84, off, s[0:3], 0 offset:208
	buffer_load_dword v85, off, s[0:3], 0 offset:212
	v_cmp_gt_u32_e32 vcc, 26, v0
	;; [unrolled: 41-line block ×15, first 2 shown]
	s_waitcnt vmcnt(0)
	ds_write_b64 v86, v[84:85]
	s_waitcnt lgkmcnt(0)
	; wave barrier
	s_waitcnt lgkmcnt(0)
	s_and_saveexec_b64 s[4:5], vcc
	s_cbranch_execz .LBB40_165
; %bb.162:
	v_add_u32_e32 v88, -1, v0
	v_add_u32_e32 v89, 0x150, v1
	v_add_u32_e32 v90, 0, v1
	s_mov_b64 s[6:7], 0
	v_pk_mov_b32 v[84:85], 0, 0
.LBB40_163:                             ; =>This Inner Loop Header: Depth=1
	buffer_load_dword v92, v90, s[0:3], 0 offen
	buffer_load_dword v93, v90, s[0:3], 0 offen offset:4
	ds_read_b64 v[94:95], v89
	v_add_u32_e32 v88, 1, v88
	v_cmp_lt_u32_e32 vcc, 37, v88
	v_add_u32_e32 v89, 8, v89
	v_add_u32_e32 v90, 8, v90
	s_or_b64 s[6:7], vcc, s[6:7]
	s_waitcnt vmcnt(0) lgkmcnt(0)
	v_fmac_f64_e32 v[84:85], v[92:93], v[94:95]
	s_andn2_b64 exec, exec, s[6:7]
	s_cbranch_execnz .LBB40_163
; %bb.164:
	s_or_b64 exec, exec, s[6:7]
	v_mov_b32_e32 v88, 0
	ds_read_b64 v[88:89], v88 offset:312
	s_waitcnt lgkmcnt(0)
	v_mul_f64 v[84:85], v[84:85], v[88:89]
	buffer_store_dword v85, off, s[0:3], 0 offset:316
	buffer_store_dword v84, off, s[0:3], 0 offset:312
.LBB40_165:
	s_or_b64 exec, exec, s[4:5]
	s_waitcnt lgkmcnt(0)
	; wave barrier
	buffer_load_dword v84, off, s[0:3], 0 offset:320
	buffer_load_dword v85, off, s[0:3], 0 offset:324
	v_cmp_ne_u32_e32 vcc, 40, v0
	s_waitcnt vmcnt(0)
	ds_write_b64 v86, v[84:85]
	s_waitcnt lgkmcnt(0)
	; wave barrier
	s_waitcnt lgkmcnt(0)
	s_and_saveexec_b64 s[4:5], vcc
	s_cbranch_execz .LBB40_169
; %bb.166:
	v_add_u32_e32 v86, 0x150, v1
	v_add_u32_e32 v1, 0, v1
	s_mov_b64 s[6:7], 0
	v_pk_mov_b32 v[84:85], 0, 0
.LBB40_167:                             ; =>This Inner Loop Header: Depth=1
	buffer_load_dword v88, v1, s[0:3], 0 offen
	buffer_load_dword v89, v1, s[0:3], 0 offen offset:4
	ds_read_b64 v[90:91], v86
	v_add_u32_e32 v87, 1, v87
	v_cmp_lt_u32_e32 vcc, 38, v87
	v_add_u32_e32 v86, 8, v86
	v_add_u32_e32 v1, 8, v1
	s_or_b64 s[6:7], vcc, s[6:7]
	s_waitcnt vmcnt(0) lgkmcnt(0)
	v_fmac_f64_e32 v[84:85], v[88:89], v[90:91]
	s_andn2_b64 exec, exec, s[6:7]
	s_cbranch_execnz .LBB40_167
; %bb.168:
	s_or_b64 exec, exec, s[6:7]
	v_mov_b32_e32 v1, 0
	ds_read_b64 v[86:87], v1 offset:320
	s_waitcnt lgkmcnt(0)
	v_mul_f64 v[84:85], v[84:85], v[86:87]
	buffer_store_dword v85, off, s[0:3], 0 offset:324
	buffer_store_dword v84, off, s[0:3], 0 offset:320
.LBB40_169:
	s_or_b64 exec, exec, s[4:5]
	s_mov_b64 s[6:7], -1
	s_waitcnt lgkmcnt(0)
	; wave barrier
.LBB40_170:
	s_and_b64 vcc, exec, s[6:7]
	s_cbranch_vccz .LBB40_172
; %bb.171:
	s_lshl_b64 s[4:5], s[8:9], 2
	s_add_u32 s4, s14, s4
	s_addc_u32 s5, s15, s5
	v_mov_b32_e32 v1, 0
	global_load_dword v1, v1, s[4:5]
	s_waitcnt vmcnt(0)
	v_cmp_ne_u32_e32 vcc, 0, v1
	s_cbranch_vccz .LBB40_173
.LBB40_172:
	s_endpgm
.LBB40_173:
	v_mov_b32_e32 v1, 0x150
	v_lshl_add_u32 v1, v0, 3, v1
	v_cmp_eq_u32_e32 vcc, 40, v0
	s_and_saveexec_b64 s[4:5], vcc
	s_cbranch_execz .LBB40_175
; %bb.174:
	buffer_load_dword v84, off, s[0:3], 0 offset:312
	buffer_load_dword v85, off, s[0:3], 0 offset:316
	v_mov_b32_e32 v86, 0
	buffer_store_dword v86, off, s[0:3], 0 offset:312
	buffer_store_dword v86, off, s[0:3], 0 offset:316
	s_waitcnt vmcnt(2)
	ds_write_b64 v1, v[84:85]
.LBB40_175:
	s_or_b64 exec, exec, s[4:5]
	s_waitcnt lgkmcnt(0)
	; wave barrier
	s_waitcnt lgkmcnt(0)
	buffer_load_dword v86, off, s[0:3], 0 offset:320
	buffer_load_dword v87, off, s[0:3], 0 offset:324
	;; [unrolled: 1-line block ×4, first 2 shown]
	v_mov_b32_e32 v84, 0
	ds_read_b64 v[90:91], v84 offset:656
	v_cmp_lt_u32_e32 vcc, 38, v0
	s_waitcnt vmcnt(2) lgkmcnt(0)
	v_fma_f64 v[86:87], v[86:87], v[90:91], 0
	s_waitcnt vmcnt(0)
	v_add_f64 v[86:87], v[88:89], -v[86:87]
	buffer_store_dword v86, off, s[0:3], 0 offset:312
	buffer_store_dword v87, off, s[0:3], 0 offset:316
	s_and_saveexec_b64 s[4:5], vcc
	s_cbranch_execz .LBB40_177
; %bb.176:
	buffer_load_dword v86, off, s[0:3], 0 offset:304
	buffer_load_dword v87, off, s[0:3], 0 offset:308
	s_waitcnt vmcnt(0)
	ds_write_b64 v1, v[86:87]
	buffer_store_dword v84, off, s[0:3], 0 offset:304
	buffer_store_dword v84, off, s[0:3], 0 offset:308
.LBB40_177:
	s_or_b64 exec, exec, s[4:5]
	s_waitcnt lgkmcnt(0)
	; wave barrier
	s_waitcnt lgkmcnt(0)
	buffer_load_dword v88, off, s[0:3], 0 offset:312
	buffer_load_dword v89, off, s[0:3], 0 offset:316
	;; [unrolled: 1-line block ×6, first 2 shown]
	ds_read2_b64 v[84:87], v84 offset0:81 offset1:82
	v_cmp_lt_u32_e32 vcc, 37, v0
	s_waitcnt vmcnt(4) lgkmcnt(0)
	v_fma_f64 v[84:85], v[88:89], v[84:85], 0
	s_waitcnt vmcnt(2)
	v_fmac_f64_e32 v[84:85], v[90:91], v[86:87]
	s_waitcnt vmcnt(0)
	v_add_f64 v[84:85], v[92:93], -v[84:85]
	buffer_store_dword v84, off, s[0:3], 0 offset:304
	buffer_store_dword v85, off, s[0:3], 0 offset:308
	s_and_saveexec_b64 s[4:5], vcc
	s_cbranch_execz .LBB40_179
; %bb.178:
	buffer_load_dword v84, off, s[0:3], 0 offset:296
	buffer_load_dword v85, off, s[0:3], 0 offset:300
	v_mov_b32_e32 v86, 0
	buffer_store_dword v86, off, s[0:3], 0 offset:296
	buffer_store_dword v86, off, s[0:3], 0 offset:300
	s_waitcnt vmcnt(2)
	ds_write_b64 v1, v[84:85]
.LBB40_179:
	s_or_b64 exec, exec, s[4:5]
	s_waitcnt lgkmcnt(0)
	; wave barrier
	s_waitcnt lgkmcnt(0)
	buffer_load_dword v90, off, s[0:3], 0 offset:304
	buffer_load_dword v91, off, s[0:3], 0 offset:308
	;; [unrolled: 1-line block ×8, first 2 shown]
	v_mov_b32_e32 v84, 0
	ds_read_b128 v[86:89], v84 offset:640
	ds_read_b64 v[98:99], v84 offset:656
	v_cmp_lt_u32_e32 vcc, 36, v0
	s_waitcnt vmcnt(6) lgkmcnt(1)
	v_fma_f64 v[86:87], v[90:91], v[86:87], 0
	s_waitcnt vmcnt(4)
	v_fmac_f64_e32 v[86:87], v[92:93], v[88:89]
	s_waitcnt vmcnt(2) lgkmcnt(0)
	v_fmac_f64_e32 v[86:87], v[94:95], v[98:99]
	s_waitcnt vmcnt(0)
	v_add_f64 v[86:87], v[96:97], -v[86:87]
	buffer_store_dword v86, off, s[0:3], 0 offset:296
	buffer_store_dword v87, off, s[0:3], 0 offset:300
	s_and_saveexec_b64 s[4:5], vcc
	s_cbranch_execz .LBB40_181
; %bb.180:
	buffer_load_dword v86, off, s[0:3], 0 offset:288
	buffer_load_dword v87, off, s[0:3], 0 offset:292
	s_waitcnt vmcnt(0)
	ds_write_b64 v1, v[86:87]
	buffer_store_dword v84, off, s[0:3], 0 offset:288
	buffer_store_dword v84, off, s[0:3], 0 offset:292
.LBB40_181:
	s_or_b64 exec, exec, s[4:5]
	s_waitcnt lgkmcnt(0)
	; wave barrier
	s_waitcnt lgkmcnt(0)
	buffer_load_dword v94, off, s[0:3], 0 offset:296
	buffer_load_dword v95, off, s[0:3], 0 offset:300
	;; [unrolled: 1-line block ×10, first 2 shown]
	ds_read2_b64 v[86:89], v84 offset0:79 offset1:80
	ds_read2_b64 v[90:93], v84 offset0:81 offset1:82
	v_cmp_lt_u32_e32 vcc, 35, v0
	s_waitcnt vmcnt(8) lgkmcnt(1)
	v_fma_f64 v[84:85], v[94:95], v[86:87], 0
	s_waitcnt vmcnt(6)
	v_fmac_f64_e32 v[84:85], v[96:97], v[88:89]
	s_waitcnt vmcnt(4) lgkmcnt(0)
	v_fmac_f64_e32 v[84:85], v[98:99], v[90:91]
	s_waitcnt vmcnt(2)
	v_fmac_f64_e32 v[84:85], v[100:101], v[92:93]
	s_waitcnt vmcnt(0)
	v_add_f64 v[84:85], v[102:103], -v[84:85]
	buffer_store_dword v84, off, s[0:3], 0 offset:288
	buffer_store_dword v85, off, s[0:3], 0 offset:292
	s_and_saveexec_b64 s[4:5], vcc
	s_cbranch_execz .LBB40_183
; %bb.182:
	buffer_load_dword v84, off, s[0:3], 0 offset:280
	buffer_load_dword v85, off, s[0:3], 0 offset:284
	v_mov_b32_e32 v86, 0
	buffer_store_dword v86, off, s[0:3], 0 offset:280
	buffer_store_dword v86, off, s[0:3], 0 offset:284
	s_waitcnt vmcnt(2)
	ds_write_b64 v1, v[84:85]
.LBB40_183:
	s_or_b64 exec, exec, s[4:5]
	s_waitcnt lgkmcnt(0)
	; wave barrier
	s_waitcnt lgkmcnt(0)
	buffer_load_dword v94, off, s[0:3], 0 offset:288
	buffer_load_dword v95, off, s[0:3], 0 offset:292
	;; [unrolled: 1-line block ×12, first 2 shown]
	v_mov_b32_e32 v84, 0
	ds_read_b128 v[86:89], v84 offset:624
	ds_read_b128 v[90:93], v84 offset:640
	ds_read_b64 v[106:107], v84 offset:656
	v_cmp_lt_u32_e32 vcc, 34, v0
	s_waitcnt vmcnt(10) lgkmcnt(2)
	v_fma_f64 v[86:87], v[94:95], v[86:87], 0
	s_waitcnt vmcnt(8)
	v_fmac_f64_e32 v[86:87], v[96:97], v[88:89]
	s_waitcnt vmcnt(6) lgkmcnt(1)
	v_fmac_f64_e32 v[86:87], v[98:99], v[90:91]
	s_waitcnt vmcnt(4)
	v_fmac_f64_e32 v[86:87], v[100:101], v[92:93]
	s_waitcnt vmcnt(2) lgkmcnt(0)
	v_fmac_f64_e32 v[86:87], v[102:103], v[106:107]
	s_waitcnt vmcnt(0)
	v_add_f64 v[86:87], v[104:105], -v[86:87]
	buffer_store_dword v86, off, s[0:3], 0 offset:280
	buffer_store_dword v87, off, s[0:3], 0 offset:284
	s_and_saveexec_b64 s[4:5], vcc
	s_cbranch_execz .LBB40_185
; %bb.184:
	buffer_load_dword v86, off, s[0:3], 0 offset:272
	buffer_load_dword v87, off, s[0:3], 0 offset:276
	s_waitcnt vmcnt(0)
	ds_write_b64 v1, v[86:87]
	buffer_store_dword v84, off, s[0:3], 0 offset:272
	buffer_store_dword v84, off, s[0:3], 0 offset:276
.LBB40_185:
	s_or_b64 exec, exec, s[4:5]
	s_waitcnt lgkmcnt(0)
	; wave barrier
	s_waitcnt lgkmcnt(0)
	buffer_load_dword v98, off, s[0:3], 0 offset:280
	buffer_load_dword v99, off, s[0:3], 0 offset:284
	;; [unrolled: 1-line block ×14, first 2 shown]
	ds_read2_b64 v[86:89], v84 offset0:77 offset1:78
	ds_read2_b64 v[90:93], v84 offset0:79 offset1:80
	;; [unrolled: 1-line block ×3, first 2 shown]
	v_cmp_lt_u32_e32 vcc, 33, v0
	s_waitcnt vmcnt(12) lgkmcnt(2)
	v_fma_f64 v[84:85], v[98:99], v[86:87], 0
	s_waitcnt vmcnt(10)
	v_fmac_f64_e32 v[84:85], v[100:101], v[88:89]
	s_waitcnt vmcnt(8) lgkmcnt(1)
	v_fmac_f64_e32 v[84:85], v[102:103], v[90:91]
	s_waitcnt vmcnt(6)
	v_fmac_f64_e32 v[84:85], v[104:105], v[92:93]
	s_waitcnt vmcnt(4) lgkmcnt(0)
	v_fmac_f64_e32 v[84:85], v[106:107], v[94:95]
	s_waitcnt vmcnt(2)
	v_fmac_f64_e32 v[84:85], v[108:109], v[96:97]
	s_waitcnt vmcnt(0)
	v_add_f64 v[84:85], v[110:111], -v[84:85]
	buffer_store_dword v84, off, s[0:3], 0 offset:272
	buffer_store_dword v85, off, s[0:3], 0 offset:276
	s_and_saveexec_b64 s[4:5], vcc
	s_cbranch_execz .LBB40_187
; %bb.186:
	buffer_load_dword v84, off, s[0:3], 0 offset:264
	buffer_load_dword v85, off, s[0:3], 0 offset:268
	v_mov_b32_e32 v86, 0
	buffer_store_dword v86, off, s[0:3], 0 offset:264
	buffer_store_dword v86, off, s[0:3], 0 offset:268
	s_waitcnt vmcnt(2)
	ds_write_b64 v1, v[84:85]
.LBB40_187:
	s_or_b64 exec, exec, s[4:5]
	s_waitcnt lgkmcnt(0)
	; wave barrier
	s_waitcnt lgkmcnt(0)
	buffer_load_dword v98, off, s[0:3], 0 offset:272
	buffer_load_dword v99, off, s[0:3], 0 offset:276
	buffer_load_dword v100, off, s[0:3], 0 offset:280
	buffer_load_dword v101, off, s[0:3], 0 offset:284
	buffer_load_dword v102, off, s[0:3], 0 offset:288
	buffer_load_dword v103, off, s[0:3], 0 offset:292
	buffer_load_dword v104, off, s[0:3], 0 offset:296
	buffer_load_dword v105, off, s[0:3], 0 offset:300
	buffer_load_dword v106, off, s[0:3], 0 offset:304
	buffer_load_dword v107, off, s[0:3], 0 offset:308
	buffer_load_dword v108, off, s[0:3], 0 offset:312
	buffer_load_dword v109, off, s[0:3], 0 offset:316
	buffer_load_dword v110, off, s[0:3], 0 offset:320
	buffer_load_dword v111, off, s[0:3], 0 offset:324
	buffer_load_dword v112, off, s[0:3], 0 offset:264
	buffer_load_dword v113, off, s[0:3], 0 offset:268
	v_mov_b32_e32 v84, 0
	ds_read_b128 v[86:89], v84 offset:608
	ds_read_b128 v[90:93], v84 offset:624
	;; [unrolled: 1-line block ×3, first 2 shown]
	ds_read_b64 v[114:115], v84 offset:656
	v_cmp_lt_u32_e32 vcc, 32, v0
	s_waitcnt vmcnt(14) lgkmcnt(3)
	v_fma_f64 v[86:87], v[98:99], v[86:87], 0
	s_waitcnt vmcnt(12)
	v_fmac_f64_e32 v[86:87], v[100:101], v[88:89]
	s_waitcnt vmcnt(10) lgkmcnt(2)
	v_fmac_f64_e32 v[86:87], v[102:103], v[90:91]
	s_waitcnt vmcnt(8)
	v_fmac_f64_e32 v[86:87], v[104:105], v[92:93]
	s_waitcnt vmcnt(6) lgkmcnt(1)
	v_fmac_f64_e32 v[86:87], v[106:107], v[94:95]
	s_waitcnt vmcnt(4)
	v_fmac_f64_e32 v[86:87], v[108:109], v[96:97]
	s_waitcnt vmcnt(2) lgkmcnt(0)
	v_fmac_f64_e32 v[86:87], v[110:111], v[114:115]
	s_waitcnt vmcnt(0)
	v_add_f64 v[86:87], v[112:113], -v[86:87]
	buffer_store_dword v86, off, s[0:3], 0 offset:264
	buffer_store_dword v87, off, s[0:3], 0 offset:268
	s_and_saveexec_b64 s[4:5], vcc
	s_cbranch_execz .LBB40_189
; %bb.188:
	buffer_load_dword v86, off, s[0:3], 0 offset:256
	buffer_load_dword v87, off, s[0:3], 0 offset:260
	s_waitcnt vmcnt(0)
	ds_write_b64 v1, v[86:87]
	buffer_store_dword v84, off, s[0:3], 0 offset:256
	buffer_store_dword v84, off, s[0:3], 0 offset:260
.LBB40_189:
	s_or_b64 exec, exec, s[4:5]
	s_waitcnt lgkmcnt(0)
	; wave barrier
	s_waitcnt lgkmcnt(0)
	buffer_load_dword v102, off, s[0:3], 0 offset:264
	buffer_load_dword v103, off, s[0:3], 0 offset:268
	;; [unrolled: 1-line block ×18, first 2 shown]
	ds_read2_b64 v[86:89], v84 offset0:75 offset1:76
	ds_read2_b64 v[90:93], v84 offset0:77 offset1:78
	;; [unrolled: 1-line block ×4, first 2 shown]
	v_cmp_lt_u32_e32 vcc, 31, v0
	s_waitcnt vmcnt(16) lgkmcnt(3)
	v_fma_f64 v[84:85], v[102:103], v[86:87], 0
	s_waitcnt vmcnt(14)
	v_fmac_f64_e32 v[84:85], v[104:105], v[88:89]
	s_waitcnt vmcnt(12) lgkmcnt(2)
	v_fmac_f64_e32 v[84:85], v[106:107], v[90:91]
	s_waitcnt vmcnt(10)
	v_fmac_f64_e32 v[84:85], v[108:109], v[92:93]
	s_waitcnt vmcnt(8) lgkmcnt(1)
	v_fmac_f64_e32 v[84:85], v[110:111], v[94:95]
	;; [unrolled: 4-line block ×3, first 2 shown]
	s_waitcnt vmcnt(2)
	v_fmac_f64_e32 v[84:85], v[116:117], v[100:101]
	s_waitcnt vmcnt(0)
	v_add_f64 v[84:85], v[118:119], -v[84:85]
	buffer_store_dword v84, off, s[0:3], 0 offset:256
	buffer_store_dword v85, off, s[0:3], 0 offset:260
	s_and_saveexec_b64 s[4:5], vcc
	s_cbranch_execz .LBB40_191
; %bb.190:
	buffer_load_dword v84, off, s[0:3], 0 offset:248
	buffer_load_dword v85, off, s[0:3], 0 offset:252
	v_mov_b32_e32 v86, 0
	buffer_store_dword v86, off, s[0:3], 0 offset:248
	buffer_store_dword v86, off, s[0:3], 0 offset:252
	s_waitcnt vmcnt(2)
	ds_write_b64 v1, v[84:85]
.LBB40_191:
	s_or_b64 exec, exec, s[4:5]
	s_waitcnt lgkmcnt(0)
	; wave barrier
	s_waitcnt lgkmcnt(0)
	buffer_load_dword v102, off, s[0:3], 0 offset:256
	buffer_load_dword v103, off, s[0:3], 0 offset:260
	;; [unrolled: 1-line block ×20, first 2 shown]
	v_mov_b32_e32 v84, 0
	ds_read_b128 v[86:89], v84 offset:592
	ds_read_b128 v[90:93], v84 offset:608
	;; [unrolled: 1-line block ×4, first 2 shown]
	ds_read_b64 v[122:123], v84 offset:656
	v_cmp_lt_u32_e32 vcc, 30, v0
	s_waitcnt vmcnt(18) lgkmcnt(4)
	v_fma_f64 v[86:87], v[102:103], v[86:87], 0
	s_waitcnt vmcnt(16)
	v_fmac_f64_e32 v[86:87], v[104:105], v[88:89]
	s_waitcnt vmcnt(14) lgkmcnt(3)
	v_fmac_f64_e32 v[86:87], v[106:107], v[90:91]
	s_waitcnt vmcnt(12)
	v_fmac_f64_e32 v[86:87], v[108:109], v[92:93]
	s_waitcnt vmcnt(10) lgkmcnt(2)
	v_fmac_f64_e32 v[86:87], v[110:111], v[94:95]
	;; [unrolled: 4-line block ×3, first 2 shown]
	s_waitcnt vmcnt(2)
	v_fmac_f64_e32 v[86:87], v[118:119], v[100:101]
	s_waitcnt lgkmcnt(0)
	v_fmac_f64_e32 v[86:87], v[116:117], v[122:123]
	s_waitcnt vmcnt(0)
	v_add_f64 v[86:87], v[120:121], -v[86:87]
	buffer_store_dword v86, off, s[0:3], 0 offset:248
	buffer_store_dword v87, off, s[0:3], 0 offset:252
	s_and_saveexec_b64 s[4:5], vcc
	s_cbranch_execz .LBB40_193
; %bb.192:
	buffer_load_dword v86, off, s[0:3], 0 offset:240
	buffer_load_dword v87, off, s[0:3], 0 offset:244
	s_waitcnt vmcnt(0)
	ds_write_b64 v1, v[86:87]
	buffer_store_dword v84, off, s[0:3], 0 offset:240
	buffer_store_dword v84, off, s[0:3], 0 offset:244
.LBB40_193:
	s_or_b64 exec, exec, s[4:5]
	s_waitcnt lgkmcnt(0)
	; wave barrier
	s_waitcnt lgkmcnt(0)
	buffer_load_dword v106, off, s[0:3], 0 offset:248
	buffer_load_dword v107, off, s[0:3], 0 offset:252
	;; [unrolled: 1-line block ×22, first 2 shown]
	ds_read2_b64 v[86:89], v84 offset0:73 offset1:74
	ds_read2_b64 v[90:93], v84 offset0:75 offset1:76
	;; [unrolled: 1-line block ×5, first 2 shown]
	v_cmp_lt_u32_e32 vcc, 29, v0
	s_waitcnt vmcnt(20) lgkmcnt(4)
	v_fma_f64 v[84:85], v[106:107], v[86:87], 0
	s_waitcnt vmcnt(18)
	v_fmac_f64_e32 v[84:85], v[108:109], v[88:89]
	s_waitcnt vmcnt(16) lgkmcnt(3)
	v_fmac_f64_e32 v[84:85], v[110:111], v[90:91]
	s_waitcnt vmcnt(14)
	v_fmac_f64_e32 v[84:85], v[112:113], v[92:93]
	s_waitcnt vmcnt(12) lgkmcnt(2)
	v_fmac_f64_e32 v[84:85], v[114:115], v[94:95]
	;; [unrolled: 4-line block ×3, first 2 shown]
	s_waitcnt vmcnt(3)
	v_fmac_f64_e32 v[84:85], v[124:125], v[100:101]
	s_waitcnt lgkmcnt(0)
	v_fmac_f64_e32 v[84:85], v[122:123], v[102:103]
	s_waitcnt vmcnt(2)
	v_fmac_f64_e32 v[84:85], v[120:121], v[104:105]
	s_waitcnt vmcnt(0)
	v_add_f64 v[84:85], v[126:127], -v[84:85]
	buffer_store_dword v84, off, s[0:3], 0 offset:240
	buffer_store_dword v85, off, s[0:3], 0 offset:244
	s_and_saveexec_b64 s[4:5], vcc
	s_cbranch_execz .LBB40_195
; %bb.194:
	buffer_load_dword v84, off, s[0:3], 0 offset:232
	buffer_load_dword v85, off, s[0:3], 0 offset:236
	v_mov_b32_e32 v86, 0
	buffer_store_dword v86, off, s[0:3], 0 offset:232
	buffer_store_dword v86, off, s[0:3], 0 offset:236
	s_waitcnt vmcnt(2)
	ds_write_b64 v1, v[84:85]
.LBB40_195:
	s_or_b64 exec, exec, s[4:5]
	s_waitcnt lgkmcnt(0)
	; wave barrier
	s_waitcnt lgkmcnt(0)
	buffer_load_dword v102, off, s[0:3], 0 offset:232
	buffer_load_dword v103, off, s[0:3], 0 offset:236
	;; [unrolled: 1-line block ×16, first 2 shown]
	v_mov_b32_e32 v84, 0
	ds_read_b128 v[86:89], v84 offset:576
	ds_read_b128 v[90:93], v84 offset:592
	;; [unrolled: 1-line block ×4, first 2 shown]
	v_cmp_lt_u32_e32 vcc, 28, v0
	s_waitcnt vmcnt(12) lgkmcnt(3)
	v_fma_f64 v[104:105], v[104:105], v[86:87], 0
	buffer_load_dword v87, off, s[0:3], 0 offset:300
	buffer_load_dword v86, off, s[0:3], 0 offset:296
	s_waitcnt vmcnt(12)
	v_fmac_f64_e32 v[104:105], v[106:107], v[88:89]
	s_waitcnt vmcnt(10) lgkmcnt(2)
	v_fmac_f64_e32 v[104:105], v[108:109], v[90:91]
	buffer_load_dword v91, off, s[0:3], 0 offset:308
	buffer_load_dword v90, off, s[0:3], 0 offset:304
	s_waitcnt vmcnt(10)
	v_fmac_f64_e32 v[104:105], v[110:111], v[92:93]
	s_waitcnt vmcnt(8) lgkmcnt(1)
	v_fmac_f64_e32 v[104:105], v[112:113], v[94:95]
	s_waitcnt vmcnt(6)
	v_fmac_f64_e32 v[104:105], v[114:115], v[96:97]
	s_waitcnt vmcnt(4) lgkmcnt(0)
	v_fmac_f64_e32 v[104:105], v[116:117], v[98:99]
	s_waitcnt vmcnt(2)
	v_fmac_f64_e32 v[104:105], v[86:87], v[100:101]
	ds_read_b128 v[86:89], v84 offset:640
	s_waitcnt vmcnt(0) lgkmcnt(0)
	v_fmac_f64_e32 v[104:105], v[90:91], v[86:87]
	buffer_load_dword v87, off, s[0:3], 0 offset:316
	buffer_load_dword v86, off, s[0:3], 0 offset:312
	s_waitcnt vmcnt(0)
	v_fmac_f64_e32 v[104:105], v[86:87], v[88:89]
	buffer_load_dword v87, off, s[0:3], 0 offset:324
	buffer_load_dword v86, off, s[0:3], 0 offset:320
	ds_read_b64 v[88:89], v84 offset:656
	s_waitcnt vmcnt(0) lgkmcnt(0)
	v_fmac_f64_e32 v[104:105], v[86:87], v[88:89]
	v_add_f64 v[86:87], v[102:103], -v[104:105]
	buffer_store_dword v87, off, s[0:3], 0 offset:236
	buffer_store_dword v86, off, s[0:3], 0 offset:232
	s_and_saveexec_b64 s[4:5], vcc
	s_cbranch_execz .LBB40_197
; %bb.196:
	buffer_load_dword v86, off, s[0:3], 0 offset:224
	buffer_load_dword v87, off, s[0:3], 0 offset:228
	s_waitcnt vmcnt(0)
	ds_write_b64 v1, v[86:87]
	buffer_store_dword v84, off, s[0:3], 0 offset:224
	buffer_store_dword v84, off, s[0:3], 0 offset:228
.LBB40_197:
	s_or_b64 exec, exec, s[4:5]
	s_waitcnt lgkmcnt(0)
	; wave barrier
	s_waitcnt lgkmcnt(0)
	buffer_load_dword v90, off, s[0:3], 0 offset:224
	buffer_load_dword v91, off, s[0:3], 0 offset:228
	buffer_load_dword v92, off, s[0:3], 0 offset:232
	buffer_load_dword v93, off, s[0:3], 0 offset:236
	buffer_load_dword v94, off, s[0:3], 0 offset:240
	buffer_load_dword v95, off, s[0:3], 0 offset:244
	buffer_load_dword v96, off, s[0:3], 0 offset:248
	buffer_load_dword v97, off, s[0:3], 0 offset:252
	buffer_load_dword v98, off, s[0:3], 0 offset:256
	buffer_load_dword v99, off, s[0:3], 0 offset:260
	buffer_load_dword v100, off, s[0:3], 0 offset:264
	buffer_load_dword v101, off, s[0:3], 0 offset:268
	buffer_load_dword v102, off, s[0:3], 0 offset:272
	buffer_load_dword v103, off, s[0:3], 0 offset:276
	buffer_load_dword v104, off, s[0:3], 0 offset:280
	buffer_load_dword v105, off, s[0:3], 0 offset:284
	ds_read2_b64 v[86:89], v84 offset0:71 offset1:72
	v_cmp_lt_u32_e32 vcc, 27, v0
	s_waitcnt vmcnt(12) lgkmcnt(0)
	v_fma_f64 v[92:93], v[92:93], v[86:87], 0
	s_waitcnt vmcnt(10)
	v_fmac_f64_e32 v[92:93], v[94:95], v[88:89]
	ds_read2_b64 v[86:89], v84 offset0:73 offset1:74
	s_waitcnt vmcnt(8) lgkmcnt(0)
	v_fmac_f64_e32 v[92:93], v[96:97], v[86:87]
	s_waitcnt vmcnt(6)
	v_fmac_f64_e32 v[92:93], v[98:99], v[88:89]
	ds_read2_b64 v[86:89], v84 offset0:75 offset1:76
	s_waitcnt vmcnt(4) lgkmcnt(0)
	v_fmac_f64_e32 v[92:93], v[100:101], v[86:87]
	;; [unrolled: 5-line block ×3, first 2 shown]
	buffer_load_dword v87, off, s[0:3], 0 offset:292
	buffer_load_dword v86, off, s[0:3], 0 offset:288
	;; [unrolled: 1-line block ×4, first 2 shown]
	s_waitcnt vmcnt(2)
	v_fmac_f64_e32 v[92:93], v[86:87], v[88:89]
	ds_read2_b64 v[86:89], v84 offset0:79 offset1:80
	s_waitcnt vmcnt(0) lgkmcnt(0)
	v_fmac_f64_e32 v[92:93], v[94:95], v[86:87]
	buffer_load_dword v87, off, s[0:3], 0 offset:308
	buffer_load_dword v86, off, s[0:3], 0 offset:304
	s_waitcnt vmcnt(0)
	v_fmac_f64_e32 v[92:93], v[86:87], v[88:89]
	buffer_load_dword v89, off, s[0:3], 0 offset:316
	buffer_load_dword v88, off, s[0:3], 0 offset:312
	ds_read2_b64 v[84:87], v84 offset0:81 offset1:82
	s_waitcnt vmcnt(0) lgkmcnt(0)
	v_fmac_f64_e32 v[92:93], v[88:89], v[84:85]
	buffer_load_dword v85, off, s[0:3], 0 offset:324
	buffer_load_dword v84, off, s[0:3], 0 offset:320
	s_waitcnt vmcnt(0)
	v_fmac_f64_e32 v[92:93], v[84:85], v[86:87]
	v_add_f64 v[84:85], v[90:91], -v[92:93]
	buffer_store_dword v85, off, s[0:3], 0 offset:228
	buffer_store_dword v84, off, s[0:3], 0 offset:224
	s_and_saveexec_b64 s[4:5], vcc
	s_cbranch_execz .LBB40_199
; %bb.198:
	buffer_load_dword v84, off, s[0:3], 0 offset:216
	buffer_load_dword v85, off, s[0:3], 0 offset:220
	v_mov_b32_e32 v86, 0
	buffer_store_dword v86, off, s[0:3], 0 offset:216
	buffer_store_dword v86, off, s[0:3], 0 offset:220
	s_waitcnt vmcnt(2)
	ds_write_b64 v1, v[84:85]
.LBB40_199:
	s_or_b64 exec, exec, s[4:5]
	s_waitcnt lgkmcnt(0)
	; wave barrier
	s_waitcnt lgkmcnt(0)
	buffer_load_dword v102, off, s[0:3], 0 offset:216
	buffer_load_dword v103, off, s[0:3], 0 offset:220
	;; [unrolled: 1-line block ×16, first 2 shown]
	v_mov_b32_e32 v84, 0
	ds_read_b128 v[86:89], v84 offset:560
	ds_read_b128 v[90:93], v84 offset:576
	;; [unrolled: 1-line block ×4, first 2 shown]
	v_cmp_lt_u32_e32 vcc, 26, v0
	s_waitcnt vmcnt(12) lgkmcnt(3)
	v_fma_f64 v[104:105], v[104:105], v[86:87], 0
	buffer_load_dword v87, off, s[0:3], 0 offset:284
	buffer_load_dword v86, off, s[0:3], 0 offset:280
	s_waitcnt vmcnt(12)
	v_fmac_f64_e32 v[104:105], v[106:107], v[88:89]
	s_waitcnt vmcnt(10) lgkmcnt(2)
	v_fmac_f64_e32 v[104:105], v[108:109], v[90:91]
	buffer_load_dword v91, off, s[0:3], 0 offset:292
	buffer_load_dword v90, off, s[0:3], 0 offset:288
	s_waitcnt vmcnt(10)
	v_fmac_f64_e32 v[104:105], v[110:111], v[92:93]
	s_waitcnt vmcnt(8) lgkmcnt(1)
	v_fmac_f64_e32 v[104:105], v[112:113], v[94:95]
	s_waitcnt vmcnt(6)
	v_fmac_f64_e32 v[104:105], v[114:115], v[96:97]
	s_waitcnt vmcnt(4) lgkmcnt(0)
	v_fmac_f64_e32 v[104:105], v[116:117], v[98:99]
	s_waitcnt vmcnt(2)
	v_fmac_f64_e32 v[104:105], v[86:87], v[100:101]
	ds_read_b128 v[86:89], v84 offset:624
	s_waitcnt vmcnt(0) lgkmcnt(0)
	v_fmac_f64_e32 v[104:105], v[90:91], v[86:87]
	buffer_load_dword v87, off, s[0:3], 0 offset:300
	buffer_load_dword v86, off, s[0:3], 0 offset:296
	;; [unrolled: 1-line block ×4, first 2 shown]
	s_waitcnt vmcnt(2)
	v_fmac_f64_e32 v[104:105], v[86:87], v[88:89]
	ds_read_b128 v[86:89], v84 offset:640
	s_waitcnt vmcnt(0) lgkmcnt(0)
	v_fmac_f64_e32 v[104:105], v[90:91], v[86:87]
	buffer_load_dword v87, off, s[0:3], 0 offset:316
	buffer_load_dword v86, off, s[0:3], 0 offset:312
	s_waitcnt vmcnt(0)
	v_fmac_f64_e32 v[104:105], v[86:87], v[88:89]
	buffer_load_dword v87, off, s[0:3], 0 offset:324
	buffer_load_dword v86, off, s[0:3], 0 offset:320
	ds_read_b64 v[88:89], v84 offset:656
	s_waitcnt vmcnt(0) lgkmcnt(0)
	v_fmac_f64_e32 v[104:105], v[86:87], v[88:89]
	v_add_f64 v[86:87], v[102:103], -v[104:105]
	buffer_store_dword v87, off, s[0:3], 0 offset:220
	buffer_store_dword v86, off, s[0:3], 0 offset:216
	s_and_saveexec_b64 s[4:5], vcc
	s_cbranch_execz .LBB40_201
; %bb.200:
	buffer_load_dword v86, off, s[0:3], 0 offset:208
	buffer_load_dword v87, off, s[0:3], 0 offset:212
	s_waitcnt vmcnt(0)
	ds_write_b64 v1, v[86:87]
	buffer_store_dword v84, off, s[0:3], 0 offset:208
	buffer_store_dword v84, off, s[0:3], 0 offset:212
.LBB40_201:
	s_or_b64 exec, exec, s[4:5]
	s_waitcnt lgkmcnt(0)
	; wave barrier
	s_waitcnt lgkmcnt(0)
	buffer_load_dword v90, off, s[0:3], 0 offset:208
	buffer_load_dword v91, off, s[0:3], 0 offset:212
	;; [unrolled: 1-line block ×16, first 2 shown]
	ds_read2_b64 v[86:89], v84 offset0:69 offset1:70
	v_cmp_lt_u32_e32 vcc, 25, v0
	s_waitcnt vmcnt(12) lgkmcnt(0)
	v_fma_f64 v[92:93], v[92:93], v[86:87], 0
	s_waitcnt vmcnt(10)
	v_fmac_f64_e32 v[92:93], v[94:95], v[88:89]
	ds_read2_b64 v[86:89], v84 offset0:71 offset1:72
	s_waitcnt vmcnt(8) lgkmcnt(0)
	v_fmac_f64_e32 v[92:93], v[96:97], v[86:87]
	s_waitcnt vmcnt(6)
	v_fmac_f64_e32 v[92:93], v[98:99], v[88:89]
	ds_read2_b64 v[86:89], v84 offset0:73 offset1:74
	s_waitcnt vmcnt(4) lgkmcnt(0)
	v_fmac_f64_e32 v[92:93], v[100:101], v[86:87]
	;; [unrolled: 5-line block ×3, first 2 shown]
	buffer_load_dword v87, off, s[0:3], 0 offset:276
	buffer_load_dword v86, off, s[0:3], 0 offset:272
	;; [unrolled: 1-line block ×4, first 2 shown]
	s_waitcnt vmcnt(2)
	v_fmac_f64_e32 v[92:93], v[86:87], v[88:89]
	ds_read2_b64 v[86:89], v84 offset0:77 offset1:78
	s_waitcnt vmcnt(0) lgkmcnt(0)
	v_fmac_f64_e32 v[92:93], v[94:95], v[86:87]
	buffer_load_dword v87, off, s[0:3], 0 offset:292
	buffer_load_dword v86, off, s[0:3], 0 offset:288
	;; [unrolled: 1-line block ×4, first 2 shown]
	s_waitcnt vmcnt(2)
	v_fmac_f64_e32 v[92:93], v[86:87], v[88:89]
	ds_read2_b64 v[86:89], v84 offset0:79 offset1:80
	s_waitcnt vmcnt(0) lgkmcnt(0)
	v_fmac_f64_e32 v[92:93], v[94:95], v[86:87]
	buffer_load_dword v87, off, s[0:3], 0 offset:308
	buffer_load_dword v86, off, s[0:3], 0 offset:304
	s_waitcnt vmcnt(0)
	v_fmac_f64_e32 v[92:93], v[86:87], v[88:89]
	buffer_load_dword v89, off, s[0:3], 0 offset:316
	buffer_load_dword v88, off, s[0:3], 0 offset:312
	ds_read2_b64 v[84:87], v84 offset0:81 offset1:82
	s_waitcnt vmcnt(0) lgkmcnt(0)
	v_fmac_f64_e32 v[92:93], v[88:89], v[84:85]
	buffer_load_dword v85, off, s[0:3], 0 offset:324
	buffer_load_dword v84, off, s[0:3], 0 offset:320
	s_waitcnt vmcnt(0)
	v_fmac_f64_e32 v[92:93], v[84:85], v[86:87]
	v_add_f64 v[84:85], v[90:91], -v[92:93]
	buffer_store_dword v85, off, s[0:3], 0 offset:212
	buffer_store_dword v84, off, s[0:3], 0 offset:208
	s_and_saveexec_b64 s[4:5], vcc
	s_cbranch_execz .LBB40_203
; %bb.202:
	buffer_load_dword v84, off, s[0:3], 0 offset:200
	buffer_load_dword v85, off, s[0:3], 0 offset:204
	v_mov_b32_e32 v86, 0
	buffer_store_dword v86, off, s[0:3], 0 offset:200
	buffer_store_dword v86, off, s[0:3], 0 offset:204
	s_waitcnt vmcnt(2)
	ds_write_b64 v1, v[84:85]
.LBB40_203:
	s_or_b64 exec, exec, s[4:5]
	s_waitcnt lgkmcnt(0)
	; wave barrier
	s_waitcnt lgkmcnt(0)
	buffer_load_dword v102, off, s[0:3], 0 offset:200
	buffer_load_dword v103, off, s[0:3], 0 offset:204
	buffer_load_dword v104, off, s[0:3], 0 offset:208
	buffer_load_dword v105, off, s[0:3], 0 offset:212
	buffer_load_dword v106, off, s[0:3], 0 offset:216
	buffer_load_dword v107, off, s[0:3], 0 offset:220
	buffer_load_dword v108, off, s[0:3], 0 offset:224
	buffer_load_dword v109, off, s[0:3], 0 offset:228
	buffer_load_dword v110, off, s[0:3], 0 offset:232
	buffer_load_dword v111, off, s[0:3], 0 offset:236
	buffer_load_dword v112, off, s[0:3], 0 offset:240
	buffer_load_dword v113, off, s[0:3], 0 offset:244
	buffer_load_dword v114, off, s[0:3], 0 offset:248
	buffer_load_dword v115, off, s[0:3], 0 offset:252
	buffer_load_dword v116, off, s[0:3], 0 offset:256
	buffer_load_dword v117, off, s[0:3], 0 offset:260
	v_mov_b32_e32 v84, 0
	ds_read_b128 v[86:89], v84 offset:544
	ds_read_b128 v[90:93], v84 offset:560
	;; [unrolled: 1-line block ×4, first 2 shown]
	v_cmp_lt_u32_e32 vcc, 24, v0
	s_waitcnt vmcnt(12) lgkmcnt(3)
	v_fma_f64 v[104:105], v[104:105], v[86:87], 0
	buffer_load_dword v87, off, s[0:3], 0 offset:268
	buffer_load_dword v86, off, s[0:3], 0 offset:264
	s_waitcnt vmcnt(12)
	v_fmac_f64_e32 v[104:105], v[106:107], v[88:89]
	s_waitcnt vmcnt(10) lgkmcnt(2)
	v_fmac_f64_e32 v[104:105], v[108:109], v[90:91]
	buffer_load_dword v91, off, s[0:3], 0 offset:276
	buffer_load_dword v90, off, s[0:3], 0 offset:272
	s_waitcnt vmcnt(10)
	v_fmac_f64_e32 v[104:105], v[110:111], v[92:93]
	s_waitcnt vmcnt(8) lgkmcnt(1)
	v_fmac_f64_e32 v[104:105], v[112:113], v[94:95]
	s_waitcnt vmcnt(6)
	v_fmac_f64_e32 v[104:105], v[114:115], v[96:97]
	s_waitcnt vmcnt(4) lgkmcnt(0)
	v_fmac_f64_e32 v[104:105], v[116:117], v[98:99]
	s_waitcnt vmcnt(2)
	v_fmac_f64_e32 v[104:105], v[86:87], v[100:101]
	ds_read_b128 v[86:89], v84 offset:608
	s_waitcnt vmcnt(0) lgkmcnt(0)
	v_fmac_f64_e32 v[104:105], v[90:91], v[86:87]
	buffer_load_dword v87, off, s[0:3], 0 offset:284
	buffer_load_dword v86, off, s[0:3], 0 offset:280
	;; [unrolled: 1-line block ×4, first 2 shown]
	s_waitcnt vmcnt(2)
	v_fmac_f64_e32 v[104:105], v[86:87], v[88:89]
	ds_read_b128 v[86:89], v84 offset:624
	s_waitcnt vmcnt(0) lgkmcnt(0)
	v_fmac_f64_e32 v[104:105], v[90:91], v[86:87]
	buffer_load_dword v87, off, s[0:3], 0 offset:300
	buffer_load_dword v86, off, s[0:3], 0 offset:296
	;; [unrolled: 1-line block ×4, first 2 shown]
	s_waitcnt vmcnt(2)
	v_fmac_f64_e32 v[104:105], v[86:87], v[88:89]
	ds_read_b128 v[86:89], v84 offset:640
	s_waitcnt vmcnt(0) lgkmcnt(0)
	v_fmac_f64_e32 v[104:105], v[90:91], v[86:87]
	buffer_load_dword v87, off, s[0:3], 0 offset:316
	buffer_load_dword v86, off, s[0:3], 0 offset:312
	s_waitcnt vmcnt(0)
	v_fmac_f64_e32 v[104:105], v[86:87], v[88:89]
	buffer_load_dword v87, off, s[0:3], 0 offset:324
	buffer_load_dword v86, off, s[0:3], 0 offset:320
	ds_read_b64 v[88:89], v84 offset:656
	s_waitcnt vmcnt(0) lgkmcnt(0)
	v_fmac_f64_e32 v[104:105], v[86:87], v[88:89]
	v_add_f64 v[86:87], v[102:103], -v[104:105]
	buffer_store_dword v87, off, s[0:3], 0 offset:204
	buffer_store_dword v86, off, s[0:3], 0 offset:200
	s_and_saveexec_b64 s[4:5], vcc
	s_cbranch_execz .LBB40_205
; %bb.204:
	buffer_load_dword v86, off, s[0:3], 0 offset:192
	buffer_load_dword v87, off, s[0:3], 0 offset:196
	s_waitcnt vmcnt(0)
	ds_write_b64 v1, v[86:87]
	buffer_store_dword v84, off, s[0:3], 0 offset:192
	buffer_store_dword v84, off, s[0:3], 0 offset:196
.LBB40_205:
	s_or_b64 exec, exec, s[4:5]
	s_waitcnt lgkmcnt(0)
	; wave barrier
	s_waitcnt lgkmcnt(0)
	buffer_load_dword v90, off, s[0:3], 0 offset:192
	buffer_load_dword v91, off, s[0:3], 0 offset:196
	;; [unrolled: 1-line block ×16, first 2 shown]
	ds_read2_b64 v[86:89], v84 offset0:67 offset1:68
	v_cmp_lt_u32_e32 vcc, 23, v0
	s_waitcnt vmcnt(12) lgkmcnt(0)
	v_fma_f64 v[92:93], v[92:93], v[86:87], 0
	s_waitcnt vmcnt(10)
	v_fmac_f64_e32 v[92:93], v[94:95], v[88:89]
	ds_read2_b64 v[86:89], v84 offset0:69 offset1:70
	s_waitcnt vmcnt(8) lgkmcnt(0)
	v_fmac_f64_e32 v[92:93], v[96:97], v[86:87]
	s_waitcnt vmcnt(6)
	v_fmac_f64_e32 v[92:93], v[98:99], v[88:89]
	ds_read2_b64 v[86:89], v84 offset0:71 offset1:72
	s_waitcnt vmcnt(4) lgkmcnt(0)
	v_fmac_f64_e32 v[92:93], v[100:101], v[86:87]
	;; [unrolled: 5-line block ×3, first 2 shown]
	buffer_load_dword v87, off, s[0:3], 0 offset:260
	buffer_load_dword v86, off, s[0:3], 0 offset:256
	buffer_load_dword v95, off, s[0:3], 0 offset:268
	buffer_load_dword v94, off, s[0:3], 0 offset:264
	s_waitcnt vmcnt(2)
	v_fmac_f64_e32 v[92:93], v[86:87], v[88:89]
	ds_read2_b64 v[86:89], v84 offset0:75 offset1:76
	s_waitcnt vmcnt(0) lgkmcnt(0)
	v_fmac_f64_e32 v[92:93], v[94:95], v[86:87]
	buffer_load_dword v87, off, s[0:3], 0 offset:276
	buffer_load_dword v86, off, s[0:3], 0 offset:272
	buffer_load_dword v95, off, s[0:3], 0 offset:284
	buffer_load_dword v94, off, s[0:3], 0 offset:280
	s_waitcnt vmcnt(2)
	v_fmac_f64_e32 v[92:93], v[86:87], v[88:89]
	ds_read2_b64 v[86:89], v84 offset0:77 offset1:78
	s_waitcnt vmcnt(0) lgkmcnt(0)
	v_fmac_f64_e32 v[92:93], v[94:95], v[86:87]
	;; [unrolled: 9-line block ×3, first 2 shown]
	buffer_load_dword v87, off, s[0:3], 0 offset:308
	buffer_load_dword v86, off, s[0:3], 0 offset:304
	s_waitcnt vmcnt(0)
	v_fmac_f64_e32 v[92:93], v[86:87], v[88:89]
	buffer_load_dword v89, off, s[0:3], 0 offset:316
	buffer_load_dword v88, off, s[0:3], 0 offset:312
	ds_read2_b64 v[84:87], v84 offset0:81 offset1:82
	s_waitcnt vmcnt(0) lgkmcnt(0)
	v_fmac_f64_e32 v[92:93], v[88:89], v[84:85]
	buffer_load_dword v85, off, s[0:3], 0 offset:324
	buffer_load_dword v84, off, s[0:3], 0 offset:320
	s_waitcnt vmcnt(0)
	v_fmac_f64_e32 v[92:93], v[84:85], v[86:87]
	v_add_f64 v[84:85], v[90:91], -v[92:93]
	buffer_store_dword v85, off, s[0:3], 0 offset:196
	buffer_store_dword v84, off, s[0:3], 0 offset:192
	s_and_saveexec_b64 s[4:5], vcc
	s_cbranch_execz .LBB40_207
; %bb.206:
	buffer_load_dword v84, off, s[0:3], 0 offset:184
	buffer_load_dword v85, off, s[0:3], 0 offset:188
	v_mov_b32_e32 v86, 0
	buffer_store_dword v86, off, s[0:3], 0 offset:184
	buffer_store_dword v86, off, s[0:3], 0 offset:188
	s_waitcnt vmcnt(2)
	ds_write_b64 v1, v[84:85]
.LBB40_207:
	s_or_b64 exec, exec, s[4:5]
	s_waitcnt lgkmcnt(0)
	; wave barrier
	s_waitcnt lgkmcnt(0)
	buffer_load_dword v84, off, s[0:3], 0 offset:184
	buffer_load_dword v85, off, s[0:3], 0 offset:188
	;; [unrolled: 1-line block ×16, first 2 shown]
	v_mov_b32_e32 v88, 0
	ds_read_b128 v[90:93], v88 offset:528
	ds_read_b128 v[94:97], v88 offset:544
	;; [unrolled: 1-line block ×4, first 2 shown]
	v_cmp_lt_u32_e32 vcc, 22, v0
	s_waitcnt vmcnt(12) lgkmcnt(3)
	v_fma_f64 v[86:87], v[86:87], v[90:91], 0
	buffer_load_dword v91, off, s[0:3], 0 offset:252
	buffer_load_dword v90, off, s[0:3], 0 offset:248
	s_waitcnt vmcnt(12)
	v_fmac_f64_e32 v[86:87], v[106:107], v[92:93]
	s_waitcnt vmcnt(10) lgkmcnt(2)
	v_fmac_f64_e32 v[86:87], v[108:109], v[94:95]
	buffer_load_dword v95, off, s[0:3], 0 offset:260
	buffer_load_dword v94, off, s[0:3], 0 offset:256
	s_waitcnt vmcnt(10)
	v_fmac_f64_e32 v[86:87], v[110:111], v[96:97]
	s_waitcnt vmcnt(8) lgkmcnt(1)
	v_fmac_f64_e32 v[86:87], v[112:113], v[98:99]
	s_waitcnt vmcnt(6)
	v_fmac_f64_e32 v[86:87], v[114:115], v[100:101]
	s_waitcnt vmcnt(4) lgkmcnt(0)
	v_fmac_f64_e32 v[86:87], v[116:117], v[102:103]
	s_waitcnt vmcnt(2)
	v_fmac_f64_e32 v[86:87], v[90:91], v[104:105]
	ds_read_b128 v[90:93], v88 offset:592
	s_waitcnt vmcnt(0) lgkmcnt(0)
	v_fmac_f64_e32 v[86:87], v[94:95], v[90:91]
	buffer_load_dword v91, off, s[0:3], 0 offset:268
	buffer_load_dword v90, off, s[0:3], 0 offset:264
	buffer_load_dword v95, off, s[0:3], 0 offset:276
	buffer_load_dword v94, off, s[0:3], 0 offset:272
	s_waitcnt vmcnt(2)
	v_fmac_f64_e32 v[86:87], v[90:91], v[92:93]
	ds_read_b128 v[90:93], v88 offset:608
	s_waitcnt vmcnt(0) lgkmcnt(0)
	v_fmac_f64_e32 v[86:87], v[94:95], v[90:91]
	buffer_load_dword v91, off, s[0:3], 0 offset:284
	buffer_load_dword v90, off, s[0:3], 0 offset:280
	buffer_load_dword v95, off, s[0:3], 0 offset:292
	buffer_load_dword v94, off, s[0:3], 0 offset:288
	;; [unrolled: 9-line block ×3, first 2 shown]
	s_waitcnt vmcnt(2)
	v_fmac_f64_e32 v[86:87], v[90:91], v[92:93]
	ds_read_b128 v[90:93], v88 offset:640
	s_waitcnt vmcnt(0) lgkmcnt(0)
	v_fmac_f64_e32 v[86:87], v[94:95], v[90:91]
	buffer_load_dword v91, off, s[0:3], 0 offset:316
	buffer_load_dword v90, off, s[0:3], 0 offset:312
	s_waitcnt vmcnt(0)
	v_fmac_f64_e32 v[86:87], v[90:91], v[92:93]
	buffer_load_dword v91, off, s[0:3], 0 offset:324
	buffer_load_dword v90, off, s[0:3], 0 offset:320
	ds_read_b64 v[92:93], v88 offset:656
	s_waitcnt vmcnt(0) lgkmcnt(0)
	v_fmac_f64_e32 v[86:87], v[90:91], v[92:93]
	v_add_f64 v[84:85], v[84:85], -v[86:87]
	buffer_store_dword v85, off, s[0:3], 0 offset:188
	buffer_store_dword v84, off, s[0:3], 0 offset:184
	s_and_saveexec_b64 s[4:5], vcc
	s_cbranch_execz .LBB40_209
; %bb.208:
	buffer_load_dword v84, off, s[0:3], 0 offset:176
	buffer_load_dword v85, off, s[0:3], 0 offset:180
	s_waitcnt vmcnt(0)
	ds_write_b64 v1, v[84:85]
	buffer_store_dword v88, off, s[0:3], 0 offset:176
	buffer_store_dword v88, off, s[0:3], 0 offset:180
.LBB40_209:
	s_or_b64 exec, exec, s[4:5]
	s_waitcnt lgkmcnt(0)
	; wave barrier
	s_waitcnt lgkmcnt(0)
	buffer_load_dword v84, off, s[0:3], 0 offset:176
	buffer_load_dword v85, off, s[0:3], 0 offset:180
	;; [unrolled: 1-line block ×16, first 2 shown]
	ds_read2_b64 v[90:93], v88 offset0:65 offset1:66
	v_cmp_lt_u32_e32 vcc, 21, v0
	s_waitcnt vmcnt(12) lgkmcnt(0)
	v_fma_f64 v[86:87], v[86:87], v[90:91], 0
	s_waitcnt vmcnt(10)
	v_fmac_f64_e32 v[86:87], v[94:95], v[92:93]
	ds_read2_b64 v[90:93], v88 offset0:67 offset1:68
	s_waitcnt vmcnt(8) lgkmcnt(0)
	v_fmac_f64_e32 v[86:87], v[96:97], v[90:91]
	s_waitcnt vmcnt(6)
	v_fmac_f64_e32 v[86:87], v[98:99], v[92:93]
	ds_read2_b64 v[90:93], v88 offset0:69 offset1:70
	s_waitcnt vmcnt(4) lgkmcnt(0)
	v_fmac_f64_e32 v[86:87], v[100:101], v[90:91]
	;; [unrolled: 5-line block ×3, first 2 shown]
	buffer_load_dword v91, off, s[0:3], 0 offset:244
	buffer_load_dword v90, off, s[0:3], 0 offset:240
	buffer_load_dword v95, off, s[0:3], 0 offset:252
	buffer_load_dword v94, off, s[0:3], 0 offset:248
	s_waitcnt vmcnt(2)
	v_fmac_f64_e32 v[86:87], v[90:91], v[92:93]
	ds_read2_b64 v[90:93], v88 offset0:73 offset1:74
	s_waitcnt vmcnt(0) lgkmcnt(0)
	v_fmac_f64_e32 v[86:87], v[94:95], v[90:91]
	buffer_load_dword v91, off, s[0:3], 0 offset:260
	buffer_load_dword v90, off, s[0:3], 0 offset:256
	buffer_load_dword v95, off, s[0:3], 0 offset:268
	buffer_load_dword v94, off, s[0:3], 0 offset:264
	s_waitcnt vmcnt(2)
	v_fmac_f64_e32 v[86:87], v[90:91], v[92:93]
	ds_read2_b64 v[90:93], v88 offset0:75 offset1:76
	s_waitcnt vmcnt(0) lgkmcnt(0)
	v_fmac_f64_e32 v[86:87], v[94:95], v[90:91]
	;; [unrolled: 9-line block ×4, first 2 shown]
	buffer_load_dword v91, off, s[0:3], 0 offset:308
	buffer_load_dword v90, off, s[0:3], 0 offset:304
	s_waitcnt vmcnt(0)
	v_fmac_f64_e32 v[86:87], v[90:91], v[92:93]
	buffer_load_dword v93, off, s[0:3], 0 offset:316
	buffer_load_dword v92, off, s[0:3], 0 offset:312
	ds_read2_b64 v[88:91], v88 offset0:81 offset1:82
	s_waitcnt vmcnt(0) lgkmcnt(0)
	v_fmac_f64_e32 v[86:87], v[92:93], v[88:89]
	buffer_load_dword v89, off, s[0:3], 0 offset:324
	buffer_load_dword v88, off, s[0:3], 0 offset:320
	s_waitcnt vmcnt(0)
	v_fmac_f64_e32 v[86:87], v[88:89], v[90:91]
	v_add_f64 v[84:85], v[84:85], -v[86:87]
	buffer_store_dword v85, off, s[0:3], 0 offset:180
	buffer_store_dword v84, off, s[0:3], 0 offset:176
	s_and_saveexec_b64 s[4:5], vcc
	s_cbranch_execz .LBB40_211
; %bb.210:
	buffer_load_dword v84, off, s[0:3], 0 offset:168
	buffer_load_dword v85, off, s[0:3], 0 offset:172
	v_mov_b32_e32 v86, 0
	buffer_store_dword v86, off, s[0:3], 0 offset:168
	buffer_store_dword v86, off, s[0:3], 0 offset:172
	s_waitcnt vmcnt(2)
	ds_write_b64 v1, v[84:85]
.LBB40_211:
	s_or_b64 exec, exec, s[4:5]
	s_waitcnt lgkmcnt(0)
	; wave barrier
	s_waitcnt lgkmcnt(0)
	buffer_load_dword v84, off, s[0:3], 0 offset:168
	buffer_load_dword v85, off, s[0:3], 0 offset:172
	;; [unrolled: 1-line block ×16, first 2 shown]
	v_mov_b32_e32 v88, 0
	ds_read_b128 v[90:93], v88 offset:512
	ds_read_b128 v[94:97], v88 offset:528
	;; [unrolled: 1-line block ×4, first 2 shown]
	v_cmp_lt_u32_e32 vcc, 20, v0
	s_waitcnt vmcnt(12) lgkmcnt(3)
	v_fma_f64 v[86:87], v[86:87], v[90:91], 0
	buffer_load_dword v91, off, s[0:3], 0 offset:236
	buffer_load_dword v90, off, s[0:3], 0 offset:232
	s_waitcnt vmcnt(12)
	v_fmac_f64_e32 v[86:87], v[106:107], v[92:93]
	s_waitcnt vmcnt(10) lgkmcnt(2)
	v_fmac_f64_e32 v[86:87], v[108:109], v[94:95]
	buffer_load_dword v95, off, s[0:3], 0 offset:244
	buffer_load_dword v94, off, s[0:3], 0 offset:240
	s_waitcnt vmcnt(10)
	v_fmac_f64_e32 v[86:87], v[110:111], v[96:97]
	s_waitcnt vmcnt(8) lgkmcnt(1)
	v_fmac_f64_e32 v[86:87], v[112:113], v[98:99]
	s_waitcnt vmcnt(6)
	v_fmac_f64_e32 v[86:87], v[114:115], v[100:101]
	s_waitcnt vmcnt(4) lgkmcnt(0)
	v_fmac_f64_e32 v[86:87], v[116:117], v[102:103]
	s_waitcnt vmcnt(2)
	v_fmac_f64_e32 v[86:87], v[90:91], v[104:105]
	ds_read_b128 v[90:93], v88 offset:576
	s_waitcnt vmcnt(0) lgkmcnt(0)
	v_fmac_f64_e32 v[86:87], v[94:95], v[90:91]
	buffer_load_dword v91, off, s[0:3], 0 offset:252
	buffer_load_dword v90, off, s[0:3], 0 offset:248
	buffer_load_dword v95, off, s[0:3], 0 offset:260
	buffer_load_dword v94, off, s[0:3], 0 offset:256
	s_waitcnt vmcnt(2)
	v_fmac_f64_e32 v[86:87], v[90:91], v[92:93]
	ds_read_b128 v[90:93], v88 offset:592
	s_waitcnt vmcnt(0) lgkmcnt(0)
	v_fmac_f64_e32 v[86:87], v[94:95], v[90:91]
	buffer_load_dword v91, off, s[0:3], 0 offset:268
	buffer_load_dword v90, off, s[0:3], 0 offset:264
	buffer_load_dword v95, off, s[0:3], 0 offset:276
	buffer_load_dword v94, off, s[0:3], 0 offset:272
	;; [unrolled: 9-line block ×4, first 2 shown]
	s_waitcnt vmcnt(2)
	v_fmac_f64_e32 v[86:87], v[90:91], v[92:93]
	ds_read_b128 v[90:93], v88 offset:640
	s_waitcnt vmcnt(0) lgkmcnt(0)
	v_fmac_f64_e32 v[86:87], v[94:95], v[90:91]
	buffer_load_dword v91, off, s[0:3], 0 offset:316
	buffer_load_dword v90, off, s[0:3], 0 offset:312
	s_waitcnt vmcnt(0)
	v_fmac_f64_e32 v[86:87], v[90:91], v[92:93]
	buffer_load_dword v91, off, s[0:3], 0 offset:324
	buffer_load_dword v90, off, s[0:3], 0 offset:320
	ds_read_b64 v[92:93], v88 offset:656
	s_waitcnt vmcnt(0) lgkmcnt(0)
	v_fmac_f64_e32 v[86:87], v[90:91], v[92:93]
	v_add_f64 v[84:85], v[84:85], -v[86:87]
	buffer_store_dword v85, off, s[0:3], 0 offset:172
	buffer_store_dword v84, off, s[0:3], 0 offset:168
	s_and_saveexec_b64 s[4:5], vcc
	s_cbranch_execz .LBB40_213
; %bb.212:
	buffer_load_dword v84, off, s[0:3], 0 offset:160
	buffer_load_dword v85, off, s[0:3], 0 offset:164
	s_waitcnt vmcnt(0)
	ds_write_b64 v1, v[84:85]
	buffer_store_dword v88, off, s[0:3], 0 offset:160
	buffer_store_dword v88, off, s[0:3], 0 offset:164
.LBB40_213:
	s_or_b64 exec, exec, s[4:5]
	s_waitcnt lgkmcnt(0)
	; wave barrier
	s_waitcnt lgkmcnt(0)
	buffer_load_dword v84, off, s[0:3], 0 offset:160
	buffer_load_dword v85, off, s[0:3], 0 offset:164
	;; [unrolled: 1-line block ×16, first 2 shown]
	ds_read2_b64 v[90:93], v88 offset0:63 offset1:64
	v_cmp_lt_u32_e32 vcc, 19, v0
	s_waitcnt vmcnt(12) lgkmcnt(0)
	v_fma_f64 v[86:87], v[86:87], v[90:91], 0
	s_waitcnt vmcnt(10)
	v_fmac_f64_e32 v[86:87], v[94:95], v[92:93]
	ds_read2_b64 v[90:93], v88 offset0:65 offset1:66
	s_waitcnt vmcnt(8) lgkmcnt(0)
	v_fmac_f64_e32 v[86:87], v[96:97], v[90:91]
	s_waitcnt vmcnt(6)
	v_fmac_f64_e32 v[86:87], v[98:99], v[92:93]
	ds_read2_b64 v[90:93], v88 offset0:67 offset1:68
	s_waitcnt vmcnt(4) lgkmcnt(0)
	v_fmac_f64_e32 v[86:87], v[100:101], v[90:91]
	;; [unrolled: 5-line block ×3, first 2 shown]
	buffer_load_dword v91, off, s[0:3], 0 offset:228
	buffer_load_dword v90, off, s[0:3], 0 offset:224
	buffer_load_dword v95, off, s[0:3], 0 offset:236
	buffer_load_dword v94, off, s[0:3], 0 offset:232
	s_waitcnt vmcnt(2)
	v_fmac_f64_e32 v[86:87], v[90:91], v[92:93]
	ds_read2_b64 v[90:93], v88 offset0:71 offset1:72
	s_waitcnt vmcnt(0) lgkmcnt(0)
	v_fmac_f64_e32 v[86:87], v[94:95], v[90:91]
	buffer_load_dword v91, off, s[0:3], 0 offset:244
	buffer_load_dword v90, off, s[0:3], 0 offset:240
	buffer_load_dword v95, off, s[0:3], 0 offset:252
	buffer_load_dword v94, off, s[0:3], 0 offset:248
	s_waitcnt vmcnt(2)
	v_fmac_f64_e32 v[86:87], v[90:91], v[92:93]
	ds_read2_b64 v[90:93], v88 offset0:73 offset1:74
	s_waitcnt vmcnt(0) lgkmcnt(0)
	v_fmac_f64_e32 v[86:87], v[94:95], v[90:91]
	;; [unrolled: 9-line block ×5, first 2 shown]
	buffer_load_dword v91, off, s[0:3], 0 offset:308
	buffer_load_dword v90, off, s[0:3], 0 offset:304
	s_waitcnt vmcnt(0)
	v_fmac_f64_e32 v[86:87], v[90:91], v[92:93]
	buffer_load_dword v93, off, s[0:3], 0 offset:316
	buffer_load_dword v92, off, s[0:3], 0 offset:312
	ds_read2_b64 v[88:91], v88 offset0:81 offset1:82
	s_waitcnt vmcnt(0) lgkmcnt(0)
	v_fmac_f64_e32 v[86:87], v[92:93], v[88:89]
	buffer_load_dword v89, off, s[0:3], 0 offset:324
	buffer_load_dword v88, off, s[0:3], 0 offset:320
	s_waitcnt vmcnt(0)
	v_fmac_f64_e32 v[86:87], v[88:89], v[90:91]
	v_add_f64 v[84:85], v[84:85], -v[86:87]
	buffer_store_dword v85, off, s[0:3], 0 offset:164
	buffer_store_dword v84, off, s[0:3], 0 offset:160
	s_and_saveexec_b64 s[4:5], vcc
	s_cbranch_execz .LBB40_215
; %bb.214:
	buffer_load_dword v84, off, s[0:3], 0 offset:152
	buffer_load_dword v85, off, s[0:3], 0 offset:156
	v_mov_b32_e32 v86, 0
	buffer_store_dword v86, off, s[0:3], 0 offset:152
	buffer_store_dword v86, off, s[0:3], 0 offset:156
	s_waitcnt vmcnt(2)
	ds_write_b64 v1, v[84:85]
.LBB40_215:
	s_or_b64 exec, exec, s[4:5]
	s_waitcnt lgkmcnt(0)
	; wave barrier
	s_waitcnt lgkmcnt(0)
	buffer_load_dword v84, off, s[0:3], 0 offset:152
	buffer_load_dword v85, off, s[0:3], 0 offset:156
	;; [unrolled: 1-line block ×16, first 2 shown]
	v_mov_b32_e32 v88, 0
	ds_read_b128 v[90:93], v88 offset:496
	ds_read_b128 v[94:97], v88 offset:512
	;; [unrolled: 1-line block ×4, first 2 shown]
	v_cmp_lt_u32_e32 vcc, 18, v0
	s_waitcnt vmcnt(12) lgkmcnt(3)
	v_fma_f64 v[86:87], v[86:87], v[90:91], 0
	buffer_load_dword v91, off, s[0:3], 0 offset:220
	buffer_load_dword v90, off, s[0:3], 0 offset:216
	s_waitcnt vmcnt(12)
	v_fmac_f64_e32 v[86:87], v[106:107], v[92:93]
	s_waitcnt vmcnt(10) lgkmcnt(2)
	v_fmac_f64_e32 v[86:87], v[108:109], v[94:95]
	buffer_load_dword v95, off, s[0:3], 0 offset:228
	buffer_load_dword v94, off, s[0:3], 0 offset:224
	s_waitcnt vmcnt(10)
	v_fmac_f64_e32 v[86:87], v[110:111], v[96:97]
	s_waitcnt vmcnt(8) lgkmcnt(1)
	v_fmac_f64_e32 v[86:87], v[112:113], v[98:99]
	s_waitcnt vmcnt(6)
	v_fmac_f64_e32 v[86:87], v[114:115], v[100:101]
	s_waitcnt vmcnt(4) lgkmcnt(0)
	v_fmac_f64_e32 v[86:87], v[116:117], v[102:103]
	s_waitcnt vmcnt(2)
	v_fmac_f64_e32 v[86:87], v[90:91], v[104:105]
	ds_read_b128 v[90:93], v88 offset:560
	s_waitcnt vmcnt(0) lgkmcnt(0)
	v_fmac_f64_e32 v[86:87], v[94:95], v[90:91]
	buffer_load_dword v91, off, s[0:3], 0 offset:236
	buffer_load_dword v90, off, s[0:3], 0 offset:232
	buffer_load_dword v95, off, s[0:3], 0 offset:244
	buffer_load_dword v94, off, s[0:3], 0 offset:240
	s_waitcnt vmcnt(2)
	v_fmac_f64_e32 v[86:87], v[90:91], v[92:93]
	ds_read_b128 v[90:93], v88 offset:576
	s_waitcnt vmcnt(0) lgkmcnt(0)
	v_fmac_f64_e32 v[86:87], v[94:95], v[90:91]
	buffer_load_dword v91, off, s[0:3], 0 offset:252
	buffer_load_dword v90, off, s[0:3], 0 offset:248
	buffer_load_dword v95, off, s[0:3], 0 offset:260
	buffer_load_dword v94, off, s[0:3], 0 offset:256
	s_waitcnt vmcnt(2)
	v_fmac_f64_e32 v[86:87], v[90:91], v[92:93]
	ds_read_b128 v[90:93], v88 offset:592
	s_waitcnt vmcnt(0) lgkmcnt(0)
	v_fmac_f64_e32 v[86:87], v[94:95], v[90:91]
	buffer_load_dword v91, off, s[0:3], 0 offset:268
	buffer_load_dword v90, off, s[0:3], 0 offset:264
	buffer_load_dword v95, off, s[0:3], 0 offset:276
	buffer_load_dword v94, off, s[0:3], 0 offset:272
	s_waitcnt vmcnt(2)
	v_fmac_f64_e32 v[86:87], v[90:91], v[92:93]
	ds_read_b128 v[90:93], v88 offset:608
	s_waitcnt vmcnt(0) lgkmcnt(0)
	v_fmac_f64_e32 v[86:87], v[94:95], v[90:91]
	buffer_load_dword v91, off, s[0:3], 0 offset:284
	buffer_load_dword v90, off, s[0:3], 0 offset:280
	buffer_load_dword v95, off, s[0:3], 0 offset:292
	buffer_load_dword v94, off, s[0:3], 0 offset:288
	s_waitcnt vmcnt(2)
	v_fmac_f64_e32 v[86:87], v[90:91], v[92:93]
	ds_read_b128 v[90:93], v88 offset:624
	s_waitcnt vmcnt(0) lgkmcnt(0)
	v_fmac_f64_e32 v[86:87], v[94:95], v[90:91]
	buffer_load_dword v91, off, s[0:3], 0 offset:300
	buffer_load_dword v90, off, s[0:3], 0 offset:296
	buffer_load_dword v95, off, s[0:3], 0 offset:308
	buffer_load_dword v94, off, s[0:3], 0 offset:304
	s_waitcnt vmcnt(2)
	v_fmac_f64_e32 v[86:87], v[90:91], v[92:93]
	ds_read_b128 v[90:93], v88 offset:640
	s_waitcnt vmcnt(0) lgkmcnt(0)
	v_fmac_f64_e32 v[86:87], v[94:95], v[90:91]
	buffer_load_dword v91, off, s[0:3], 0 offset:316
	buffer_load_dword v90, off, s[0:3], 0 offset:312
	s_waitcnt vmcnt(0)
	v_fmac_f64_e32 v[86:87], v[90:91], v[92:93]
	buffer_load_dword v91, off, s[0:3], 0 offset:324
	buffer_load_dword v90, off, s[0:3], 0 offset:320
	ds_read_b64 v[92:93], v88 offset:656
	s_waitcnt vmcnt(0) lgkmcnt(0)
	v_fmac_f64_e32 v[86:87], v[90:91], v[92:93]
	v_add_f64 v[84:85], v[84:85], -v[86:87]
	buffer_store_dword v85, off, s[0:3], 0 offset:156
	buffer_store_dword v84, off, s[0:3], 0 offset:152
	s_and_saveexec_b64 s[4:5], vcc
	s_cbranch_execz .LBB40_217
; %bb.216:
	buffer_load_dword v84, off, s[0:3], 0 offset:144
	buffer_load_dword v85, off, s[0:3], 0 offset:148
	s_waitcnt vmcnt(0)
	ds_write_b64 v1, v[84:85]
	buffer_store_dword v88, off, s[0:3], 0 offset:144
	buffer_store_dword v88, off, s[0:3], 0 offset:148
.LBB40_217:
	s_or_b64 exec, exec, s[4:5]
	s_waitcnt lgkmcnt(0)
	; wave barrier
	s_waitcnt lgkmcnt(0)
	buffer_load_dword v84, off, s[0:3], 0 offset:144
	buffer_load_dword v85, off, s[0:3], 0 offset:148
	;; [unrolled: 1-line block ×16, first 2 shown]
	ds_read2_b64 v[90:93], v88 offset0:61 offset1:62
	v_cmp_lt_u32_e32 vcc, 17, v0
	s_waitcnt vmcnt(12) lgkmcnt(0)
	v_fma_f64 v[86:87], v[86:87], v[90:91], 0
	s_waitcnt vmcnt(10)
	v_fmac_f64_e32 v[86:87], v[94:95], v[92:93]
	ds_read2_b64 v[90:93], v88 offset0:63 offset1:64
	s_waitcnt vmcnt(8) lgkmcnt(0)
	v_fmac_f64_e32 v[86:87], v[96:97], v[90:91]
	s_waitcnt vmcnt(6)
	v_fmac_f64_e32 v[86:87], v[98:99], v[92:93]
	ds_read2_b64 v[90:93], v88 offset0:65 offset1:66
	s_waitcnt vmcnt(4) lgkmcnt(0)
	v_fmac_f64_e32 v[86:87], v[100:101], v[90:91]
	;; [unrolled: 5-line block ×3, first 2 shown]
	buffer_load_dword v91, off, s[0:3], 0 offset:212
	buffer_load_dword v90, off, s[0:3], 0 offset:208
	buffer_load_dword v95, off, s[0:3], 0 offset:220
	buffer_load_dword v94, off, s[0:3], 0 offset:216
	s_waitcnt vmcnt(2)
	v_fmac_f64_e32 v[86:87], v[90:91], v[92:93]
	ds_read2_b64 v[90:93], v88 offset0:69 offset1:70
	s_waitcnt vmcnt(0) lgkmcnt(0)
	v_fmac_f64_e32 v[86:87], v[94:95], v[90:91]
	buffer_load_dword v91, off, s[0:3], 0 offset:228
	buffer_load_dword v90, off, s[0:3], 0 offset:224
	buffer_load_dword v95, off, s[0:3], 0 offset:236
	buffer_load_dword v94, off, s[0:3], 0 offset:232
	s_waitcnt vmcnt(2)
	v_fmac_f64_e32 v[86:87], v[90:91], v[92:93]
	ds_read2_b64 v[90:93], v88 offset0:71 offset1:72
	s_waitcnt vmcnt(0) lgkmcnt(0)
	v_fmac_f64_e32 v[86:87], v[94:95], v[90:91]
	;; [unrolled: 9-line block ×6, first 2 shown]
	buffer_load_dword v91, off, s[0:3], 0 offset:308
	buffer_load_dword v90, off, s[0:3], 0 offset:304
	s_waitcnt vmcnt(0)
	v_fmac_f64_e32 v[86:87], v[90:91], v[92:93]
	buffer_load_dword v93, off, s[0:3], 0 offset:316
	buffer_load_dword v92, off, s[0:3], 0 offset:312
	ds_read2_b64 v[88:91], v88 offset0:81 offset1:82
	s_waitcnt vmcnt(0) lgkmcnt(0)
	v_fmac_f64_e32 v[86:87], v[92:93], v[88:89]
	buffer_load_dword v89, off, s[0:3], 0 offset:324
	buffer_load_dword v88, off, s[0:3], 0 offset:320
	s_waitcnt vmcnt(0)
	v_fmac_f64_e32 v[86:87], v[88:89], v[90:91]
	v_add_f64 v[84:85], v[84:85], -v[86:87]
	buffer_store_dword v85, off, s[0:3], 0 offset:148
	buffer_store_dword v84, off, s[0:3], 0 offset:144
	s_and_saveexec_b64 s[4:5], vcc
	s_cbranch_execz .LBB40_219
; %bb.218:
	buffer_load_dword v84, off, s[0:3], 0 offset:136
	buffer_load_dword v85, off, s[0:3], 0 offset:140
	v_mov_b32_e32 v86, 0
	buffer_store_dword v86, off, s[0:3], 0 offset:136
	buffer_store_dword v86, off, s[0:3], 0 offset:140
	s_waitcnt vmcnt(2)
	ds_write_b64 v1, v[84:85]
.LBB40_219:
	s_or_b64 exec, exec, s[4:5]
	s_waitcnt lgkmcnt(0)
	; wave barrier
	s_waitcnt lgkmcnt(0)
	buffer_load_dword v84, off, s[0:3], 0 offset:136
	buffer_load_dword v85, off, s[0:3], 0 offset:140
	;; [unrolled: 1-line block ×16, first 2 shown]
	v_mov_b32_e32 v88, 0
	ds_read_b128 v[90:93], v88 offset:480
	ds_read_b128 v[94:97], v88 offset:496
	;; [unrolled: 1-line block ×4, first 2 shown]
	v_cmp_lt_u32_e32 vcc, 16, v0
	s_waitcnt vmcnt(12) lgkmcnt(3)
	v_fma_f64 v[86:87], v[86:87], v[90:91], 0
	buffer_load_dword v91, off, s[0:3], 0 offset:204
	buffer_load_dword v90, off, s[0:3], 0 offset:200
	s_waitcnt vmcnt(12)
	v_fmac_f64_e32 v[86:87], v[106:107], v[92:93]
	s_waitcnt vmcnt(10) lgkmcnt(2)
	v_fmac_f64_e32 v[86:87], v[108:109], v[94:95]
	buffer_load_dword v95, off, s[0:3], 0 offset:212
	buffer_load_dword v94, off, s[0:3], 0 offset:208
	s_waitcnt vmcnt(10)
	v_fmac_f64_e32 v[86:87], v[110:111], v[96:97]
	s_waitcnt vmcnt(8) lgkmcnt(1)
	v_fmac_f64_e32 v[86:87], v[112:113], v[98:99]
	s_waitcnt vmcnt(6)
	v_fmac_f64_e32 v[86:87], v[114:115], v[100:101]
	s_waitcnt vmcnt(4) lgkmcnt(0)
	v_fmac_f64_e32 v[86:87], v[116:117], v[102:103]
	s_waitcnt vmcnt(2)
	v_fmac_f64_e32 v[86:87], v[90:91], v[104:105]
	ds_read_b128 v[90:93], v88 offset:544
	s_waitcnt vmcnt(0) lgkmcnt(0)
	v_fmac_f64_e32 v[86:87], v[94:95], v[90:91]
	buffer_load_dword v91, off, s[0:3], 0 offset:220
	buffer_load_dword v90, off, s[0:3], 0 offset:216
	buffer_load_dword v95, off, s[0:3], 0 offset:228
	buffer_load_dword v94, off, s[0:3], 0 offset:224
	s_waitcnt vmcnt(2)
	v_fmac_f64_e32 v[86:87], v[90:91], v[92:93]
	ds_read_b128 v[90:93], v88 offset:560
	s_waitcnt vmcnt(0) lgkmcnt(0)
	v_fmac_f64_e32 v[86:87], v[94:95], v[90:91]
	buffer_load_dword v91, off, s[0:3], 0 offset:236
	buffer_load_dword v90, off, s[0:3], 0 offset:232
	buffer_load_dword v95, off, s[0:3], 0 offset:244
	buffer_load_dword v94, off, s[0:3], 0 offset:240
	;; [unrolled: 9-line block ×6, first 2 shown]
	s_waitcnt vmcnt(2)
	v_fmac_f64_e32 v[86:87], v[90:91], v[92:93]
	ds_read_b128 v[90:93], v88 offset:640
	s_waitcnt vmcnt(0) lgkmcnt(0)
	v_fmac_f64_e32 v[86:87], v[94:95], v[90:91]
	buffer_load_dword v91, off, s[0:3], 0 offset:316
	buffer_load_dword v90, off, s[0:3], 0 offset:312
	s_waitcnt vmcnt(0)
	v_fmac_f64_e32 v[86:87], v[90:91], v[92:93]
	buffer_load_dword v91, off, s[0:3], 0 offset:324
	buffer_load_dword v90, off, s[0:3], 0 offset:320
	ds_read_b64 v[92:93], v88 offset:656
	s_waitcnt vmcnt(0) lgkmcnt(0)
	v_fmac_f64_e32 v[86:87], v[90:91], v[92:93]
	v_add_f64 v[84:85], v[84:85], -v[86:87]
	buffer_store_dword v85, off, s[0:3], 0 offset:140
	buffer_store_dword v84, off, s[0:3], 0 offset:136
	s_and_saveexec_b64 s[4:5], vcc
	s_cbranch_execz .LBB40_221
; %bb.220:
	buffer_load_dword v84, off, s[0:3], 0 offset:128
	buffer_load_dword v85, off, s[0:3], 0 offset:132
	s_waitcnt vmcnt(0)
	ds_write_b64 v1, v[84:85]
	buffer_store_dword v88, off, s[0:3], 0 offset:128
	buffer_store_dword v88, off, s[0:3], 0 offset:132
.LBB40_221:
	s_or_b64 exec, exec, s[4:5]
	s_waitcnt lgkmcnt(0)
	; wave barrier
	s_waitcnt lgkmcnt(0)
	buffer_load_dword v84, off, s[0:3], 0 offset:128
	buffer_load_dword v85, off, s[0:3], 0 offset:132
	;; [unrolled: 1-line block ×16, first 2 shown]
	ds_read2_b64 v[90:93], v88 offset0:59 offset1:60
	v_cmp_lt_u32_e32 vcc, 15, v0
	s_waitcnt vmcnt(12) lgkmcnt(0)
	v_fma_f64 v[86:87], v[86:87], v[90:91], 0
	s_waitcnt vmcnt(10)
	v_fmac_f64_e32 v[86:87], v[94:95], v[92:93]
	ds_read2_b64 v[90:93], v88 offset0:61 offset1:62
	s_waitcnt vmcnt(8) lgkmcnt(0)
	v_fmac_f64_e32 v[86:87], v[96:97], v[90:91]
	s_waitcnt vmcnt(6)
	v_fmac_f64_e32 v[86:87], v[98:99], v[92:93]
	ds_read2_b64 v[90:93], v88 offset0:63 offset1:64
	s_waitcnt vmcnt(4) lgkmcnt(0)
	v_fmac_f64_e32 v[86:87], v[100:101], v[90:91]
	;; [unrolled: 5-line block ×3, first 2 shown]
	buffer_load_dword v91, off, s[0:3], 0 offset:196
	buffer_load_dword v90, off, s[0:3], 0 offset:192
	buffer_load_dword v95, off, s[0:3], 0 offset:204
	buffer_load_dword v94, off, s[0:3], 0 offset:200
	s_waitcnt vmcnt(2)
	v_fmac_f64_e32 v[86:87], v[90:91], v[92:93]
	ds_read2_b64 v[90:93], v88 offset0:67 offset1:68
	s_waitcnt vmcnt(0) lgkmcnt(0)
	v_fmac_f64_e32 v[86:87], v[94:95], v[90:91]
	buffer_load_dword v91, off, s[0:3], 0 offset:212
	buffer_load_dword v90, off, s[0:3], 0 offset:208
	buffer_load_dword v95, off, s[0:3], 0 offset:220
	buffer_load_dword v94, off, s[0:3], 0 offset:216
	s_waitcnt vmcnt(2)
	v_fmac_f64_e32 v[86:87], v[90:91], v[92:93]
	ds_read2_b64 v[90:93], v88 offset0:69 offset1:70
	s_waitcnt vmcnt(0) lgkmcnt(0)
	v_fmac_f64_e32 v[86:87], v[94:95], v[90:91]
	;; [unrolled: 9-line block ×7, first 2 shown]
	buffer_load_dword v91, off, s[0:3], 0 offset:308
	buffer_load_dword v90, off, s[0:3], 0 offset:304
	s_waitcnt vmcnt(0)
	v_fmac_f64_e32 v[86:87], v[90:91], v[92:93]
	buffer_load_dword v93, off, s[0:3], 0 offset:316
	buffer_load_dword v92, off, s[0:3], 0 offset:312
	ds_read2_b64 v[88:91], v88 offset0:81 offset1:82
	s_waitcnt vmcnt(0) lgkmcnt(0)
	v_fmac_f64_e32 v[86:87], v[92:93], v[88:89]
	buffer_load_dword v89, off, s[0:3], 0 offset:324
	buffer_load_dword v88, off, s[0:3], 0 offset:320
	s_waitcnt vmcnt(0)
	v_fmac_f64_e32 v[86:87], v[88:89], v[90:91]
	v_add_f64 v[84:85], v[84:85], -v[86:87]
	buffer_store_dword v85, off, s[0:3], 0 offset:132
	buffer_store_dword v84, off, s[0:3], 0 offset:128
	s_and_saveexec_b64 s[4:5], vcc
	s_cbranch_execz .LBB40_223
; %bb.222:
	buffer_load_dword v84, off, s[0:3], 0 offset:120
	buffer_load_dword v85, off, s[0:3], 0 offset:124
	v_mov_b32_e32 v86, 0
	buffer_store_dword v86, off, s[0:3], 0 offset:120
	buffer_store_dword v86, off, s[0:3], 0 offset:124
	s_waitcnt vmcnt(2)
	ds_write_b64 v1, v[84:85]
.LBB40_223:
	s_or_b64 exec, exec, s[4:5]
	s_waitcnt lgkmcnt(0)
	; wave barrier
	s_waitcnt lgkmcnt(0)
	buffer_load_dword v84, off, s[0:3], 0 offset:120
	buffer_load_dword v85, off, s[0:3], 0 offset:124
	;; [unrolled: 1-line block ×16, first 2 shown]
	v_mov_b32_e32 v88, 0
	ds_read_b128 v[90:93], v88 offset:464
	ds_read_b128 v[94:97], v88 offset:480
	;; [unrolled: 1-line block ×4, first 2 shown]
	v_cmp_lt_u32_e32 vcc, 14, v0
	s_waitcnt vmcnt(12) lgkmcnt(3)
	v_fma_f64 v[86:87], v[86:87], v[90:91], 0
	buffer_load_dword v91, off, s[0:3], 0 offset:188
	buffer_load_dword v90, off, s[0:3], 0 offset:184
	s_waitcnt vmcnt(12)
	v_fmac_f64_e32 v[86:87], v[106:107], v[92:93]
	s_waitcnt vmcnt(10) lgkmcnt(2)
	v_fmac_f64_e32 v[86:87], v[108:109], v[94:95]
	buffer_load_dword v95, off, s[0:3], 0 offset:196
	buffer_load_dword v94, off, s[0:3], 0 offset:192
	s_waitcnt vmcnt(10)
	v_fmac_f64_e32 v[86:87], v[110:111], v[96:97]
	s_waitcnt vmcnt(8) lgkmcnt(1)
	v_fmac_f64_e32 v[86:87], v[112:113], v[98:99]
	s_waitcnt vmcnt(6)
	v_fmac_f64_e32 v[86:87], v[114:115], v[100:101]
	s_waitcnt vmcnt(4) lgkmcnt(0)
	v_fmac_f64_e32 v[86:87], v[116:117], v[102:103]
	s_waitcnt vmcnt(2)
	v_fmac_f64_e32 v[86:87], v[90:91], v[104:105]
	ds_read_b128 v[90:93], v88 offset:528
	s_waitcnt vmcnt(0) lgkmcnt(0)
	v_fmac_f64_e32 v[86:87], v[94:95], v[90:91]
	buffer_load_dword v91, off, s[0:3], 0 offset:204
	buffer_load_dword v90, off, s[0:3], 0 offset:200
	buffer_load_dword v95, off, s[0:3], 0 offset:212
	buffer_load_dword v94, off, s[0:3], 0 offset:208
	s_waitcnt vmcnt(2)
	v_fmac_f64_e32 v[86:87], v[90:91], v[92:93]
	ds_read_b128 v[90:93], v88 offset:544
	s_waitcnt vmcnt(0) lgkmcnt(0)
	v_fmac_f64_e32 v[86:87], v[94:95], v[90:91]
	buffer_load_dword v91, off, s[0:3], 0 offset:220
	buffer_load_dword v90, off, s[0:3], 0 offset:216
	buffer_load_dword v95, off, s[0:3], 0 offset:228
	buffer_load_dword v94, off, s[0:3], 0 offset:224
	;; [unrolled: 9-line block ×7, first 2 shown]
	s_waitcnt vmcnt(2)
	v_fmac_f64_e32 v[86:87], v[90:91], v[92:93]
	ds_read_b128 v[90:93], v88 offset:640
	s_waitcnt vmcnt(0) lgkmcnt(0)
	v_fmac_f64_e32 v[86:87], v[94:95], v[90:91]
	buffer_load_dword v91, off, s[0:3], 0 offset:316
	buffer_load_dword v90, off, s[0:3], 0 offset:312
	s_waitcnt vmcnt(0)
	v_fmac_f64_e32 v[86:87], v[90:91], v[92:93]
	buffer_load_dword v91, off, s[0:3], 0 offset:324
	buffer_load_dword v90, off, s[0:3], 0 offset:320
	ds_read_b64 v[92:93], v88 offset:656
	s_waitcnt vmcnt(0) lgkmcnt(0)
	v_fmac_f64_e32 v[86:87], v[90:91], v[92:93]
	v_add_f64 v[84:85], v[84:85], -v[86:87]
	buffer_store_dword v85, off, s[0:3], 0 offset:124
	buffer_store_dword v84, off, s[0:3], 0 offset:120
	s_and_saveexec_b64 s[4:5], vcc
	s_cbranch_execz .LBB40_225
; %bb.224:
	buffer_load_dword v84, off, s[0:3], 0 offset:112
	buffer_load_dword v85, off, s[0:3], 0 offset:116
	s_waitcnt vmcnt(0)
	ds_write_b64 v1, v[84:85]
	buffer_store_dword v88, off, s[0:3], 0 offset:112
	buffer_store_dword v88, off, s[0:3], 0 offset:116
.LBB40_225:
	s_or_b64 exec, exec, s[4:5]
	s_waitcnt lgkmcnt(0)
	; wave barrier
	s_waitcnt lgkmcnt(0)
	buffer_load_dword v84, off, s[0:3], 0 offset:112
	buffer_load_dword v85, off, s[0:3], 0 offset:116
	;; [unrolled: 1-line block ×16, first 2 shown]
	ds_read2_b64 v[90:93], v88 offset0:57 offset1:58
	v_cmp_lt_u32_e32 vcc, 13, v0
	s_waitcnt vmcnt(12) lgkmcnt(0)
	v_fma_f64 v[86:87], v[86:87], v[90:91], 0
	s_waitcnt vmcnt(10)
	v_fmac_f64_e32 v[86:87], v[94:95], v[92:93]
	ds_read2_b64 v[90:93], v88 offset0:59 offset1:60
	s_waitcnt vmcnt(8) lgkmcnt(0)
	v_fmac_f64_e32 v[86:87], v[96:97], v[90:91]
	s_waitcnt vmcnt(6)
	v_fmac_f64_e32 v[86:87], v[98:99], v[92:93]
	ds_read2_b64 v[90:93], v88 offset0:61 offset1:62
	s_waitcnt vmcnt(4) lgkmcnt(0)
	v_fmac_f64_e32 v[86:87], v[100:101], v[90:91]
	;; [unrolled: 5-line block ×3, first 2 shown]
	buffer_load_dword v91, off, s[0:3], 0 offset:180
	buffer_load_dword v90, off, s[0:3], 0 offset:176
	buffer_load_dword v95, off, s[0:3], 0 offset:188
	buffer_load_dword v94, off, s[0:3], 0 offset:184
	s_waitcnt vmcnt(2)
	v_fmac_f64_e32 v[86:87], v[90:91], v[92:93]
	ds_read2_b64 v[90:93], v88 offset0:65 offset1:66
	s_waitcnt vmcnt(0) lgkmcnt(0)
	v_fmac_f64_e32 v[86:87], v[94:95], v[90:91]
	buffer_load_dword v91, off, s[0:3], 0 offset:196
	buffer_load_dword v90, off, s[0:3], 0 offset:192
	buffer_load_dword v95, off, s[0:3], 0 offset:204
	buffer_load_dword v94, off, s[0:3], 0 offset:200
	s_waitcnt vmcnt(2)
	v_fmac_f64_e32 v[86:87], v[90:91], v[92:93]
	ds_read2_b64 v[90:93], v88 offset0:67 offset1:68
	s_waitcnt vmcnt(0) lgkmcnt(0)
	v_fmac_f64_e32 v[86:87], v[94:95], v[90:91]
	;; [unrolled: 9-line block ×8, first 2 shown]
	buffer_load_dword v91, off, s[0:3], 0 offset:308
	buffer_load_dword v90, off, s[0:3], 0 offset:304
	s_waitcnt vmcnt(0)
	v_fmac_f64_e32 v[86:87], v[90:91], v[92:93]
	buffer_load_dword v93, off, s[0:3], 0 offset:316
	buffer_load_dword v92, off, s[0:3], 0 offset:312
	ds_read2_b64 v[88:91], v88 offset0:81 offset1:82
	s_waitcnt vmcnt(0) lgkmcnt(0)
	v_fmac_f64_e32 v[86:87], v[92:93], v[88:89]
	buffer_load_dword v89, off, s[0:3], 0 offset:324
	buffer_load_dword v88, off, s[0:3], 0 offset:320
	s_waitcnt vmcnt(0)
	v_fmac_f64_e32 v[86:87], v[88:89], v[90:91]
	v_add_f64 v[84:85], v[84:85], -v[86:87]
	buffer_store_dword v85, off, s[0:3], 0 offset:116
	buffer_store_dword v84, off, s[0:3], 0 offset:112
	s_and_saveexec_b64 s[4:5], vcc
	s_cbranch_execz .LBB40_227
; %bb.226:
	buffer_load_dword v84, off, s[0:3], 0 offset:104
	buffer_load_dword v85, off, s[0:3], 0 offset:108
	v_mov_b32_e32 v86, 0
	buffer_store_dword v86, off, s[0:3], 0 offset:104
	buffer_store_dword v86, off, s[0:3], 0 offset:108
	s_waitcnt vmcnt(2)
	ds_write_b64 v1, v[84:85]
.LBB40_227:
	s_or_b64 exec, exec, s[4:5]
	s_waitcnt lgkmcnt(0)
	; wave barrier
	s_waitcnt lgkmcnt(0)
	buffer_load_dword v84, off, s[0:3], 0 offset:104
	buffer_load_dword v85, off, s[0:3], 0 offset:108
	;; [unrolled: 1-line block ×16, first 2 shown]
	v_mov_b32_e32 v88, 0
	ds_read_b128 v[90:93], v88 offset:448
	ds_read_b128 v[94:97], v88 offset:464
	;; [unrolled: 1-line block ×4, first 2 shown]
	v_cmp_lt_u32_e32 vcc, 12, v0
	s_waitcnt vmcnt(12) lgkmcnt(3)
	v_fma_f64 v[86:87], v[86:87], v[90:91], 0
	buffer_load_dword v91, off, s[0:3], 0 offset:172
	buffer_load_dword v90, off, s[0:3], 0 offset:168
	s_waitcnt vmcnt(12)
	v_fmac_f64_e32 v[86:87], v[106:107], v[92:93]
	s_waitcnt vmcnt(10) lgkmcnt(2)
	v_fmac_f64_e32 v[86:87], v[108:109], v[94:95]
	buffer_load_dword v95, off, s[0:3], 0 offset:180
	buffer_load_dword v94, off, s[0:3], 0 offset:176
	s_waitcnt vmcnt(10)
	v_fmac_f64_e32 v[86:87], v[110:111], v[96:97]
	s_waitcnt vmcnt(8) lgkmcnt(1)
	v_fmac_f64_e32 v[86:87], v[112:113], v[98:99]
	s_waitcnt vmcnt(6)
	v_fmac_f64_e32 v[86:87], v[114:115], v[100:101]
	s_waitcnt vmcnt(4) lgkmcnt(0)
	v_fmac_f64_e32 v[86:87], v[116:117], v[102:103]
	s_waitcnt vmcnt(2)
	v_fmac_f64_e32 v[86:87], v[90:91], v[104:105]
	ds_read_b128 v[90:93], v88 offset:512
	s_waitcnt vmcnt(0) lgkmcnt(0)
	v_fmac_f64_e32 v[86:87], v[94:95], v[90:91]
	buffer_load_dword v91, off, s[0:3], 0 offset:188
	buffer_load_dword v90, off, s[0:3], 0 offset:184
	buffer_load_dword v95, off, s[0:3], 0 offset:196
	buffer_load_dword v94, off, s[0:3], 0 offset:192
	s_waitcnt vmcnt(2)
	v_fmac_f64_e32 v[86:87], v[90:91], v[92:93]
	ds_read_b128 v[90:93], v88 offset:528
	s_waitcnt vmcnt(0) lgkmcnt(0)
	v_fmac_f64_e32 v[86:87], v[94:95], v[90:91]
	buffer_load_dword v91, off, s[0:3], 0 offset:204
	buffer_load_dword v90, off, s[0:3], 0 offset:200
	buffer_load_dword v95, off, s[0:3], 0 offset:212
	buffer_load_dword v94, off, s[0:3], 0 offset:208
	;; [unrolled: 9-line block ×8, first 2 shown]
	s_waitcnt vmcnt(2)
	v_fmac_f64_e32 v[86:87], v[90:91], v[92:93]
	ds_read_b128 v[90:93], v88 offset:640
	s_waitcnt vmcnt(0) lgkmcnt(0)
	v_fmac_f64_e32 v[86:87], v[94:95], v[90:91]
	buffer_load_dword v91, off, s[0:3], 0 offset:316
	buffer_load_dword v90, off, s[0:3], 0 offset:312
	s_waitcnt vmcnt(0)
	v_fmac_f64_e32 v[86:87], v[90:91], v[92:93]
	buffer_load_dword v91, off, s[0:3], 0 offset:324
	buffer_load_dword v90, off, s[0:3], 0 offset:320
	ds_read_b64 v[92:93], v88 offset:656
	s_waitcnt vmcnt(0) lgkmcnt(0)
	v_fmac_f64_e32 v[86:87], v[90:91], v[92:93]
	v_add_f64 v[84:85], v[84:85], -v[86:87]
	buffer_store_dword v85, off, s[0:3], 0 offset:108
	buffer_store_dword v84, off, s[0:3], 0 offset:104
	s_and_saveexec_b64 s[4:5], vcc
	s_cbranch_execz .LBB40_229
; %bb.228:
	buffer_load_dword v84, off, s[0:3], 0 offset:96
	buffer_load_dword v85, off, s[0:3], 0 offset:100
	s_waitcnt vmcnt(0)
	ds_write_b64 v1, v[84:85]
	buffer_store_dword v88, off, s[0:3], 0 offset:96
	buffer_store_dword v88, off, s[0:3], 0 offset:100
.LBB40_229:
	s_or_b64 exec, exec, s[4:5]
	s_waitcnt lgkmcnt(0)
	; wave barrier
	s_waitcnt lgkmcnt(0)
	buffer_load_dword v84, off, s[0:3], 0 offset:96
	buffer_load_dword v85, off, s[0:3], 0 offset:100
	;; [unrolled: 1-line block ×16, first 2 shown]
	ds_read2_b64 v[90:93], v88 offset0:55 offset1:56
	v_cmp_lt_u32_e32 vcc, 11, v0
	s_waitcnt vmcnt(12) lgkmcnt(0)
	v_fma_f64 v[86:87], v[86:87], v[90:91], 0
	s_waitcnt vmcnt(10)
	v_fmac_f64_e32 v[86:87], v[94:95], v[92:93]
	ds_read2_b64 v[90:93], v88 offset0:57 offset1:58
	s_waitcnt vmcnt(8) lgkmcnt(0)
	v_fmac_f64_e32 v[86:87], v[96:97], v[90:91]
	s_waitcnt vmcnt(6)
	v_fmac_f64_e32 v[86:87], v[98:99], v[92:93]
	ds_read2_b64 v[90:93], v88 offset0:59 offset1:60
	s_waitcnt vmcnt(4) lgkmcnt(0)
	v_fmac_f64_e32 v[86:87], v[100:101], v[90:91]
	s_waitcnt vmcnt(2)
	v_fmac_f64_e32 v[86:87], v[102:103], v[92:93]
	ds_read2_b64 v[90:93], v88 offset0:61 offset1:62
	s_waitcnt vmcnt(0) lgkmcnt(0)
	v_fmac_f64_e32 v[86:87], v[104:105], v[90:91]
	buffer_load_dword v91, off, s[0:3], 0 offset:164
	buffer_load_dword v90, off, s[0:3], 0 offset:160
	buffer_load_dword v95, off, s[0:3], 0 offset:172
	buffer_load_dword v94, off, s[0:3], 0 offset:168
	s_waitcnt vmcnt(2)
	v_fmac_f64_e32 v[86:87], v[90:91], v[92:93]
	ds_read2_b64 v[90:93], v88 offset0:63 offset1:64
	s_waitcnt vmcnt(0) lgkmcnt(0)
	v_fmac_f64_e32 v[86:87], v[94:95], v[90:91]
	buffer_load_dword v91, off, s[0:3], 0 offset:180
	buffer_load_dword v90, off, s[0:3], 0 offset:176
	buffer_load_dword v95, off, s[0:3], 0 offset:188
	buffer_load_dword v94, off, s[0:3], 0 offset:184
	s_waitcnt vmcnt(2)
	v_fmac_f64_e32 v[86:87], v[90:91], v[92:93]
	ds_read2_b64 v[90:93], v88 offset0:65 offset1:66
	s_waitcnt vmcnt(0) lgkmcnt(0)
	v_fmac_f64_e32 v[86:87], v[94:95], v[90:91]
	;; [unrolled: 9-line block ×9, first 2 shown]
	buffer_load_dword v91, off, s[0:3], 0 offset:308
	buffer_load_dword v90, off, s[0:3], 0 offset:304
	s_waitcnt vmcnt(0)
	v_fmac_f64_e32 v[86:87], v[90:91], v[92:93]
	buffer_load_dword v93, off, s[0:3], 0 offset:316
	buffer_load_dword v92, off, s[0:3], 0 offset:312
	ds_read2_b64 v[88:91], v88 offset0:81 offset1:82
	s_waitcnt vmcnt(0) lgkmcnt(0)
	v_fmac_f64_e32 v[86:87], v[92:93], v[88:89]
	buffer_load_dword v89, off, s[0:3], 0 offset:324
	buffer_load_dword v88, off, s[0:3], 0 offset:320
	s_waitcnt vmcnt(0)
	v_fmac_f64_e32 v[86:87], v[88:89], v[90:91]
	v_add_f64 v[84:85], v[84:85], -v[86:87]
	buffer_store_dword v85, off, s[0:3], 0 offset:100
	buffer_store_dword v84, off, s[0:3], 0 offset:96
	s_and_saveexec_b64 s[4:5], vcc
	s_cbranch_execz .LBB40_231
; %bb.230:
	buffer_load_dword v84, off, s[0:3], 0 offset:88
	buffer_load_dword v85, off, s[0:3], 0 offset:92
	v_mov_b32_e32 v86, 0
	buffer_store_dword v86, off, s[0:3], 0 offset:88
	buffer_store_dword v86, off, s[0:3], 0 offset:92
	s_waitcnt vmcnt(2)
	ds_write_b64 v1, v[84:85]
.LBB40_231:
	s_or_b64 exec, exec, s[4:5]
	s_waitcnt lgkmcnt(0)
	; wave barrier
	s_waitcnt lgkmcnt(0)
	buffer_load_dword v84, off, s[0:3], 0 offset:88
	buffer_load_dword v85, off, s[0:3], 0 offset:92
	;; [unrolled: 1-line block ×16, first 2 shown]
	v_mov_b32_e32 v88, 0
	ds_read_b128 v[90:93], v88 offset:432
	ds_read_b128 v[94:97], v88 offset:448
	;; [unrolled: 1-line block ×4, first 2 shown]
	v_cmp_lt_u32_e32 vcc, 10, v0
	s_waitcnt vmcnt(12) lgkmcnt(3)
	v_fma_f64 v[86:87], v[86:87], v[90:91], 0
	buffer_load_dword v91, off, s[0:3], 0 offset:156
	buffer_load_dword v90, off, s[0:3], 0 offset:152
	s_waitcnt vmcnt(12)
	v_fmac_f64_e32 v[86:87], v[106:107], v[92:93]
	s_waitcnt vmcnt(10) lgkmcnt(2)
	v_fmac_f64_e32 v[86:87], v[108:109], v[94:95]
	buffer_load_dword v95, off, s[0:3], 0 offset:164
	buffer_load_dword v94, off, s[0:3], 0 offset:160
	s_waitcnt vmcnt(10)
	v_fmac_f64_e32 v[86:87], v[110:111], v[96:97]
	s_waitcnt vmcnt(8) lgkmcnt(1)
	v_fmac_f64_e32 v[86:87], v[112:113], v[98:99]
	s_waitcnt vmcnt(6)
	v_fmac_f64_e32 v[86:87], v[114:115], v[100:101]
	s_waitcnt vmcnt(4) lgkmcnt(0)
	v_fmac_f64_e32 v[86:87], v[116:117], v[102:103]
	s_waitcnt vmcnt(2)
	v_fmac_f64_e32 v[86:87], v[90:91], v[104:105]
	ds_read_b128 v[90:93], v88 offset:496
	s_waitcnt vmcnt(0) lgkmcnt(0)
	v_fmac_f64_e32 v[86:87], v[94:95], v[90:91]
	buffer_load_dword v91, off, s[0:3], 0 offset:172
	buffer_load_dword v90, off, s[0:3], 0 offset:168
	buffer_load_dword v95, off, s[0:3], 0 offset:180
	buffer_load_dword v94, off, s[0:3], 0 offset:176
	s_waitcnt vmcnt(2)
	v_fmac_f64_e32 v[86:87], v[90:91], v[92:93]
	ds_read_b128 v[90:93], v88 offset:512
	s_waitcnt vmcnt(0) lgkmcnt(0)
	v_fmac_f64_e32 v[86:87], v[94:95], v[90:91]
	buffer_load_dword v91, off, s[0:3], 0 offset:188
	buffer_load_dword v90, off, s[0:3], 0 offset:184
	buffer_load_dword v95, off, s[0:3], 0 offset:196
	buffer_load_dword v94, off, s[0:3], 0 offset:192
	;; [unrolled: 9-line block ×9, first 2 shown]
	s_waitcnt vmcnt(2)
	v_fmac_f64_e32 v[86:87], v[90:91], v[92:93]
	ds_read_b128 v[90:93], v88 offset:640
	s_waitcnt vmcnt(0) lgkmcnt(0)
	v_fmac_f64_e32 v[86:87], v[94:95], v[90:91]
	buffer_load_dword v91, off, s[0:3], 0 offset:316
	buffer_load_dword v90, off, s[0:3], 0 offset:312
	s_waitcnt vmcnt(0)
	v_fmac_f64_e32 v[86:87], v[90:91], v[92:93]
	buffer_load_dword v91, off, s[0:3], 0 offset:324
	buffer_load_dword v90, off, s[0:3], 0 offset:320
	ds_read_b64 v[92:93], v88 offset:656
	s_waitcnt vmcnt(0) lgkmcnt(0)
	v_fmac_f64_e32 v[86:87], v[90:91], v[92:93]
	v_add_f64 v[84:85], v[84:85], -v[86:87]
	buffer_store_dword v85, off, s[0:3], 0 offset:92
	buffer_store_dword v84, off, s[0:3], 0 offset:88
	s_and_saveexec_b64 s[4:5], vcc
	s_cbranch_execz .LBB40_233
; %bb.232:
	buffer_load_dword v84, off, s[0:3], 0 offset:80
	buffer_load_dword v85, off, s[0:3], 0 offset:84
	s_waitcnt vmcnt(0)
	ds_write_b64 v1, v[84:85]
	buffer_store_dword v88, off, s[0:3], 0 offset:80
	buffer_store_dword v88, off, s[0:3], 0 offset:84
.LBB40_233:
	s_or_b64 exec, exec, s[4:5]
	s_waitcnt lgkmcnt(0)
	; wave barrier
	s_waitcnt lgkmcnt(0)
	buffer_load_dword v84, off, s[0:3], 0 offset:80
	buffer_load_dword v85, off, s[0:3], 0 offset:84
	;; [unrolled: 1-line block ×16, first 2 shown]
	ds_read2_b64 v[90:93], v88 offset0:53 offset1:54
	v_cmp_lt_u32_e32 vcc, 9, v0
	s_waitcnt vmcnt(12) lgkmcnt(0)
	v_fma_f64 v[86:87], v[86:87], v[90:91], 0
	s_waitcnt vmcnt(10)
	v_fmac_f64_e32 v[86:87], v[94:95], v[92:93]
	ds_read2_b64 v[90:93], v88 offset0:55 offset1:56
	s_waitcnt vmcnt(8) lgkmcnt(0)
	v_fmac_f64_e32 v[86:87], v[96:97], v[90:91]
	s_waitcnt vmcnt(6)
	v_fmac_f64_e32 v[86:87], v[98:99], v[92:93]
	ds_read2_b64 v[90:93], v88 offset0:57 offset1:58
	s_waitcnt vmcnt(4) lgkmcnt(0)
	v_fmac_f64_e32 v[86:87], v[100:101], v[90:91]
	;; [unrolled: 5-line block ×3, first 2 shown]
	buffer_load_dword v91, off, s[0:3], 0 offset:148
	buffer_load_dword v90, off, s[0:3], 0 offset:144
	buffer_load_dword v95, off, s[0:3], 0 offset:156
	buffer_load_dword v94, off, s[0:3], 0 offset:152
	s_waitcnt vmcnt(2)
	v_fmac_f64_e32 v[86:87], v[90:91], v[92:93]
	ds_read2_b64 v[90:93], v88 offset0:61 offset1:62
	s_waitcnt vmcnt(0) lgkmcnt(0)
	v_fmac_f64_e32 v[86:87], v[94:95], v[90:91]
	buffer_load_dword v91, off, s[0:3], 0 offset:164
	buffer_load_dword v90, off, s[0:3], 0 offset:160
	buffer_load_dword v95, off, s[0:3], 0 offset:172
	buffer_load_dword v94, off, s[0:3], 0 offset:168
	s_waitcnt vmcnt(2)
	v_fmac_f64_e32 v[86:87], v[90:91], v[92:93]
	ds_read2_b64 v[90:93], v88 offset0:63 offset1:64
	s_waitcnt vmcnt(0) lgkmcnt(0)
	v_fmac_f64_e32 v[86:87], v[94:95], v[90:91]
	;; [unrolled: 9-line block ×10, first 2 shown]
	buffer_load_dword v91, off, s[0:3], 0 offset:308
	buffer_load_dword v90, off, s[0:3], 0 offset:304
	s_waitcnt vmcnt(0)
	v_fmac_f64_e32 v[86:87], v[90:91], v[92:93]
	buffer_load_dword v93, off, s[0:3], 0 offset:316
	buffer_load_dword v92, off, s[0:3], 0 offset:312
	ds_read2_b64 v[88:91], v88 offset0:81 offset1:82
	s_waitcnt vmcnt(0) lgkmcnt(0)
	v_fmac_f64_e32 v[86:87], v[92:93], v[88:89]
	buffer_load_dword v89, off, s[0:3], 0 offset:324
	buffer_load_dword v88, off, s[0:3], 0 offset:320
	s_waitcnt vmcnt(0)
	v_fmac_f64_e32 v[86:87], v[88:89], v[90:91]
	v_add_f64 v[84:85], v[84:85], -v[86:87]
	buffer_store_dword v85, off, s[0:3], 0 offset:84
	buffer_store_dword v84, off, s[0:3], 0 offset:80
	s_and_saveexec_b64 s[4:5], vcc
	s_cbranch_execz .LBB40_235
; %bb.234:
	buffer_load_dword v84, off, s[0:3], 0 offset:72
	buffer_load_dword v85, off, s[0:3], 0 offset:76
	v_mov_b32_e32 v86, 0
	buffer_store_dword v86, off, s[0:3], 0 offset:72
	buffer_store_dword v86, off, s[0:3], 0 offset:76
	s_waitcnt vmcnt(2)
	ds_write_b64 v1, v[84:85]
.LBB40_235:
	s_or_b64 exec, exec, s[4:5]
	s_waitcnt lgkmcnt(0)
	; wave barrier
	s_waitcnt lgkmcnt(0)
	buffer_load_dword v84, off, s[0:3], 0 offset:72
	buffer_load_dword v85, off, s[0:3], 0 offset:76
	;; [unrolled: 1-line block ×16, first 2 shown]
	v_mov_b32_e32 v88, 0
	ds_read_b128 v[90:93], v88 offset:416
	ds_read_b128 v[94:97], v88 offset:432
	;; [unrolled: 1-line block ×4, first 2 shown]
	v_cmp_lt_u32_e32 vcc, 8, v0
	s_waitcnt vmcnt(12) lgkmcnt(3)
	v_fma_f64 v[86:87], v[86:87], v[90:91], 0
	buffer_load_dword v91, off, s[0:3], 0 offset:140
	buffer_load_dword v90, off, s[0:3], 0 offset:136
	s_waitcnt vmcnt(12)
	v_fmac_f64_e32 v[86:87], v[106:107], v[92:93]
	s_waitcnt vmcnt(10) lgkmcnt(2)
	v_fmac_f64_e32 v[86:87], v[108:109], v[94:95]
	buffer_load_dword v95, off, s[0:3], 0 offset:148
	buffer_load_dword v94, off, s[0:3], 0 offset:144
	s_waitcnt vmcnt(10)
	v_fmac_f64_e32 v[86:87], v[110:111], v[96:97]
	s_waitcnt vmcnt(8) lgkmcnt(1)
	v_fmac_f64_e32 v[86:87], v[112:113], v[98:99]
	s_waitcnt vmcnt(6)
	v_fmac_f64_e32 v[86:87], v[114:115], v[100:101]
	s_waitcnt vmcnt(4) lgkmcnt(0)
	v_fmac_f64_e32 v[86:87], v[116:117], v[102:103]
	s_waitcnt vmcnt(2)
	v_fmac_f64_e32 v[86:87], v[90:91], v[104:105]
	ds_read_b128 v[90:93], v88 offset:480
	s_waitcnt vmcnt(0) lgkmcnt(0)
	v_fmac_f64_e32 v[86:87], v[94:95], v[90:91]
	buffer_load_dword v91, off, s[0:3], 0 offset:156
	buffer_load_dword v90, off, s[0:3], 0 offset:152
	buffer_load_dword v95, off, s[0:3], 0 offset:164
	buffer_load_dword v94, off, s[0:3], 0 offset:160
	s_waitcnt vmcnt(2)
	v_fmac_f64_e32 v[86:87], v[90:91], v[92:93]
	ds_read_b128 v[90:93], v88 offset:496
	s_waitcnt vmcnt(0) lgkmcnt(0)
	v_fmac_f64_e32 v[86:87], v[94:95], v[90:91]
	buffer_load_dword v91, off, s[0:3], 0 offset:172
	buffer_load_dword v90, off, s[0:3], 0 offset:168
	buffer_load_dword v95, off, s[0:3], 0 offset:180
	buffer_load_dword v94, off, s[0:3], 0 offset:176
	;; [unrolled: 9-line block ×10, first 2 shown]
	s_waitcnt vmcnt(2)
	v_fmac_f64_e32 v[86:87], v[90:91], v[92:93]
	ds_read_b128 v[90:93], v88 offset:640
	s_waitcnt vmcnt(0) lgkmcnt(0)
	v_fmac_f64_e32 v[86:87], v[94:95], v[90:91]
	buffer_load_dword v91, off, s[0:3], 0 offset:316
	buffer_load_dword v90, off, s[0:3], 0 offset:312
	s_waitcnt vmcnt(0)
	v_fmac_f64_e32 v[86:87], v[90:91], v[92:93]
	buffer_load_dword v91, off, s[0:3], 0 offset:324
	buffer_load_dword v90, off, s[0:3], 0 offset:320
	ds_read_b64 v[92:93], v88 offset:656
	s_waitcnt vmcnt(0) lgkmcnt(0)
	v_fmac_f64_e32 v[86:87], v[90:91], v[92:93]
	v_add_f64 v[84:85], v[84:85], -v[86:87]
	buffer_store_dword v85, off, s[0:3], 0 offset:76
	buffer_store_dword v84, off, s[0:3], 0 offset:72
	s_and_saveexec_b64 s[4:5], vcc
	s_cbranch_execz .LBB40_237
; %bb.236:
	buffer_load_dword v84, off, s[0:3], 0 offset:64
	buffer_load_dword v85, off, s[0:3], 0 offset:68
	s_waitcnt vmcnt(0)
	ds_write_b64 v1, v[84:85]
	buffer_store_dword v88, off, s[0:3], 0 offset:64
	buffer_store_dword v88, off, s[0:3], 0 offset:68
.LBB40_237:
	s_or_b64 exec, exec, s[4:5]
	s_waitcnt lgkmcnt(0)
	; wave barrier
	s_waitcnt lgkmcnt(0)
	buffer_load_dword v84, off, s[0:3], 0 offset:64
	buffer_load_dword v85, off, s[0:3], 0 offset:68
	buffer_load_dword v86, off, s[0:3], 0 offset:72
	buffer_load_dword v87, off, s[0:3], 0 offset:76
	buffer_load_dword v94, off, s[0:3], 0 offset:80
	buffer_load_dword v95, off, s[0:3], 0 offset:84
	buffer_load_dword v96, off, s[0:3], 0 offset:88
	buffer_load_dword v97, off, s[0:3], 0 offset:92
	buffer_load_dword v98, off, s[0:3], 0 offset:96
	buffer_load_dword v99, off, s[0:3], 0 offset:100
	buffer_load_dword v100, off, s[0:3], 0 offset:104
	buffer_load_dword v101, off, s[0:3], 0 offset:108
	buffer_load_dword v102, off, s[0:3], 0 offset:112
	buffer_load_dword v103, off, s[0:3], 0 offset:116
	buffer_load_dword v104, off, s[0:3], 0 offset:120
	buffer_load_dword v105, off, s[0:3], 0 offset:124
	ds_read2_b64 v[90:93], v88 offset0:51 offset1:52
	v_cmp_lt_u32_e32 vcc, 7, v0
	s_waitcnt vmcnt(12) lgkmcnt(0)
	v_fma_f64 v[86:87], v[86:87], v[90:91], 0
	s_waitcnt vmcnt(10)
	v_fmac_f64_e32 v[86:87], v[94:95], v[92:93]
	ds_read2_b64 v[90:93], v88 offset0:53 offset1:54
	s_waitcnt vmcnt(8) lgkmcnt(0)
	v_fmac_f64_e32 v[86:87], v[96:97], v[90:91]
	s_waitcnt vmcnt(6)
	v_fmac_f64_e32 v[86:87], v[98:99], v[92:93]
	ds_read2_b64 v[90:93], v88 offset0:55 offset1:56
	s_waitcnt vmcnt(4) lgkmcnt(0)
	v_fmac_f64_e32 v[86:87], v[100:101], v[90:91]
	;; [unrolled: 5-line block ×3, first 2 shown]
	buffer_load_dword v91, off, s[0:3], 0 offset:132
	buffer_load_dword v90, off, s[0:3], 0 offset:128
	buffer_load_dword v95, off, s[0:3], 0 offset:140
	buffer_load_dword v94, off, s[0:3], 0 offset:136
	s_waitcnt vmcnt(2)
	v_fmac_f64_e32 v[86:87], v[90:91], v[92:93]
	ds_read2_b64 v[90:93], v88 offset0:59 offset1:60
	s_waitcnt vmcnt(0) lgkmcnt(0)
	v_fmac_f64_e32 v[86:87], v[94:95], v[90:91]
	buffer_load_dword v91, off, s[0:3], 0 offset:148
	buffer_load_dword v90, off, s[0:3], 0 offset:144
	buffer_load_dword v95, off, s[0:3], 0 offset:156
	buffer_load_dword v94, off, s[0:3], 0 offset:152
	s_waitcnt vmcnt(2)
	v_fmac_f64_e32 v[86:87], v[90:91], v[92:93]
	ds_read2_b64 v[90:93], v88 offset0:61 offset1:62
	s_waitcnt vmcnt(0) lgkmcnt(0)
	v_fmac_f64_e32 v[86:87], v[94:95], v[90:91]
	;; [unrolled: 9-line block ×11, first 2 shown]
	buffer_load_dword v91, off, s[0:3], 0 offset:308
	buffer_load_dword v90, off, s[0:3], 0 offset:304
	s_waitcnt vmcnt(0)
	v_fmac_f64_e32 v[86:87], v[90:91], v[92:93]
	buffer_load_dword v93, off, s[0:3], 0 offset:316
	buffer_load_dword v92, off, s[0:3], 0 offset:312
	ds_read2_b64 v[88:91], v88 offset0:81 offset1:82
	s_waitcnt vmcnt(0) lgkmcnt(0)
	v_fmac_f64_e32 v[86:87], v[92:93], v[88:89]
	buffer_load_dword v89, off, s[0:3], 0 offset:324
	buffer_load_dword v88, off, s[0:3], 0 offset:320
	s_waitcnt vmcnt(0)
	v_fmac_f64_e32 v[86:87], v[88:89], v[90:91]
	v_add_f64 v[84:85], v[84:85], -v[86:87]
	buffer_store_dword v85, off, s[0:3], 0 offset:68
	buffer_store_dword v84, off, s[0:3], 0 offset:64
	s_and_saveexec_b64 s[4:5], vcc
	s_cbranch_execz .LBB40_239
; %bb.238:
	buffer_load_dword v84, off, s[0:3], 0 offset:56
	buffer_load_dword v85, off, s[0:3], 0 offset:60
	v_mov_b32_e32 v86, 0
	buffer_store_dword v86, off, s[0:3], 0 offset:56
	buffer_store_dword v86, off, s[0:3], 0 offset:60
	s_waitcnt vmcnt(2)
	ds_write_b64 v1, v[84:85]
.LBB40_239:
	s_or_b64 exec, exec, s[4:5]
	s_waitcnt lgkmcnt(0)
	; wave barrier
	s_waitcnt lgkmcnt(0)
	buffer_load_dword v84, off, s[0:3], 0 offset:56
	buffer_load_dword v85, off, s[0:3], 0 offset:60
	;; [unrolled: 1-line block ×16, first 2 shown]
	v_mov_b32_e32 v88, 0
	ds_read_b128 v[90:93], v88 offset:400
	ds_read_b128 v[94:97], v88 offset:416
	;; [unrolled: 1-line block ×4, first 2 shown]
	v_cmp_lt_u32_e32 vcc, 6, v0
	s_waitcnt vmcnt(12) lgkmcnt(3)
	v_fma_f64 v[86:87], v[86:87], v[90:91], 0
	buffer_load_dword v91, off, s[0:3], 0 offset:124
	buffer_load_dword v90, off, s[0:3], 0 offset:120
	s_waitcnt vmcnt(12)
	v_fmac_f64_e32 v[86:87], v[106:107], v[92:93]
	s_waitcnt vmcnt(10) lgkmcnt(2)
	v_fmac_f64_e32 v[86:87], v[108:109], v[94:95]
	buffer_load_dword v95, off, s[0:3], 0 offset:132
	buffer_load_dword v94, off, s[0:3], 0 offset:128
	s_waitcnt vmcnt(10)
	v_fmac_f64_e32 v[86:87], v[110:111], v[96:97]
	s_waitcnt vmcnt(8) lgkmcnt(1)
	v_fmac_f64_e32 v[86:87], v[112:113], v[98:99]
	s_waitcnt vmcnt(6)
	v_fmac_f64_e32 v[86:87], v[114:115], v[100:101]
	s_waitcnt vmcnt(4) lgkmcnt(0)
	v_fmac_f64_e32 v[86:87], v[116:117], v[102:103]
	s_waitcnt vmcnt(2)
	v_fmac_f64_e32 v[86:87], v[90:91], v[104:105]
	ds_read_b128 v[90:93], v88 offset:464
	s_waitcnt vmcnt(0) lgkmcnt(0)
	v_fmac_f64_e32 v[86:87], v[94:95], v[90:91]
	buffer_load_dword v91, off, s[0:3], 0 offset:140
	buffer_load_dword v90, off, s[0:3], 0 offset:136
	buffer_load_dword v95, off, s[0:3], 0 offset:148
	buffer_load_dword v94, off, s[0:3], 0 offset:144
	s_waitcnt vmcnt(2)
	v_fmac_f64_e32 v[86:87], v[90:91], v[92:93]
	ds_read_b128 v[90:93], v88 offset:480
	s_waitcnt vmcnt(0) lgkmcnt(0)
	v_fmac_f64_e32 v[86:87], v[94:95], v[90:91]
	buffer_load_dword v91, off, s[0:3], 0 offset:156
	buffer_load_dword v90, off, s[0:3], 0 offset:152
	buffer_load_dword v95, off, s[0:3], 0 offset:164
	buffer_load_dword v94, off, s[0:3], 0 offset:160
	;; [unrolled: 9-line block ×11, first 2 shown]
	s_waitcnt vmcnt(2)
	v_fmac_f64_e32 v[86:87], v[90:91], v[92:93]
	ds_read_b128 v[90:93], v88 offset:640
	s_waitcnt vmcnt(0) lgkmcnt(0)
	v_fmac_f64_e32 v[86:87], v[94:95], v[90:91]
	buffer_load_dword v91, off, s[0:3], 0 offset:316
	buffer_load_dword v90, off, s[0:3], 0 offset:312
	s_waitcnt vmcnt(0)
	v_fmac_f64_e32 v[86:87], v[90:91], v[92:93]
	buffer_load_dword v91, off, s[0:3], 0 offset:324
	buffer_load_dword v90, off, s[0:3], 0 offset:320
	ds_read_b64 v[92:93], v88 offset:656
	s_waitcnt vmcnt(0) lgkmcnt(0)
	v_fmac_f64_e32 v[86:87], v[90:91], v[92:93]
	v_add_f64 v[84:85], v[84:85], -v[86:87]
	buffer_store_dword v85, off, s[0:3], 0 offset:60
	buffer_store_dword v84, off, s[0:3], 0 offset:56
	s_and_saveexec_b64 s[4:5], vcc
	s_cbranch_execz .LBB40_241
; %bb.240:
	buffer_load_dword v84, off, s[0:3], 0 offset:48
	buffer_load_dword v85, off, s[0:3], 0 offset:52
	s_waitcnt vmcnt(0)
	ds_write_b64 v1, v[84:85]
	buffer_store_dword v88, off, s[0:3], 0 offset:48
	buffer_store_dword v88, off, s[0:3], 0 offset:52
.LBB40_241:
	s_or_b64 exec, exec, s[4:5]
	s_waitcnt lgkmcnt(0)
	; wave barrier
	s_waitcnt lgkmcnt(0)
	buffer_load_dword v84, off, s[0:3], 0 offset:48
	buffer_load_dword v85, off, s[0:3], 0 offset:52
	;; [unrolled: 1-line block ×16, first 2 shown]
	ds_read2_b64 v[90:93], v88 offset0:49 offset1:50
	v_cmp_lt_u32_e32 vcc, 5, v0
	s_waitcnt vmcnt(12) lgkmcnt(0)
	v_fma_f64 v[86:87], v[86:87], v[90:91], 0
	s_waitcnt vmcnt(10)
	v_fmac_f64_e32 v[86:87], v[94:95], v[92:93]
	ds_read2_b64 v[90:93], v88 offset0:51 offset1:52
	s_waitcnt vmcnt(8) lgkmcnt(0)
	v_fmac_f64_e32 v[86:87], v[96:97], v[90:91]
	s_waitcnt vmcnt(6)
	v_fmac_f64_e32 v[86:87], v[98:99], v[92:93]
	ds_read2_b64 v[90:93], v88 offset0:53 offset1:54
	s_waitcnt vmcnt(4) lgkmcnt(0)
	v_fmac_f64_e32 v[86:87], v[100:101], v[90:91]
	;; [unrolled: 5-line block ×3, first 2 shown]
	buffer_load_dword v91, off, s[0:3], 0 offset:116
	buffer_load_dword v90, off, s[0:3], 0 offset:112
	buffer_load_dword v95, off, s[0:3], 0 offset:124
	buffer_load_dword v94, off, s[0:3], 0 offset:120
	s_waitcnt vmcnt(2)
	v_fmac_f64_e32 v[86:87], v[90:91], v[92:93]
	ds_read2_b64 v[90:93], v88 offset0:57 offset1:58
	s_waitcnt vmcnt(0) lgkmcnt(0)
	v_fmac_f64_e32 v[86:87], v[94:95], v[90:91]
	buffer_load_dword v91, off, s[0:3], 0 offset:132
	buffer_load_dword v90, off, s[0:3], 0 offset:128
	buffer_load_dword v95, off, s[0:3], 0 offset:140
	buffer_load_dword v94, off, s[0:3], 0 offset:136
	s_waitcnt vmcnt(2)
	v_fmac_f64_e32 v[86:87], v[90:91], v[92:93]
	ds_read2_b64 v[90:93], v88 offset0:59 offset1:60
	s_waitcnt vmcnt(0) lgkmcnt(0)
	v_fmac_f64_e32 v[86:87], v[94:95], v[90:91]
	;; [unrolled: 9-line block ×12, first 2 shown]
	buffer_load_dword v91, off, s[0:3], 0 offset:308
	buffer_load_dword v90, off, s[0:3], 0 offset:304
	s_waitcnt vmcnt(0)
	v_fmac_f64_e32 v[86:87], v[90:91], v[92:93]
	buffer_load_dword v93, off, s[0:3], 0 offset:316
	buffer_load_dword v92, off, s[0:3], 0 offset:312
	ds_read2_b64 v[88:91], v88 offset0:81 offset1:82
	s_waitcnt vmcnt(0) lgkmcnt(0)
	v_fmac_f64_e32 v[86:87], v[92:93], v[88:89]
	buffer_load_dword v89, off, s[0:3], 0 offset:324
	buffer_load_dword v88, off, s[0:3], 0 offset:320
	s_waitcnt vmcnt(0)
	v_fmac_f64_e32 v[86:87], v[88:89], v[90:91]
	v_add_f64 v[84:85], v[84:85], -v[86:87]
	buffer_store_dword v85, off, s[0:3], 0 offset:52
	buffer_store_dword v84, off, s[0:3], 0 offset:48
	s_and_saveexec_b64 s[4:5], vcc
	s_cbranch_execz .LBB40_243
; %bb.242:
	buffer_load_dword v84, off, s[0:3], 0 offset:40
	buffer_load_dword v85, off, s[0:3], 0 offset:44
	v_mov_b32_e32 v86, 0
	buffer_store_dword v86, off, s[0:3], 0 offset:40
	buffer_store_dword v86, off, s[0:3], 0 offset:44
	s_waitcnt vmcnt(2)
	ds_write_b64 v1, v[84:85]
.LBB40_243:
	s_or_b64 exec, exec, s[4:5]
	s_waitcnt lgkmcnt(0)
	; wave barrier
	s_waitcnt lgkmcnt(0)
	buffer_load_dword v84, off, s[0:3], 0 offset:40
	buffer_load_dword v85, off, s[0:3], 0 offset:44
	;; [unrolled: 1-line block ×16, first 2 shown]
	v_mov_b32_e32 v88, 0
	ds_read_b128 v[90:93], v88 offset:384
	ds_read_b128 v[94:97], v88 offset:400
	;; [unrolled: 1-line block ×4, first 2 shown]
	v_cmp_lt_u32_e32 vcc, 4, v0
	s_waitcnt vmcnt(12) lgkmcnt(3)
	v_fma_f64 v[86:87], v[86:87], v[90:91], 0
	buffer_load_dword v91, off, s[0:3], 0 offset:108
	buffer_load_dword v90, off, s[0:3], 0 offset:104
	s_waitcnt vmcnt(12)
	v_fmac_f64_e32 v[86:87], v[106:107], v[92:93]
	s_waitcnt vmcnt(10) lgkmcnt(2)
	v_fmac_f64_e32 v[86:87], v[108:109], v[94:95]
	buffer_load_dword v95, off, s[0:3], 0 offset:116
	buffer_load_dword v94, off, s[0:3], 0 offset:112
	s_waitcnt vmcnt(10)
	v_fmac_f64_e32 v[86:87], v[110:111], v[96:97]
	s_waitcnt vmcnt(8) lgkmcnt(1)
	v_fmac_f64_e32 v[86:87], v[112:113], v[98:99]
	s_waitcnt vmcnt(6)
	v_fmac_f64_e32 v[86:87], v[114:115], v[100:101]
	s_waitcnt vmcnt(4) lgkmcnt(0)
	v_fmac_f64_e32 v[86:87], v[116:117], v[102:103]
	s_waitcnt vmcnt(2)
	v_fmac_f64_e32 v[86:87], v[90:91], v[104:105]
	ds_read_b128 v[90:93], v88 offset:448
	s_waitcnt vmcnt(0) lgkmcnt(0)
	v_fmac_f64_e32 v[86:87], v[94:95], v[90:91]
	buffer_load_dword v91, off, s[0:3], 0 offset:124
	buffer_load_dword v90, off, s[0:3], 0 offset:120
	buffer_load_dword v95, off, s[0:3], 0 offset:132
	buffer_load_dword v94, off, s[0:3], 0 offset:128
	s_waitcnt vmcnt(2)
	v_fmac_f64_e32 v[86:87], v[90:91], v[92:93]
	ds_read_b128 v[90:93], v88 offset:464
	s_waitcnt vmcnt(0) lgkmcnt(0)
	v_fmac_f64_e32 v[86:87], v[94:95], v[90:91]
	buffer_load_dword v91, off, s[0:3], 0 offset:140
	buffer_load_dword v90, off, s[0:3], 0 offset:136
	buffer_load_dword v95, off, s[0:3], 0 offset:148
	buffer_load_dword v94, off, s[0:3], 0 offset:144
	;; [unrolled: 9-line block ×12, first 2 shown]
	s_waitcnt vmcnt(2)
	v_fmac_f64_e32 v[86:87], v[90:91], v[92:93]
	ds_read_b128 v[90:93], v88 offset:640
	s_waitcnt vmcnt(0) lgkmcnt(0)
	v_fmac_f64_e32 v[86:87], v[94:95], v[90:91]
	buffer_load_dword v91, off, s[0:3], 0 offset:316
	buffer_load_dword v90, off, s[0:3], 0 offset:312
	s_waitcnt vmcnt(0)
	v_fmac_f64_e32 v[86:87], v[90:91], v[92:93]
	buffer_load_dword v91, off, s[0:3], 0 offset:324
	buffer_load_dword v90, off, s[0:3], 0 offset:320
	ds_read_b64 v[92:93], v88 offset:656
	s_waitcnt vmcnt(0) lgkmcnt(0)
	v_fmac_f64_e32 v[86:87], v[90:91], v[92:93]
	v_add_f64 v[84:85], v[84:85], -v[86:87]
	buffer_store_dword v85, off, s[0:3], 0 offset:44
	buffer_store_dword v84, off, s[0:3], 0 offset:40
	s_and_saveexec_b64 s[4:5], vcc
	s_cbranch_execz .LBB40_245
; %bb.244:
	buffer_load_dword v84, off, s[0:3], 0 offset:32
	buffer_load_dword v85, off, s[0:3], 0 offset:36
	s_waitcnt vmcnt(0)
	ds_write_b64 v1, v[84:85]
	buffer_store_dword v88, off, s[0:3], 0 offset:32
	buffer_store_dword v88, off, s[0:3], 0 offset:36
.LBB40_245:
	s_or_b64 exec, exec, s[4:5]
	s_waitcnt lgkmcnt(0)
	; wave barrier
	s_waitcnt lgkmcnt(0)
	buffer_load_dword v84, off, s[0:3], 0 offset:32
	buffer_load_dword v85, off, s[0:3], 0 offset:36
	;; [unrolled: 1-line block ×16, first 2 shown]
	ds_read2_b64 v[90:93], v88 offset0:47 offset1:48
	v_cmp_lt_u32_e32 vcc, 3, v0
	s_waitcnt vmcnt(12) lgkmcnt(0)
	v_fma_f64 v[86:87], v[86:87], v[90:91], 0
	s_waitcnt vmcnt(10)
	v_fmac_f64_e32 v[86:87], v[94:95], v[92:93]
	ds_read2_b64 v[90:93], v88 offset0:49 offset1:50
	s_waitcnt vmcnt(8) lgkmcnt(0)
	v_fmac_f64_e32 v[86:87], v[96:97], v[90:91]
	s_waitcnt vmcnt(6)
	v_fmac_f64_e32 v[86:87], v[98:99], v[92:93]
	ds_read2_b64 v[90:93], v88 offset0:51 offset1:52
	s_waitcnt vmcnt(4) lgkmcnt(0)
	v_fmac_f64_e32 v[86:87], v[100:101], v[90:91]
	;; [unrolled: 5-line block ×3, first 2 shown]
	buffer_load_dword v91, off, s[0:3], 0 offset:100
	buffer_load_dword v90, off, s[0:3], 0 offset:96
	buffer_load_dword v95, off, s[0:3], 0 offset:108
	buffer_load_dword v94, off, s[0:3], 0 offset:104
	s_waitcnt vmcnt(2)
	v_fmac_f64_e32 v[86:87], v[90:91], v[92:93]
	ds_read2_b64 v[90:93], v88 offset0:55 offset1:56
	s_waitcnt vmcnt(0) lgkmcnt(0)
	v_fmac_f64_e32 v[86:87], v[94:95], v[90:91]
	buffer_load_dword v91, off, s[0:3], 0 offset:116
	buffer_load_dword v90, off, s[0:3], 0 offset:112
	buffer_load_dword v95, off, s[0:3], 0 offset:124
	buffer_load_dword v94, off, s[0:3], 0 offset:120
	s_waitcnt vmcnt(2)
	v_fmac_f64_e32 v[86:87], v[90:91], v[92:93]
	ds_read2_b64 v[90:93], v88 offset0:57 offset1:58
	s_waitcnt vmcnt(0) lgkmcnt(0)
	v_fmac_f64_e32 v[86:87], v[94:95], v[90:91]
	;; [unrolled: 9-line block ×13, first 2 shown]
	buffer_load_dword v91, off, s[0:3], 0 offset:308
	buffer_load_dword v90, off, s[0:3], 0 offset:304
	s_waitcnt vmcnt(0)
	v_fmac_f64_e32 v[86:87], v[90:91], v[92:93]
	buffer_load_dword v93, off, s[0:3], 0 offset:316
	buffer_load_dword v92, off, s[0:3], 0 offset:312
	ds_read2_b64 v[88:91], v88 offset0:81 offset1:82
	s_waitcnt vmcnt(0) lgkmcnt(0)
	v_fmac_f64_e32 v[86:87], v[92:93], v[88:89]
	buffer_load_dword v89, off, s[0:3], 0 offset:324
	buffer_load_dword v88, off, s[0:3], 0 offset:320
	s_waitcnt vmcnt(0)
	v_fmac_f64_e32 v[86:87], v[88:89], v[90:91]
	v_add_f64 v[84:85], v[84:85], -v[86:87]
	buffer_store_dword v85, off, s[0:3], 0 offset:36
	buffer_store_dword v84, off, s[0:3], 0 offset:32
	s_and_saveexec_b64 s[4:5], vcc
	s_cbranch_execz .LBB40_247
; %bb.246:
	buffer_load_dword v84, off, s[0:3], 0 offset:24
	buffer_load_dword v85, off, s[0:3], 0 offset:28
	v_mov_b32_e32 v86, 0
	buffer_store_dword v86, off, s[0:3], 0 offset:24
	buffer_store_dword v86, off, s[0:3], 0 offset:28
	s_waitcnt vmcnt(2)
	ds_write_b64 v1, v[84:85]
.LBB40_247:
	s_or_b64 exec, exec, s[4:5]
	s_waitcnt lgkmcnt(0)
	; wave barrier
	s_waitcnt lgkmcnt(0)
	buffer_load_dword v84, off, s[0:3], 0 offset:24
	buffer_load_dword v85, off, s[0:3], 0 offset:28
	;; [unrolled: 1-line block ×16, first 2 shown]
	v_mov_b32_e32 v88, 0
	ds_read_b128 v[90:93], v88 offset:368
	ds_read_b128 v[94:97], v88 offset:384
	;; [unrolled: 1-line block ×4, first 2 shown]
	v_cmp_lt_u32_e32 vcc, 2, v0
	s_waitcnt vmcnt(12) lgkmcnt(3)
	v_fma_f64 v[86:87], v[86:87], v[90:91], 0
	buffer_load_dword v91, off, s[0:3], 0 offset:92
	buffer_load_dword v90, off, s[0:3], 0 offset:88
	s_waitcnt vmcnt(12)
	v_fmac_f64_e32 v[86:87], v[106:107], v[92:93]
	s_waitcnt vmcnt(10) lgkmcnt(2)
	v_fmac_f64_e32 v[86:87], v[108:109], v[94:95]
	buffer_load_dword v95, off, s[0:3], 0 offset:100
	buffer_load_dword v94, off, s[0:3], 0 offset:96
	s_waitcnt vmcnt(10)
	v_fmac_f64_e32 v[86:87], v[110:111], v[96:97]
	s_waitcnt vmcnt(8) lgkmcnt(1)
	v_fmac_f64_e32 v[86:87], v[112:113], v[98:99]
	s_waitcnt vmcnt(6)
	v_fmac_f64_e32 v[86:87], v[114:115], v[100:101]
	s_waitcnt vmcnt(4) lgkmcnt(0)
	v_fmac_f64_e32 v[86:87], v[116:117], v[102:103]
	s_waitcnt vmcnt(2)
	v_fmac_f64_e32 v[86:87], v[90:91], v[104:105]
	ds_read_b128 v[90:93], v88 offset:432
	s_waitcnt vmcnt(0) lgkmcnt(0)
	v_fmac_f64_e32 v[86:87], v[94:95], v[90:91]
	buffer_load_dword v91, off, s[0:3], 0 offset:108
	buffer_load_dword v90, off, s[0:3], 0 offset:104
	buffer_load_dword v95, off, s[0:3], 0 offset:116
	buffer_load_dword v94, off, s[0:3], 0 offset:112
	s_waitcnt vmcnt(2)
	v_fmac_f64_e32 v[86:87], v[90:91], v[92:93]
	ds_read_b128 v[90:93], v88 offset:448
	s_waitcnt vmcnt(0) lgkmcnt(0)
	v_fmac_f64_e32 v[86:87], v[94:95], v[90:91]
	buffer_load_dword v91, off, s[0:3], 0 offset:124
	buffer_load_dword v90, off, s[0:3], 0 offset:120
	buffer_load_dword v95, off, s[0:3], 0 offset:132
	buffer_load_dword v94, off, s[0:3], 0 offset:128
	;; [unrolled: 9-line block ×13, first 2 shown]
	s_waitcnt vmcnt(2)
	v_fmac_f64_e32 v[86:87], v[90:91], v[92:93]
	ds_read_b128 v[90:93], v88 offset:640
	s_waitcnt vmcnt(0) lgkmcnt(0)
	v_fmac_f64_e32 v[86:87], v[94:95], v[90:91]
	buffer_load_dword v91, off, s[0:3], 0 offset:316
	buffer_load_dword v90, off, s[0:3], 0 offset:312
	s_waitcnt vmcnt(0)
	v_fmac_f64_e32 v[86:87], v[90:91], v[92:93]
	buffer_load_dword v91, off, s[0:3], 0 offset:324
	buffer_load_dword v90, off, s[0:3], 0 offset:320
	ds_read_b64 v[92:93], v88 offset:656
	s_waitcnt vmcnt(0) lgkmcnt(0)
	v_fmac_f64_e32 v[86:87], v[90:91], v[92:93]
	v_add_f64 v[84:85], v[84:85], -v[86:87]
	buffer_store_dword v85, off, s[0:3], 0 offset:28
	buffer_store_dword v84, off, s[0:3], 0 offset:24
	s_and_saveexec_b64 s[4:5], vcc
	s_cbranch_execz .LBB40_249
; %bb.248:
	buffer_load_dword v84, off, s[0:3], 0 offset:16
	buffer_load_dword v85, off, s[0:3], 0 offset:20
	s_waitcnt vmcnt(0)
	ds_write_b64 v1, v[84:85]
	buffer_store_dword v88, off, s[0:3], 0 offset:16
	buffer_store_dword v88, off, s[0:3], 0 offset:20
.LBB40_249:
	s_or_b64 exec, exec, s[4:5]
	s_waitcnt lgkmcnt(0)
	; wave barrier
	s_waitcnt lgkmcnt(0)
	buffer_load_dword v84, off, s[0:3], 0 offset:16
	buffer_load_dword v85, off, s[0:3], 0 offset:20
	;; [unrolled: 1-line block ×16, first 2 shown]
	ds_read2_b64 v[90:93], v88 offset0:45 offset1:46
	v_cmp_lt_u32_e32 vcc, 1, v0
	s_waitcnt vmcnt(12) lgkmcnt(0)
	v_fma_f64 v[86:87], v[86:87], v[90:91], 0
	s_waitcnt vmcnt(10)
	v_fmac_f64_e32 v[86:87], v[94:95], v[92:93]
	ds_read2_b64 v[90:93], v88 offset0:47 offset1:48
	s_waitcnt vmcnt(8) lgkmcnt(0)
	v_fmac_f64_e32 v[86:87], v[96:97], v[90:91]
	s_waitcnt vmcnt(6)
	v_fmac_f64_e32 v[86:87], v[98:99], v[92:93]
	ds_read2_b64 v[90:93], v88 offset0:49 offset1:50
	s_waitcnt vmcnt(4) lgkmcnt(0)
	v_fmac_f64_e32 v[86:87], v[100:101], v[90:91]
	;; [unrolled: 5-line block ×3, first 2 shown]
	buffer_load_dword v91, off, s[0:3], 0 offset:84
	buffer_load_dword v90, off, s[0:3], 0 offset:80
	buffer_load_dword v95, off, s[0:3], 0 offset:92
	buffer_load_dword v94, off, s[0:3], 0 offset:88
	s_waitcnt vmcnt(2)
	v_fmac_f64_e32 v[86:87], v[90:91], v[92:93]
	ds_read2_b64 v[90:93], v88 offset0:53 offset1:54
	s_waitcnt vmcnt(0) lgkmcnt(0)
	v_fmac_f64_e32 v[86:87], v[94:95], v[90:91]
	buffer_load_dword v91, off, s[0:3], 0 offset:100
	buffer_load_dword v90, off, s[0:3], 0 offset:96
	buffer_load_dword v95, off, s[0:3], 0 offset:108
	buffer_load_dword v94, off, s[0:3], 0 offset:104
	s_waitcnt vmcnt(2)
	v_fmac_f64_e32 v[86:87], v[90:91], v[92:93]
	ds_read2_b64 v[90:93], v88 offset0:55 offset1:56
	s_waitcnt vmcnt(0) lgkmcnt(0)
	v_fmac_f64_e32 v[86:87], v[94:95], v[90:91]
	;; [unrolled: 9-line block ×14, first 2 shown]
	buffer_load_dword v91, off, s[0:3], 0 offset:308
	buffer_load_dword v90, off, s[0:3], 0 offset:304
	s_waitcnt vmcnt(0)
	v_fmac_f64_e32 v[86:87], v[90:91], v[92:93]
	buffer_load_dword v93, off, s[0:3], 0 offset:316
	buffer_load_dword v92, off, s[0:3], 0 offset:312
	ds_read2_b64 v[88:91], v88 offset0:81 offset1:82
	s_waitcnt vmcnt(0) lgkmcnt(0)
	v_fmac_f64_e32 v[86:87], v[92:93], v[88:89]
	buffer_load_dword v89, off, s[0:3], 0 offset:324
	buffer_load_dword v88, off, s[0:3], 0 offset:320
	s_waitcnt vmcnt(0)
	v_fmac_f64_e32 v[86:87], v[88:89], v[90:91]
	v_add_f64 v[84:85], v[84:85], -v[86:87]
	buffer_store_dword v85, off, s[0:3], 0 offset:20
	buffer_store_dword v84, off, s[0:3], 0 offset:16
	s_and_saveexec_b64 s[4:5], vcc
	s_cbranch_execz .LBB40_251
; %bb.250:
	buffer_load_dword v84, off, s[0:3], 0 offset:8
	buffer_load_dword v85, off, s[0:3], 0 offset:12
	v_mov_b32_e32 v86, 0
	buffer_store_dword v86, off, s[0:3], 0 offset:8
	buffer_store_dword v86, off, s[0:3], 0 offset:12
	s_waitcnt vmcnt(2)
	ds_write_b64 v1, v[84:85]
.LBB40_251:
	s_or_b64 exec, exec, s[4:5]
	s_waitcnt lgkmcnt(0)
	; wave barrier
	s_waitcnt lgkmcnt(0)
	buffer_load_dword v84, off, s[0:3], 0 offset:8
	buffer_load_dword v85, off, s[0:3], 0 offset:12
	;; [unrolled: 1-line block ×16, first 2 shown]
	v_mov_b32_e32 v88, 0
	ds_read_b128 v[90:93], v88 offset:352
	ds_read_b128 v[94:97], v88 offset:368
	;; [unrolled: 1-line block ×4, first 2 shown]
	v_cmp_ne_u32_e32 vcc, 0, v0
	s_waitcnt vmcnt(12) lgkmcnt(3)
	v_fma_f64 v[86:87], v[86:87], v[90:91], 0
	buffer_load_dword v91, off, s[0:3], 0 offset:76
	buffer_load_dword v90, off, s[0:3], 0 offset:72
	s_waitcnt vmcnt(12)
	v_fmac_f64_e32 v[86:87], v[106:107], v[92:93]
	s_waitcnt vmcnt(10) lgkmcnt(2)
	v_fmac_f64_e32 v[86:87], v[108:109], v[94:95]
	buffer_load_dword v95, off, s[0:3], 0 offset:84
	buffer_load_dword v94, off, s[0:3], 0 offset:80
	s_waitcnt vmcnt(10)
	v_fmac_f64_e32 v[86:87], v[110:111], v[96:97]
	s_waitcnt vmcnt(8) lgkmcnt(1)
	v_fmac_f64_e32 v[86:87], v[112:113], v[98:99]
	s_waitcnt vmcnt(6)
	v_fmac_f64_e32 v[86:87], v[114:115], v[100:101]
	s_waitcnt vmcnt(4) lgkmcnt(0)
	v_fmac_f64_e32 v[86:87], v[116:117], v[102:103]
	s_waitcnt vmcnt(2)
	v_fmac_f64_e32 v[86:87], v[90:91], v[104:105]
	ds_read_b128 v[90:93], v88 offset:416
	s_waitcnt vmcnt(0) lgkmcnt(0)
	v_fmac_f64_e32 v[86:87], v[94:95], v[90:91]
	buffer_load_dword v91, off, s[0:3], 0 offset:92
	buffer_load_dword v90, off, s[0:3], 0 offset:88
	buffer_load_dword v95, off, s[0:3], 0 offset:100
	buffer_load_dword v94, off, s[0:3], 0 offset:96
	s_waitcnt vmcnt(2)
	v_fmac_f64_e32 v[86:87], v[90:91], v[92:93]
	ds_read_b128 v[90:93], v88 offset:432
	s_waitcnt vmcnt(0) lgkmcnt(0)
	v_fmac_f64_e32 v[86:87], v[94:95], v[90:91]
	buffer_load_dword v91, off, s[0:3], 0 offset:108
	buffer_load_dword v90, off, s[0:3], 0 offset:104
	buffer_load_dword v95, off, s[0:3], 0 offset:116
	buffer_load_dword v94, off, s[0:3], 0 offset:112
	;; [unrolled: 9-line block ×14, first 2 shown]
	s_waitcnt vmcnt(2)
	v_fmac_f64_e32 v[86:87], v[90:91], v[92:93]
	ds_read_b128 v[90:93], v88 offset:640
	s_waitcnt vmcnt(0) lgkmcnt(0)
	v_fmac_f64_e32 v[86:87], v[94:95], v[90:91]
	buffer_load_dword v91, off, s[0:3], 0 offset:316
	buffer_load_dword v90, off, s[0:3], 0 offset:312
	s_waitcnt vmcnt(0)
	v_fmac_f64_e32 v[86:87], v[90:91], v[92:93]
	buffer_load_dword v91, off, s[0:3], 0 offset:324
	buffer_load_dword v90, off, s[0:3], 0 offset:320
	ds_read_b64 v[92:93], v88 offset:656
	s_waitcnt vmcnt(0) lgkmcnt(0)
	v_fmac_f64_e32 v[86:87], v[90:91], v[92:93]
	v_add_f64 v[84:85], v[84:85], -v[86:87]
	buffer_store_dword v85, off, s[0:3], 0 offset:12
	buffer_store_dword v84, off, s[0:3], 0 offset:8
	s_and_saveexec_b64 s[4:5], vcc
	s_cbranch_execz .LBB40_253
; %bb.252:
	buffer_load_dword v84, off, s[0:3], 0
	buffer_load_dword v85, off, s[0:3], 0 offset:4
	s_waitcnt vmcnt(0)
	ds_write_b64 v1, v[84:85]
	buffer_store_dword v88, off, s[0:3], 0
	buffer_store_dword v88, off, s[0:3], 0 offset:4
.LBB40_253:
	s_or_b64 exec, exec, s[4:5]
	s_waitcnt lgkmcnt(0)
	; wave barrier
	s_waitcnt lgkmcnt(0)
	buffer_load_dword v0, off, s[0:3], 0
	buffer_load_dword v1, off, s[0:3], 0 offset:4
	buffer_load_dword v90, off, s[0:3], 0 offset:8
	;; [unrolled: 1-line block ×15, first 2 shown]
	ds_read2_b64 v[84:87], v88 offset0:43 offset1:44
	s_and_b64 vcc, exec, s[20:21]
	s_waitcnt vmcnt(12) lgkmcnt(0)
	v_fma_f64 v[84:85], v[90:91], v[84:85], 0
	s_waitcnt vmcnt(10)
	v_fmac_f64_e32 v[84:85], v[92:93], v[86:87]
	ds_read2_b64 v[90:93], v88 offset0:45 offset1:46
	s_waitcnt vmcnt(8) lgkmcnt(0)
	v_fmac_f64_e32 v[84:85], v[94:95], v[90:91]
	s_waitcnt vmcnt(6)
	v_fmac_f64_e32 v[84:85], v[96:97], v[92:93]
	ds_read2_b64 v[90:93], v88 offset0:47 offset1:48
	s_waitcnt vmcnt(4) lgkmcnt(0)
	v_fmac_f64_e32 v[84:85], v[98:99], v[90:91]
	s_waitcnt vmcnt(2)
	v_fmac_f64_e32 v[84:85], v[100:101], v[92:93]
	ds_read2_b64 v[90:93], v88 offset0:49 offset1:50
	buffer_load_dword v87, off, s[0:3], 0 offset:68
	buffer_load_dword v86, off, s[0:3], 0 offset:64
	s_waitcnt vmcnt(2) lgkmcnt(0)
	v_fmac_f64_e32 v[84:85], v[102:103], v[90:91]
	s_waitcnt vmcnt(0)
	v_fmac_f64_e32 v[84:85], v[86:87], v[92:93]
	buffer_load_dword v87, off, s[0:3], 0 offset:76
	buffer_load_dword v86, off, s[0:3], 0 offset:72
	ds_read2_b64 v[90:93], v88 offset0:51 offset1:52
	s_waitcnt vmcnt(0) lgkmcnt(0)
	v_fmac_f64_e32 v[84:85], v[86:87], v[90:91]
	buffer_load_dword v87, off, s[0:3], 0 offset:84
	buffer_load_dword v86, off, s[0:3], 0 offset:80
	s_waitcnt vmcnt(0)
	v_fmac_f64_e32 v[84:85], v[86:87], v[92:93]
	buffer_load_dword v87, off, s[0:3], 0 offset:92
	buffer_load_dword v86, off, s[0:3], 0 offset:88
	ds_read2_b64 v[90:93], v88 offset0:53 offset1:54
	s_waitcnt vmcnt(0) lgkmcnt(0)
	v_fmac_f64_e32 v[84:85], v[86:87], v[90:91]
	buffer_load_dword v87, off, s[0:3], 0 offset:100
	buffer_load_dword v86, off, s[0:3], 0 offset:96
	;; [unrolled: 9-line block ×16, first 2 shown]
	s_waitcnt vmcnt(0)
	v_fmac_f64_e32 v[84:85], v[88:89], v[90:91]
	v_add_f64 v[0:1], v[0:1], -v[84:85]
	buffer_store_dword v1, off, s[0:3], 0 offset:4
	buffer_store_dword v0, off, s[0:3], 0
	s_cbranch_vccz .LBB40_335
; %bb.254:
	v_pk_mov_b32 v[0:1], s[10:11], s[10:11] op_sel:[0,1]
	flat_load_dword v0, v[0:1] offset:156
	s_waitcnt vmcnt(0) lgkmcnt(0)
	v_add_u32_e32 v0, -1, v0
	v_cmp_ne_u32_e32 vcc, 39, v0
	s_and_saveexec_b64 s[4:5], vcc
	s_cbranch_execz .LBB40_256
; %bb.255:
	v_mov_b32_e32 v1, 0
	v_lshl_add_u32 v0, v0, 3, v1
	buffer_load_dword v1, v0, s[0:3], 0 offen
	buffer_load_dword v84, v0, s[0:3], 0 offen offset:4
	s_waitcnt vmcnt(1)
	buffer_store_dword v1, off, s[0:3], 0 offset:312
	s_waitcnt vmcnt(1)
	buffer_store_dword v84, off, s[0:3], 0 offset:316
	buffer_store_dword v86, v0, s[0:3], 0 offen
	buffer_store_dword v87, v0, s[0:3], 0 offen offset:4
.LBB40_256:
	s_or_b64 exec, exec, s[4:5]
	v_pk_mov_b32 v[0:1], s[10:11], s[10:11] op_sel:[0,1]
	flat_load_dword v0, v[0:1] offset:152
	s_waitcnt vmcnt(0) lgkmcnt(0)
	v_add_u32_e32 v0, -1, v0
	v_cmp_ne_u32_e32 vcc, 38, v0
	s_and_saveexec_b64 s[4:5], vcc
	s_cbranch_execz .LBB40_258
; %bb.257:
	v_mov_b32_e32 v1, 0
	v_lshl_add_u32 v0, v0, 3, v1
	buffer_load_dword v1, v0, s[0:3], 0 offen
	buffer_load_dword v84, v0, s[0:3], 0 offen offset:4
	buffer_load_dword v85, off, s[0:3], 0 offset:308
	buffer_load_dword v86, off, s[0:3], 0 offset:304
	s_waitcnt vmcnt(3)
	buffer_store_dword v1, off, s[0:3], 0 offset:304
	s_waitcnt vmcnt(3)
	buffer_store_dword v84, off, s[0:3], 0 offset:308
	s_waitcnt vmcnt(3)
	buffer_store_dword v85, v0, s[0:3], 0 offen offset:4
	s_waitcnt vmcnt(3)
	buffer_store_dword v86, v0, s[0:3], 0 offen
.LBB40_258:
	s_or_b64 exec, exec, s[4:5]
	v_pk_mov_b32 v[0:1], s[10:11], s[10:11] op_sel:[0,1]
	flat_load_dword v0, v[0:1] offset:148
	s_waitcnt vmcnt(0) lgkmcnt(0)
	v_add_u32_e32 v0, -1, v0
	v_cmp_ne_u32_e32 vcc, 37, v0
	s_and_saveexec_b64 s[4:5], vcc
	s_cbranch_execz .LBB40_260
; %bb.259:
	v_mov_b32_e32 v1, 0
	v_lshl_add_u32 v0, v0, 3, v1
	buffer_load_dword v1, v0, s[0:3], 0 offen
	buffer_load_dword v84, v0, s[0:3], 0 offen offset:4
	buffer_load_dword v85, off, s[0:3], 0 offset:296
	buffer_load_dword v86, off, s[0:3], 0 offset:300
	s_waitcnt vmcnt(3)
	buffer_store_dword v1, off, s[0:3], 0 offset:296
	s_waitcnt vmcnt(3)
	buffer_store_dword v84, off, s[0:3], 0 offset:300
	s_waitcnt vmcnt(3)
	buffer_store_dword v85, v0, s[0:3], 0 offen
	s_waitcnt vmcnt(3)
	buffer_store_dword v86, v0, s[0:3], 0 offen offset:4
.LBB40_260:
	s_or_b64 exec, exec, s[4:5]
	v_pk_mov_b32 v[0:1], s[10:11], s[10:11] op_sel:[0,1]
	flat_load_dword v0, v[0:1] offset:144
	s_waitcnt vmcnt(0) lgkmcnt(0)
	v_add_u32_e32 v0, -1, v0
	v_cmp_ne_u32_e32 vcc, 36, v0
	s_and_saveexec_b64 s[4:5], vcc
	s_cbranch_execz .LBB40_262
; %bb.261:
	v_mov_b32_e32 v1, 0
	v_lshl_add_u32 v0, v0, 3, v1
	buffer_load_dword v1, v0, s[0:3], 0 offen
	buffer_load_dword v84, v0, s[0:3], 0 offen offset:4
	buffer_load_dword v85, off, s[0:3], 0 offset:292
	buffer_load_dword v86, off, s[0:3], 0 offset:288
	s_waitcnt vmcnt(3)
	buffer_store_dword v1, off, s[0:3], 0 offset:288
	s_waitcnt vmcnt(3)
	buffer_store_dword v84, off, s[0:3], 0 offset:292
	s_waitcnt vmcnt(3)
	buffer_store_dword v85, v0, s[0:3], 0 offen offset:4
	s_waitcnt vmcnt(3)
	buffer_store_dword v86, v0, s[0:3], 0 offen
.LBB40_262:
	s_or_b64 exec, exec, s[4:5]
	v_pk_mov_b32 v[0:1], s[10:11], s[10:11] op_sel:[0,1]
	flat_load_dword v0, v[0:1] offset:140
	s_waitcnt vmcnt(0) lgkmcnt(0)
	v_add_u32_e32 v0, -1, v0
	v_cmp_ne_u32_e32 vcc, 35, v0
	s_and_saveexec_b64 s[4:5], vcc
	s_cbranch_execz .LBB40_264
; %bb.263:
	v_mov_b32_e32 v1, 0
	v_lshl_add_u32 v0, v0, 3, v1
	buffer_load_dword v1, v0, s[0:3], 0 offen
	buffer_load_dword v84, v0, s[0:3], 0 offen offset:4
	buffer_load_dword v85, off, s[0:3], 0 offset:280
	buffer_load_dword v86, off, s[0:3], 0 offset:284
	s_waitcnt vmcnt(3)
	buffer_store_dword v1, off, s[0:3], 0 offset:280
	s_waitcnt vmcnt(3)
	buffer_store_dword v84, off, s[0:3], 0 offset:284
	s_waitcnt vmcnt(3)
	buffer_store_dword v85, v0, s[0:3], 0 offen
	s_waitcnt vmcnt(3)
	buffer_store_dword v86, v0, s[0:3], 0 offen offset:4
.LBB40_264:
	;; [unrolled: 48-line block ×19, first 2 shown]
	s_or_b64 exec, exec, s[4:5]
	v_pk_mov_b32 v[0:1], s[10:11], s[10:11] op_sel:[0,1]
	flat_load_dword v84, v[0:1]
	s_nop 0
	buffer_load_dword v0, off, s[0:3], 0
	buffer_load_dword v1, off, s[0:3], 0 offset:4
	s_waitcnt vmcnt(0) lgkmcnt(0)
	v_add_u32_e32 v84, -1, v84
	v_cmp_ne_u32_e32 vcc, 0, v84
	s_and_saveexec_b64 s[4:5], vcc
	s_cbranch_execz .LBB40_334
; %bb.333:
	v_mov_b32_e32 v85, 0
	v_lshl_add_u32 v84, v84, 3, v85
	buffer_load_dword v85, v84, s[0:3], 0 offen offset:4
	buffer_load_dword v86, v84, s[0:3], 0 offen
	s_waitcnt vmcnt(1)
	buffer_store_dword v85, off, s[0:3], 0 offset:4
	s_waitcnt vmcnt(1)
	buffer_store_dword v86, off, s[0:3], 0
	buffer_store_dword v1, v84, s[0:3], 0 offen offset:4
	buffer_store_dword v0, v84, s[0:3], 0 offen
	buffer_load_dword v0, off, s[0:3], 0
	s_nop 0
	buffer_load_dword v1, off, s[0:3], 0 offset:4
.LBB40_334:
	s_or_b64 exec, exec, s[4:5]
.LBB40_335:
	s_waitcnt vmcnt(0)
	global_store_dwordx2 v[82:83], v[0:1], off
	buffer_load_dword v0, off, s[0:3], 0 offset:8
	s_nop 0
	buffer_load_dword v1, off, s[0:3], 0 offset:12
	buffer_load_dword v82, off, s[0:3], 0 offset:16
	;; [unrolled: 1-line block ×15, first 2 shown]
	s_waitcnt vmcnt(14)
	global_store_dwordx2 v[80:81], v[0:1], off
	s_waitcnt vmcnt(13)
	global_store_dwordx2 v[2:3], v[82:83], off
	;; [unrolled: 2-line block ×8, first 2 shown]
	buffer_load_dword v0, off, s[0:3], 0 offset:72
	buffer_load_dword v1, off, s[0:3], 0 offset:76
	s_waitcnt vmcnt(0)
	global_store_dwordx2 v[14:15], v[0:1], off
	buffer_load_dword v0, off, s[0:3], 0 offset:80
	s_nop 0
	buffer_load_dword v1, off, s[0:3], 0 offset:84
	s_waitcnt vmcnt(0)
	global_store_dwordx2 v[16:17], v[0:1], off
	buffer_load_dword v0, off, s[0:3], 0 offset:88
	s_nop 0
	;; [unrolled: 5-line block ×31, first 2 shown]
	buffer_load_dword v1, off, s[0:3], 0 offset:324
	s_waitcnt vmcnt(0)
	global_store_dwordx2 v[72:73], v[0:1], off
	s_endpgm
	.section	.rodata,"a",@progbits
	.p2align	6, 0x0
	.amdhsa_kernel _ZN9rocsolver6v33100L18getri_kernel_smallILi41EdPdEEvT1_iilPiilS4_bb
		.amdhsa_group_segment_fixed_size 664
		.amdhsa_private_segment_fixed_size 336
		.amdhsa_kernarg_size 60
		.amdhsa_user_sgpr_count 8
		.amdhsa_user_sgpr_private_segment_buffer 1
		.amdhsa_user_sgpr_dispatch_ptr 0
		.amdhsa_user_sgpr_queue_ptr 0
		.amdhsa_user_sgpr_kernarg_segment_ptr 1
		.amdhsa_user_sgpr_dispatch_id 0
		.amdhsa_user_sgpr_flat_scratch_init 1
		.amdhsa_user_sgpr_kernarg_preload_length 0
		.amdhsa_user_sgpr_kernarg_preload_offset 0
		.amdhsa_user_sgpr_private_segment_size 0
		.amdhsa_uses_dynamic_stack 0
		.amdhsa_system_sgpr_private_segment_wavefront_offset 1
		.amdhsa_system_sgpr_workgroup_id_x 1
		.amdhsa_system_sgpr_workgroup_id_y 0
		.amdhsa_system_sgpr_workgroup_id_z 0
		.amdhsa_system_sgpr_workgroup_info 0
		.amdhsa_system_vgpr_workitem_id 0
		.amdhsa_next_free_vgpr 128
		.amdhsa_next_free_sgpr 23
		.amdhsa_accum_offset 128
		.amdhsa_reserve_vcc 1
		.amdhsa_reserve_flat_scratch 1
		.amdhsa_float_round_mode_32 0
		.amdhsa_float_round_mode_16_64 0
		.amdhsa_float_denorm_mode_32 3
		.amdhsa_float_denorm_mode_16_64 3
		.amdhsa_dx10_clamp 1
		.amdhsa_ieee_mode 1
		.amdhsa_fp16_overflow 0
		.amdhsa_tg_split 0
		.amdhsa_exception_fp_ieee_invalid_op 0
		.amdhsa_exception_fp_denorm_src 0
		.amdhsa_exception_fp_ieee_div_zero 0
		.amdhsa_exception_fp_ieee_overflow 0
		.amdhsa_exception_fp_ieee_underflow 0
		.amdhsa_exception_fp_ieee_inexact 0
		.amdhsa_exception_int_div_zero 0
	.end_amdhsa_kernel
	.section	.text._ZN9rocsolver6v33100L18getri_kernel_smallILi41EdPdEEvT1_iilPiilS4_bb,"axG",@progbits,_ZN9rocsolver6v33100L18getri_kernel_smallILi41EdPdEEvT1_iilPiilS4_bb,comdat
.Lfunc_end40:
	.size	_ZN9rocsolver6v33100L18getri_kernel_smallILi41EdPdEEvT1_iilPiilS4_bb, .Lfunc_end40-_ZN9rocsolver6v33100L18getri_kernel_smallILi41EdPdEEvT1_iilPiilS4_bb
                                        ; -- End function
	.section	.AMDGPU.csdata,"",@progbits
; Kernel info:
; codeLenInByte = 44540
; NumSgprs: 29
; NumVgprs: 128
; NumAgprs: 0
; TotalNumVgprs: 128
; ScratchSize: 336
; MemoryBound: 0
; FloatMode: 240
; IeeeMode: 1
; LDSByteSize: 664 bytes/workgroup (compile time only)
; SGPRBlocks: 3
; VGPRBlocks: 15
; NumSGPRsForWavesPerEU: 29
; NumVGPRsForWavesPerEU: 128
; AccumOffset: 128
; Occupancy: 4
; WaveLimiterHint : 1
; COMPUTE_PGM_RSRC2:SCRATCH_EN: 1
; COMPUTE_PGM_RSRC2:USER_SGPR: 8
; COMPUTE_PGM_RSRC2:TRAP_HANDLER: 0
; COMPUTE_PGM_RSRC2:TGID_X_EN: 1
; COMPUTE_PGM_RSRC2:TGID_Y_EN: 0
; COMPUTE_PGM_RSRC2:TGID_Z_EN: 0
; COMPUTE_PGM_RSRC2:TIDIG_COMP_CNT: 0
; COMPUTE_PGM_RSRC3_GFX90A:ACCUM_OFFSET: 31
; COMPUTE_PGM_RSRC3_GFX90A:TG_SPLIT: 0
	.section	.text._ZN9rocsolver6v33100L18getri_kernel_smallILi42EdPdEEvT1_iilPiilS4_bb,"axG",@progbits,_ZN9rocsolver6v33100L18getri_kernel_smallILi42EdPdEEvT1_iilPiilS4_bb,comdat
	.globl	_ZN9rocsolver6v33100L18getri_kernel_smallILi42EdPdEEvT1_iilPiilS4_bb ; -- Begin function _ZN9rocsolver6v33100L18getri_kernel_smallILi42EdPdEEvT1_iilPiilS4_bb
	.p2align	8
	.type	_ZN9rocsolver6v33100L18getri_kernel_smallILi42EdPdEEvT1_iilPiilS4_bb,@function
_ZN9rocsolver6v33100L18getri_kernel_smallILi42EdPdEEvT1_iilPiilS4_bb: ; @_ZN9rocsolver6v33100L18getri_kernel_smallILi42EdPdEEvT1_iilPiilS4_bb
; %bb.0:
	s_add_u32 flat_scratch_lo, s6, s9
	s_addc_u32 flat_scratch_hi, s7, 0
	s_add_u32 s0, s0, s9
	s_addc_u32 s1, s1, 0
	v_cmp_gt_u32_e32 vcc, 42, v0
	s_and_saveexec_b64 s[6:7], vcc
	s_cbranch_execz .LBB41_176
; %bb.1:
	s_load_dword s22, s[4:5], 0x38
	s_load_dwordx4 s[16:19], s[4:5], 0x10
	s_load_dwordx4 s[12:15], s[4:5], 0x28
                                        ; implicit-def: $sgpr10_sgpr11
	s_waitcnt lgkmcnt(0)
	s_bitcmp1_b32 s22, 8
	s_cselect_b64 s[20:21], -1, 0
	s_ashr_i32 s9, s8, 31
	s_bfe_u32 s6, s22, 0x10008
	s_cmp_eq_u32 s6, 0
	s_cbranch_scc1 .LBB41_3
; %bb.2:
	s_load_dword s6, s[4:5], 0x20
	s_mul_i32 s7, s8, s13
	s_mul_hi_u32 s10, s8, s12
	s_mul_i32 s11, s9, s12
	s_add_i32 s10, s10, s7
	s_add_i32 s11, s10, s11
	s_mul_i32 s10, s8, s12
	s_waitcnt lgkmcnt(0)
	s_ashr_i32 s7, s6, 31
	s_lshl_b64 s[10:11], s[10:11], 2
	s_add_u32 s10, s18, s10
	s_addc_u32 s11, s19, s11
	s_lshl_b64 s[6:7], s[6:7], 2
	s_add_u32 s10, s10, s6
	s_addc_u32 s11, s11, s7
.LBB41_3:
	s_load_dwordx4 s[4:7], s[4:5], 0x0
	s_mul_i32 s12, s8, s17
	s_mul_hi_u32 s13, s8, s16
	s_add_i32 s17, s13, s12
	s_waitcnt lgkmcnt(0)
	s_ashr_i32 s13, s6, 31
	s_mov_b32 s12, s6
	s_mul_i32 s6, s9, s16
	s_add_i32 s17, s17, s6
	s_mul_i32 s16, s8, s16
	s_lshl_b64 s[16:17], s[16:17], 3
	s_add_u32 s6, s4, s16
	s_addc_u32 s16, s5, s17
	s_lshl_b64 s[4:5], s[12:13], 3
	s_add_u32 s4, s6, s4
	s_addc_u32 s5, s16, s5
	s_add_i32 s6, s7, s7
	v_add_u32_e32 v4, s6, v0
	v_ashrrev_i32_e32 v5, 31, v4
	v_lshlrev_b64 v[2:3], 3, v[4:5]
	v_add_u32_e32 v6, s7, v4
	v_mov_b32_e32 v1, s5
	v_add_co_u32_e32 v2, vcc, s4, v2
	v_ashrrev_i32_e32 v7, 31, v6
	v_addc_co_u32_e32 v3, vcc, v1, v3, vcc
	v_lshlrev_b64 v[4:5], 3, v[6:7]
	v_add_u32_e32 v8, s7, v6
	v_add_co_u32_e32 v4, vcc, s4, v4
	v_ashrrev_i32_e32 v9, 31, v8
	v_addc_co_u32_e32 v5, vcc, v1, v5, vcc
	v_lshlrev_b64 v[6:7], 3, v[8:9]
	v_add_u32_e32 v10, s7, v8
	;; [unrolled: 5-line block ×5, first 2 shown]
	v_add_co_u32_e32 v12, vcc, s4, v12
	v_ashrrev_i32_e32 v15, 31, v14
	v_addc_co_u32_e32 v13, vcc, v1, v13, vcc
	v_lshlrev_b64 v[16:17], 3, v[14:15]
	v_add_co_u32_e32 v18, vcc, s4, v16
	v_add_u32_e32 v16, s7, v14
	v_addc_co_u32_e32 v19, vcc, v1, v17, vcc
	v_ashrrev_i32_e32 v17, 31, v16
	v_lshlrev_b64 v[14:15], 3, v[16:17]
	v_add_u32_e32 v20, s7, v16
	v_add_co_u32_e32 v14, vcc, s4, v14
	v_ashrrev_i32_e32 v21, 31, v20
	v_addc_co_u32_e32 v15, vcc, v1, v15, vcc
	v_lshlrev_b64 v[16:17], 3, v[20:21]
	v_add_u32_e32 v22, s7, v20
	v_add_co_u32_e32 v16, vcc, s4, v16
	v_ashrrev_i32_e32 v23, 31, v22
	v_addc_co_u32_e32 v17, vcc, v1, v17, vcc
	;; [unrolled: 5-line block ×24, first 2 shown]
	v_lshlrev_b64 v[64:65], 3, v[66:67]
	v_add_co_u32_e32 v64, vcc, s4, v64
	v_add_u32_e32 v66, s7, v66
	v_addc_co_u32_e32 v65, vcc, v1, v65, vcc
	v_ashrrev_i32_e32 v67, 31, v66
	v_lshlrev_b32_e32 v1, 3, v0
	v_lshlrev_b64 v[68:69], 3, v[66:67]
	global_load_dwordx2 v[86:87], v1, s[4:5]
	global_load_dwordx2 v[90:91], v[2:3], off
	v_mov_b32_e32 v67, s5
	v_add_co_u32_e32 v84, vcc, s4, v1
	s_ashr_i32 s13, s7, 31
	s_mov_b32 s12, s7
	v_addc_co_u32_e32 v85, vcc, 0, v67, vcc
	s_lshl_b64 s[12:13], s[12:13], 3
	v_mov_b32_e32 v67, s13
	v_add_co_u32_e32 v82, vcc, s12, v84
	v_addc_co_u32_e32 v83, vcc, v85, v67, vcc
	global_load_dwordx2 v[88:89], v[82:83], off
	global_load_dwordx2 v[92:93], v[4:5], off
	;; [unrolled: 1-line block ×13, first 2 shown]
	v_add_u32_e32 v66, s7, v66
	v_mov_b32_e32 v70, s5
	v_add_co_u32_e32 v68, vcc, s4, v68
	v_ashrrev_i32_e32 v67, 31, v66
	v_addc_co_u32_e32 v69, vcc, v70, v69, vcc
	v_lshlrev_b64 v[70:71], 3, v[66:67]
	v_add_u32_e32 v66, s7, v66
	v_mov_b32_e32 v72, s5
	v_add_co_u32_e32 v70, vcc, s4, v70
	v_ashrrev_i32_e32 v67, 31, v66
	v_addc_co_u32_e32 v71, vcc, v72, v71, vcc
	v_lshlrev_b64 v[72:73], 3, v[66:67]
	;; [unrolled: 6-line block ×7, first 2 shown]
	v_mov_b32_e32 v120, s5
	v_add_co_u32_e32 v66, vcc, s4, v66
	global_load_dwordx2 v[116:117], v[28:29], off
	global_load_dwordx2 v[118:119], v[30:31], off
	v_addc_co_u32_e32 v67, vcc, v120, v67, vcc
	global_load_dwordx2 v[120:121], v[32:33], off
	global_load_dwordx2 v[122:123], v[66:67], off
	s_waitcnt vmcnt(18)
	buffer_store_dword v87, off, s[0:3], 0 offset:4
	buffer_store_dword v86, off, s[0:3], 0
	global_load_dwordx2 v[86:87], v[34:35], off
	s_waitcnt vmcnt(19)
	buffer_store_dword v89, off, s[0:3], 0 offset:12
	buffer_store_dword v88, off, s[0:3], 0 offset:8
	global_load_dwordx2 v[88:89], v[36:37], off
	s_nop 0
	buffer_store_dword v91, off, s[0:3], 0 offset:20
	buffer_store_dword v90, off, s[0:3], 0 offset:16
	global_load_dwordx2 v[90:91], v[38:39], off
	s_waitcnt vmcnt(24)
	buffer_store_dword v93, off, s[0:3], 0 offset:28
	buffer_store_dword v92, off, s[0:3], 0 offset:24
	global_load_dwordx2 v[92:93], v[40:41], off
	s_waitcnt vmcnt(26)
	;; [unrolled: 4-line block ×3, first 2 shown]
	buffer_store_dword v97, off, s[0:3], 0 offset:44
	buffer_store_dword v96, off, s[0:3], 0 offset:40
	s_waitcnt vmcnt(29)
	buffer_store_dword v99, off, s[0:3], 0 offset:52
	buffer_store_dword v98, off, s[0:3], 0 offset:48
	s_waitcnt vmcnt(30)
	;; [unrolled: 3-line block ×3, first 2 shown]
	buffer_store_dword v103, off, s[0:3], 0 offset:68
	buffer_store_dword v102, off, s[0:3], 0 offset:64
	;; [unrolled: 1-line block ×6, first 2 shown]
	s_waitcnt vmcnt(34)
	buffer_store_dword v108, off, s[0:3], 0 offset:88
	buffer_store_dword v109, off, s[0:3], 0 offset:92
	s_waitcnt vmcnt(35)
	buffer_store_dword v110, off, s[0:3], 0 offset:96
	buffer_store_dword v111, off, s[0:3], 0 offset:100
	s_waitcnt vmcnt(36)
	buffer_store_dword v112, off, s[0:3], 0 offset:104
	buffer_store_dword v113, off, s[0:3], 0 offset:108
	s_waitcnt vmcnt(37)
	buffer_store_dword v115, off, s[0:3], 0 offset:116
	global_load_dwordx2 v[96:97], v[44:45], off
	global_load_dwordx2 v[98:99], v[46:47], off
	;; [unrolled: 1-line block ×9, first 2 shown]
	s_bitcmp0_b32 s22, 0
	buffer_store_dword v114, off, s[0:3], 0 offset:112
	global_load_dwordx2 v[114:115], v[64:65], off
	s_mov_b64 s[6:7], -1
	s_waitcnt vmcnt(48)
	buffer_store_dword v116, off, s[0:3], 0 offset:120
	buffer_store_dword v117, off, s[0:3], 0 offset:124
	global_load_dwordx2 v[116:117], v[70:71], off
	s_waitcnt vmcnt(50)
	buffer_store_dword v118, off, s[0:3], 0 offset:128
	buffer_store_dword v119, off, s[0:3], 0 offset:132
	s_waitcnt vmcnt(47)
	buffer_store_dword v86, off, s[0:3], 0 offset:144
	buffer_store_dword v87, off, s[0:3], 0 offset:148
	global_load_dwordx2 v[86:87], v[62:63], off
	s_nop 0
	global_load_dwordx2 v[118:119], v[74:75], off
	s_nop 0
	buffer_store_dword v120, off, s[0:3], 0 offset:136
	buffer_store_dword v121, off, s[0:3], 0 offset:140
	s_waitcnt vmcnt(50)
	buffer_store_dword v89, off, s[0:3], 0 offset:156
	buffer_store_dword v88, off, s[0:3], 0 offset:152
	global_load_dwordx2 v[88:89], v[68:69], off
	s_waitcnt vmcnt(50)
	buffer_store_dword v91, off, s[0:3], 0 offset:164
	buffer_store_dword v90, off, s[0:3], 0 offset:160
	global_load_dwordx2 v[90:91], v[72:73], off
	s_waitcnt vmcnt(50)
	buffer_store_dword v92, off, s[0:3], 0 offset:168
	buffer_store_dword v93, off, s[0:3], 0 offset:172
	global_load_dwordx2 v[92:93], v[76:77], off
	s_nop 0
	global_load_dwordx2 v[120:121], v[78:79], off
	s_waitcnt vmcnt(51)
	buffer_store_dword v94, off, s[0:3], 0 offset:176
	buffer_store_dword v95, off, s[0:3], 0 offset:180
	global_load_dwordx2 v[94:95], v[80:81], off
	s_waitcnt vmcnt(34)
	buffer_store_dword v96, off, s[0:3], 0 offset:184
	buffer_store_dword v97, off, s[0:3], 0 offset:188
	s_waitcnt vmcnt(35)
	buffer_store_dword v98, off, s[0:3], 0 offset:192
	buffer_store_dword v99, off, s[0:3], 0 offset:196
	;; [unrolled: 3-line block ×10, first 2 shown]
	buffer_store_dword v114, off, s[0:3], 0 offset:264
	buffer_store_dword v115, off, s[0:3], 0 offset:268
	s_waitcnt vmcnt(32)
	buffer_store_dword v88, off, s[0:3], 0 offset:272
	buffer_store_dword v89, off, s[0:3], 0 offset:276
	buffer_store_dword v116, off, s[0:3], 0 offset:280
	buffer_store_dword v117, off, s[0:3], 0 offset:284
	s_waitcnt vmcnt(33)
	buffer_store_dword v90, off, s[0:3], 0 offset:288
	buffer_store_dword v91, off, s[0:3], 0 offset:292
	;; [unrolled: 5-line block ×3, first 2 shown]
	s_waitcnt vmcnt(35)
	buffer_store_dword v120, off, s[0:3], 0 offset:312
	buffer_store_dword v121, off, s[0:3], 0 offset:316
	s_waitcnt vmcnt(34)
	buffer_store_dword v94, off, s[0:3], 0 offset:320
	buffer_store_dword v95, off, s[0:3], 0 offset:324
	;; [unrolled: 1-line block ×4, first 2 shown]
	s_cbranch_scc1 .LBB41_174
; %bb.4:
	v_cmp_eq_u32_e64 s[4:5], 0, v0
	s_and_saveexec_b64 s[6:7], s[4:5]
	s_cbranch_execz .LBB41_6
; %bb.5:
	v_mov_b32_e32 v86, 0
	ds_write_b32 v86, v86 offset:672
.LBB41_6:
	s_or_b64 exec, exec, s[6:7]
	v_mov_b32_e32 v86, 0
	v_lshl_add_u32 v86, v0, 3, v86
	s_waitcnt lgkmcnt(0)
	; wave barrier
	s_waitcnt lgkmcnt(0)
	buffer_load_dword v88, v86, s[0:3], 0 offen
	buffer_load_dword v89, v86, s[0:3], 0 offen offset:4
	s_waitcnt vmcnt(0)
	v_cmp_eq_f64_e32 vcc, 0, v[88:89]
	s_and_saveexec_b64 s[12:13], vcc
	s_cbranch_execz .LBB41_10
; %bb.7:
	v_mov_b32_e32 v87, 0
	ds_read_b32 v89, v87 offset:672
	v_add_u32_e32 v88, 1, v0
	s_waitcnt lgkmcnt(0)
	v_readfirstlane_b32 s6, v89
	s_cmp_eq_u32 s6, 0
	s_cselect_b64 s[16:17], -1, 0
	v_cmp_gt_i32_e32 vcc, s6, v88
	s_or_b64 s[16:17], s[16:17], vcc
	s_and_b64 exec, exec, s[16:17]
	s_cbranch_execz .LBB41_10
; %bb.8:
	s_mov_b64 s[16:17], 0
	v_mov_b32_e32 v89, s6
.LBB41_9:                               ; =>This Inner Loop Header: Depth=1
	ds_cmpst_rtn_b32 v89, v87, v89, v88 offset:672
	s_waitcnt lgkmcnt(0)
	v_cmp_ne_u32_e32 vcc, 0, v89
	v_cmp_le_i32_e64 s[6:7], v89, v88
	s_and_b64 s[6:7], vcc, s[6:7]
	s_and_b64 s[6:7], exec, s[6:7]
	s_or_b64 s[16:17], s[6:7], s[16:17]
	s_andn2_b64 exec, exec, s[16:17]
	s_cbranch_execnz .LBB41_9
.LBB41_10:
	s_or_b64 exec, exec, s[12:13]
	v_mov_b32_e32 v88, 0
	s_waitcnt lgkmcnt(0)
	; wave barrier
	ds_read_b32 v87, v88 offset:672
	s_and_saveexec_b64 s[6:7], s[4:5]
	s_cbranch_execz .LBB41_12
; %bb.11:
	s_lshl_b64 s[12:13], s[8:9], 2
	s_add_u32 s12, s14, s12
	s_addc_u32 s13, s15, s13
	s_waitcnt lgkmcnt(0)
	global_store_dword v88, v87, s[12:13]
.LBB41_12:
	s_or_b64 exec, exec, s[6:7]
	s_waitcnt lgkmcnt(0)
	v_cmp_ne_u32_e32 vcc, 0, v87
	s_mov_b64 s[6:7], 0
	s_cbranch_vccnz .LBB41_174
; %bb.13:
	buffer_load_dword v88, v86, s[0:3], 0 offen
	buffer_load_dword v89, v86, s[0:3], 0 offen offset:4
	s_waitcnt vmcnt(0)
	v_div_scale_f64 v[90:91], s[6:7], v[88:89], v[88:89], 1.0
	v_rcp_f64_e32 v[92:93], v[90:91]
	v_div_scale_f64 v[94:95], vcc, 1.0, v[88:89], 1.0
	v_fma_f64 v[96:97], -v[90:91], v[92:93], 1.0
	v_fmac_f64_e32 v[92:93], v[92:93], v[96:97]
	v_fma_f64 v[96:97], -v[90:91], v[92:93], 1.0
	v_fmac_f64_e32 v[92:93], v[92:93], v[96:97]
	v_mul_f64 v[96:97], v[94:95], v[92:93]
	v_fma_f64 v[90:91], -v[90:91], v[96:97], v[94:95]
	v_div_fmas_f64 v[90:91], v[90:91], v[92:93], v[96:97]
	v_div_fixup_f64 v[90:91], v[90:91], v[88:89], 1.0
	buffer_store_dword v91, v86, s[0:3], 0 offen offset:4
	buffer_store_dword v90, v86, s[0:3], 0 offen
	buffer_load_dword v93, off, s[0:3], 0 offset:12
	buffer_load_dword v92, off, s[0:3], 0 offset:8
	v_add_u32_e32 v88, 0x150, v1
	v_xor_b32_e32 v91, 0x80000000, v91
	s_waitcnt vmcnt(0)
	ds_write2_b64 v1, v[90:91], v[92:93] offset1:42
	s_waitcnt lgkmcnt(0)
	; wave barrier
	s_waitcnt lgkmcnt(0)
	s_and_saveexec_b64 s[6:7], s[4:5]
	s_cbranch_execz .LBB41_15
; %bb.14:
	buffer_load_dword v90, v86, s[0:3], 0 offen
	buffer_load_dword v91, v86, s[0:3], 0 offen offset:4
	v_mov_b32_e32 v87, 0
	ds_read_b64 v[92:93], v88
	ds_read_b64 v[94:95], v87 offset:8
	s_waitcnt vmcnt(0) lgkmcnt(1)
	v_fma_f64 v[90:91], v[90:91], v[92:93], 0
	s_waitcnt lgkmcnt(0)
	v_mul_f64 v[90:91], v[90:91], v[94:95]
	buffer_store_dword v90, off, s[0:3], 0 offset:8
	buffer_store_dword v91, off, s[0:3], 0 offset:12
.LBB41_15:
	s_or_b64 exec, exec, s[6:7]
	s_waitcnt lgkmcnt(0)
	; wave barrier
	buffer_load_dword v90, off, s[0:3], 0 offset:16
	buffer_load_dword v91, off, s[0:3], 0 offset:20
	v_cmp_gt_u32_e32 vcc, 2, v0
	s_waitcnt vmcnt(0)
	ds_write_b64 v88, v[90:91]
	s_waitcnt lgkmcnt(0)
	; wave barrier
	s_waitcnt lgkmcnt(0)
	s_and_saveexec_b64 s[6:7], vcc
	s_cbranch_execz .LBB41_17
; %bb.16:
	buffer_load_dword v87, v86, s[0:3], 0 offen offset:4
	buffer_load_dword v94, off, s[0:3], 0 offset:8
	s_nop 0
	buffer_load_dword v86, v86, s[0:3], 0 offen
	s_nop 0
	buffer_load_dword v95, off, s[0:3], 0 offset:12
	ds_read_b64 v[96:97], v88
	v_mov_b32_e32 v89, 0
	ds_read2_b64 v[90:93], v89 offset0:2 offset1:43
	s_waitcnt vmcnt(1) lgkmcnt(1)
	v_fma_f64 v[86:87], v[86:87], v[96:97], 0
	s_waitcnt vmcnt(0) lgkmcnt(0)
	v_fma_f64 v[92:93], v[94:95], v[92:93], v[86:87]
	v_cndmask_b32_e64 v87, v87, v93, s[4:5]
	v_cndmask_b32_e64 v86, v86, v92, s[4:5]
	v_mul_f64 v[86:87], v[86:87], v[90:91]
	buffer_store_dword v87, off, s[0:3], 0 offset:20
	buffer_store_dword v86, off, s[0:3], 0 offset:16
.LBB41_17:
	s_or_b64 exec, exec, s[6:7]
	s_waitcnt lgkmcnt(0)
	; wave barrier
	buffer_load_dword v86, off, s[0:3], 0 offset:24
	buffer_load_dword v87, off, s[0:3], 0 offset:28
	v_cmp_gt_u32_e32 vcc, 3, v0
	v_add_u32_e32 v89, -1, v0
	s_waitcnt vmcnt(0)
	ds_write_b64 v88, v[86:87]
	s_waitcnt lgkmcnt(0)
	; wave barrier
	s_waitcnt lgkmcnt(0)
	s_and_saveexec_b64 s[4:5], vcc
	s_cbranch_execz .LBB41_21
; %bb.18:
	v_add_u32_e32 v90, -1, v0
	v_add_u32_e32 v91, 0x150, v1
	v_add_u32_e32 v92, 0, v1
	s_mov_b64 s[6:7], 0
	v_pk_mov_b32 v[86:87], 0, 0
.LBB41_19:                              ; =>This Inner Loop Header: Depth=1
	buffer_load_dword v94, v92, s[0:3], 0 offen
	buffer_load_dword v95, v92, s[0:3], 0 offen offset:4
	ds_read_b64 v[96:97], v91
	v_add_u32_e32 v90, 1, v90
	v_cmp_lt_u32_e32 vcc, 1, v90
	v_add_u32_e32 v91, 8, v91
	v_add_u32_e32 v92, 8, v92
	s_or_b64 s[6:7], vcc, s[6:7]
	s_waitcnt vmcnt(0) lgkmcnt(0)
	v_fmac_f64_e32 v[86:87], v[94:95], v[96:97]
	s_andn2_b64 exec, exec, s[6:7]
	s_cbranch_execnz .LBB41_19
; %bb.20:
	s_or_b64 exec, exec, s[6:7]
	v_mov_b32_e32 v90, 0
	ds_read_b64 v[90:91], v90 offset:24
	s_waitcnt lgkmcnt(0)
	v_mul_f64 v[86:87], v[86:87], v[90:91]
	buffer_store_dword v87, off, s[0:3], 0 offset:28
	buffer_store_dword v86, off, s[0:3], 0 offset:24
.LBB41_21:
	s_or_b64 exec, exec, s[4:5]
	s_waitcnt lgkmcnt(0)
	; wave barrier
	buffer_load_dword v86, off, s[0:3], 0 offset:32
	buffer_load_dword v87, off, s[0:3], 0 offset:36
	v_cmp_gt_u32_e32 vcc, 4, v0
	s_waitcnt vmcnt(0)
	ds_write_b64 v88, v[86:87]
	s_waitcnt lgkmcnt(0)
	; wave barrier
	s_waitcnt lgkmcnt(0)
	s_and_saveexec_b64 s[4:5], vcc
	s_cbranch_execz .LBB41_25
; %bb.22:
	v_add_u32_e32 v90, -1, v0
	v_add_u32_e32 v91, 0x150, v1
	v_add_u32_e32 v92, 0, v1
	s_mov_b64 s[6:7], 0
	v_pk_mov_b32 v[86:87], 0, 0
.LBB41_23:                              ; =>This Inner Loop Header: Depth=1
	buffer_load_dword v94, v92, s[0:3], 0 offen
	buffer_load_dword v95, v92, s[0:3], 0 offen offset:4
	ds_read_b64 v[96:97], v91
	v_add_u32_e32 v90, 1, v90
	v_cmp_lt_u32_e32 vcc, 2, v90
	v_add_u32_e32 v91, 8, v91
	v_add_u32_e32 v92, 8, v92
	s_or_b64 s[6:7], vcc, s[6:7]
	s_waitcnt vmcnt(0) lgkmcnt(0)
	v_fmac_f64_e32 v[86:87], v[94:95], v[96:97]
	s_andn2_b64 exec, exec, s[6:7]
	s_cbranch_execnz .LBB41_23
; %bb.24:
	s_or_b64 exec, exec, s[6:7]
	v_mov_b32_e32 v90, 0
	ds_read_b64 v[90:91], v90 offset:32
	s_waitcnt lgkmcnt(0)
	v_mul_f64 v[86:87], v[86:87], v[90:91]
	buffer_store_dword v87, off, s[0:3], 0 offset:36
	buffer_store_dword v86, off, s[0:3], 0 offset:32
.LBB41_25:
	s_or_b64 exec, exec, s[4:5]
	s_waitcnt lgkmcnt(0)
	; wave barrier
	buffer_load_dword v86, off, s[0:3], 0 offset:40
	buffer_load_dword v87, off, s[0:3], 0 offset:44
	v_cmp_gt_u32_e32 vcc, 5, v0
	;; [unrolled: 41-line block ×21, first 2 shown]
	s_waitcnt vmcnt(0)
	ds_write_b64 v88, v[86:87]
	s_waitcnt lgkmcnt(0)
	; wave barrier
	s_waitcnt lgkmcnt(0)
	s_and_saveexec_b64 s[4:5], vcc
	s_cbranch_execz .LBB41_105
; %bb.102:
	v_add_u32_e32 v90, -1, v0
	v_add_u32_e32 v91, 0x150, v1
	v_add_u32_e32 v92, 0, v1
	s_mov_b64 s[6:7], 0
	v_pk_mov_b32 v[86:87], 0, 0
.LBB41_103:                             ; =>This Inner Loop Header: Depth=1
	buffer_load_dword v94, v92, s[0:3], 0 offen
	buffer_load_dword v95, v92, s[0:3], 0 offen offset:4
	ds_read_b64 v[96:97], v91
	v_add_u32_e32 v90, 1, v90
	v_cmp_lt_u32_e32 vcc, 22, v90
	v_add_u32_e32 v91, 8, v91
	v_add_u32_e32 v92, 8, v92
	s_or_b64 s[6:7], vcc, s[6:7]
	s_waitcnt vmcnt(0) lgkmcnt(0)
	v_fmac_f64_e32 v[86:87], v[94:95], v[96:97]
	s_andn2_b64 exec, exec, s[6:7]
	s_cbranch_execnz .LBB41_103
; %bb.104:
	s_or_b64 exec, exec, s[6:7]
	v_mov_b32_e32 v90, 0
	ds_read_b64 v[90:91], v90 offset:192
	s_waitcnt lgkmcnt(0)
	v_mul_f64 v[86:87], v[86:87], v[90:91]
	buffer_store_dword v87, off, s[0:3], 0 offset:196
	buffer_store_dword v86, off, s[0:3], 0 offset:192
.LBB41_105:
	s_or_b64 exec, exec, s[4:5]
	s_waitcnt lgkmcnt(0)
	; wave barrier
	buffer_load_dword v86, off, s[0:3], 0 offset:200
	buffer_load_dword v87, off, s[0:3], 0 offset:204
	v_cmp_gt_u32_e32 vcc, 25, v0
	s_waitcnt vmcnt(0)
	ds_write_b64 v88, v[86:87]
	s_waitcnt lgkmcnt(0)
	; wave barrier
	s_waitcnt lgkmcnt(0)
	s_and_saveexec_b64 s[4:5], vcc
	s_cbranch_execz .LBB41_109
; %bb.106:
	v_add_u32_e32 v90, -1, v0
	v_add_u32_e32 v91, 0x150, v1
	v_add_u32_e32 v92, 0, v1
	s_mov_b64 s[6:7], 0
	v_pk_mov_b32 v[86:87], 0, 0
.LBB41_107:                             ; =>This Inner Loop Header: Depth=1
	buffer_load_dword v94, v92, s[0:3], 0 offen
	buffer_load_dword v95, v92, s[0:3], 0 offen offset:4
	ds_read_b64 v[96:97], v91
	v_add_u32_e32 v90, 1, v90
	v_cmp_lt_u32_e32 vcc, 23, v90
	v_add_u32_e32 v91, 8, v91
	v_add_u32_e32 v92, 8, v92
	s_or_b64 s[6:7], vcc, s[6:7]
	s_waitcnt vmcnt(0) lgkmcnt(0)
	v_fmac_f64_e32 v[86:87], v[94:95], v[96:97]
	s_andn2_b64 exec, exec, s[6:7]
	s_cbranch_execnz .LBB41_107
; %bb.108:
	s_or_b64 exec, exec, s[6:7]
	v_mov_b32_e32 v90, 0
	ds_read_b64 v[90:91], v90 offset:200
	s_waitcnt lgkmcnt(0)
	v_mul_f64 v[86:87], v[86:87], v[90:91]
	buffer_store_dword v87, off, s[0:3], 0 offset:204
	buffer_store_dword v86, off, s[0:3], 0 offset:200
.LBB41_109:
	s_or_b64 exec, exec, s[4:5]
	s_waitcnt lgkmcnt(0)
	; wave barrier
	buffer_load_dword v86, off, s[0:3], 0 offset:208
	buffer_load_dword v87, off, s[0:3], 0 offset:212
	v_cmp_gt_u32_e32 vcc, 26, v0
	;; [unrolled: 41-line block ×16, first 2 shown]
	s_waitcnt vmcnt(0)
	ds_write_b64 v88, v[86:87]
	s_waitcnt lgkmcnt(0)
	; wave barrier
	s_waitcnt lgkmcnt(0)
	s_and_saveexec_b64 s[4:5], vcc
	s_cbranch_execz .LBB41_169
; %bb.166:
	v_add_u32_e32 v90, -1, v0
	v_add_u32_e32 v91, 0x150, v1
	v_add_u32_e32 v92, 0, v1
	s_mov_b64 s[6:7], 0
	v_pk_mov_b32 v[86:87], 0, 0
.LBB41_167:                             ; =>This Inner Loop Header: Depth=1
	buffer_load_dword v94, v92, s[0:3], 0 offen
	buffer_load_dword v95, v92, s[0:3], 0 offen offset:4
	ds_read_b64 v[96:97], v91
	v_add_u32_e32 v90, 1, v90
	v_cmp_lt_u32_e32 vcc, 38, v90
	v_add_u32_e32 v91, 8, v91
	v_add_u32_e32 v92, 8, v92
	s_or_b64 s[6:7], vcc, s[6:7]
	s_waitcnt vmcnt(0) lgkmcnt(0)
	v_fmac_f64_e32 v[86:87], v[94:95], v[96:97]
	s_andn2_b64 exec, exec, s[6:7]
	s_cbranch_execnz .LBB41_167
; %bb.168:
	s_or_b64 exec, exec, s[6:7]
	v_mov_b32_e32 v90, 0
	ds_read_b64 v[90:91], v90 offset:320
	s_waitcnt lgkmcnt(0)
	v_mul_f64 v[86:87], v[86:87], v[90:91]
	buffer_store_dword v87, off, s[0:3], 0 offset:324
	buffer_store_dword v86, off, s[0:3], 0 offset:320
.LBB41_169:
	s_or_b64 exec, exec, s[4:5]
	s_waitcnt lgkmcnt(0)
	; wave barrier
	buffer_load_dword v86, off, s[0:3], 0 offset:328
	buffer_load_dword v87, off, s[0:3], 0 offset:332
	v_cmp_ne_u32_e32 vcc, 41, v0
	s_waitcnt vmcnt(0)
	ds_write_b64 v88, v[86:87]
	s_waitcnt lgkmcnt(0)
	; wave barrier
	s_waitcnt lgkmcnt(0)
	s_and_saveexec_b64 s[4:5], vcc
	s_cbranch_execz .LBB41_173
; %bb.170:
	v_add_u32_e32 v88, 0x150, v1
	v_add_u32_e32 v1, 0, v1
	s_mov_b64 s[6:7], 0
	v_pk_mov_b32 v[86:87], 0, 0
.LBB41_171:                             ; =>This Inner Loop Header: Depth=1
	buffer_load_dword v90, v1, s[0:3], 0 offen
	buffer_load_dword v91, v1, s[0:3], 0 offen offset:4
	ds_read_b64 v[92:93], v88
	v_add_u32_e32 v89, 1, v89
	v_cmp_lt_u32_e32 vcc, 39, v89
	v_add_u32_e32 v88, 8, v88
	v_add_u32_e32 v1, 8, v1
	s_or_b64 s[6:7], vcc, s[6:7]
	s_waitcnt vmcnt(0) lgkmcnt(0)
	v_fmac_f64_e32 v[86:87], v[90:91], v[92:93]
	s_andn2_b64 exec, exec, s[6:7]
	s_cbranch_execnz .LBB41_171
; %bb.172:
	s_or_b64 exec, exec, s[6:7]
	v_mov_b32_e32 v1, 0
	ds_read_b64 v[88:89], v1 offset:328
	s_waitcnt lgkmcnt(0)
	v_mul_f64 v[86:87], v[86:87], v[88:89]
	buffer_store_dword v87, off, s[0:3], 0 offset:332
	buffer_store_dword v86, off, s[0:3], 0 offset:328
.LBB41_173:
	s_or_b64 exec, exec, s[4:5]
	s_mov_b64 s[6:7], -1
	s_waitcnt lgkmcnt(0)
	; wave barrier
.LBB41_174:
	s_and_b64 vcc, exec, s[6:7]
	s_cbranch_vccz .LBB41_176
; %bb.175:
	s_lshl_b64 s[4:5], s[8:9], 2
	s_add_u32 s4, s14, s4
	s_addc_u32 s5, s15, s5
	v_mov_b32_e32 v1, 0
	global_load_dword v1, v1, s[4:5]
	s_waitcnt vmcnt(0)
	v_cmp_ne_u32_e32 vcc, 0, v1
	s_cbranch_vccz .LBB41_177
.LBB41_176:
	s_endpgm
.LBB41_177:
	v_mov_b32_e32 v1, 0x150
	v_lshl_add_u32 v1, v0, 3, v1
	v_cmp_eq_u32_e32 vcc, 41, v0
	s_and_saveexec_b64 s[4:5], vcc
	s_cbranch_execz .LBB41_179
; %bb.178:
	buffer_load_dword v86, off, s[0:3], 0 offset:320
	buffer_load_dword v87, off, s[0:3], 0 offset:324
	v_mov_b32_e32 v88, 0
	buffer_store_dword v88, off, s[0:3], 0 offset:320
	buffer_store_dword v88, off, s[0:3], 0 offset:324
	s_waitcnt vmcnt(2)
	ds_write_b64 v1, v[86:87]
.LBB41_179:
	s_or_b64 exec, exec, s[4:5]
	s_waitcnt lgkmcnt(0)
	; wave barrier
	s_waitcnt lgkmcnt(0)
	buffer_load_dword v88, off, s[0:3], 0 offset:328
	buffer_load_dword v89, off, s[0:3], 0 offset:332
	;; [unrolled: 1-line block ×4, first 2 shown]
	v_mov_b32_e32 v86, 0
	ds_read_b64 v[92:93], v86 offset:664
	v_cmp_lt_u32_e32 vcc, 39, v0
	s_waitcnt vmcnt(2) lgkmcnt(0)
	v_fma_f64 v[88:89], v[88:89], v[92:93], 0
	s_waitcnt vmcnt(0)
	v_add_f64 v[88:89], v[90:91], -v[88:89]
	buffer_store_dword v88, off, s[0:3], 0 offset:320
	buffer_store_dword v89, off, s[0:3], 0 offset:324
	s_and_saveexec_b64 s[4:5], vcc
	s_cbranch_execz .LBB41_181
; %bb.180:
	buffer_load_dword v88, off, s[0:3], 0 offset:312
	buffer_load_dword v89, off, s[0:3], 0 offset:316
	s_waitcnt vmcnt(0)
	ds_write_b64 v1, v[88:89]
	buffer_store_dword v86, off, s[0:3], 0 offset:312
	buffer_store_dword v86, off, s[0:3], 0 offset:316
.LBB41_181:
	s_or_b64 exec, exec, s[4:5]
	s_waitcnt lgkmcnt(0)
	; wave barrier
	s_waitcnt lgkmcnt(0)
	buffer_load_dword v90, off, s[0:3], 0 offset:320
	buffer_load_dword v91, off, s[0:3], 0 offset:324
	;; [unrolled: 1-line block ×6, first 2 shown]
	ds_read_b128 v[86:89], v86 offset:656
	v_cmp_lt_u32_e32 vcc, 38, v0
	s_waitcnt vmcnt(4) lgkmcnt(0)
	v_fma_f64 v[86:87], v[90:91], v[86:87], 0
	s_waitcnt vmcnt(2)
	v_fmac_f64_e32 v[86:87], v[92:93], v[88:89]
	s_waitcnt vmcnt(0)
	v_add_f64 v[86:87], v[94:95], -v[86:87]
	buffer_store_dword v86, off, s[0:3], 0 offset:312
	buffer_store_dword v87, off, s[0:3], 0 offset:316
	s_and_saveexec_b64 s[4:5], vcc
	s_cbranch_execz .LBB41_183
; %bb.182:
	buffer_load_dword v86, off, s[0:3], 0 offset:304
	buffer_load_dword v87, off, s[0:3], 0 offset:308
	v_mov_b32_e32 v88, 0
	buffer_store_dword v88, off, s[0:3], 0 offset:304
	buffer_store_dword v88, off, s[0:3], 0 offset:308
	s_waitcnt vmcnt(2)
	ds_write_b64 v1, v[86:87]
.LBB41_183:
	s_or_b64 exec, exec, s[4:5]
	s_waitcnt lgkmcnt(0)
	; wave barrier
	s_waitcnt lgkmcnt(0)
	buffer_load_dword v92, off, s[0:3], 0 offset:312
	buffer_load_dword v93, off, s[0:3], 0 offset:316
	;; [unrolled: 1-line block ×8, first 2 shown]
	v_mov_b32_e32 v86, 0
	ds_read2_b64 v[88:91], v86 offset0:81 offset1:82
	ds_read_b64 v[100:101], v86 offset:664
	v_cmp_lt_u32_e32 vcc, 37, v0
	s_waitcnt vmcnt(6) lgkmcnt(1)
	v_fma_f64 v[88:89], v[92:93], v[88:89], 0
	s_waitcnt vmcnt(4)
	v_fmac_f64_e32 v[88:89], v[94:95], v[90:91]
	s_waitcnt vmcnt(2) lgkmcnt(0)
	v_fmac_f64_e32 v[88:89], v[96:97], v[100:101]
	s_waitcnt vmcnt(0)
	v_add_f64 v[88:89], v[98:99], -v[88:89]
	buffer_store_dword v88, off, s[0:3], 0 offset:304
	buffer_store_dword v89, off, s[0:3], 0 offset:308
	s_and_saveexec_b64 s[4:5], vcc
	s_cbranch_execz .LBB41_185
; %bb.184:
	buffer_load_dword v88, off, s[0:3], 0 offset:296
	buffer_load_dword v89, off, s[0:3], 0 offset:300
	s_waitcnt vmcnt(0)
	ds_write_b64 v1, v[88:89]
	buffer_store_dword v86, off, s[0:3], 0 offset:296
	buffer_store_dword v86, off, s[0:3], 0 offset:300
.LBB41_185:
	s_or_b64 exec, exec, s[4:5]
	s_waitcnt lgkmcnt(0)
	; wave barrier
	s_waitcnt lgkmcnt(0)
	buffer_load_dword v96, off, s[0:3], 0 offset:304
	buffer_load_dword v97, off, s[0:3], 0 offset:308
	;; [unrolled: 1-line block ×10, first 2 shown]
	ds_read_b128 v[88:91], v86 offset:640
	ds_read_b128 v[92:95], v86 offset:656
	v_cmp_lt_u32_e32 vcc, 36, v0
	s_waitcnt vmcnt(8) lgkmcnt(1)
	v_fma_f64 v[86:87], v[96:97], v[88:89], 0
	s_waitcnt vmcnt(6)
	v_fmac_f64_e32 v[86:87], v[98:99], v[90:91]
	s_waitcnt vmcnt(4) lgkmcnt(0)
	v_fmac_f64_e32 v[86:87], v[100:101], v[92:93]
	s_waitcnt vmcnt(2)
	v_fmac_f64_e32 v[86:87], v[102:103], v[94:95]
	s_waitcnt vmcnt(0)
	v_add_f64 v[86:87], v[104:105], -v[86:87]
	buffer_store_dword v86, off, s[0:3], 0 offset:296
	buffer_store_dword v87, off, s[0:3], 0 offset:300
	s_and_saveexec_b64 s[4:5], vcc
	s_cbranch_execz .LBB41_187
; %bb.186:
	buffer_load_dword v86, off, s[0:3], 0 offset:288
	buffer_load_dword v87, off, s[0:3], 0 offset:292
	v_mov_b32_e32 v88, 0
	buffer_store_dword v88, off, s[0:3], 0 offset:288
	buffer_store_dword v88, off, s[0:3], 0 offset:292
	s_waitcnt vmcnt(2)
	ds_write_b64 v1, v[86:87]
.LBB41_187:
	s_or_b64 exec, exec, s[4:5]
	s_waitcnt lgkmcnt(0)
	; wave barrier
	s_waitcnt lgkmcnt(0)
	buffer_load_dword v96, off, s[0:3], 0 offset:296
	buffer_load_dword v97, off, s[0:3], 0 offset:300
	;; [unrolled: 1-line block ×12, first 2 shown]
	v_mov_b32_e32 v86, 0
	ds_read2_b64 v[88:91], v86 offset0:79 offset1:80
	ds_read2_b64 v[92:95], v86 offset0:81 offset1:82
	ds_read_b64 v[108:109], v86 offset:664
	v_cmp_lt_u32_e32 vcc, 35, v0
	s_waitcnt vmcnt(10) lgkmcnt(2)
	v_fma_f64 v[88:89], v[96:97], v[88:89], 0
	s_waitcnt vmcnt(8)
	v_fmac_f64_e32 v[88:89], v[98:99], v[90:91]
	s_waitcnt vmcnt(6) lgkmcnt(1)
	v_fmac_f64_e32 v[88:89], v[100:101], v[92:93]
	s_waitcnt vmcnt(4)
	v_fmac_f64_e32 v[88:89], v[102:103], v[94:95]
	s_waitcnt vmcnt(2) lgkmcnt(0)
	v_fmac_f64_e32 v[88:89], v[104:105], v[108:109]
	s_waitcnt vmcnt(0)
	v_add_f64 v[88:89], v[106:107], -v[88:89]
	buffer_store_dword v88, off, s[0:3], 0 offset:288
	buffer_store_dword v89, off, s[0:3], 0 offset:292
	s_and_saveexec_b64 s[4:5], vcc
	s_cbranch_execz .LBB41_189
; %bb.188:
	buffer_load_dword v88, off, s[0:3], 0 offset:280
	buffer_load_dword v89, off, s[0:3], 0 offset:284
	s_waitcnt vmcnt(0)
	ds_write_b64 v1, v[88:89]
	buffer_store_dword v86, off, s[0:3], 0 offset:280
	buffer_store_dword v86, off, s[0:3], 0 offset:284
.LBB41_189:
	s_or_b64 exec, exec, s[4:5]
	s_waitcnt lgkmcnt(0)
	; wave barrier
	s_waitcnt lgkmcnt(0)
	buffer_load_dword v100, off, s[0:3], 0 offset:288
	buffer_load_dword v101, off, s[0:3], 0 offset:292
	;; [unrolled: 1-line block ×14, first 2 shown]
	ds_read_b128 v[88:91], v86 offset:624
	ds_read_b128 v[92:95], v86 offset:640
	ds_read_b128 v[96:99], v86 offset:656
	v_cmp_lt_u32_e32 vcc, 34, v0
	s_waitcnt vmcnt(12) lgkmcnt(2)
	v_fma_f64 v[86:87], v[100:101], v[88:89], 0
	s_waitcnt vmcnt(10)
	v_fmac_f64_e32 v[86:87], v[102:103], v[90:91]
	s_waitcnt vmcnt(8) lgkmcnt(1)
	v_fmac_f64_e32 v[86:87], v[104:105], v[92:93]
	s_waitcnt vmcnt(6)
	v_fmac_f64_e32 v[86:87], v[106:107], v[94:95]
	s_waitcnt vmcnt(4) lgkmcnt(0)
	v_fmac_f64_e32 v[86:87], v[108:109], v[96:97]
	s_waitcnt vmcnt(2)
	v_fmac_f64_e32 v[86:87], v[110:111], v[98:99]
	s_waitcnt vmcnt(0)
	v_add_f64 v[86:87], v[112:113], -v[86:87]
	buffer_store_dword v86, off, s[0:3], 0 offset:280
	buffer_store_dword v87, off, s[0:3], 0 offset:284
	s_and_saveexec_b64 s[4:5], vcc
	s_cbranch_execz .LBB41_191
; %bb.190:
	buffer_load_dword v86, off, s[0:3], 0 offset:272
	buffer_load_dword v87, off, s[0:3], 0 offset:276
	v_mov_b32_e32 v88, 0
	buffer_store_dword v88, off, s[0:3], 0 offset:272
	buffer_store_dword v88, off, s[0:3], 0 offset:276
	s_waitcnt vmcnt(2)
	ds_write_b64 v1, v[86:87]
.LBB41_191:
	s_or_b64 exec, exec, s[4:5]
	s_waitcnt lgkmcnt(0)
	; wave barrier
	s_waitcnt lgkmcnt(0)
	buffer_load_dword v100, off, s[0:3], 0 offset:280
	buffer_load_dword v101, off, s[0:3], 0 offset:284
	;; [unrolled: 1-line block ×16, first 2 shown]
	v_mov_b32_e32 v86, 0
	ds_read2_b64 v[88:91], v86 offset0:77 offset1:78
	ds_read2_b64 v[92:95], v86 offset0:79 offset1:80
	;; [unrolled: 1-line block ×3, first 2 shown]
	ds_read_b64 v[116:117], v86 offset:664
	v_cmp_lt_u32_e32 vcc, 33, v0
	s_waitcnt vmcnt(14) lgkmcnt(3)
	v_fma_f64 v[88:89], v[100:101], v[88:89], 0
	s_waitcnt vmcnt(12)
	v_fmac_f64_e32 v[88:89], v[102:103], v[90:91]
	s_waitcnt vmcnt(10) lgkmcnt(2)
	v_fmac_f64_e32 v[88:89], v[104:105], v[92:93]
	s_waitcnt vmcnt(8)
	v_fmac_f64_e32 v[88:89], v[106:107], v[94:95]
	s_waitcnt vmcnt(6) lgkmcnt(1)
	v_fmac_f64_e32 v[88:89], v[108:109], v[96:97]
	;; [unrolled: 4-line block ×3, first 2 shown]
	s_waitcnt vmcnt(0)
	v_add_f64 v[88:89], v[114:115], -v[88:89]
	buffer_store_dword v88, off, s[0:3], 0 offset:272
	buffer_store_dword v89, off, s[0:3], 0 offset:276
	s_and_saveexec_b64 s[4:5], vcc
	s_cbranch_execz .LBB41_193
; %bb.192:
	buffer_load_dword v88, off, s[0:3], 0 offset:264
	buffer_load_dword v89, off, s[0:3], 0 offset:268
	s_waitcnt vmcnt(0)
	ds_write_b64 v1, v[88:89]
	buffer_store_dword v86, off, s[0:3], 0 offset:264
	buffer_store_dword v86, off, s[0:3], 0 offset:268
.LBB41_193:
	s_or_b64 exec, exec, s[4:5]
	s_waitcnt lgkmcnt(0)
	; wave barrier
	s_waitcnt lgkmcnt(0)
	buffer_load_dword v104, off, s[0:3], 0 offset:272
	buffer_load_dword v105, off, s[0:3], 0 offset:276
	;; [unrolled: 1-line block ×18, first 2 shown]
	ds_read_b128 v[88:91], v86 offset:608
	ds_read_b128 v[92:95], v86 offset:624
	;; [unrolled: 1-line block ×4, first 2 shown]
	v_cmp_lt_u32_e32 vcc, 32, v0
	s_waitcnt vmcnt(16) lgkmcnt(3)
	v_fma_f64 v[86:87], v[104:105], v[88:89], 0
	s_waitcnt vmcnt(14)
	v_fmac_f64_e32 v[86:87], v[106:107], v[90:91]
	s_waitcnt vmcnt(12) lgkmcnt(2)
	v_fmac_f64_e32 v[86:87], v[108:109], v[92:93]
	s_waitcnt vmcnt(10)
	v_fmac_f64_e32 v[86:87], v[110:111], v[94:95]
	s_waitcnt vmcnt(8) lgkmcnt(1)
	v_fmac_f64_e32 v[86:87], v[112:113], v[96:97]
	;; [unrolled: 4-line block ×3, first 2 shown]
	s_waitcnt vmcnt(2)
	v_fmac_f64_e32 v[86:87], v[118:119], v[102:103]
	s_waitcnt vmcnt(0)
	v_add_f64 v[86:87], v[120:121], -v[86:87]
	buffer_store_dword v86, off, s[0:3], 0 offset:264
	buffer_store_dword v87, off, s[0:3], 0 offset:268
	s_and_saveexec_b64 s[4:5], vcc
	s_cbranch_execz .LBB41_195
; %bb.194:
	buffer_load_dword v86, off, s[0:3], 0 offset:256
	buffer_load_dword v87, off, s[0:3], 0 offset:260
	v_mov_b32_e32 v88, 0
	buffer_store_dword v88, off, s[0:3], 0 offset:256
	buffer_store_dword v88, off, s[0:3], 0 offset:260
	s_waitcnt vmcnt(2)
	ds_write_b64 v1, v[86:87]
.LBB41_195:
	s_or_b64 exec, exec, s[4:5]
	s_waitcnt lgkmcnt(0)
	; wave barrier
	s_waitcnt lgkmcnt(0)
	buffer_load_dword v104, off, s[0:3], 0 offset:264
	buffer_load_dword v105, off, s[0:3], 0 offset:268
	;; [unrolled: 1-line block ×20, first 2 shown]
	v_mov_b32_e32 v86, 0
	ds_read2_b64 v[88:91], v86 offset0:75 offset1:76
	ds_read2_b64 v[92:95], v86 offset0:77 offset1:78
	;; [unrolled: 1-line block ×4, first 2 shown]
	ds_read_b64 v[124:125], v86 offset:664
	v_cmp_lt_u32_e32 vcc, 31, v0
	s_waitcnt vmcnt(18) lgkmcnt(4)
	v_fma_f64 v[88:89], v[104:105], v[88:89], 0
	s_waitcnt vmcnt(16)
	v_fmac_f64_e32 v[88:89], v[106:107], v[90:91]
	s_waitcnt vmcnt(14) lgkmcnt(3)
	v_fmac_f64_e32 v[88:89], v[108:109], v[92:93]
	s_waitcnt vmcnt(12)
	v_fmac_f64_e32 v[88:89], v[110:111], v[94:95]
	s_waitcnt vmcnt(10) lgkmcnt(2)
	v_fmac_f64_e32 v[88:89], v[112:113], v[96:97]
	;; [unrolled: 4-line block ×3, first 2 shown]
	s_waitcnt vmcnt(2)
	v_fmac_f64_e32 v[88:89], v[120:121], v[102:103]
	s_waitcnt lgkmcnt(0)
	v_fmac_f64_e32 v[88:89], v[118:119], v[124:125]
	s_waitcnt vmcnt(0)
	v_add_f64 v[88:89], v[122:123], -v[88:89]
	buffer_store_dword v88, off, s[0:3], 0 offset:256
	buffer_store_dword v89, off, s[0:3], 0 offset:260
	s_and_saveexec_b64 s[4:5], vcc
	s_cbranch_execz .LBB41_197
; %bb.196:
	buffer_load_dword v88, off, s[0:3], 0 offset:248
	buffer_load_dword v89, off, s[0:3], 0 offset:252
	s_waitcnt vmcnt(0)
	ds_write_b64 v1, v[88:89]
	buffer_store_dword v86, off, s[0:3], 0 offset:248
	buffer_store_dword v86, off, s[0:3], 0 offset:252
.LBB41_197:
	s_or_b64 exec, exec, s[4:5]
	s_waitcnt lgkmcnt(0)
	; wave barrier
	s_waitcnt lgkmcnt(0)
	buffer_load_dword v104, off, s[0:3], 0 offset:248
	buffer_load_dword v105, off, s[0:3], 0 offset:252
	;; [unrolled: 1-line block ×16, first 2 shown]
	ds_read_b128 v[88:91], v86 offset:592
	ds_read_b128 v[92:95], v86 offset:608
	ds_read_b128 v[96:99], v86 offset:624
	ds_read_b128 v[100:103], v86 offset:640
	v_cmp_lt_u32_e32 vcc, 30, v0
	s_waitcnt vmcnt(12) lgkmcnt(3)
	v_fma_f64 v[106:107], v[106:107], v[88:89], 0
	buffer_load_dword v89, off, s[0:3], 0 offset:316
	buffer_load_dword v88, off, s[0:3], 0 offset:312
	s_waitcnt vmcnt(12)
	v_fmac_f64_e32 v[106:107], v[108:109], v[90:91]
	buffer_load_dword v91, off, s[0:3], 0 offset:324
	buffer_load_dword v90, off, s[0:3], 0 offset:320
	s_waitcnt vmcnt(12) lgkmcnt(2)
	v_fmac_f64_e32 v[106:107], v[110:111], v[92:93]
	s_waitcnt vmcnt(10)
	v_fmac_f64_e32 v[106:107], v[112:113], v[94:95]
	s_waitcnt vmcnt(8) lgkmcnt(1)
	v_fmac_f64_e32 v[106:107], v[114:115], v[96:97]
	s_waitcnt vmcnt(6)
	v_fmac_f64_e32 v[106:107], v[116:117], v[98:99]
	;; [unrolled: 4-line block ×3, first 2 shown]
	ds_read_b128 v[86:89], v86 offset:656
	s_waitcnt vmcnt(0) lgkmcnt(0)
	v_fmac_f64_e32 v[106:107], v[90:91], v[86:87]
	buffer_load_dword v87, off, s[0:3], 0 offset:332
	buffer_load_dword v86, off, s[0:3], 0 offset:328
	s_waitcnt vmcnt(0)
	v_fmac_f64_e32 v[106:107], v[86:87], v[88:89]
	v_add_f64 v[86:87], v[104:105], -v[106:107]
	buffer_store_dword v86, off, s[0:3], 0 offset:248
	buffer_store_dword v87, off, s[0:3], 0 offset:252
	s_and_saveexec_b64 s[4:5], vcc
	s_cbranch_execz .LBB41_199
; %bb.198:
	buffer_load_dword v86, off, s[0:3], 0 offset:240
	buffer_load_dword v87, off, s[0:3], 0 offset:244
	v_mov_b32_e32 v88, 0
	buffer_store_dword v88, off, s[0:3], 0 offset:240
	buffer_store_dword v88, off, s[0:3], 0 offset:244
	s_waitcnt vmcnt(2)
	ds_write_b64 v1, v[86:87]
.LBB41_199:
	s_or_b64 exec, exec, s[4:5]
	s_waitcnt lgkmcnt(0)
	; wave barrier
	s_waitcnt lgkmcnt(0)
	buffer_load_dword v92, off, s[0:3], 0 offset:240
	buffer_load_dword v93, off, s[0:3], 0 offset:244
	;; [unrolled: 1-line block ×16, first 2 shown]
	v_mov_b32_e32 v86, 0
	ds_read2_b64 v[88:91], v86 offset0:73 offset1:74
	v_cmp_lt_u32_e32 vcc, 29, v0
	s_waitcnt vmcnt(12) lgkmcnt(0)
	v_fma_f64 v[94:95], v[94:95], v[88:89], 0
	s_waitcnt vmcnt(10)
	v_fmac_f64_e32 v[94:95], v[96:97], v[90:91]
	ds_read2_b64 v[88:91], v86 offset0:75 offset1:76
	s_waitcnt vmcnt(8) lgkmcnt(0)
	v_fmac_f64_e32 v[94:95], v[98:99], v[88:89]
	s_waitcnt vmcnt(6)
	v_fmac_f64_e32 v[94:95], v[100:101], v[90:91]
	ds_read2_b64 v[88:91], v86 offset0:77 offset1:78
	s_waitcnt vmcnt(4) lgkmcnt(0)
	v_fmac_f64_e32 v[94:95], v[102:103], v[88:89]
	;; [unrolled: 5-line block ×3, first 2 shown]
	buffer_load_dword v89, off, s[0:3], 0 offset:308
	buffer_load_dword v88, off, s[0:3], 0 offset:304
	;; [unrolled: 1-line block ×4, first 2 shown]
	s_waitcnt vmcnt(2)
	v_fmac_f64_e32 v[94:95], v[88:89], v[90:91]
	ds_read2_b64 v[88:91], v86 offset0:81 offset1:82
	s_waitcnt vmcnt(0) lgkmcnt(0)
	v_fmac_f64_e32 v[94:95], v[96:97], v[88:89]
	buffer_load_dword v89, off, s[0:3], 0 offset:324
	buffer_load_dword v88, off, s[0:3], 0 offset:320
	s_waitcnt vmcnt(0)
	v_fmac_f64_e32 v[94:95], v[88:89], v[90:91]
	buffer_load_dword v89, off, s[0:3], 0 offset:332
	buffer_load_dword v88, off, s[0:3], 0 offset:328
	ds_read_b64 v[90:91], v86 offset:664
	s_waitcnt vmcnt(0) lgkmcnt(0)
	v_fmac_f64_e32 v[94:95], v[88:89], v[90:91]
	v_add_f64 v[88:89], v[92:93], -v[94:95]
	buffer_store_dword v89, off, s[0:3], 0 offset:244
	buffer_store_dword v88, off, s[0:3], 0 offset:240
	s_and_saveexec_b64 s[4:5], vcc
	s_cbranch_execz .LBB41_201
; %bb.200:
	buffer_load_dword v88, off, s[0:3], 0 offset:232
	buffer_load_dword v89, off, s[0:3], 0 offset:236
	s_waitcnt vmcnt(0)
	ds_write_b64 v1, v[88:89]
	buffer_store_dword v86, off, s[0:3], 0 offset:232
	buffer_store_dword v86, off, s[0:3], 0 offset:236
.LBB41_201:
	s_or_b64 exec, exec, s[4:5]
	s_waitcnt lgkmcnt(0)
	; wave barrier
	s_waitcnt lgkmcnt(0)
	buffer_load_dword v104, off, s[0:3], 0 offset:232
	buffer_load_dword v105, off, s[0:3], 0 offset:236
	;; [unrolled: 1-line block ×16, first 2 shown]
	ds_read_b128 v[88:91], v86 offset:576
	ds_read_b128 v[92:95], v86 offset:592
	;; [unrolled: 1-line block ×4, first 2 shown]
	v_cmp_lt_u32_e32 vcc, 28, v0
	s_waitcnt vmcnt(12) lgkmcnt(3)
	v_fma_f64 v[106:107], v[106:107], v[88:89], 0
	buffer_load_dword v89, off, s[0:3], 0 offset:300
	buffer_load_dword v88, off, s[0:3], 0 offset:296
	s_waitcnt vmcnt(12)
	v_fmac_f64_e32 v[106:107], v[108:109], v[90:91]
	s_waitcnt vmcnt(10) lgkmcnt(2)
	v_fmac_f64_e32 v[106:107], v[110:111], v[92:93]
	buffer_load_dword v93, off, s[0:3], 0 offset:308
	buffer_load_dword v92, off, s[0:3], 0 offset:304
	s_waitcnt vmcnt(10)
	v_fmac_f64_e32 v[106:107], v[112:113], v[94:95]
	s_waitcnt vmcnt(8) lgkmcnt(1)
	v_fmac_f64_e32 v[106:107], v[114:115], v[96:97]
	s_waitcnt vmcnt(6)
	v_fmac_f64_e32 v[106:107], v[116:117], v[98:99]
	s_waitcnt vmcnt(4) lgkmcnt(0)
	v_fmac_f64_e32 v[106:107], v[118:119], v[100:101]
	s_waitcnt vmcnt(2)
	v_fmac_f64_e32 v[106:107], v[88:89], v[102:103]
	ds_read_b128 v[88:91], v86 offset:640
	s_waitcnt vmcnt(0) lgkmcnt(0)
	v_fmac_f64_e32 v[106:107], v[92:93], v[88:89]
	buffer_load_dword v89, off, s[0:3], 0 offset:316
	buffer_load_dword v88, off, s[0:3], 0 offset:312
	s_waitcnt vmcnt(0)
	v_fmac_f64_e32 v[106:107], v[88:89], v[90:91]
	buffer_load_dword v91, off, s[0:3], 0 offset:324
	buffer_load_dword v90, off, s[0:3], 0 offset:320
	ds_read_b128 v[86:89], v86 offset:656
	s_waitcnt vmcnt(0) lgkmcnt(0)
	v_fmac_f64_e32 v[106:107], v[90:91], v[86:87]
	buffer_load_dword v87, off, s[0:3], 0 offset:332
	buffer_load_dword v86, off, s[0:3], 0 offset:328
	s_waitcnt vmcnt(0)
	v_fmac_f64_e32 v[106:107], v[86:87], v[88:89]
	v_add_f64 v[86:87], v[104:105], -v[106:107]
	buffer_store_dword v87, off, s[0:3], 0 offset:236
	buffer_store_dword v86, off, s[0:3], 0 offset:232
	s_and_saveexec_b64 s[4:5], vcc
	s_cbranch_execz .LBB41_203
; %bb.202:
	buffer_load_dword v86, off, s[0:3], 0 offset:224
	buffer_load_dword v87, off, s[0:3], 0 offset:228
	v_mov_b32_e32 v88, 0
	buffer_store_dword v88, off, s[0:3], 0 offset:224
	buffer_store_dword v88, off, s[0:3], 0 offset:228
	s_waitcnt vmcnt(2)
	ds_write_b64 v1, v[86:87]
.LBB41_203:
	s_or_b64 exec, exec, s[4:5]
	s_waitcnt lgkmcnt(0)
	; wave barrier
	s_waitcnt lgkmcnt(0)
	buffer_load_dword v92, off, s[0:3], 0 offset:224
	buffer_load_dword v93, off, s[0:3], 0 offset:228
	;; [unrolled: 1-line block ×16, first 2 shown]
	v_mov_b32_e32 v86, 0
	ds_read2_b64 v[88:91], v86 offset0:71 offset1:72
	v_cmp_lt_u32_e32 vcc, 27, v0
	s_waitcnt vmcnt(12) lgkmcnt(0)
	v_fma_f64 v[94:95], v[94:95], v[88:89], 0
	s_waitcnt vmcnt(10)
	v_fmac_f64_e32 v[94:95], v[96:97], v[90:91]
	ds_read2_b64 v[88:91], v86 offset0:73 offset1:74
	s_waitcnt vmcnt(8) lgkmcnt(0)
	v_fmac_f64_e32 v[94:95], v[98:99], v[88:89]
	s_waitcnt vmcnt(6)
	v_fmac_f64_e32 v[94:95], v[100:101], v[90:91]
	ds_read2_b64 v[88:91], v86 offset0:75 offset1:76
	s_waitcnt vmcnt(4) lgkmcnt(0)
	v_fmac_f64_e32 v[94:95], v[102:103], v[88:89]
	;; [unrolled: 5-line block ×3, first 2 shown]
	buffer_load_dword v89, off, s[0:3], 0 offset:292
	buffer_load_dword v88, off, s[0:3], 0 offset:288
	;; [unrolled: 1-line block ×4, first 2 shown]
	s_waitcnt vmcnt(2)
	v_fmac_f64_e32 v[94:95], v[88:89], v[90:91]
	ds_read2_b64 v[88:91], v86 offset0:79 offset1:80
	s_waitcnt vmcnt(0) lgkmcnt(0)
	v_fmac_f64_e32 v[94:95], v[96:97], v[88:89]
	buffer_load_dword v89, off, s[0:3], 0 offset:308
	buffer_load_dword v88, off, s[0:3], 0 offset:304
	;; [unrolled: 1-line block ×4, first 2 shown]
	s_waitcnt vmcnt(2)
	v_fmac_f64_e32 v[94:95], v[88:89], v[90:91]
	ds_read2_b64 v[88:91], v86 offset0:81 offset1:82
	s_waitcnt vmcnt(0) lgkmcnt(0)
	v_fmac_f64_e32 v[94:95], v[96:97], v[88:89]
	buffer_load_dword v89, off, s[0:3], 0 offset:324
	buffer_load_dword v88, off, s[0:3], 0 offset:320
	s_waitcnt vmcnt(0)
	v_fmac_f64_e32 v[94:95], v[88:89], v[90:91]
	buffer_load_dword v89, off, s[0:3], 0 offset:332
	buffer_load_dword v88, off, s[0:3], 0 offset:328
	ds_read_b64 v[90:91], v86 offset:664
	s_waitcnt vmcnt(0) lgkmcnt(0)
	v_fmac_f64_e32 v[94:95], v[88:89], v[90:91]
	v_add_f64 v[88:89], v[92:93], -v[94:95]
	buffer_store_dword v89, off, s[0:3], 0 offset:228
	buffer_store_dword v88, off, s[0:3], 0 offset:224
	s_and_saveexec_b64 s[4:5], vcc
	s_cbranch_execz .LBB41_205
; %bb.204:
	buffer_load_dword v88, off, s[0:3], 0 offset:216
	buffer_load_dword v89, off, s[0:3], 0 offset:220
	s_waitcnt vmcnt(0)
	ds_write_b64 v1, v[88:89]
	buffer_store_dword v86, off, s[0:3], 0 offset:216
	buffer_store_dword v86, off, s[0:3], 0 offset:220
.LBB41_205:
	s_or_b64 exec, exec, s[4:5]
	s_waitcnt lgkmcnt(0)
	; wave barrier
	s_waitcnt lgkmcnt(0)
	buffer_load_dword v104, off, s[0:3], 0 offset:216
	buffer_load_dword v105, off, s[0:3], 0 offset:220
	;; [unrolled: 1-line block ×16, first 2 shown]
	ds_read_b128 v[88:91], v86 offset:560
	ds_read_b128 v[92:95], v86 offset:576
	;; [unrolled: 1-line block ×4, first 2 shown]
	v_cmp_lt_u32_e32 vcc, 26, v0
	s_waitcnt vmcnt(12) lgkmcnt(3)
	v_fma_f64 v[106:107], v[106:107], v[88:89], 0
	buffer_load_dword v89, off, s[0:3], 0 offset:284
	buffer_load_dword v88, off, s[0:3], 0 offset:280
	s_waitcnt vmcnt(12)
	v_fmac_f64_e32 v[106:107], v[108:109], v[90:91]
	s_waitcnt vmcnt(10) lgkmcnt(2)
	v_fmac_f64_e32 v[106:107], v[110:111], v[92:93]
	buffer_load_dword v93, off, s[0:3], 0 offset:292
	buffer_load_dword v92, off, s[0:3], 0 offset:288
	s_waitcnt vmcnt(10)
	v_fmac_f64_e32 v[106:107], v[112:113], v[94:95]
	s_waitcnt vmcnt(8) lgkmcnt(1)
	v_fmac_f64_e32 v[106:107], v[114:115], v[96:97]
	s_waitcnt vmcnt(6)
	v_fmac_f64_e32 v[106:107], v[116:117], v[98:99]
	s_waitcnt vmcnt(4) lgkmcnt(0)
	v_fmac_f64_e32 v[106:107], v[118:119], v[100:101]
	s_waitcnt vmcnt(2)
	v_fmac_f64_e32 v[106:107], v[88:89], v[102:103]
	ds_read_b128 v[88:91], v86 offset:624
	s_waitcnt vmcnt(0) lgkmcnt(0)
	v_fmac_f64_e32 v[106:107], v[92:93], v[88:89]
	buffer_load_dword v89, off, s[0:3], 0 offset:300
	buffer_load_dword v88, off, s[0:3], 0 offset:296
	;; [unrolled: 1-line block ×4, first 2 shown]
	s_waitcnt vmcnt(2)
	v_fmac_f64_e32 v[106:107], v[88:89], v[90:91]
	ds_read_b128 v[88:91], v86 offset:640
	s_waitcnt vmcnt(0) lgkmcnt(0)
	v_fmac_f64_e32 v[106:107], v[92:93], v[88:89]
	buffer_load_dword v89, off, s[0:3], 0 offset:316
	buffer_load_dword v88, off, s[0:3], 0 offset:312
	s_waitcnt vmcnt(0)
	v_fmac_f64_e32 v[106:107], v[88:89], v[90:91]
	buffer_load_dword v91, off, s[0:3], 0 offset:324
	buffer_load_dword v90, off, s[0:3], 0 offset:320
	ds_read_b128 v[86:89], v86 offset:656
	s_waitcnt vmcnt(0) lgkmcnt(0)
	v_fmac_f64_e32 v[106:107], v[90:91], v[86:87]
	buffer_load_dword v87, off, s[0:3], 0 offset:332
	buffer_load_dword v86, off, s[0:3], 0 offset:328
	s_waitcnt vmcnt(0)
	v_fmac_f64_e32 v[106:107], v[86:87], v[88:89]
	v_add_f64 v[86:87], v[104:105], -v[106:107]
	buffer_store_dword v87, off, s[0:3], 0 offset:220
	buffer_store_dword v86, off, s[0:3], 0 offset:216
	s_and_saveexec_b64 s[4:5], vcc
	s_cbranch_execz .LBB41_207
; %bb.206:
	buffer_load_dword v86, off, s[0:3], 0 offset:208
	buffer_load_dword v87, off, s[0:3], 0 offset:212
	v_mov_b32_e32 v88, 0
	buffer_store_dword v88, off, s[0:3], 0 offset:208
	buffer_store_dword v88, off, s[0:3], 0 offset:212
	s_waitcnt vmcnt(2)
	ds_write_b64 v1, v[86:87]
.LBB41_207:
	s_or_b64 exec, exec, s[4:5]
	s_waitcnt lgkmcnt(0)
	; wave barrier
	s_waitcnt lgkmcnt(0)
	buffer_load_dword v92, off, s[0:3], 0 offset:208
	buffer_load_dword v93, off, s[0:3], 0 offset:212
	;; [unrolled: 1-line block ×16, first 2 shown]
	v_mov_b32_e32 v86, 0
	ds_read2_b64 v[88:91], v86 offset0:69 offset1:70
	v_cmp_lt_u32_e32 vcc, 25, v0
	s_waitcnt vmcnt(12) lgkmcnt(0)
	v_fma_f64 v[94:95], v[94:95], v[88:89], 0
	s_waitcnt vmcnt(10)
	v_fmac_f64_e32 v[94:95], v[96:97], v[90:91]
	ds_read2_b64 v[88:91], v86 offset0:71 offset1:72
	s_waitcnt vmcnt(8) lgkmcnt(0)
	v_fmac_f64_e32 v[94:95], v[98:99], v[88:89]
	s_waitcnt vmcnt(6)
	v_fmac_f64_e32 v[94:95], v[100:101], v[90:91]
	ds_read2_b64 v[88:91], v86 offset0:73 offset1:74
	s_waitcnt vmcnt(4) lgkmcnt(0)
	v_fmac_f64_e32 v[94:95], v[102:103], v[88:89]
	;; [unrolled: 5-line block ×3, first 2 shown]
	buffer_load_dword v89, off, s[0:3], 0 offset:276
	buffer_load_dword v88, off, s[0:3], 0 offset:272
	buffer_load_dword v97, off, s[0:3], 0 offset:284
	buffer_load_dword v96, off, s[0:3], 0 offset:280
	s_waitcnt vmcnt(2)
	v_fmac_f64_e32 v[94:95], v[88:89], v[90:91]
	ds_read2_b64 v[88:91], v86 offset0:77 offset1:78
	s_waitcnt vmcnt(0) lgkmcnt(0)
	v_fmac_f64_e32 v[94:95], v[96:97], v[88:89]
	buffer_load_dword v89, off, s[0:3], 0 offset:292
	buffer_load_dword v88, off, s[0:3], 0 offset:288
	buffer_load_dword v97, off, s[0:3], 0 offset:300
	buffer_load_dword v96, off, s[0:3], 0 offset:296
	s_waitcnt vmcnt(2)
	v_fmac_f64_e32 v[94:95], v[88:89], v[90:91]
	ds_read2_b64 v[88:91], v86 offset0:79 offset1:80
	s_waitcnt vmcnt(0) lgkmcnt(0)
	v_fmac_f64_e32 v[94:95], v[96:97], v[88:89]
	;; [unrolled: 9-line block ×3, first 2 shown]
	buffer_load_dword v89, off, s[0:3], 0 offset:324
	buffer_load_dword v88, off, s[0:3], 0 offset:320
	s_waitcnt vmcnt(0)
	v_fmac_f64_e32 v[94:95], v[88:89], v[90:91]
	buffer_load_dword v89, off, s[0:3], 0 offset:332
	buffer_load_dword v88, off, s[0:3], 0 offset:328
	ds_read_b64 v[90:91], v86 offset:664
	s_waitcnt vmcnt(0) lgkmcnt(0)
	v_fmac_f64_e32 v[94:95], v[88:89], v[90:91]
	v_add_f64 v[88:89], v[92:93], -v[94:95]
	buffer_store_dword v89, off, s[0:3], 0 offset:212
	buffer_store_dword v88, off, s[0:3], 0 offset:208
	s_and_saveexec_b64 s[4:5], vcc
	s_cbranch_execz .LBB41_209
; %bb.208:
	buffer_load_dword v88, off, s[0:3], 0 offset:200
	buffer_load_dword v89, off, s[0:3], 0 offset:204
	s_waitcnt vmcnt(0)
	ds_write_b64 v1, v[88:89]
	buffer_store_dword v86, off, s[0:3], 0 offset:200
	buffer_store_dword v86, off, s[0:3], 0 offset:204
.LBB41_209:
	s_or_b64 exec, exec, s[4:5]
	s_waitcnt lgkmcnt(0)
	; wave barrier
	s_waitcnt lgkmcnt(0)
	buffer_load_dword v104, off, s[0:3], 0 offset:200
	buffer_load_dword v105, off, s[0:3], 0 offset:204
	;; [unrolled: 1-line block ×16, first 2 shown]
	ds_read_b128 v[88:91], v86 offset:544
	ds_read_b128 v[92:95], v86 offset:560
	;; [unrolled: 1-line block ×4, first 2 shown]
	v_cmp_lt_u32_e32 vcc, 24, v0
	s_waitcnt vmcnt(12) lgkmcnt(3)
	v_fma_f64 v[106:107], v[106:107], v[88:89], 0
	buffer_load_dword v89, off, s[0:3], 0 offset:268
	buffer_load_dword v88, off, s[0:3], 0 offset:264
	s_waitcnt vmcnt(12)
	v_fmac_f64_e32 v[106:107], v[108:109], v[90:91]
	s_waitcnt vmcnt(10) lgkmcnt(2)
	v_fmac_f64_e32 v[106:107], v[110:111], v[92:93]
	buffer_load_dword v93, off, s[0:3], 0 offset:276
	buffer_load_dword v92, off, s[0:3], 0 offset:272
	s_waitcnt vmcnt(10)
	v_fmac_f64_e32 v[106:107], v[112:113], v[94:95]
	s_waitcnt vmcnt(8) lgkmcnt(1)
	v_fmac_f64_e32 v[106:107], v[114:115], v[96:97]
	s_waitcnt vmcnt(6)
	v_fmac_f64_e32 v[106:107], v[116:117], v[98:99]
	s_waitcnt vmcnt(4) lgkmcnt(0)
	v_fmac_f64_e32 v[106:107], v[118:119], v[100:101]
	s_waitcnt vmcnt(2)
	v_fmac_f64_e32 v[106:107], v[88:89], v[102:103]
	ds_read_b128 v[88:91], v86 offset:608
	s_waitcnt vmcnt(0) lgkmcnt(0)
	v_fmac_f64_e32 v[106:107], v[92:93], v[88:89]
	buffer_load_dword v89, off, s[0:3], 0 offset:284
	buffer_load_dword v88, off, s[0:3], 0 offset:280
	;; [unrolled: 1-line block ×4, first 2 shown]
	s_waitcnt vmcnt(2)
	v_fmac_f64_e32 v[106:107], v[88:89], v[90:91]
	ds_read_b128 v[88:91], v86 offset:624
	s_waitcnt vmcnt(0) lgkmcnt(0)
	v_fmac_f64_e32 v[106:107], v[92:93], v[88:89]
	buffer_load_dword v89, off, s[0:3], 0 offset:300
	buffer_load_dword v88, off, s[0:3], 0 offset:296
	;; [unrolled: 1-line block ×4, first 2 shown]
	s_waitcnt vmcnt(2)
	v_fmac_f64_e32 v[106:107], v[88:89], v[90:91]
	ds_read_b128 v[88:91], v86 offset:640
	s_waitcnt vmcnt(0) lgkmcnt(0)
	v_fmac_f64_e32 v[106:107], v[92:93], v[88:89]
	buffer_load_dword v89, off, s[0:3], 0 offset:316
	buffer_load_dword v88, off, s[0:3], 0 offset:312
	s_waitcnt vmcnt(0)
	v_fmac_f64_e32 v[106:107], v[88:89], v[90:91]
	buffer_load_dword v91, off, s[0:3], 0 offset:324
	buffer_load_dword v90, off, s[0:3], 0 offset:320
	ds_read_b128 v[86:89], v86 offset:656
	s_waitcnt vmcnt(0) lgkmcnt(0)
	v_fmac_f64_e32 v[106:107], v[90:91], v[86:87]
	buffer_load_dword v87, off, s[0:3], 0 offset:332
	buffer_load_dword v86, off, s[0:3], 0 offset:328
	s_waitcnt vmcnt(0)
	v_fmac_f64_e32 v[106:107], v[86:87], v[88:89]
	v_add_f64 v[86:87], v[104:105], -v[106:107]
	buffer_store_dword v87, off, s[0:3], 0 offset:204
	buffer_store_dword v86, off, s[0:3], 0 offset:200
	s_and_saveexec_b64 s[4:5], vcc
	s_cbranch_execz .LBB41_211
; %bb.210:
	buffer_load_dword v86, off, s[0:3], 0 offset:192
	buffer_load_dword v87, off, s[0:3], 0 offset:196
	v_mov_b32_e32 v88, 0
	buffer_store_dword v88, off, s[0:3], 0 offset:192
	buffer_store_dword v88, off, s[0:3], 0 offset:196
	s_waitcnt vmcnt(2)
	ds_write_b64 v1, v[86:87]
.LBB41_211:
	s_or_b64 exec, exec, s[4:5]
	s_waitcnt lgkmcnt(0)
	; wave barrier
	s_waitcnt lgkmcnt(0)
	buffer_load_dword v86, off, s[0:3], 0 offset:192
	buffer_load_dword v87, off, s[0:3], 0 offset:196
	;; [unrolled: 1-line block ×16, first 2 shown]
	v_mov_b32_e32 v90, 0
	ds_read2_b64 v[92:95], v90 offset0:67 offset1:68
	v_cmp_lt_u32_e32 vcc, 23, v0
	s_waitcnt vmcnt(12) lgkmcnt(0)
	v_fma_f64 v[88:89], v[88:89], v[92:93], 0
	s_waitcnt vmcnt(10)
	v_fmac_f64_e32 v[88:89], v[96:97], v[94:95]
	ds_read2_b64 v[92:95], v90 offset0:69 offset1:70
	s_waitcnt vmcnt(8) lgkmcnt(0)
	v_fmac_f64_e32 v[88:89], v[98:99], v[92:93]
	s_waitcnt vmcnt(6)
	v_fmac_f64_e32 v[88:89], v[100:101], v[94:95]
	ds_read2_b64 v[92:95], v90 offset0:71 offset1:72
	s_waitcnt vmcnt(4) lgkmcnt(0)
	v_fmac_f64_e32 v[88:89], v[102:103], v[92:93]
	;; [unrolled: 5-line block ×3, first 2 shown]
	buffer_load_dword v93, off, s[0:3], 0 offset:260
	buffer_load_dword v92, off, s[0:3], 0 offset:256
	buffer_load_dword v97, off, s[0:3], 0 offset:268
	buffer_load_dword v96, off, s[0:3], 0 offset:264
	s_waitcnt vmcnt(2)
	v_fmac_f64_e32 v[88:89], v[92:93], v[94:95]
	ds_read2_b64 v[92:95], v90 offset0:75 offset1:76
	s_waitcnt vmcnt(0) lgkmcnt(0)
	v_fmac_f64_e32 v[88:89], v[96:97], v[92:93]
	buffer_load_dword v93, off, s[0:3], 0 offset:276
	buffer_load_dword v92, off, s[0:3], 0 offset:272
	buffer_load_dword v97, off, s[0:3], 0 offset:284
	buffer_load_dword v96, off, s[0:3], 0 offset:280
	s_waitcnt vmcnt(2)
	v_fmac_f64_e32 v[88:89], v[92:93], v[94:95]
	ds_read2_b64 v[92:95], v90 offset0:77 offset1:78
	s_waitcnt vmcnt(0) lgkmcnt(0)
	v_fmac_f64_e32 v[88:89], v[96:97], v[92:93]
	buffer_load_dword v93, off, s[0:3], 0 offset:292
	buffer_load_dword v92, off, s[0:3], 0 offset:288
	buffer_load_dword v97, off, s[0:3], 0 offset:300
	buffer_load_dword v96, off, s[0:3], 0 offset:296
	s_waitcnt vmcnt(2)
	v_fmac_f64_e32 v[88:89], v[92:93], v[94:95]
	ds_read2_b64 v[92:95], v90 offset0:79 offset1:80
	s_waitcnt vmcnt(0) lgkmcnt(0)
	v_fmac_f64_e32 v[88:89], v[96:97], v[92:93]
	buffer_load_dword v93, off, s[0:3], 0 offset:308
	buffer_load_dword v92, off, s[0:3], 0 offset:304
	buffer_load_dword v97, off, s[0:3], 0 offset:316
	buffer_load_dword v96, off, s[0:3], 0 offset:312
	s_waitcnt vmcnt(2)
	v_fmac_f64_e32 v[88:89], v[92:93], v[94:95]
	ds_read2_b64 v[92:95], v90 offset0:81 offset1:82
	s_waitcnt vmcnt(0) lgkmcnt(0)
	v_fmac_f64_e32 v[88:89], v[96:97], v[92:93]
	buffer_load_dword v93, off, s[0:3], 0 offset:324
	buffer_load_dword v92, off, s[0:3], 0 offset:320
	s_waitcnt vmcnt(0)
	v_fmac_f64_e32 v[88:89], v[92:93], v[94:95]
	buffer_load_dword v93, off, s[0:3], 0 offset:332
	buffer_load_dword v92, off, s[0:3], 0 offset:328
	ds_read_b64 v[94:95], v90 offset:664
	s_waitcnt vmcnt(0) lgkmcnt(0)
	v_fmac_f64_e32 v[88:89], v[92:93], v[94:95]
	v_add_f64 v[86:87], v[86:87], -v[88:89]
	buffer_store_dword v87, off, s[0:3], 0 offset:196
	buffer_store_dword v86, off, s[0:3], 0 offset:192
	s_and_saveexec_b64 s[4:5], vcc
	s_cbranch_execz .LBB41_213
; %bb.212:
	buffer_load_dword v86, off, s[0:3], 0 offset:184
	buffer_load_dword v87, off, s[0:3], 0 offset:188
	s_waitcnt vmcnt(0)
	ds_write_b64 v1, v[86:87]
	buffer_store_dword v90, off, s[0:3], 0 offset:184
	buffer_store_dword v90, off, s[0:3], 0 offset:188
.LBB41_213:
	s_or_b64 exec, exec, s[4:5]
	s_waitcnt lgkmcnt(0)
	; wave barrier
	s_waitcnt lgkmcnt(0)
	buffer_load_dword v86, off, s[0:3], 0 offset:184
	buffer_load_dword v87, off, s[0:3], 0 offset:188
	;; [unrolled: 1-line block ×16, first 2 shown]
	ds_read_b128 v[92:95], v90 offset:528
	ds_read_b128 v[96:99], v90 offset:544
	;; [unrolled: 1-line block ×4, first 2 shown]
	v_cmp_lt_u32_e32 vcc, 22, v0
	s_waitcnt vmcnt(12) lgkmcnt(3)
	v_fma_f64 v[88:89], v[88:89], v[92:93], 0
	buffer_load_dword v93, off, s[0:3], 0 offset:252
	buffer_load_dword v92, off, s[0:3], 0 offset:248
	s_waitcnt vmcnt(12)
	v_fmac_f64_e32 v[88:89], v[108:109], v[94:95]
	s_waitcnt vmcnt(10) lgkmcnt(2)
	v_fmac_f64_e32 v[88:89], v[110:111], v[96:97]
	buffer_load_dword v97, off, s[0:3], 0 offset:260
	buffer_load_dword v96, off, s[0:3], 0 offset:256
	s_waitcnt vmcnt(10)
	v_fmac_f64_e32 v[88:89], v[112:113], v[98:99]
	s_waitcnt vmcnt(8) lgkmcnt(1)
	v_fmac_f64_e32 v[88:89], v[114:115], v[100:101]
	s_waitcnt vmcnt(6)
	v_fmac_f64_e32 v[88:89], v[116:117], v[102:103]
	s_waitcnt vmcnt(4) lgkmcnt(0)
	v_fmac_f64_e32 v[88:89], v[118:119], v[104:105]
	s_waitcnt vmcnt(2)
	v_fmac_f64_e32 v[88:89], v[92:93], v[106:107]
	ds_read_b128 v[92:95], v90 offset:592
	s_waitcnt vmcnt(0) lgkmcnt(0)
	v_fmac_f64_e32 v[88:89], v[96:97], v[92:93]
	buffer_load_dword v93, off, s[0:3], 0 offset:268
	buffer_load_dword v92, off, s[0:3], 0 offset:264
	buffer_load_dword v97, off, s[0:3], 0 offset:276
	buffer_load_dword v96, off, s[0:3], 0 offset:272
	s_waitcnt vmcnt(2)
	v_fmac_f64_e32 v[88:89], v[92:93], v[94:95]
	ds_read_b128 v[92:95], v90 offset:608
	s_waitcnt vmcnt(0) lgkmcnt(0)
	v_fmac_f64_e32 v[88:89], v[96:97], v[92:93]
	buffer_load_dword v93, off, s[0:3], 0 offset:284
	buffer_load_dword v92, off, s[0:3], 0 offset:280
	buffer_load_dword v97, off, s[0:3], 0 offset:292
	buffer_load_dword v96, off, s[0:3], 0 offset:288
	s_waitcnt vmcnt(2)
	v_fmac_f64_e32 v[88:89], v[92:93], v[94:95]
	ds_read_b128 v[92:95], v90 offset:624
	s_waitcnt vmcnt(0) lgkmcnt(0)
	v_fmac_f64_e32 v[88:89], v[96:97], v[92:93]
	buffer_load_dword v93, off, s[0:3], 0 offset:300
	buffer_load_dword v92, off, s[0:3], 0 offset:296
	buffer_load_dword v97, off, s[0:3], 0 offset:308
	buffer_load_dword v96, off, s[0:3], 0 offset:304
	s_waitcnt vmcnt(2)
	v_fmac_f64_e32 v[88:89], v[92:93], v[94:95]
	ds_read_b128 v[92:95], v90 offset:640
	s_waitcnt vmcnt(0) lgkmcnt(0)
	v_fmac_f64_e32 v[88:89], v[96:97], v[92:93]
	buffer_load_dword v93, off, s[0:3], 0 offset:316
	buffer_load_dword v92, off, s[0:3], 0 offset:312
	s_waitcnt vmcnt(0)
	v_fmac_f64_e32 v[88:89], v[92:93], v[94:95]
	buffer_load_dword v95, off, s[0:3], 0 offset:324
	buffer_load_dword v94, off, s[0:3], 0 offset:320
	ds_read_b128 v[90:93], v90 offset:656
	s_waitcnt vmcnt(0) lgkmcnt(0)
	v_fmac_f64_e32 v[88:89], v[94:95], v[90:91]
	buffer_load_dword v91, off, s[0:3], 0 offset:332
	buffer_load_dword v90, off, s[0:3], 0 offset:328
	s_waitcnt vmcnt(0)
	v_fmac_f64_e32 v[88:89], v[90:91], v[92:93]
	v_add_f64 v[86:87], v[86:87], -v[88:89]
	buffer_store_dword v87, off, s[0:3], 0 offset:188
	buffer_store_dword v86, off, s[0:3], 0 offset:184
	s_and_saveexec_b64 s[4:5], vcc
	s_cbranch_execz .LBB41_215
; %bb.214:
	buffer_load_dword v86, off, s[0:3], 0 offset:176
	buffer_load_dword v87, off, s[0:3], 0 offset:180
	v_mov_b32_e32 v88, 0
	buffer_store_dword v88, off, s[0:3], 0 offset:176
	buffer_store_dword v88, off, s[0:3], 0 offset:180
	s_waitcnt vmcnt(2)
	ds_write_b64 v1, v[86:87]
.LBB41_215:
	s_or_b64 exec, exec, s[4:5]
	s_waitcnt lgkmcnt(0)
	; wave barrier
	s_waitcnt lgkmcnt(0)
	buffer_load_dword v86, off, s[0:3], 0 offset:176
	buffer_load_dword v87, off, s[0:3], 0 offset:180
	;; [unrolled: 1-line block ×16, first 2 shown]
	v_mov_b32_e32 v90, 0
	ds_read2_b64 v[92:95], v90 offset0:65 offset1:66
	v_cmp_lt_u32_e32 vcc, 21, v0
	s_waitcnt vmcnt(12) lgkmcnt(0)
	v_fma_f64 v[88:89], v[88:89], v[92:93], 0
	s_waitcnt vmcnt(10)
	v_fmac_f64_e32 v[88:89], v[96:97], v[94:95]
	ds_read2_b64 v[92:95], v90 offset0:67 offset1:68
	s_waitcnt vmcnt(8) lgkmcnt(0)
	v_fmac_f64_e32 v[88:89], v[98:99], v[92:93]
	s_waitcnt vmcnt(6)
	v_fmac_f64_e32 v[88:89], v[100:101], v[94:95]
	ds_read2_b64 v[92:95], v90 offset0:69 offset1:70
	s_waitcnt vmcnt(4) lgkmcnt(0)
	v_fmac_f64_e32 v[88:89], v[102:103], v[92:93]
	;; [unrolled: 5-line block ×3, first 2 shown]
	buffer_load_dword v93, off, s[0:3], 0 offset:244
	buffer_load_dword v92, off, s[0:3], 0 offset:240
	buffer_load_dword v97, off, s[0:3], 0 offset:252
	buffer_load_dword v96, off, s[0:3], 0 offset:248
	s_waitcnt vmcnt(2)
	v_fmac_f64_e32 v[88:89], v[92:93], v[94:95]
	ds_read2_b64 v[92:95], v90 offset0:73 offset1:74
	s_waitcnt vmcnt(0) lgkmcnt(0)
	v_fmac_f64_e32 v[88:89], v[96:97], v[92:93]
	buffer_load_dword v93, off, s[0:3], 0 offset:260
	buffer_load_dword v92, off, s[0:3], 0 offset:256
	buffer_load_dword v97, off, s[0:3], 0 offset:268
	buffer_load_dword v96, off, s[0:3], 0 offset:264
	s_waitcnt vmcnt(2)
	v_fmac_f64_e32 v[88:89], v[92:93], v[94:95]
	ds_read2_b64 v[92:95], v90 offset0:75 offset1:76
	s_waitcnt vmcnt(0) lgkmcnt(0)
	v_fmac_f64_e32 v[88:89], v[96:97], v[92:93]
	;; [unrolled: 9-line block ×5, first 2 shown]
	buffer_load_dword v93, off, s[0:3], 0 offset:324
	buffer_load_dword v92, off, s[0:3], 0 offset:320
	s_waitcnt vmcnt(0)
	v_fmac_f64_e32 v[88:89], v[92:93], v[94:95]
	buffer_load_dword v93, off, s[0:3], 0 offset:332
	buffer_load_dword v92, off, s[0:3], 0 offset:328
	ds_read_b64 v[94:95], v90 offset:664
	s_waitcnt vmcnt(0) lgkmcnt(0)
	v_fmac_f64_e32 v[88:89], v[92:93], v[94:95]
	v_add_f64 v[86:87], v[86:87], -v[88:89]
	buffer_store_dword v87, off, s[0:3], 0 offset:180
	buffer_store_dword v86, off, s[0:3], 0 offset:176
	s_and_saveexec_b64 s[4:5], vcc
	s_cbranch_execz .LBB41_217
; %bb.216:
	buffer_load_dword v86, off, s[0:3], 0 offset:168
	buffer_load_dword v87, off, s[0:3], 0 offset:172
	s_waitcnt vmcnt(0)
	ds_write_b64 v1, v[86:87]
	buffer_store_dword v90, off, s[0:3], 0 offset:168
	buffer_store_dword v90, off, s[0:3], 0 offset:172
.LBB41_217:
	s_or_b64 exec, exec, s[4:5]
	s_waitcnt lgkmcnt(0)
	; wave barrier
	s_waitcnt lgkmcnt(0)
	buffer_load_dword v86, off, s[0:3], 0 offset:168
	buffer_load_dword v87, off, s[0:3], 0 offset:172
	;; [unrolled: 1-line block ×16, first 2 shown]
	ds_read_b128 v[92:95], v90 offset:512
	ds_read_b128 v[96:99], v90 offset:528
	;; [unrolled: 1-line block ×4, first 2 shown]
	v_cmp_lt_u32_e32 vcc, 20, v0
	s_waitcnt vmcnt(12) lgkmcnt(3)
	v_fma_f64 v[88:89], v[88:89], v[92:93], 0
	buffer_load_dword v93, off, s[0:3], 0 offset:236
	buffer_load_dword v92, off, s[0:3], 0 offset:232
	s_waitcnt vmcnt(12)
	v_fmac_f64_e32 v[88:89], v[108:109], v[94:95]
	s_waitcnt vmcnt(10) lgkmcnt(2)
	v_fmac_f64_e32 v[88:89], v[110:111], v[96:97]
	buffer_load_dword v97, off, s[0:3], 0 offset:244
	buffer_load_dword v96, off, s[0:3], 0 offset:240
	s_waitcnt vmcnt(10)
	v_fmac_f64_e32 v[88:89], v[112:113], v[98:99]
	s_waitcnt vmcnt(8) lgkmcnt(1)
	v_fmac_f64_e32 v[88:89], v[114:115], v[100:101]
	s_waitcnt vmcnt(6)
	v_fmac_f64_e32 v[88:89], v[116:117], v[102:103]
	s_waitcnt vmcnt(4) lgkmcnt(0)
	v_fmac_f64_e32 v[88:89], v[118:119], v[104:105]
	s_waitcnt vmcnt(2)
	v_fmac_f64_e32 v[88:89], v[92:93], v[106:107]
	ds_read_b128 v[92:95], v90 offset:576
	s_waitcnt vmcnt(0) lgkmcnt(0)
	v_fmac_f64_e32 v[88:89], v[96:97], v[92:93]
	buffer_load_dword v93, off, s[0:3], 0 offset:252
	buffer_load_dword v92, off, s[0:3], 0 offset:248
	buffer_load_dword v97, off, s[0:3], 0 offset:260
	buffer_load_dword v96, off, s[0:3], 0 offset:256
	s_waitcnt vmcnt(2)
	v_fmac_f64_e32 v[88:89], v[92:93], v[94:95]
	ds_read_b128 v[92:95], v90 offset:592
	s_waitcnt vmcnt(0) lgkmcnt(0)
	v_fmac_f64_e32 v[88:89], v[96:97], v[92:93]
	buffer_load_dword v93, off, s[0:3], 0 offset:268
	buffer_load_dword v92, off, s[0:3], 0 offset:264
	buffer_load_dword v97, off, s[0:3], 0 offset:276
	buffer_load_dword v96, off, s[0:3], 0 offset:272
	;; [unrolled: 9-line block ×4, first 2 shown]
	s_waitcnt vmcnt(2)
	v_fmac_f64_e32 v[88:89], v[92:93], v[94:95]
	ds_read_b128 v[92:95], v90 offset:640
	s_waitcnt vmcnt(0) lgkmcnt(0)
	v_fmac_f64_e32 v[88:89], v[96:97], v[92:93]
	buffer_load_dword v93, off, s[0:3], 0 offset:316
	buffer_load_dword v92, off, s[0:3], 0 offset:312
	s_waitcnt vmcnt(0)
	v_fmac_f64_e32 v[88:89], v[92:93], v[94:95]
	buffer_load_dword v95, off, s[0:3], 0 offset:324
	buffer_load_dword v94, off, s[0:3], 0 offset:320
	ds_read_b128 v[90:93], v90 offset:656
	s_waitcnt vmcnt(0) lgkmcnt(0)
	v_fmac_f64_e32 v[88:89], v[94:95], v[90:91]
	buffer_load_dword v91, off, s[0:3], 0 offset:332
	buffer_load_dword v90, off, s[0:3], 0 offset:328
	s_waitcnt vmcnt(0)
	v_fmac_f64_e32 v[88:89], v[90:91], v[92:93]
	v_add_f64 v[86:87], v[86:87], -v[88:89]
	buffer_store_dword v87, off, s[0:3], 0 offset:172
	buffer_store_dword v86, off, s[0:3], 0 offset:168
	s_and_saveexec_b64 s[4:5], vcc
	s_cbranch_execz .LBB41_219
; %bb.218:
	buffer_load_dword v86, off, s[0:3], 0 offset:160
	buffer_load_dword v87, off, s[0:3], 0 offset:164
	v_mov_b32_e32 v88, 0
	buffer_store_dword v88, off, s[0:3], 0 offset:160
	buffer_store_dword v88, off, s[0:3], 0 offset:164
	s_waitcnt vmcnt(2)
	ds_write_b64 v1, v[86:87]
.LBB41_219:
	s_or_b64 exec, exec, s[4:5]
	s_waitcnt lgkmcnt(0)
	; wave barrier
	s_waitcnt lgkmcnt(0)
	buffer_load_dword v86, off, s[0:3], 0 offset:160
	buffer_load_dword v87, off, s[0:3], 0 offset:164
	;; [unrolled: 1-line block ×16, first 2 shown]
	v_mov_b32_e32 v90, 0
	ds_read2_b64 v[92:95], v90 offset0:63 offset1:64
	v_cmp_lt_u32_e32 vcc, 19, v0
	s_waitcnt vmcnt(12) lgkmcnt(0)
	v_fma_f64 v[88:89], v[88:89], v[92:93], 0
	s_waitcnt vmcnt(10)
	v_fmac_f64_e32 v[88:89], v[96:97], v[94:95]
	ds_read2_b64 v[92:95], v90 offset0:65 offset1:66
	s_waitcnt vmcnt(8) lgkmcnt(0)
	v_fmac_f64_e32 v[88:89], v[98:99], v[92:93]
	s_waitcnt vmcnt(6)
	v_fmac_f64_e32 v[88:89], v[100:101], v[94:95]
	ds_read2_b64 v[92:95], v90 offset0:67 offset1:68
	s_waitcnt vmcnt(4) lgkmcnt(0)
	v_fmac_f64_e32 v[88:89], v[102:103], v[92:93]
	;; [unrolled: 5-line block ×3, first 2 shown]
	buffer_load_dword v93, off, s[0:3], 0 offset:228
	buffer_load_dword v92, off, s[0:3], 0 offset:224
	buffer_load_dword v97, off, s[0:3], 0 offset:236
	buffer_load_dword v96, off, s[0:3], 0 offset:232
	s_waitcnt vmcnt(2)
	v_fmac_f64_e32 v[88:89], v[92:93], v[94:95]
	ds_read2_b64 v[92:95], v90 offset0:71 offset1:72
	s_waitcnt vmcnt(0) lgkmcnt(0)
	v_fmac_f64_e32 v[88:89], v[96:97], v[92:93]
	buffer_load_dword v93, off, s[0:3], 0 offset:244
	buffer_load_dword v92, off, s[0:3], 0 offset:240
	buffer_load_dword v97, off, s[0:3], 0 offset:252
	buffer_load_dword v96, off, s[0:3], 0 offset:248
	s_waitcnt vmcnt(2)
	v_fmac_f64_e32 v[88:89], v[92:93], v[94:95]
	ds_read2_b64 v[92:95], v90 offset0:73 offset1:74
	s_waitcnt vmcnt(0) lgkmcnt(0)
	v_fmac_f64_e32 v[88:89], v[96:97], v[92:93]
	;; [unrolled: 9-line block ×6, first 2 shown]
	buffer_load_dword v93, off, s[0:3], 0 offset:324
	buffer_load_dword v92, off, s[0:3], 0 offset:320
	s_waitcnt vmcnt(0)
	v_fmac_f64_e32 v[88:89], v[92:93], v[94:95]
	buffer_load_dword v93, off, s[0:3], 0 offset:332
	buffer_load_dword v92, off, s[0:3], 0 offset:328
	ds_read_b64 v[94:95], v90 offset:664
	s_waitcnt vmcnt(0) lgkmcnt(0)
	v_fmac_f64_e32 v[88:89], v[92:93], v[94:95]
	v_add_f64 v[86:87], v[86:87], -v[88:89]
	buffer_store_dword v87, off, s[0:3], 0 offset:164
	buffer_store_dword v86, off, s[0:3], 0 offset:160
	s_and_saveexec_b64 s[4:5], vcc
	s_cbranch_execz .LBB41_221
; %bb.220:
	buffer_load_dword v86, off, s[0:3], 0 offset:152
	buffer_load_dword v87, off, s[0:3], 0 offset:156
	s_waitcnt vmcnt(0)
	ds_write_b64 v1, v[86:87]
	buffer_store_dword v90, off, s[0:3], 0 offset:152
	buffer_store_dword v90, off, s[0:3], 0 offset:156
.LBB41_221:
	s_or_b64 exec, exec, s[4:5]
	s_waitcnt lgkmcnt(0)
	; wave barrier
	s_waitcnt lgkmcnt(0)
	buffer_load_dword v86, off, s[0:3], 0 offset:152
	buffer_load_dword v87, off, s[0:3], 0 offset:156
	;; [unrolled: 1-line block ×16, first 2 shown]
	ds_read_b128 v[92:95], v90 offset:496
	ds_read_b128 v[96:99], v90 offset:512
	;; [unrolled: 1-line block ×4, first 2 shown]
	v_cmp_lt_u32_e32 vcc, 18, v0
	s_waitcnt vmcnt(12) lgkmcnt(3)
	v_fma_f64 v[88:89], v[88:89], v[92:93], 0
	buffer_load_dword v93, off, s[0:3], 0 offset:220
	buffer_load_dword v92, off, s[0:3], 0 offset:216
	s_waitcnt vmcnt(12)
	v_fmac_f64_e32 v[88:89], v[108:109], v[94:95]
	s_waitcnt vmcnt(10) lgkmcnt(2)
	v_fmac_f64_e32 v[88:89], v[110:111], v[96:97]
	buffer_load_dword v97, off, s[0:3], 0 offset:228
	buffer_load_dword v96, off, s[0:3], 0 offset:224
	s_waitcnt vmcnt(10)
	v_fmac_f64_e32 v[88:89], v[112:113], v[98:99]
	s_waitcnt vmcnt(8) lgkmcnt(1)
	v_fmac_f64_e32 v[88:89], v[114:115], v[100:101]
	s_waitcnt vmcnt(6)
	v_fmac_f64_e32 v[88:89], v[116:117], v[102:103]
	s_waitcnt vmcnt(4) lgkmcnt(0)
	v_fmac_f64_e32 v[88:89], v[118:119], v[104:105]
	s_waitcnt vmcnt(2)
	v_fmac_f64_e32 v[88:89], v[92:93], v[106:107]
	ds_read_b128 v[92:95], v90 offset:560
	s_waitcnt vmcnt(0) lgkmcnt(0)
	v_fmac_f64_e32 v[88:89], v[96:97], v[92:93]
	buffer_load_dword v93, off, s[0:3], 0 offset:236
	buffer_load_dword v92, off, s[0:3], 0 offset:232
	buffer_load_dword v97, off, s[0:3], 0 offset:244
	buffer_load_dword v96, off, s[0:3], 0 offset:240
	s_waitcnt vmcnt(2)
	v_fmac_f64_e32 v[88:89], v[92:93], v[94:95]
	ds_read_b128 v[92:95], v90 offset:576
	s_waitcnt vmcnt(0) lgkmcnt(0)
	v_fmac_f64_e32 v[88:89], v[96:97], v[92:93]
	buffer_load_dword v93, off, s[0:3], 0 offset:252
	buffer_load_dword v92, off, s[0:3], 0 offset:248
	buffer_load_dword v97, off, s[0:3], 0 offset:260
	buffer_load_dword v96, off, s[0:3], 0 offset:256
	;; [unrolled: 9-line block ×5, first 2 shown]
	s_waitcnt vmcnt(2)
	v_fmac_f64_e32 v[88:89], v[92:93], v[94:95]
	ds_read_b128 v[92:95], v90 offset:640
	s_waitcnt vmcnt(0) lgkmcnt(0)
	v_fmac_f64_e32 v[88:89], v[96:97], v[92:93]
	buffer_load_dword v93, off, s[0:3], 0 offset:316
	buffer_load_dword v92, off, s[0:3], 0 offset:312
	s_waitcnt vmcnt(0)
	v_fmac_f64_e32 v[88:89], v[92:93], v[94:95]
	buffer_load_dword v95, off, s[0:3], 0 offset:324
	buffer_load_dword v94, off, s[0:3], 0 offset:320
	ds_read_b128 v[90:93], v90 offset:656
	s_waitcnt vmcnt(0) lgkmcnt(0)
	v_fmac_f64_e32 v[88:89], v[94:95], v[90:91]
	buffer_load_dword v91, off, s[0:3], 0 offset:332
	buffer_load_dword v90, off, s[0:3], 0 offset:328
	s_waitcnt vmcnt(0)
	v_fmac_f64_e32 v[88:89], v[90:91], v[92:93]
	v_add_f64 v[86:87], v[86:87], -v[88:89]
	buffer_store_dword v87, off, s[0:3], 0 offset:156
	buffer_store_dword v86, off, s[0:3], 0 offset:152
	s_and_saveexec_b64 s[4:5], vcc
	s_cbranch_execz .LBB41_223
; %bb.222:
	buffer_load_dword v86, off, s[0:3], 0 offset:144
	buffer_load_dword v87, off, s[0:3], 0 offset:148
	v_mov_b32_e32 v88, 0
	buffer_store_dword v88, off, s[0:3], 0 offset:144
	buffer_store_dword v88, off, s[0:3], 0 offset:148
	s_waitcnt vmcnt(2)
	ds_write_b64 v1, v[86:87]
.LBB41_223:
	s_or_b64 exec, exec, s[4:5]
	s_waitcnt lgkmcnt(0)
	; wave barrier
	s_waitcnt lgkmcnt(0)
	buffer_load_dword v86, off, s[0:3], 0 offset:144
	buffer_load_dword v87, off, s[0:3], 0 offset:148
	buffer_load_dword v88, off, s[0:3], 0 offset:152
	buffer_load_dword v89, off, s[0:3], 0 offset:156
	buffer_load_dword v96, off, s[0:3], 0 offset:160
	buffer_load_dword v97, off, s[0:3], 0 offset:164
	buffer_load_dword v98, off, s[0:3], 0 offset:168
	buffer_load_dword v99, off, s[0:3], 0 offset:172
	buffer_load_dword v100, off, s[0:3], 0 offset:176
	buffer_load_dword v101, off, s[0:3], 0 offset:180
	buffer_load_dword v102, off, s[0:3], 0 offset:184
	buffer_load_dword v103, off, s[0:3], 0 offset:188
	buffer_load_dword v104, off, s[0:3], 0 offset:192
	buffer_load_dword v105, off, s[0:3], 0 offset:196
	buffer_load_dword v106, off, s[0:3], 0 offset:200
	buffer_load_dword v107, off, s[0:3], 0 offset:204
	v_mov_b32_e32 v90, 0
	ds_read2_b64 v[92:95], v90 offset0:61 offset1:62
	v_cmp_lt_u32_e32 vcc, 17, v0
	s_waitcnt vmcnt(12) lgkmcnt(0)
	v_fma_f64 v[88:89], v[88:89], v[92:93], 0
	s_waitcnt vmcnt(10)
	v_fmac_f64_e32 v[88:89], v[96:97], v[94:95]
	ds_read2_b64 v[92:95], v90 offset0:63 offset1:64
	s_waitcnt vmcnt(8) lgkmcnt(0)
	v_fmac_f64_e32 v[88:89], v[98:99], v[92:93]
	s_waitcnt vmcnt(6)
	v_fmac_f64_e32 v[88:89], v[100:101], v[94:95]
	ds_read2_b64 v[92:95], v90 offset0:65 offset1:66
	s_waitcnt vmcnt(4) lgkmcnt(0)
	v_fmac_f64_e32 v[88:89], v[102:103], v[92:93]
	;; [unrolled: 5-line block ×3, first 2 shown]
	buffer_load_dword v93, off, s[0:3], 0 offset:212
	buffer_load_dword v92, off, s[0:3], 0 offset:208
	buffer_load_dword v97, off, s[0:3], 0 offset:220
	buffer_load_dword v96, off, s[0:3], 0 offset:216
	s_waitcnt vmcnt(2)
	v_fmac_f64_e32 v[88:89], v[92:93], v[94:95]
	ds_read2_b64 v[92:95], v90 offset0:69 offset1:70
	s_waitcnt vmcnt(0) lgkmcnt(0)
	v_fmac_f64_e32 v[88:89], v[96:97], v[92:93]
	buffer_load_dword v93, off, s[0:3], 0 offset:228
	buffer_load_dword v92, off, s[0:3], 0 offset:224
	buffer_load_dword v97, off, s[0:3], 0 offset:236
	buffer_load_dword v96, off, s[0:3], 0 offset:232
	s_waitcnt vmcnt(2)
	v_fmac_f64_e32 v[88:89], v[92:93], v[94:95]
	ds_read2_b64 v[92:95], v90 offset0:71 offset1:72
	s_waitcnt vmcnt(0) lgkmcnt(0)
	v_fmac_f64_e32 v[88:89], v[96:97], v[92:93]
	;; [unrolled: 9-line block ×7, first 2 shown]
	buffer_load_dword v93, off, s[0:3], 0 offset:324
	buffer_load_dword v92, off, s[0:3], 0 offset:320
	s_waitcnt vmcnt(0)
	v_fmac_f64_e32 v[88:89], v[92:93], v[94:95]
	buffer_load_dword v93, off, s[0:3], 0 offset:332
	buffer_load_dword v92, off, s[0:3], 0 offset:328
	ds_read_b64 v[94:95], v90 offset:664
	s_waitcnt vmcnt(0) lgkmcnt(0)
	v_fmac_f64_e32 v[88:89], v[92:93], v[94:95]
	v_add_f64 v[86:87], v[86:87], -v[88:89]
	buffer_store_dword v87, off, s[0:3], 0 offset:148
	buffer_store_dword v86, off, s[0:3], 0 offset:144
	s_and_saveexec_b64 s[4:5], vcc
	s_cbranch_execz .LBB41_225
; %bb.224:
	buffer_load_dword v86, off, s[0:3], 0 offset:136
	buffer_load_dword v87, off, s[0:3], 0 offset:140
	s_waitcnt vmcnt(0)
	ds_write_b64 v1, v[86:87]
	buffer_store_dword v90, off, s[0:3], 0 offset:136
	buffer_store_dword v90, off, s[0:3], 0 offset:140
.LBB41_225:
	s_or_b64 exec, exec, s[4:5]
	s_waitcnt lgkmcnt(0)
	; wave barrier
	s_waitcnt lgkmcnt(0)
	buffer_load_dword v86, off, s[0:3], 0 offset:136
	buffer_load_dword v87, off, s[0:3], 0 offset:140
	;; [unrolled: 1-line block ×16, first 2 shown]
	ds_read_b128 v[92:95], v90 offset:480
	ds_read_b128 v[96:99], v90 offset:496
	;; [unrolled: 1-line block ×4, first 2 shown]
	v_cmp_lt_u32_e32 vcc, 16, v0
	s_waitcnt vmcnt(12) lgkmcnt(3)
	v_fma_f64 v[88:89], v[88:89], v[92:93], 0
	buffer_load_dword v93, off, s[0:3], 0 offset:204
	buffer_load_dword v92, off, s[0:3], 0 offset:200
	s_waitcnt vmcnt(12)
	v_fmac_f64_e32 v[88:89], v[108:109], v[94:95]
	s_waitcnt vmcnt(10) lgkmcnt(2)
	v_fmac_f64_e32 v[88:89], v[110:111], v[96:97]
	buffer_load_dword v97, off, s[0:3], 0 offset:212
	buffer_load_dword v96, off, s[0:3], 0 offset:208
	s_waitcnt vmcnt(10)
	v_fmac_f64_e32 v[88:89], v[112:113], v[98:99]
	s_waitcnt vmcnt(8) lgkmcnt(1)
	v_fmac_f64_e32 v[88:89], v[114:115], v[100:101]
	s_waitcnt vmcnt(6)
	v_fmac_f64_e32 v[88:89], v[116:117], v[102:103]
	s_waitcnt vmcnt(4) lgkmcnt(0)
	v_fmac_f64_e32 v[88:89], v[118:119], v[104:105]
	s_waitcnt vmcnt(2)
	v_fmac_f64_e32 v[88:89], v[92:93], v[106:107]
	ds_read_b128 v[92:95], v90 offset:544
	s_waitcnt vmcnt(0) lgkmcnt(0)
	v_fmac_f64_e32 v[88:89], v[96:97], v[92:93]
	buffer_load_dword v93, off, s[0:3], 0 offset:220
	buffer_load_dword v92, off, s[0:3], 0 offset:216
	buffer_load_dword v97, off, s[0:3], 0 offset:228
	buffer_load_dword v96, off, s[0:3], 0 offset:224
	s_waitcnt vmcnt(2)
	v_fmac_f64_e32 v[88:89], v[92:93], v[94:95]
	ds_read_b128 v[92:95], v90 offset:560
	s_waitcnt vmcnt(0) lgkmcnt(0)
	v_fmac_f64_e32 v[88:89], v[96:97], v[92:93]
	buffer_load_dword v93, off, s[0:3], 0 offset:236
	buffer_load_dword v92, off, s[0:3], 0 offset:232
	buffer_load_dword v97, off, s[0:3], 0 offset:244
	buffer_load_dword v96, off, s[0:3], 0 offset:240
	;; [unrolled: 9-line block ×6, first 2 shown]
	s_waitcnt vmcnt(2)
	v_fmac_f64_e32 v[88:89], v[92:93], v[94:95]
	ds_read_b128 v[92:95], v90 offset:640
	s_waitcnt vmcnt(0) lgkmcnt(0)
	v_fmac_f64_e32 v[88:89], v[96:97], v[92:93]
	buffer_load_dword v93, off, s[0:3], 0 offset:316
	buffer_load_dword v92, off, s[0:3], 0 offset:312
	s_waitcnt vmcnt(0)
	v_fmac_f64_e32 v[88:89], v[92:93], v[94:95]
	buffer_load_dword v95, off, s[0:3], 0 offset:324
	buffer_load_dword v94, off, s[0:3], 0 offset:320
	ds_read_b128 v[90:93], v90 offset:656
	s_waitcnt vmcnt(0) lgkmcnt(0)
	v_fmac_f64_e32 v[88:89], v[94:95], v[90:91]
	buffer_load_dword v91, off, s[0:3], 0 offset:332
	buffer_load_dword v90, off, s[0:3], 0 offset:328
	s_waitcnt vmcnt(0)
	v_fmac_f64_e32 v[88:89], v[90:91], v[92:93]
	v_add_f64 v[86:87], v[86:87], -v[88:89]
	buffer_store_dword v87, off, s[0:3], 0 offset:140
	buffer_store_dword v86, off, s[0:3], 0 offset:136
	s_and_saveexec_b64 s[4:5], vcc
	s_cbranch_execz .LBB41_227
; %bb.226:
	buffer_load_dword v86, off, s[0:3], 0 offset:128
	buffer_load_dword v87, off, s[0:3], 0 offset:132
	v_mov_b32_e32 v88, 0
	buffer_store_dword v88, off, s[0:3], 0 offset:128
	buffer_store_dword v88, off, s[0:3], 0 offset:132
	s_waitcnt vmcnt(2)
	ds_write_b64 v1, v[86:87]
.LBB41_227:
	s_or_b64 exec, exec, s[4:5]
	s_waitcnt lgkmcnt(0)
	; wave barrier
	s_waitcnt lgkmcnt(0)
	buffer_load_dword v86, off, s[0:3], 0 offset:128
	buffer_load_dword v87, off, s[0:3], 0 offset:132
	;; [unrolled: 1-line block ×16, first 2 shown]
	v_mov_b32_e32 v90, 0
	ds_read2_b64 v[92:95], v90 offset0:59 offset1:60
	v_cmp_lt_u32_e32 vcc, 15, v0
	s_waitcnt vmcnt(12) lgkmcnt(0)
	v_fma_f64 v[88:89], v[88:89], v[92:93], 0
	s_waitcnt vmcnt(10)
	v_fmac_f64_e32 v[88:89], v[96:97], v[94:95]
	ds_read2_b64 v[92:95], v90 offset0:61 offset1:62
	s_waitcnt vmcnt(8) lgkmcnt(0)
	v_fmac_f64_e32 v[88:89], v[98:99], v[92:93]
	s_waitcnt vmcnt(6)
	v_fmac_f64_e32 v[88:89], v[100:101], v[94:95]
	ds_read2_b64 v[92:95], v90 offset0:63 offset1:64
	s_waitcnt vmcnt(4) lgkmcnt(0)
	v_fmac_f64_e32 v[88:89], v[102:103], v[92:93]
	;; [unrolled: 5-line block ×3, first 2 shown]
	buffer_load_dword v93, off, s[0:3], 0 offset:196
	buffer_load_dword v92, off, s[0:3], 0 offset:192
	buffer_load_dword v97, off, s[0:3], 0 offset:204
	buffer_load_dword v96, off, s[0:3], 0 offset:200
	s_waitcnt vmcnt(2)
	v_fmac_f64_e32 v[88:89], v[92:93], v[94:95]
	ds_read2_b64 v[92:95], v90 offset0:67 offset1:68
	s_waitcnt vmcnt(0) lgkmcnt(0)
	v_fmac_f64_e32 v[88:89], v[96:97], v[92:93]
	buffer_load_dword v93, off, s[0:3], 0 offset:212
	buffer_load_dword v92, off, s[0:3], 0 offset:208
	buffer_load_dword v97, off, s[0:3], 0 offset:220
	buffer_load_dword v96, off, s[0:3], 0 offset:216
	s_waitcnt vmcnt(2)
	v_fmac_f64_e32 v[88:89], v[92:93], v[94:95]
	ds_read2_b64 v[92:95], v90 offset0:69 offset1:70
	s_waitcnt vmcnt(0) lgkmcnt(0)
	v_fmac_f64_e32 v[88:89], v[96:97], v[92:93]
	;; [unrolled: 9-line block ×8, first 2 shown]
	buffer_load_dword v93, off, s[0:3], 0 offset:324
	buffer_load_dword v92, off, s[0:3], 0 offset:320
	s_waitcnt vmcnt(0)
	v_fmac_f64_e32 v[88:89], v[92:93], v[94:95]
	buffer_load_dword v93, off, s[0:3], 0 offset:332
	buffer_load_dword v92, off, s[0:3], 0 offset:328
	ds_read_b64 v[94:95], v90 offset:664
	s_waitcnt vmcnt(0) lgkmcnt(0)
	v_fmac_f64_e32 v[88:89], v[92:93], v[94:95]
	v_add_f64 v[86:87], v[86:87], -v[88:89]
	buffer_store_dword v87, off, s[0:3], 0 offset:132
	buffer_store_dword v86, off, s[0:3], 0 offset:128
	s_and_saveexec_b64 s[4:5], vcc
	s_cbranch_execz .LBB41_229
; %bb.228:
	buffer_load_dword v86, off, s[0:3], 0 offset:120
	buffer_load_dword v87, off, s[0:3], 0 offset:124
	s_waitcnt vmcnt(0)
	ds_write_b64 v1, v[86:87]
	buffer_store_dword v90, off, s[0:3], 0 offset:120
	buffer_store_dword v90, off, s[0:3], 0 offset:124
.LBB41_229:
	s_or_b64 exec, exec, s[4:5]
	s_waitcnt lgkmcnt(0)
	; wave barrier
	s_waitcnt lgkmcnt(0)
	buffer_load_dword v86, off, s[0:3], 0 offset:120
	buffer_load_dword v87, off, s[0:3], 0 offset:124
	;; [unrolled: 1-line block ×16, first 2 shown]
	ds_read_b128 v[92:95], v90 offset:464
	ds_read_b128 v[96:99], v90 offset:480
	ds_read_b128 v[100:103], v90 offset:496
	ds_read_b128 v[104:107], v90 offset:512
	v_cmp_lt_u32_e32 vcc, 14, v0
	s_waitcnt vmcnt(12) lgkmcnt(3)
	v_fma_f64 v[88:89], v[88:89], v[92:93], 0
	buffer_load_dword v93, off, s[0:3], 0 offset:188
	buffer_load_dword v92, off, s[0:3], 0 offset:184
	s_waitcnt vmcnt(12)
	v_fmac_f64_e32 v[88:89], v[108:109], v[94:95]
	s_waitcnt vmcnt(10) lgkmcnt(2)
	v_fmac_f64_e32 v[88:89], v[110:111], v[96:97]
	buffer_load_dword v97, off, s[0:3], 0 offset:196
	buffer_load_dword v96, off, s[0:3], 0 offset:192
	s_waitcnt vmcnt(10)
	v_fmac_f64_e32 v[88:89], v[112:113], v[98:99]
	s_waitcnt vmcnt(8) lgkmcnt(1)
	v_fmac_f64_e32 v[88:89], v[114:115], v[100:101]
	s_waitcnt vmcnt(6)
	v_fmac_f64_e32 v[88:89], v[116:117], v[102:103]
	s_waitcnt vmcnt(4) lgkmcnt(0)
	v_fmac_f64_e32 v[88:89], v[118:119], v[104:105]
	s_waitcnt vmcnt(2)
	v_fmac_f64_e32 v[88:89], v[92:93], v[106:107]
	ds_read_b128 v[92:95], v90 offset:528
	s_waitcnt vmcnt(0) lgkmcnt(0)
	v_fmac_f64_e32 v[88:89], v[96:97], v[92:93]
	buffer_load_dword v93, off, s[0:3], 0 offset:204
	buffer_load_dword v92, off, s[0:3], 0 offset:200
	buffer_load_dword v97, off, s[0:3], 0 offset:212
	buffer_load_dword v96, off, s[0:3], 0 offset:208
	s_waitcnt vmcnt(2)
	v_fmac_f64_e32 v[88:89], v[92:93], v[94:95]
	ds_read_b128 v[92:95], v90 offset:544
	s_waitcnt vmcnt(0) lgkmcnt(0)
	v_fmac_f64_e32 v[88:89], v[96:97], v[92:93]
	buffer_load_dword v93, off, s[0:3], 0 offset:220
	buffer_load_dword v92, off, s[0:3], 0 offset:216
	buffer_load_dword v97, off, s[0:3], 0 offset:228
	buffer_load_dword v96, off, s[0:3], 0 offset:224
	;; [unrolled: 9-line block ×7, first 2 shown]
	s_waitcnt vmcnt(2)
	v_fmac_f64_e32 v[88:89], v[92:93], v[94:95]
	ds_read_b128 v[92:95], v90 offset:640
	s_waitcnt vmcnt(0) lgkmcnt(0)
	v_fmac_f64_e32 v[88:89], v[96:97], v[92:93]
	buffer_load_dword v93, off, s[0:3], 0 offset:316
	buffer_load_dword v92, off, s[0:3], 0 offset:312
	s_waitcnt vmcnt(0)
	v_fmac_f64_e32 v[88:89], v[92:93], v[94:95]
	buffer_load_dword v95, off, s[0:3], 0 offset:324
	buffer_load_dword v94, off, s[0:3], 0 offset:320
	ds_read_b128 v[90:93], v90 offset:656
	s_waitcnt vmcnt(0) lgkmcnt(0)
	v_fmac_f64_e32 v[88:89], v[94:95], v[90:91]
	buffer_load_dword v91, off, s[0:3], 0 offset:332
	buffer_load_dword v90, off, s[0:3], 0 offset:328
	s_waitcnt vmcnt(0)
	v_fmac_f64_e32 v[88:89], v[90:91], v[92:93]
	v_add_f64 v[86:87], v[86:87], -v[88:89]
	buffer_store_dword v87, off, s[0:3], 0 offset:124
	buffer_store_dword v86, off, s[0:3], 0 offset:120
	s_and_saveexec_b64 s[4:5], vcc
	s_cbranch_execz .LBB41_231
; %bb.230:
	buffer_load_dword v86, off, s[0:3], 0 offset:112
	buffer_load_dword v87, off, s[0:3], 0 offset:116
	v_mov_b32_e32 v88, 0
	buffer_store_dword v88, off, s[0:3], 0 offset:112
	buffer_store_dword v88, off, s[0:3], 0 offset:116
	s_waitcnt vmcnt(2)
	ds_write_b64 v1, v[86:87]
.LBB41_231:
	s_or_b64 exec, exec, s[4:5]
	s_waitcnt lgkmcnt(0)
	; wave barrier
	s_waitcnt lgkmcnt(0)
	buffer_load_dword v86, off, s[0:3], 0 offset:112
	buffer_load_dword v87, off, s[0:3], 0 offset:116
	;; [unrolled: 1-line block ×16, first 2 shown]
	v_mov_b32_e32 v90, 0
	ds_read2_b64 v[92:95], v90 offset0:57 offset1:58
	v_cmp_lt_u32_e32 vcc, 13, v0
	s_waitcnt vmcnt(12) lgkmcnt(0)
	v_fma_f64 v[88:89], v[88:89], v[92:93], 0
	s_waitcnt vmcnt(10)
	v_fmac_f64_e32 v[88:89], v[96:97], v[94:95]
	ds_read2_b64 v[92:95], v90 offset0:59 offset1:60
	s_waitcnt vmcnt(8) lgkmcnt(0)
	v_fmac_f64_e32 v[88:89], v[98:99], v[92:93]
	s_waitcnt vmcnt(6)
	v_fmac_f64_e32 v[88:89], v[100:101], v[94:95]
	ds_read2_b64 v[92:95], v90 offset0:61 offset1:62
	s_waitcnt vmcnt(4) lgkmcnt(0)
	v_fmac_f64_e32 v[88:89], v[102:103], v[92:93]
	s_waitcnt vmcnt(2)
	v_fmac_f64_e32 v[88:89], v[104:105], v[94:95]
	ds_read2_b64 v[92:95], v90 offset0:63 offset1:64
	s_waitcnt vmcnt(0) lgkmcnt(0)
	v_fmac_f64_e32 v[88:89], v[106:107], v[92:93]
	buffer_load_dword v93, off, s[0:3], 0 offset:180
	buffer_load_dword v92, off, s[0:3], 0 offset:176
	buffer_load_dword v97, off, s[0:3], 0 offset:188
	buffer_load_dword v96, off, s[0:3], 0 offset:184
	s_waitcnt vmcnt(2)
	v_fmac_f64_e32 v[88:89], v[92:93], v[94:95]
	ds_read2_b64 v[92:95], v90 offset0:65 offset1:66
	s_waitcnt vmcnt(0) lgkmcnt(0)
	v_fmac_f64_e32 v[88:89], v[96:97], v[92:93]
	buffer_load_dword v93, off, s[0:3], 0 offset:196
	buffer_load_dword v92, off, s[0:3], 0 offset:192
	buffer_load_dword v97, off, s[0:3], 0 offset:204
	buffer_load_dword v96, off, s[0:3], 0 offset:200
	s_waitcnt vmcnt(2)
	v_fmac_f64_e32 v[88:89], v[92:93], v[94:95]
	ds_read2_b64 v[92:95], v90 offset0:67 offset1:68
	s_waitcnt vmcnt(0) lgkmcnt(0)
	v_fmac_f64_e32 v[88:89], v[96:97], v[92:93]
	;; [unrolled: 9-line block ×9, first 2 shown]
	buffer_load_dword v93, off, s[0:3], 0 offset:324
	buffer_load_dword v92, off, s[0:3], 0 offset:320
	s_waitcnt vmcnt(0)
	v_fmac_f64_e32 v[88:89], v[92:93], v[94:95]
	buffer_load_dword v93, off, s[0:3], 0 offset:332
	buffer_load_dword v92, off, s[0:3], 0 offset:328
	ds_read_b64 v[94:95], v90 offset:664
	s_waitcnt vmcnt(0) lgkmcnt(0)
	v_fmac_f64_e32 v[88:89], v[92:93], v[94:95]
	v_add_f64 v[86:87], v[86:87], -v[88:89]
	buffer_store_dword v87, off, s[0:3], 0 offset:116
	buffer_store_dword v86, off, s[0:3], 0 offset:112
	s_and_saveexec_b64 s[4:5], vcc
	s_cbranch_execz .LBB41_233
; %bb.232:
	buffer_load_dword v86, off, s[0:3], 0 offset:104
	buffer_load_dword v87, off, s[0:3], 0 offset:108
	s_waitcnt vmcnt(0)
	ds_write_b64 v1, v[86:87]
	buffer_store_dword v90, off, s[0:3], 0 offset:104
	buffer_store_dword v90, off, s[0:3], 0 offset:108
.LBB41_233:
	s_or_b64 exec, exec, s[4:5]
	s_waitcnt lgkmcnt(0)
	; wave barrier
	s_waitcnt lgkmcnt(0)
	buffer_load_dword v86, off, s[0:3], 0 offset:104
	buffer_load_dword v87, off, s[0:3], 0 offset:108
	;; [unrolled: 1-line block ×16, first 2 shown]
	ds_read_b128 v[92:95], v90 offset:448
	ds_read_b128 v[96:99], v90 offset:464
	;; [unrolled: 1-line block ×4, first 2 shown]
	v_cmp_lt_u32_e32 vcc, 12, v0
	s_waitcnt vmcnt(12) lgkmcnt(3)
	v_fma_f64 v[88:89], v[88:89], v[92:93], 0
	buffer_load_dword v93, off, s[0:3], 0 offset:172
	buffer_load_dword v92, off, s[0:3], 0 offset:168
	s_waitcnt vmcnt(12)
	v_fmac_f64_e32 v[88:89], v[108:109], v[94:95]
	s_waitcnt vmcnt(10) lgkmcnt(2)
	v_fmac_f64_e32 v[88:89], v[110:111], v[96:97]
	buffer_load_dword v97, off, s[0:3], 0 offset:180
	buffer_load_dword v96, off, s[0:3], 0 offset:176
	s_waitcnt vmcnt(10)
	v_fmac_f64_e32 v[88:89], v[112:113], v[98:99]
	s_waitcnt vmcnt(8) lgkmcnt(1)
	v_fmac_f64_e32 v[88:89], v[114:115], v[100:101]
	s_waitcnt vmcnt(6)
	v_fmac_f64_e32 v[88:89], v[116:117], v[102:103]
	s_waitcnt vmcnt(4) lgkmcnt(0)
	v_fmac_f64_e32 v[88:89], v[118:119], v[104:105]
	s_waitcnt vmcnt(2)
	v_fmac_f64_e32 v[88:89], v[92:93], v[106:107]
	ds_read_b128 v[92:95], v90 offset:512
	s_waitcnt vmcnt(0) lgkmcnt(0)
	v_fmac_f64_e32 v[88:89], v[96:97], v[92:93]
	buffer_load_dword v93, off, s[0:3], 0 offset:188
	buffer_load_dword v92, off, s[0:3], 0 offset:184
	buffer_load_dword v97, off, s[0:3], 0 offset:196
	buffer_load_dword v96, off, s[0:3], 0 offset:192
	s_waitcnt vmcnt(2)
	v_fmac_f64_e32 v[88:89], v[92:93], v[94:95]
	ds_read_b128 v[92:95], v90 offset:528
	s_waitcnt vmcnt(0) lgkmcnt(0)
	v_fmac_f64_e32 v[88:89], v[96:97], v[92:93]
	buffer_load_dword v93, off, s[0:3], 0 offset:204
	buffer_load_dword v92, off, s[0:3], 0 offset:200
	buffer_load_dword v97, off, s[0:3], 0 offset:212
	buffer_load_dword v96, off, s[0:3], 0 offset:208
	;; [unrolled: 9-line block ×8, first 2 shown]
	s_waitcnt vmcnt(2)
	v_fmac_f64_e32 v[88:89], v[92:93], v[94:95]
	ds_read_b128 v[92:95], v90 offset:640
	s_waitcnt vmcnt(0) lgkmcnt(0)
	v_fmac_f64_e32 v[88:89], v[96:97], v[92:93]
	buffer_load_dword v93, off, s[0:3], 0 offset:316
	buffer_load_dword v92, off, s[0:3], 0 offset:312
	s_waitcnt vmcnt(0)
	v_fmac_f64_e32 v[88:89], v[92:93], v[94:95]
	buffer_load_dword v95, off, s[0:3], 0 offset:324
	buffer_load_dword v94, off, s[0:3], 0 offset:320
	ds_read_b128 v[90:93], v90 offset:656
	s_waitcnt vmcnt(0) lgkmcnt(0)
	v_fmac_f64_e32 v[88:89], v[94:95], v[90:91]
	buffer_load_dword v91, off, s[0:3], 0 offset:332
	buffer_load_dword v90, off, s[0:3], 0 offset:328
	s_waitcnt vmcnt(0)
	v_fmac_f64_e32 v[88:89], v[90:91], v[92:93]
	v_add_f64 v[86:87], v[86:87], -v[88:89]
	buffer_store_dword v87, off, s[0:3], 0 offset:108
	buffer_store_dword v86, off, s[0:3], 0 offset:104
	s_and_saveexec_b64 s[4:5], vcc
	s_cbranch_execz .LBB41_235
; %bb.234:
	buffer_load_dword v86, off, s[0:3], 0 offset:96
	buffer_load_dword v87, off, s[0:3], 0 offset:100
	v_mov_b32_e32 v88, 0
	buffer_store_dword v88, off, s[0:3], 0 offset:96
	buffer_store_dword v88, off, s[0:3], 0 offset:100
	s_waitcnt vmcnt(2)
	ds_write_b64 v1, v[86:87]
.LBB41_235:
	s_or_b64 exec, exec, s[4:5]
	s_waitcnt lgkmcnt(0)
	; wave barrier
	s_waitcnt lgkmcnt(0)
	buffer_load_dword v86, off, s[0:3], 0 offset:96
	buffer_load_dword v87, off, s[0:3], 0 offset:100
	;; [unrolled: 1-line block ×16, first 2 shown]
	v_mov_b32_e32 v90, 0
	ds_read2_b64 v[92:95], v90 offset0:55 offset1:56
	v_cmp_lt_u32_e32 vcc, 11, v0
	s_waitcnt vmcnt(12) lgkmcnt(0)
	v_fma_f64 v[88:89], v[88:89], v[92:93], 0
	s_waitcnt vmcnt(10)
	v_fmac_f64_e32 v[88:89], v[96:97], v[94:95]
	ds_read2_b64 v[92:95], v90 offset0:57 offset1:58
	s_waitcnt vmcnt(8) lgkmcnt(0)
	v_fmac_f64_e32 v[88:89], v[98:99], v[92:93]
	s_waitcnt vmcnt(6)
	v_fmac_f64_e32 v[88:89], v[100:101], v[94:95]
	ds_read2_b64 v[92:95], v90 offset0:59 offset1:60
	s_waitcnt vmcnt(4) lgkmcnt(0)
	v_fmac_f64_e32 v[88:89], v[102:103], v[92:93]
	;; [unrolled: 5-line block ×3, first 2 shown]
	buffer_load_dword v93, off, s[0:3], 0 offset:164
	buffer_load_dword v92, off, s[0:3], 0 offset:160
	buffer_load_dword v97, off, s[0:3], 0 offset:172
	buffer_load_dword v96, off, s[0:3], 0 offset:168
	s_waitcnt vmcnt(2)
	v_fmac_f64_e32 v[88:89], v[92:93], v[94:95]
	ds_read2_b64 v[92:95], v90 offset0:63 offset1:64
	s_waitcnt vmcnt(0) lgkmcnt(0)
	v_fmac_f64_e32 v[88:89], v[96:97], v[92:93]
	buffer_load_dword v93, off, s[0:3], 0 offset:180
	buffer_load_dword v92, off, s[0:3], 0 offset:176
	buffer_load_dword v97, off, s[0:3], 0 offset:188
	buffer_load_dword v96, off, s[0:3], 0 offset:184
	s_waitcnt vmcnt(2)
	v_fmac_f64_e32 v[88:89], v[92:93], v[94:95]
	ds_read2_b64 v[92:95], v90 offset0:65 offset1:66
	s_waitcnt vmcnt(0) lgkmcnt(0)
	v_fmac_f64_e32 v[88:89], v[96:97], v[92:93]
	;; [unrolled: 9-line block ×10, first 2 shown]
	buffer_load_dword v93, off, s[0:3], 0 offset:324
	buffer_load_dword v92, off, s[0:3], 0 offset:320
	s_waitcnt vmcnt(0)
	v_fmac_f64_e32 v[88:89], v[92:93], v[94:95]
	buffer_load_dword v93, off, s[0:3], 0 offset:332
	buffer_load_dword v92, off, s[0:3], 0 offset:328
	ds_read_b64 v[94:95], v90 offset:664
	s_waitcnt vmcnt(0) lgkmcnt(0)
	v_fmac_f64_e32 v[88:89], v[92:93], v[94:95]
	v_add_f64 v[86:87], v[86:87], -v[88:89]
	buffer_store_dword v87, off, s[0:3], 0 offset:100
	buffer_store_dword v86, off, s[0:3], 0 offset:96
	s_and_saveexec_b64 s[4:5], vcc
	s_cbranch_execz .LBB41_237
; %bb.236:
	buffer_load_dword v86, off, s[0:3], 0 offset:88
	buffer_load_dword v87, off, s[0:3], 0 offset:92
	s_waitcnt vmcnt(0)
	ds_write_b64 v1, v[86:87]
	buffer_store_dword v90, off, s[0:3], 0 offset:88
	buffer_store_dword v90, off, s[0:3], 0 offset:92
.LBB41_237:
	s_or_b64 exec, exec, s[4:5]
	s_waitcnt lgkmcnt(0)
	; wave barrier
	s_waitcnt lgkmcnt(0)
	buffer_load_dword v86, off, s[0:3], 0 offset:88
	buffer_load_dword v87, off, s[0:3], 0 offset:92
	;; [unrolled: 1-line block ×16, first 2 shown]
	ds_read_b128 v[92:95], v90 offset:432
	ds_read_b128 v[96:99], v90 offset:448
	;; [unrolled: 1-line block ×4, first 2 shown]
	v_cmp_lt_u32_e32 vcc, 10, v0
	s_waitcnt vmcnt(12) lgkmcnt(3)
	v_fma_f64 v[88:89], v[88:89], v[92:93], 0
	buffer_load_dword v93, off, s[0:3], 0 offset:156
	buffer_load_dword v92, off, s[0:3], 0 offset:152
	s_waitcnt vmcnt(12)
	v_fmac_f64_e32 v[88:89], v[108:109], v[94:95]
	s_waitcnt vmcnt(10) lgkmcnt(2)
	v_fmac_f64_e32 v[88:89], v[110:111], v[96:97]
	buffer_load_dword v97, off, s[0:3], 0 offset:164
	buffer_load_dword v96, off, s[0:3], 0 offset:160
	s_waitcnt vmcnt(10)
	v_fmac_f64_e32 v[88:89], v[112:113], v[98:99]
	s_waitcnt vmcnt(8) lgkmcnt(1)
	v_fmac_f64_e32 v[88:89], v[114:115], v[100:101]
	s_waitcnt vmcnt(6)
	v_fmac_f64_e32 v[88:89], v[116:117], v[102:103]
	s_waitcnt vmcnt(4) lgkmcnt(0)
	v_fmac_f64_e32 v[88:89], v[118:119], v[104:105]
	s_waitcnt vmcnt(2)
	v_fmac_f64_e32 v[88:89], v[92:93], v[106:107]
	ds_read_b128 v[92:95], v90 offset:496
	s_waitcnt vmcnt(0) lgkmcnt(0)
	v_fmac_f64_e32 v[88:89], v[96:97], v[92:93]
	buffer_load_dword v93, off, s[0:3], 0 offset:172
	buffer_load_dword v92, off, s[0:3], 0 offset:168
	buffer_load_dword v97, off, s[0:3], 0 offset:180
	buffer_load_dword v96, off, s[0:3], 0 offset:176
	s_waitcnt vmcnt(2)
	v_fmac_f64_e32 v[88:89], v[92:93], v[94:95]
	ds_read_b128 v[92:95], v90 offset:512
	s_waitcnt vmcnt(0) lgkmcnt(0)
	v_fmac_f64_e32 v[88:89], v[96:97], v[92:93]
	buffer_load_dword v93, off, s[0:3], 0 offset:188
	buffer_load_dword v92, off, s[0:3], 0 offset:184
	buffer_load_dword v97, off, s[0:3], 0 offset:196
	buffer_load_dword v96, off, s[0:3], 0 offset:192
	;; [unrolled: 9-line block ×9, first 2 shown]
	s_waitcnt vmcnt(2)
	v_fmac_f64_e32 v[88:89], v[92:93], v[94:95]
	ds_read_b128 v[92:95], v90 offset:640
	s_waitcnt vmcnt(0) lgkmcnt(0)
	v_fmac_f64_e32 v[88:89], v[96:97], v[92:93]
	buffer_load_dword v93, off, s[0:3], 0 offset:316
	buffer_load_dword v92, off, s[0:3], 0 offset:312
	s_waitcnt vmcnt(0)
	v_fmac_f64_e32 v[88:89], v[92:93], v[94:95]
	buffer_load_dword v95, off, s[0:3], 0 offset:324
	buffer_load_dword v94, off, s[0:3], 0 offset:320
	ds_read_b128 v[90:93], v90 offset:656
	s_waitcnt vmcnt(0) lgkmcnt(0)
	v_fmac_f64_e32 v[88:89], v[94:95], v[90:91]
	buffer_load_dword v91, off, s[0:3], 0 offset:332
	buffer_load_dword v90, off, s[0:3], 0 offset:328
	s_waitcnt vmcnt(0)
	v_fmac_f64_e32 v[88:89], v[90:91], v[92:93]
	v_add_f64 v[86:87], v[86:87], -v[88:89]
	buffer_store_dword v87, off, s[0:3], 0 offset:92
	buffer_store_dword v86, off, s[0:3], 0 offset:88
	s_and_saveexec_b64 s[4:5], vcc
	s_cbranch_execz .LBB41_239
; %bb.238:
	buffer_load_dword v86, off, s[0:3], 0 offset:80
	buffer_load_dword v87, off, s[0:3], 0 offset:84
	v_mov_b32_e32 v88, 0
	buffer_store_dword v88, off, s[0:3], 0 offset:80
	buffer_store_dword v88, off, s[0:3], 0 offset:84
	s_waitcnt vmcnt(2)
	ds_write_b64 v1, v[86:87]
.LBB41_239:
	s_or_b64 exec, exec, s[4:5]
	s_waitcnt lgkmcnt(0)
	; wave barrier
	s_waitcnt lgkmcnt(0)
	buffer_load_dword v86, off, s[0:3], 0 offset:80
	buffer_load_dword v87, off, s[0:3], 0 offset:84
	;; [unrolled: 1-line block ×16, first 2 shown]
	v_mov_b32_e32 v90, 0
	ds_read2_b64 v[92:95], v90 offset0:53 offset1:54
	v_cmp_lt_u32_e32 vcc, 9, v0
	s_waitcnt vmcnt(12) lgkmcnt(0)
	v_fma_f64 v[88:89], v[88:89], v[92:93], 0
	s_waitcnt vmcnt(10)
	v_fmac_f64_e32 v[88:89], v[96:97], v[94:95]
	ds_read2_b64 v[92:95], v90 offset0:55 offset1:56
	s_waitcnt vmcnt(8) lgkmcnt(0)
	v_fmac_f64_e32 v[88:89], v[98:99], v[92:93]
	s_waitcnt vmcnt(6)
	v_fmac_f64_e32 v[88:89], v[100:101], v[94:95]
	ds_read2_b64 v[92:95], v90 offset0:57 offset1:58
	s_waitcnt vmcnt(4) lgkmcnt(0)
	v_fmac_f64_e32 v[88:89], v[102:103], v[92:93]
	;; [unrolled: 5-line block ×3, first 2 shown]
	buffer_load_dword v93, off, s[0:3], 0 offset:148
	buffer_load_dword v92, off, s[0:3], 0 offset:144
	buffer_load_dword v97, off, s[0:3], 0 offset:156
	buffer_load_dword v96, off, s[0:3], 0 offset:152
	s_waitcnt vmcnt(2)
	v_fmac_f64_e32 v[88:89], v[92:93], v[94:95]
	ds_read2_b64 v[92:95], v90 offset0:61 offset1:62
	s_waitcnt vmcnt(0) lgkmcnt(0)
	v_fmac_f64_e32 v[88:89], v[96:97], v[92:93]
	buffer_load_dword v93, off, s[0:3], 0 offset:164
	buffer_load_dword v92, off, s[0:3], 0 offset:160
	buffer_load_dword v97, off, s[0:3], 0 offset:172
	buffer_load_dword v96, off, s[0:3], 0 offset:168
	s_waitcnt vmcnt(2)
	v_fmac_f64_e32 v[88:89], v[92:93], v[94:95]
	ds_read2_b64 v[92:95], v90 offset0:63 offset1:64
	s_waitcnt vmcnt(0) lgkmcnt(0)
	v_fmac_f64_e32 v[88:89], v[96:97], v[92:93]
	;; [unrolled: 9-line block ×11, first 2 shown]
	buffer_load_dword v93, off, s[0:3], 0 offset:324
	buffer_load_dword v92, off, s[0:3], 0 offset:320
	s_waitcnt vmcnt(0)
	v_fmac_f64_e32 v[88:89], v[92:93], v[94:95]
	buffer_load_dword v93, off, s[0:3], 0 offset:332
	buffer_load_dword v92, off, s[0:3], 0 offset:328
	ds_read_b64 v[94:95], v90 offset:664
	s_waitcnt vmcnt(0) lgkmcnt(0)
	v_fmac_f64_e32 v[88:89], v[92:93], v[94:95]
	v_add_f64 v[86:87], v[86:87], -v[88:89]
	buffer_store_dword v87, off, s[0:3], 0 offset:84
	buffer_store_dword v86, off, s[0:3], 0 offset:80
	s_and_saveexec_b64 s[4:5], vcc
	s_cbranch_execz .LBB41_241
; %bb.240:
	buffer_load_dword v86, off, s[0:3], 0 offset:72
	buffer_load_dword v87, off, s[0:3], 0 offset:76
	s_waitcnt vmcnt(0)
	ds_write_b64 v1, v[86:87]
	buffer_store_dword v90, off, s[0:3], 0 offset:72
	buffer_store_dword v90, off, s[0:3], 0 offset:76
.LBB41_241:
	s_or_b64 exec, exec, s[4:5]
	s_waitcnt lgkmcnt(0)
	; wave barrier
	s_waitcnt lgkmcnt(0)
	buffer_load_dword v86, off, s[0:3], 0 offset:72
	buffer_load_dword v87, off, s[0:3], 0 offset:76
	buffer_load_dword v88, off, s[0:3], 0 offset:80
	buffer_load_dword v89, off, s[0:3], 0 offset:84
	buffer_load_dword v108, off, s[0:3], 0 offset:88
	buffer_load_dword v109, off, s[0:3], 0 offset:92
	buffer_load_dword v110, off, s[0:3], 0 offset:96
	buffer_load_dword v111, off, s[0:3], 0 offset:100
	buffer_load_dword v112, off, s[0:3], 0 offset:104
	buffer_load_dword v113, off, s[0:3], 0 offset:108
	buffer_load_dword v114, off, s[0:3], 0 offset:112
	buffer_load_dword v115, off, s[0:3], 0 offset:116
	buffer_load_dword v116, off, s[0:3], 0 offset:120
	buffer_load_dword v117, off, s[0:3], 0 offset:124
	buffer_load_dword v118, off, s[0:3], 0 offset:128
	buffer_load_dword v119, off, s[0:3], 0 offset:132
	ds_read_b128 v[92:95], v90 offset:416
	ds_read_b128 v[96:99], v90 offset:432
	;; [unrolled: 1-line block ×4, first 2 shown]
	v_cmp_lt_u32_e32 vcc, 8, v0
	s_waitcnt vmcnt(12) lgkmcnt(3)
	v_fma_f64 v[88:89], v[88:89], v[92:93], 0
	buffer_load_dword v93, off, s[0:3], 0 offset:140
	buffer_load_dword v92, off, s[0:3], 0 offset:136
	s_waitcnt vmcnt(12)
	v_fmac_f64_e32 v[88:89], v[108:109], v[94:95]
	s_waitcnt vmcnt(10) lgkmcnt(2)
	v_fmac_f64_e32 v[88:89], v[110:111], v[96:97]
	buffer_load_dword v97, off, s[0:3], 0 offset:148
	buffer_load_dword v96, off, s[0:3], 0 offset:144
	s_waitcnt vmcnt(10)
	v_fmac_f64_e32 v[88:89], v[112:113], v[98:99]
	s_waitcnt vmcnt(8) lgkmcnt(1)
	v_fmac_f64_e32 v[88:89], v[114:115], v[100:101]
	s_waitcnt vmcnt(6)
	v_fmac_f64_e32 v[88:89], v[116:117], v[102:103]
	s_waitcnt vmcnt(4) lgkmcnt(0)
	v_fmac_f64_e32 v[88:89], v[118:119], v[104:105]
	s_waitcnt vmcnt(2)
	v_fmac_f64_e32 v[88:89], v[92:93], v[106:107]
	ds_read_b128 v[92:95], v90 offset:480
	s_waitcnt vmcnt(0) lgkmcnt(0)
	v_fmac_f64_e32 v[88:89], v[96:97], v[92:93]
	buffer_load_dword v93, off, s[0:3], 0 offset:156
	buffer_load_dword v92, off, s[0:3], 0 offset:152
	buffer_load_dword v97, off, s[0:3], 0 offset:164
	buffer_load_dword v96, off, s[0:3], 0 offset:160
	s_waitcnt vmcnt(2)
	v_fmac_f64_e32 v[88:89], v[92:93], v[94:95]
	ds_read_b128 v[92:95], v90 offset:496
	s_waitcnt vmcnt(0) lgkmcnt(0)
	v_fmac_f64_e32 v[88:89], v[96:97], v[92:93]
	buffer_load_dword v93, off, s[0:3], 0 offset:172
	buffer_load_dword v92, off, s[0:3], 0 offset:168
	buffer_load_dword v97, off, s[0:3], 0 offset:180
	buffer_load_dword v96, off, s[0:3], 0 offset:176
	;; [unrolled: 9-line block ×10, first 2 shown]
	s_waitcnt vmcnt(2)
	v_fmac_f64_e32 v[88:89], v[92:93], v[94:95]
	ds_read_b128 v[92:95], v90 offset:640
	s_waitcnt vmcnt(0) lgkmcnt(0)
	v_fmac_f64_e32 v[88:89], v[96:97], v[92:93]
	buffer_load_dword v93, off, s[0:3], 0 offset:316
	buffer_load_dword v92, off, s[0:3], 0 offset:312
	s_waitcnt vmcnt(0)
	v_fmac_f64_e32 v[88:89], v[92:93], v[94:95]
	buffer_load_dword v95, off, s[0:3], 0 offset:324
	buffer_load_dword v94, off, s[0:3], 0 offset:320
	ds_read_b128 v[90:93], v90 offset:656
	s_waitcnt vmcnt(0) lgkmcnt(0)
	v_fmac_f64_e32 v[88:89], v[94:95], v[90:91]
	buffer_load_dword v91, off, s[0:3], 0 offset:332
	buffer_load_dword v90, off, s[0:3], 0 offset:328
	s_waitcnt vmcnt(0)
	v_fmac_f64_e32 v[88:89], v[90:91], v[92:93]
	v_add_f64 v[86:87], v[86:87], -v[88:89]
	buffer_store_dword v87, off, s[0:3], 0 offset:76
	buffer_store_dword v86, off, s[0:3], 0 offset:72
	s_and_saveexec_b64 s[4:5], vcc
	s_cbranch_execz .LBB41_243
; %bb.242:
	buffer_load_dword v86, off, s[0:3], 0 offset:64
	buffer_load_dword v87, off, s[0:3], 0 offset:68
	v_mov_b32_e32 v88, 0
	buffer_store_dword v88, off, s[0:3], 0 offset:64
	buffer_store_dword v88, off, s[0:3], 0 offset:68
	s_waitcnt vmcnt(2)
	ds_write_b64 v1, v[86:87]
.LBB41_243:
	s_or_b64 exec, exec, s[4:5]
	s_waitcnt lgkmcnt(0)
	; wave barrier
	s_waitcnt lgkmcnt(0)
	buffer_load_dword v86, off, s[0:3], 0 offset:64
	buffer_load_dword v87, off, s[0:3], 0 offset:68
	buffer_load_dword v88, off, s[0:3], 0 offset:72
	buffer_load_dword v89, off, s[0:3], 0 offset:76
	buffer_load_dword v96, off, s[0:3], 0 offset:80
	buffer_load_dword v97, off, s[0:3], 0 offset:84
	buffer_load_dword v98, off, s[0:3], 0 offset:88
	buffer_load_dword v99, off, s[0:3], 0 offset:92
	buffer_load_dword v100, off, s[0:3], 0 offset:96
	buffer_load_dword v101, off, s[0:3], 0 offset:100
	buffer_load_dword v102, off, s[0:3], 0 offset:104
	buffer_load_dword v103, off, s[0:3], 0 offset:108
	buffer_load_dword v104, off, s[0:3], 0 offset:112
	buffer_load_dword v105, off, s[0:3], 0 offset:116
	buffer_load_dword v106, off, s[0:3], 0 offset:120
	buffer_load_dword v107, off, s[0:3], 0 offset:124
	v_mov_b32_e32 v90, 0
	ds_read2_b64 v[92:95], v90 offset0:51 offset1:52
	v_cmp_lt_u32_e32 vcc, 7, v0
	s_waitcnt vmcnt(12) lgkmcnt(0)
	v_fma_f64 v[88:89], v[88:89], v[92:93], 0
	s_waitcnt vmcnt(10)
	v_fmac_f64_e32 v[88:89], v[96:97], v[94:95]
	ds_read2_b64 v[92:95], v90 offset0:53 offset1:54
	s_waitcnt vmcnt(8) lgkmcnt(0)
	v_fmac_f64_e32 v[88:89], v[98:99], v[92:93]
	s_waitcnt vmcnt(6)
	v_fmac_f64_e32 v[88:89], v[100:101], v[94:95]
	ds_read2_b64 v[92:95], v90 offset0:55 offset1:56
	s_waitcnt vmcnt(4) lgkmcnt(0)
	v_fmac_f64_e32 v[88:89], v[102:103], v[92:93]
	;; [unrolled: 5-line block ×3, first 2 shown]
	buffer_load_dword v93, off, s[0:3], 0 offset:132
	buffer_load_dword v92, off, s[0:3], 0 offset:128
	buffer_load_dword v97, off, s[0:3], 0 offset:140
	buffer_load_dword v96, off, s[0:3], 0 offset:136
	s_waitcnt vmcnt(2)
	v_fmac_f64_e32 v[88:89], v[92:93], v[94:95]
	ds_read2_b64 v[92:95], v90 offset0:59 offset1:60
	s_waitcnt vmcnt(0) lgkmcnt(0)
	v_fmac_f64_e32 v[88:89], v[96:97], v[92:93]
	buffer_load_dword v93, off, s[0:3], 0 offset:148
	buffer_load_dword v92, off, s[0:3], 0 offset:144
	buffer_load_dword v97, off, s[0:3], 0 offset:156
	buffer_load_dword v96, off, s[0:3], 0 offset:152
	s_waitcnt vmcnt(2)
	v_fmac_f64_e32 v[88:89], v[92:93], v[94:95]
	ds_read2_b64 v[92:95], v90 offset0:61 offset1:62
	s_waitcnt vmcnt(0) lgkmcnt(0)
	v_fmac_f64_e32 v[88:89], v[96:97], v[92:93]
	;; [unrolled: 9-line block ×12, first 2 shown]
	buffer_load_dword v93, off, s[0:3], 0 offset:324
	buffer_load_dword v92, off, s[0:3], 0 offset:320
	s_waitcnt vmcnt(0)
	v_fmac_f64_e32 v[88:89], v[92:93], v[94:95]
	buffer_load_dword v93, off, s[0:3], 0 offset:332
	buffer_load_dword v92, off, s[0:3], 0 offset:328
	ds_read_b64 v[94:95], v90 offset:664
	s_waitcnt vmcnt(0) lgkmcnt(0)
	v_fmac_f64_e32 v[88:89], v[92:93], v[94:95]
	v_add_f64 v[86:87], v[86:87], -v[88:89]
	buffer_store_dword v87, off, s[0:3], 0 offset:68
	buffer_store_dword v86, off, s[0:3], 0 offset:64
	s_and_saveexec_b64 s[4:5], vcc
	s_cbranch_execz .LBB41_245
; %bb.244:
	buffer_load_dword v86, off, s[0:3], 0 offset:56
	buffer_load_dword v87, off, s[0:3], 0 offset:60
	s_waitcnt vmcnt(0)
	ds_write_b64 v1, v[86:87]
	buffer_store_dword v90, off, s[0:3], 0 offset:56
	buffer_store_dword v90, off, s[0:3], 0 offset:60
.LBB41_245:
	s_or_b64 exec, exec, s[4:5]
	s_waitcnt lgkmcnt(0)
	; wave barrier
	s_waitcnt lgkmcnt(0)
	buffer_load_dword v86, off, s[0:3], 0 offset:56
	buffer_load_dword v87, off, s[0:3], 0 offset:60
	;; [unrolled: 1-line block ×16, first 2 shown]
	ds_read_b128 v[92:95], v90 offset:400
	ds_read_b128 v[96:99], v90 offset:416
	;; [unrolled: 1-line block ×4, first 2 shown]
	v_cmp_lt_u32_e32 vcc, 6, v0
	s_waitcnt vmcnt(12) lgkmcnt(3)
	v_fma_f64 v[88:89], v[88:89], v[92:93], 0
	buffer_load_dword v93, off, s[0:3], 0 offset:124
	buffer_load_dword v92, off, s[0:3], 0 offset:120
	s_waitcnt vmcnt(12)
	v_fmac_f64_e32 v[88:89], v[108:109], v[94:95]
	s_waitcnt vmcnt(10) lgkmcnt(2)
	v_fmac_f64_e32 v[88:89], v[110:111], v[96:97]
	buffer_load_dword v97, off, s[0:3], 0 offset:132
	buffer_load_dword v96, off, s[0:3], 0 offset:128
	s_waitcnt vmcnt(10)
	v_fmac_f64_e32 v[88:89], v[112:113], v[98:99]
	s_waitcnt vmcnt(8) lgkmcnt(1)
	v_fmac_f64_e32 v[88:89], v[114:115], v[100:101]
	s_waitcnt vmcnt(6)
	v_fmac_f64_e32 v[88:89], v[116:117], v[102:103]
	s_waitcnt vmcnt(4) lgkmcnt(0)
	v_fmac_f64_e32 v[88:89], v[118:119], v[104:105]
	s_waitcnt vmcnt(2)
	v_fmac_f64_e32 v[88:89], v[92:93], v[106:107]
	ds_read_b128 v[92:95], v90 offset:464
	s_waitcnt vmcnt(0) lgkmcnt(0)
	v_fmac_f64_e32 v[88:89], v[96:97], v[92:93]
	buffer_load_dword v93, off, s[0:3], 0 offset:140
	buffer_load_dword v92, off, s[0:3], 0 offset:136
	buffer_load_dword v97, off, s[0:3], 0 offset:148
	buffer_load_dword v96, off, s[0:3], 0 offset:144
	s_waitcnt vmcnt(2)
	v_fmac_f64_e32 v[88:89], v[92:93], v[94:95]
	ds_read_b128 v[92:95], v90 offset:480
	s_waitcnt vmcnt(0) lgkmcnt(0)
	v_fmac_f64_e32 v[88:89], v[96:97], v[92:93]
	buffer_load_dword v93, off, s[0:3], 0 offset:156
	buffer_load_dword v92, off, s[0:3], 0 offset:152
	buffer_load_dword v97, off, s[0:3], 0 offset:164
	buffer_load_dword v96, off, s[0:3], 0 offset:160
	;; [unrolled: 9-line block ×11, first 2 shown]
	s_waitcnt vmcnt(2)
	v_fmac_f64_e32 v[88:89], v[92:93], v[94:95]
	ds_read_b128 v[92:95], v90 offset:640
	s_waitcnt vmcnt(0) lgkmcnt(0)
	v_fmac_f64_e32 v[88:89], v[96:97], v[92:93]
	buffer_load_dword v93, off, s[0:3], 0 offset:316
	buffer_load_dword v92, off, s[0:3], 0 offset:312
	s_waitcnt vmcnt(0)
	v_fmac_f64_e32 v[88:89], v[92:93], v[94:95]
	buffer_load_dword v95, off, s[0:3], 0 offset:324
	buffer_load_dword v94, off, s[0:3], 0 offset:320
	ds_read_b128 v[90:93], v90 offset:656
	s_waitcnt vmcnt(0) lgkmcnt(0)
	v_fmac_f64_e32 v[88:89], v[94:95], v[90:91]
	buffer_load_dword v91, off, s[0:3], 0 offset:332
	buffer_load_dword v90, off, s[0:3], 0 offset:328
	s_waitcnt vmcnt(0)
	v_fmac_f64_e32 v[88:89], v[90:91], v[92:93]
	v_add_f64 v[86:87], v[86:87], -v[88:89]
	buffer_store_dword v87, off, s[0:3], 0 offset:60
	buffer_store_dword v86, off, s[0:3], 0 offset:56
	s_and_saveexec_b64 s[4:5], vcc
	s_cbranch_execz .LBB41_247
; %bb.246:
	buffer_load_dword v86, off, s[0:3], 0 offset:48
	buffer_load_dword v87, off, s[0:3], 0 offset:52
	v_mov_b32_e32 v88, 0
	buffer_store_dword v88, off, s[0:3], 0 offset:48
	buffer_store_dword v88, off, s[0:3], 0 offset:52
	s_waitcnt vmcnt(2)
	ds_write_b64 v1, v[86:87]
.LBB41_247:
	s_or_b64 exec, exec, s[4:5]
	s_waitcnt lgkmcnt(0)
	; wave barrier
	s_waitcnt lgkmcnt(0)
	buffer_load_dword v86, off, s[0:3], 0 offset:48
	buffer_load_dword v87, off, s[0:3], 0 offset:52
	;; [unrolled: 1-line block ×16, first 2 shown]
	v_mov_b32_e32 v90, 0
	ds_read2_b64 v[92:95], v90 offset0:49 offset1:50
	v_cmp_lt_u32_e32 vcc, 5, v0
	s_waitcnt vmcnt(12) lgkmcnt(0)
	v_fma_f64 v[88:89], v[88:89], v[92:93], 0
	s_waitcnt vmcnt(10)
	v_fmac_f64_e32 v[88:89], v[96:97], v[94:95]
	ds_read2_b64 v[92:95], v90 offset0:51 offset1:52
	s_waitcnt vmcnt(8) lgkmcnt(0)
	v_fmac_f64_e32 v[88:89], v[98:99], v[92:93]
	s_waitcnt vmcnt(6)
	v_fmac_f64_e32 v[88:89], v[100:101], v[94:95]
	ds_read2_b64 v[92:95], v90 offset0:53 offset1:54
	s_waitcnt vmcnt(4) lgkmcnt(0)
	v_fmac_f64_e32 v[88:89], v[102:103], v[92:93]
	;; [unrolled: 5-line block ×3, first 2 shown]
	buffer_load_dword v93, off, s[0:3], 0 offset:116
	buffer_load_dword v92, off, s[0:3], 0 offset:112
	buffer_load_dword v97, off, s[0:3], 0 offset:124
	buffer_load_dword v96, off, s[0:3], 0 offset:120
	s_waitcnt vmcnt(2)
	v_fmac_f64_e32 v[88:89], v[92:93], v[94:95]
	ds_read2_b64 v[92:95], v90 offset0:57 offset1:58
	s_waitcnt vmcnt(0) lgkmcnt(0)
	v_fmac_f64_e32 v[88:89], v[96:97], v[92:93]
	buffer_load_dword v93, off, s[0:3], 0 offset:132
	buffer_load_dword v92, off, s[0:3], 0 offset:128
	buffer_load_dword v97, off, s[0:3], 0 offset:140
	buffer_load_dword v96, off, s[0:3], 0 offset:136
	s_waitcnt vmcnt(2)
	v_fmac_f64_e32 v[88:89], v[92:93], v[94:95]
	ds_read2_b64 v[92:95], v90 offset0:59 offset1:60
	s_waitcnt vmcnt(0) lgkmcnt(0)
	v_fmac_f64_e32 v[88:89], v[96:97], v[92:93]
	;; [unrolled: 9-line block ×13, first 2 shown]
	buffer_load_dword v93, off, s[0:3], 0 offset:324
	buffer_load_dword v92, off, s[0:3], 0 offset:320
	s_waitcnt vmcnt(0)
	v_fmac_f64_e32 v[88:89], v[92:93], v[94:95]
	buffer_load_dword v93, off, s[0:3], 0 offset:332
	buffer_load_dword v92, off, s[0:3], 0 offset:328
	ds_read_b64 v[94:95], v90 offset:664
	s_waitcnt vmcnt(0) lgkmcnt(0)
	v_fmac_f64_e32 v[88:89], v[92:93], v[94:95]
	v_add_f64 v[86:87], v[86:87], -v[88:89]
	buffer_store_dword v87, off, s[0:3], 0 offset:52
	buffer_store_dword v86, off, s[0:3], 0 offset:48
	s_and_saveexec_b64 s[4:5], vcc
	s_cbranch_execz .LBB41_249
; %bb.248:
	buffer_load_dword v86, off, s[0:3], 0 offset:40
	buffer_load_dword v87, off, s[0:3], 0 offset:44
	s_waitcnt vmcnt(0)
	ds_write_b64 v1, v[86:87]
	buffer_store_dword v90, off, s[0:3], 0 offset:40
	buffer_store_dword v90, off, s[0:3], 0 offset:44
.LBB41_249:
	s_or_b64 exec, exec, s[4:5]
	s_waitcnt lgkmcnt(0)
	; wave barrier
	s_waitcnt lgkmcnt(0)
	buffer_load_dword v86, off, s[0:3], 0 offset:40
	buffer_load_dword v87, off, s[0:3], 0 offset:44
	;; [unrolled: 1-line block ×16, first 2 shown]
	ds_read_b128 v[92:95], v90 offset:384
	ds_read_b128 v[96:99], v90 offset:400
	;; [unrolled: 1-line block ×4, first 2 shown]
	v_cmp_lt_u32_e32 vcc, 4, v0
	s_waitcnt vmcnt(12) lgkmcnt(3)
	v_fma_f64 v[88:89], v[88:89], v[92:93], 0
	buffer_load_dword v93, off, s[0:3], 0 offset:108
	buffer_load_dword v92, off, s[0:3], 0 offset:104
	s_waitcnt vmcnt(12)
	v_fmac_f64_e32 v[88:89], v[108:109], v[94:95]
	s_waitcnt vmcnt(10) lgkmcnt(2)
	v_fmac_f64_e32 v[88:89], v[110:111], v[96:97]
	buffer_load_dword v97, off, s[0:3], 0 offset:116
	buffer_load_dword v96, off, s[0:3], 0 offset:112
	s_waitcnt vmcnt(10)
	v_fmac_f64_e32 v[88:89], v[112:113], v[98:99]
	s_waitcnt vmcnt(8) lgkmcnt(1)
	v_fmac_f64_e32 v[88:89], v[114:115], v[100:101]
	s_waitcnt vmcnt(6)
	v_fmac_f64_e32 v[88:89], v[116:117], v[102:103]
	s_waitcnt vmcnt(4) lgkmcnt(0)
	v_fmac_f64_e32 v[88:89], v[118:119], v[104:105]
	s_waitcnt vmcnt(2)
	v_fmac_f64_e32 v[88:89], v[92:93], v[106:107]
	ds_read_b128 v[92:95], v90 offset:448
	s_waitcnt vmcnt(0) lgkmcnt(0)
	v_fmac_f64_e32 v[88:89], v[96:97], v[92:93]
	buffer_load_dword v93, off, s[0:3], 0 offset:124
	buffer_load_dword v92, off, s[0:3], 0 offset:120
	buffer_load_dword v97, off, s[0:3], 0 offset:132
	buffer_load_dword v96, off, s[0:3], 0 offset:128
	s_waitcnt vmcnt(2)
	v_fmac_f64_e32 v[88:89], v[92:93], v[94:95]
	ds_read_b128 v[92:95], v90 offset:464
	s_waitcnt vmcnt(0) lgkmcnt(0)
	v_fmac_f64_e32 v[88:89], v[96:97], v[92:93]
	buffer_load_dword v93, off, s[0:3], 0 offset:140
	buffer_load_dword v92, off, s[0:3], 0 offset:136
	buffer_load_dword v97, off, s[0:3], 0 offset:148
	buffer_load_dword v96, off, s[0:3], 0 offset:144
	;; [unrolled: 9-line block ×12, first 2 shown]
	s_waitcnt vmcnt(2)
	v_fmac_f64_e32 v[88:89], v[92:93], v[94:95]
	ds_read_b128 v[92:95], v90 offset:640
	s_waitcnt vmcnt(0) lgkmcnt(0)
	v_fmac_f64_e32 v[88:89], v[96:97], v[92:93]
	buffer_load_dword v93, off, s[0:3], 0 offset:316
	buffer_load_dword v92, off, s[0:3], 0 offset:312
	s_waitcnt vmcnt(0)
	v_fmac_f64_e32 v[88:89], v[92:93], v[94:95]
	buffer_load_dword v95, off, s[0:3], 0 offset:324
	buffer_load_dword v94, off, s[0:3], 0 offset:320
	ds_read_b128 v[90:93], v90 offset:656
	s_waitcnt vmcnt(0) lgkmcnt(0)
	v_fmac_f64_e32 v[88:89], v[94:95], v[90:91]
	buffer_load_dword v91, off, s[0:3], 0 offset:332
	buffer_load_dword v90, off, s[0:3], 0 offset:328
	s_waitcnt vmcnt(0)
	v_fmac_f64_e32 v[88:89], v[90:91], v[92:93]
	v_add_f64 v[86:87], v[86:87], -v[88:89]
	buffer_store_dword v87, off, s[0:3], 0 offset:44
	buffer_store_dword v86, off, s[0:3], 0 offset:40
	s_and_saveexec_b64 s[4:5], vcc
	s_cbranch_execz .LBB41_251
; %bb.250:
	buffer_load_dword v86, off, s[0:3], 0 offset:32
	buffer_load_dword v87, off, s[0:3], 0 offset:36
	v_mov_b32_e32 v88, 0
	buffer_store_dword v88, off, s[0:3], 0 offset:32
	buffer_store_dword v88, off, s[0:3], 0 offset:36
	s_waitcnt vmcnt(2)
	ds_write_b64 v1, v[86:87]
.LBB41_251:
	s_or_b64 exec, exec, s[4:5]
	s_waitcnt lgkmcnt(0)
	; wave barrier
	s_waitcnt lgkmcnt(0)
	buffer_load_dword v86, off, s[0:3], 0 offset:32
	buffer_load_dword v87, off, s[0:3], 0 offset:36
	;; [unrolled: 1-line block ×16, first 2 shown]
	v_mov_b32_e32 v90, 0
	ds_read2_b64 v[92:95], v90 offset0:47 offset1:48
	v_cmp_lt_u32_e32 vcc, 3, v0
	s_waitcnt vmcnt(12) lgkmcnt(0)
	v_fma_f64 v[88:89], v[88:89], v[92:93], 0
	s_waitcnt vmcnt(10)
	v_fmac_f64_e32 v[88:89], v[96:97], v[94:95]
	ds_read2_b64 v[92:95], v90 offset0:49 offset1:50
	s_waitcnt vmcnt(8) lgkmcnt(0)
	v_fmac_f64_e32 v[88:89], v[98:99], v[92:93]
	s_waitcnt vmcnt(6)
	v_fmac_f64_e32 v[88:89], v[100:101], v[94:95]
	ds_read2_b64 v[92:95], v90 offset0:51 offset1:52
	s_waitcnt vmcnt(4) lgkmcnt(0)
	v_fmac_f64_e32 v[88:89], v[102:103], v[92:93]
	;; [unrolled: 5-line block ×3, first 2 shown]
	buffer_load_dword v93, off, s[0:3], 0 offset:100
	buffer_load_dword v92, off, s[0:3], 0 offset:96
	buffer_load_dword v97, off, s[0:3], 0 offset:108
	buffer_load_dword v96, off, s[0:3], 0 offset:104
	s_waitcnt vmcnt(2)
	v_fmac_f64_e32 v[88:89], v[92:93], v[94:95]
	ds_read2_b64 v[92:95], v90 offset0:55 offset1:56
	s_waitcnt vmcnt(0) lgkmcnt(0)
	v_fmac_f64_e32 v[88:89], v[96:97], v[92:93]
	buffer_load_dword v93, off, s[0:3], 0 offset:116
	buffer_load_dword v92, off, s[0:3], 0 offset:112
	buffer_load_dword v97, off, s[0:3], 0 offset:124
	buffer_load_dword v96, off, s[0:3], 0 offset:120
	s_waitcnt vmcnt(2)
	v_fmac_f64_e32 v[88:89], v[92:93], v[94:95]
	ds_read2_b64 v[92:95], v90 offset0:57 offset1:58
	s_waitcnt vmcnt(0) lgkmcnt(0)
	v_fmac_f64_e32 v[88:89], v[96:97], v[92:93]
	;; [unrolled: 9-line block ×14, first 2 shown]
	buffer_load_dword v93, off, s[0:3], 0 offset:324
	buffer_load_dword v92, off, s[0:3], 0 offset:320
	s_waitcnt vmcnt(0)
	v_fmac_f64_e32 v[88:89], v[92:93], v[94:95]
	buffer_load_dword v93, off, s[0:3], 0 offset:332
	buffer_load_dword v92, off, s[0:3], 0 offset:328
	ds_read_b64 v[94:95], v90 offset:664
	s_waitcnt vmcnt(0) lgkmcnt(0)
	v_fmac_f64_e32 v[88:89], v[92:93], v[94:95]
	v_add_f64 v[86:87], v[86:87], -v[88:89]
	buffer_store_dword v87, off, s[0:3], 0 offset:36
	buffer_store_dword v86, off, s[0:3], 0 offset:32
	s_and_saveexec_b64 s[4:5], vcc
	s_cbranch_execz .LBB41_253
; %bb.252:
	buffer_load_dword v86, off, s[0:3], 0 offset:24
	buffer_load_dword v87, off, s[0:3], 0 offset:28
	s_waitcnt vmcnt(0)
	ds_write_b64 v1, v[86:87]
	buffer_store_dword v90, off, s[0:3], 0 offset:24
	buffer_store_dword v90, off, s[0:3], 0 offset:28
.LBB41_253:
	s_or_b64 exec, exec, s[4:5]
	s_waitcnt lgkmcnt(0)
	; wave barrier
	s_waitcnt lgkmcnt(0)
	buffer_load_dword v86, off, s[0:3], 0 offset:24
	buffer_load_dword v87, off, s[0:3], 0 offset:28
	;; [unrolled: 1-line block ×16, first 2 shown]
	ds_read_b128 v[92:95], v90 offset:368
	ds_read_b128 v[96:99], v90 offset:384
	;; [unrolled: 1-line block ×4, first 2 shown]
	v_cmp_lt_u32_e32 vcc, 2, v0
	s_waitcnt vmcnt(12) lgkmcnt(3)
	v_fma_f64 v[88:89], v[88:89], v[92:93], 0
	buffer_load_dword v93, off, s[0:3], 0 offset:92
	buffer_load_dword v92, off, s[0:3], 0 offset:88
	s_waitcnt vmcnt(12)
	v_fmac_f64_e32 v[88:89], v[108:109], v[94:95]
	s_waitcnt vmcnt(10) lgkmcnt(2)
	v_fmac_f64_e32 v[88:89], v[110:111], v[96:97]
	buffer_load_dword v97, off, s[0:3], 0 offset:100
	buffer_load_dword v96, off, s[0:3], 0 offset:96
	s_waitcnt vmcnt(10)
	v_fmac_f64_e32 v[88:89], v[112:113], v[98:99]
	s_waitcnt vmcnt(8) lgkmcnt(1)
	v_fmac_f64_e32 v[88:89], v[114:115], v[100:101]
	s_waitcnt vmcnt(6)
	v_fmac_f64_e32 v[88:89], v[116:117], v[102:103]
	s_waitcnt vmcnt(4) lgkmcnt(0)
	v_fmac_f64_e32 v[88:89], v[118:119], v[104:105]
	s_waitcnt vmcnt(2)
	v_fmac_f64_e32 v[88:89], v[92:93], v[106:107]
	ds_read_b128 v[92:95], v90 offset:432
	s_waitcnt vmcnt(0) lgkmcnt(0)
	v_fmac_f64_e32 v[88:89], v[96:97], v[92:93]
	buffer_load_dword v93, off, s[0:3], 0 offset:108
	buffer_load_dword v92, off, s[0:3], 0 offset:104
	buffer_load_dword v97, off, s[0:3], 0 offset:116
	buffer_load_dword v96, off, s[0:3], 0 offset:112
	s_waitcnt vmcnt(2)
	v_fmac_f64_e32 v[88:89], v[92:93], v[94:95]
	ds_read_b128 v[92:95], v90 offset:448
	s_waitcnt vmcnt(0) lgkmcnt(0)
	v_fmac_f64_e32 v[88:89], v[96:97], v[92:93]
	buffer_load_dword v93, off, s[0:3], 0 offset:124
	buffer_load_dword v92, off, s[0:3], 0 offset:120
	buffer_load_dword v97, off, s[0:3], 0 offset:132
	buffer_load_dword v96, off, s[0:3], 0 offset:128
	;; [unrolled: 9-line block ×13, first 2 shown]
	s_waitcnt vmcnt(2)
	v_fmac_f64_e32 v[88:89], v[92:93], v[94:95]
	ds_read_b128 v[92:95], v90 offset:640
	s_waitcnt vmcnt(0) lgkmcnt(0)
	v_fmac_f64_e32 v[88:89], v[96:97], v[92:93]
	buffer_load_dword v93, off, s[0:3], 0 offset:316
	buffer_load_dword v92, off, s[0:3], 0 offset:312
	s_waitcnt vmcnt(0)
	v_fmac_f64_e32 v[88:89], v[92:93], v[94:95]
	buffer_load_dword v95, off, s[0:3], 0 offset:324
	buffer_load_dword v94, off, s[0:3], 0 offset:320
	ds_read_b128 v[90:93], v90 offset:656
	s_waitcnt vmcnt(0) lgkmcnt(0)
	v_fmac_f64_e32 v[88:89], v[94:95], v[90:91]
	buffer_load_dword v91, off, s[0:3], 0 offset:332
	buffer_load_dword v90, off, s[0:3], 0 offset:328
	s_waitcnt vmcnt(0)
	v_fmac_f64_e32 v[88:89], v[90:91], v[92:93]
	v_add_f64 v[86:87], v[86:87], -v[88:89]
	buffer_store_dword v87, off, s[0:3], 0 offset:28
	buffer_store_dword v86, off, s[0:3], 0 offset:24
	s_and_saveexec_b64 s[4:5], vcc
	s_cbranch_execz .LBB41_255
; %bb.254:
	buffer_load_dword v86, off, s[0:3], 0 offset:16
	buffer_load_dword v87, off, s[0:3], 0 offset:20
	v_mov_b32_e32 v88, 0
	buffer_store_dword v88, off, s[0:3], 0 offset:16
	buffer_store_dword v88, off, s[0:3], 0 offset:20
	s_waitcnt vmcnt(2)
	ds_write_b64 v1, v[86:87]
.LBB41_255:
	s_or_b64 exec, exec, s[4:5]
	s_waitcnt lgkmcnt(0)
	; wave barrier
	s_waitcnt lgkmcnt(0)
	buffer_load_dword v86, off, s[0:3], 0 offset:16
	buffer_load_dword v87, off, s[0:3], 0 offset:20
	buffer_load_dword v88, off, s[0:3], 0 offset:24
	buffer_load_dword v89, off, s[0:3], 0 offset:28
	buffer_load_dword v96, off, s[0:3], 0 offset:32
	buffer_load_dword v97, off, s[0:3], 0 offset:36
	buffer_load_dword v98, off, s[0:3], 0 offset:40
	buffer_load_dword v99, off, s[0:3], 0 offset:44
	buffer_load_dword v100, off, s[0:3], 0 offset:48
	buffer_load_dword v101, off, s[0:3], 0 offset:52
	buffer_load_dword v102, off, s[0:3], 0 offset:56
	buffer_load_dword v103, off, s[0:3], 0 offset:60
	buffer_load_dword v104, off, s[0:3], 0 offset:64
	buffer_load_dword v105, off, s[0:3], 0 offset:68
	buffer_load_dword v106, off, s[0:3], 0 offset:72
	buffer_load_dword v107, off, s[0:3], 0 offset:76
	v_mov_b32_e32 v90, 0
	ds_read2_b64 v[92:95], v90 offset0:45 offset1:46
	v_cmp_lt_u32_e32 vcc, 1, v0
	s_waitcnt vmcnt(12) lgkmcnt(0)
	v_fma_f64 v[88:89], v[88:89], v[92:93], 0
	s_waitcnt vmcnt(10)
	v_fmac_f64_e32 v[88:89], v[96:97], v[94:95]
	ds_read2_b64 v[92:95], v90 offset0:47 offset1:48
	s_waitcnt vmcnt(8) lgkmcnt(0)
	v_fmac_f64_e32 v[88:89], v[98:99], v[92:93]
	s_waitcnt vmcnt(6)
	v_fmac_f64_e32 v[88:89], v[100:101], v[94:95]
	ds_read2_b64 v[92:95], v90 offset0:49 offset1:50
	s_waitcnt vmcnt(4) lgkmcnt(0)
	v_fmac_f64_e32 v[88:89], v[102:103], v[92:93]
	;; [unrolled: 5-line block ×3, first 2 shown]
	buffer_load_dword v93, off, s[0:3], 0 offset:84
	buffer_load_dword v92, off, s[0:3], 0 offset:80
	buffer_load_dword v97, off, s[0:3], 0 offset:92
	buffer_load_dword v96, off, s[0:3], 0 offset:88
	s_waitcnt vmcnt(2)
	v_fmac_f64_e32 v[88:89], v[92:93], v[94:95]
	ds_read2_b64 v[92:95], v90 offset0:53 offset1:54
	s_waitcnt vmcnt(0) lgkmcnt(0)
	v_fmac_f64_e32 v[88:89], v[96:97], v[92:93]
	buffer_load_dword v93, off, s[0:3], 0 offset:100
	buffer_load_dword v92, off, s[0:3], 0 offset:96
	buffer_load_dword v97, off, s[0:3], 0 offset:108
	buffer_load_dword v96, off, s[0:3], 0 offset:104
	s_waitcnt vmcnt(2)
	v_fmac_f64_e32 v[88:89], v[92:93], v[94:95]
	ds_read2_b64 v[92:95], v90 offset0:55 offset1:56
	s_waitcnt vmcnt(0) lgkmcnt(0)
	v_fmac_f64_e32 v[88:89], v[96:97], v[92:93]
	;; [unrolled: 9-line block ×15, first 2 shown]
	buffer_load_dword v93, off, s[0:3], 0 offset:324
	buffer_load_dword v92, off, s[0:3], 0 offset:320
	s_waitcnt vmcnt(0)
	v_fmac_f64_e32 v[88:89], v[92:93], v[94:95]
	buffer_load_dword v93, off, s[0:3], 0 offset:332
	buffer_load_dword v92, off, s[0:3], 0 offset:328
	ds_read_b64 v[94:95], v90 offset:664
	s_waitcnt vmcnt(0) lgkmcnt(0)
	v_fmac_f64_e32 v[88:89], v[92:93], v[94:95]
	v_add_f64 v[86:87], v[86:87], -v[88:89]
	buffer_store_dword v87, off, s[0:3], 0 offset:20
	buffer_store_dword v86, off, s[0:3], 0 offset:16
	s_and_saveexec_b64 s[4:5], vcc
	s_cbranch_execz .LBB41_257
; %bb.256:
	buffer_load_dword v86, off, s[0:3], 0 offset:8
	buffer_load_dword v87, off, s[0:3], 0 offset:12
	s_waitcnt vmcnt(0)
	ds_write_b64 v1, v[86:87]
	buffer_store_dword v90, off, s[0:3], 0 offset:8
	buffer_store_dword v90, off, s[0:3], 0 offset:12
.LBB41_257:
	s_or_b64 exec, exec, s[4:5]
	s_waitcnt lgkmcnt(0)
	; wave barrier
	s_waitcnt lgkmcnt(0)
	buffer_load_dword v86, off, s[0:3], 0 offset:8
	buffer_load_dword v87, off, s[0:3], 0 offset:12
	;; [unrolled: 1-line block ×16, first 2 shown]
	ds_read_b128 v[92:95], v90 offset:352
	ds_read_b128 v[96:99], v90 offset:368
	ds_read_b128 v[100:103], v90 offset:384
	ds_read_b128 v[104:107], v90 offset:400
	v_cmp_ne_u32_e32 vcc, 0, v0
	s_waitcnt vmcnt(12) lgkmcnt(3)
	v_fma_f64 v[88:89], v[88:89], v[92:93], 0
	buffer_load_dword v93, off, s[0:3], 0 offset:76
	buffer_load_dword v92, off, s[0:3], 0 offset:72
	s_waitcnt vmcnt(12)
	v_fmac_f64_e32 v[88:89], v[108:109], v[94:95]
	s_waitcnt vmcnt(10) lgkmcnt(2)
	v_fmac_f64_e32 v[88:89], v[110:111], v[96:97]
	buffer_load_dword v97, off, s[0:3], 0 offset:84
	buffer_load_dword v96, off, s[0:3], 0 offset:80
	s_waitcnt vmcnt(10)
	v_fmac_f64_e32 v[88:89], v[112:113], v[98:99]
	s_waitcnt vmcnt(8) lgkmcnt(1)
	v_fmac_f64_e32 v[88:89], v[114:115], v[100:101]
	s_waitcnt vmcnt(6)
	v_fmac_f64_e32 v[88:89], v[116:117], v[102:103]
	s_waitcnt vmcnt(4) lgkmcnt(0)
	v_fmac_f64_e32 v[88:89], v[118:119], v[104:105]
	s_waitcnt vmcnt(2)
	v_fmac_f64_e32 v[88:89], v[92:93], v[106:107]
	ds_read_b128 v[92:95], v90 offset:416
	s_waitcnt vmcnt(0) lgkmcnt(0)
	v_fmac_f64_e32 v[88:89], v[96:97], v[92:93]
	buffer_load_dword v93, off, s[0:3], 0 offset:92
	buffer_load_dword v92, off, s[0:3], 0 offset:88
	buffer_load_dword v97, off, s[0:3], 0 offset:100
	buffer_load_dword v96, off, s[0:3], 0 offset:96
	s_waitcnt vmcnt(2)
	v_fmac_f64_e32 v[88:89], v[92:93], v[94:95]
	ds_read_b128 v[92:95], v90 offset:432
	s_waitcnt vmcnt(0) lgkmcnt(0)
	v_fmac_f64_e32 v[88:89], v[96:97], v[92:93]
	buffer_load_dword v93, off, s[0:3], 0 offset:108
	buffer_load_dword v92, off, s[0:3], 0 offset:104
	buffer_load_dword v97, off, s[0:3], 0 offset:116
	buffer_load_dword v96, off, s[0:3], 0 offset:112
	;; [unrolled: 9-line block ×14, first 2 shown]
	s_waitcnt vmcnt(2)
	v_fmac_f64_e32 v[88:89], v[92:93], v[94:95]
	ds_read_b128 v[92:95], v90 offset:640
	s_waitcnt vmcnt(0) lgkmcnt(0)
	v_fmac_f64_e32 v[88:89], v[96:97], v[92:93]
	buffer_load_dword v93, off, s[0:3], 0 offset:316
	buffer_load_dword v92, off, s[0:3], 0 offset:312
	s_waitcnt vmcnt(0)
	v_fmac_f64_e32 v[88:89], v[92:93], v[94:95]
	buffer_load_dword v95, off, s[0:3], 0 offset:324
	buffer_load_dword v94, off, s[0:3], 0 offset:320
	ds_read_b128 v[90:93], v90 offset:656
	s_waitcnt vmcnt(0) lgkmcnt(0)
	v_fmac_f64_e32 v[88:89], v[94:95], v[90:91]
	buffer_load_dword v91, off, s[0:3], 0 offset:332
	buffer_load_dword v90, off, s[0:3], 0 offset:328
	s_waitcnt vmcnt(0)
	v_fmac_f64_e32 v[88:89], v[90:91], v[92:93]
	v_add_f64 v[86:87], v[86:87], -v[88:89]
	buffer_store_dword v87, off, s[0:3], 0 offset:12
	buffer_store_dword v86, off, s[0:3], 0 offset:8
	s_and_saveexec_b64 s[4:5], vcc
	s_cbranch_execz .LBB41_259
; %bb.258:
	buffer_load_dword v86, off, s[0:3], 0
	buffer_load_dword v87, off, s[0:3], 0 offset:4
	v_mov_b32_e32 v0, 0
	buffer_store_dword v0, off, s[0:3], 0
	buffer_store_dword v0, off, s[0:3], 0 offset:4
	s_waitcnt vmcnt(2)
	ds_write_b64 v1, v[86:87]
.LBB41_259:
	s_or_b64 exec, exec, s[4:5]
	s_waitcnt lgkmcnt(0)
	; wave barrier
	s_waitcnt lgkmcnt(0)
	buffer_load_dword v0, off, s[0:3], 0
	buffer_load_dword v1, off, s[0:3], 0 offset:4
	buffer_load_dword v92, off, s[0:3], 0 offset:8
	;; [unrolled: 1-line block ×15, first 2 shown]
	v_mov_b32_e32 v90, 0
	ds_read2_b64 v[86:89], v90 offset0:43 offset1:44
	s_and_b64 vcc, exec, s[20:21]
	s_waitcnt vmcnt(12) lgkmcnt(0)
	v_fma_f64 v[86:87], v[92:93], v[86:87], 0
	s_waitcnt vmcnt(10)
	v_fmac_f64_e32 v[86:87], v[94:95], v[88:89]
	ds_read2_b64 v[92:95], v90 offset0:45 offset1:46
	s_waitcnt vmcnt(8) lgkmcnt(0)
	v_fmac_f64_e32 v[86:87], v[96:97], v[92:93]
	s_waitcnt vmcnt(6)
	v_fmac_f64_e32 v[86:87], v[98:99], v[94:95]
	ds_read2_b64 v[92:95], v90 offset0:47 offset1:48
	s_waitcnt vmcnt(4) lgkmcnt(0)
	v_fmac_f64_e32 v[86:87], v[100:101], v[92:93]
	s_waitcnt vmcnt(2)
	v_fmac_f64_e32 v[86:87], v[102:103], v[94:95]
	ds_read2_b64 v[92:95], v90 offset0:49 offset1:50
	buffer_load_dword v89, off, s[0:3], 0 offset:68
	buffer_load_dword v88, off, s[0:3], 0 offset:64
	s_waitcnt vmcnt(2) lgkmcnt(0)
	v_fmac_f64_e32 v[86:87], v[104:105], v[92:93]
	s_waitcnt vmcnt(0)
	v_fmac_f64_e32 v[86:87], v[88:89], v[94:95]
	buffer_load_dword v89, off, s[0:3], 0 offset:76
	buffer_load_dword v88, off, s[0:3], 0 offset:72
	ds_read2_b64 v[92:95], v90 offset0:51 offset1:52
	s_waitcnt vmcnt(0) lgkmcnt(0)
	v_fmac_f64_e32 v[86:87], v[88:89], v[92:93]
	buffer_load_dword v89, off, s[0:3], 0 offset:84
	buffer_load_dword v88, off, s[0:3], 0 offset:80
	s_waitcnt vmcnt(0)
	v_fmac_f64_e32 v[86:87], v[88:89], v[94:95]
	buffer_load_dword v89, off, s[0:3], 0 offset:92
	buffer_load_dword v88, off, s[0:3], 0 offset:88
	ds_read2_b64 v[92:95], v90 offset0:53 offset1:54
	s_waitcnt vmcnt(0) lgkmcnt(0)
	v_fmac_f64_e32 v[86:87], v[88:89], v[92:93]
	buffer_load_dword v89, off, s[0:3], 0 offset:100
	buffer_load_dword v88, off, s[0:3], 0 offset:96
	;; [unrolled: 9-line block ×16, first 2 shown]
	buffer_load_dword v93, off, s[0:3], 0 offset:332
	buffer_load_dword v92, off, s[0:3], 0 offset:328
	ds_read_b64 v[90:91], v90 offset:664
	s_waitcnt vmcnt(2)
	v_fmac_f64_e32 v[86:87], v[88:89], v[94:95]
	s_waitcnt vmcnt(0) lgkmcnt(0)
	v_fmac_f64_e32 v[86:87], v[92:93], v[90:91]
	v_add_f64 v[0:1], v[0:1], -v[86:87]
	buffer_store_dword v1, off, s[0:3], 0 offset:4
	buffer_store_dword v0, off, s[0:3], 0
	s_cbranch_vccz .LBB41_343
; %bb.260:
	v_pk_mov_b32 v[0:1], s[10:11], s[10:11] op_sel:[0,1]
	flat_load_dword v0, v[0:1] offset:160
	s_waitcnt vmcnt(0) lgkmcnt(0)
	v_add_u32_e32 v0, -1, v0
	v_cmp_ne_u32_e32 vcc, 40, v0
	s_and_saveexec_b64 s[4:5], vcc
	s_cbranch_execz .LBB41_262
; %bb.261:
	v_mov_b32_e32 v1, 0
	v_lshl_add_u32 v0, v0, 3, v1
	buffer_load_dword v1, v0, s[0:3], 0 offen offset:4
	buffer_load_dword v86, v0, s[0:3], 0 offen
	s_waitcnt vmcnt(1)
	buffer_store_dword v1, off, s[0:3], 0 offset:324
	s_waitcnt vmcnt(1)
	buffer_store_dword v86, off, s[0:3], 0 offset:320
	buffer_store_dword v89, v0, s[0:3], 0 offen offset:4
	buffer_store_dword v88, v0, s[0:3], 0 offen
.LBB41_262:
	s_or_b64 exec, exec, s[4:5]
	v_pk_mov_b32 v[0:1], s[10:11], s[10:11] op_sel:[0,1]
	flat_load_dword v0, v[0:1] offset:156
	s_waitcnt vmcnt(0) lgkmcnt(0)
	v_add_u32_e32 v0, -1, v0
	v_cmp_ne_u32_e32 vcc, 39, v0
	s_and_saveexec_b64 s[4:5], vcc
	s_cbranch_execz .LBB41_264
; %bb.263:
	v_mov_b32_e32 v1, 0
	v_lshl_add_u32 v0, v0, 3, v1
	buffer_load_dword v1, v0, s[0:3], 0 offen
	buffer_load_dword v86, v0, s[0:3], 0 offen offset:4
	buffer_load_dword v87, off, s[0:3], 0 offset:312
	buffer_load_dword v88, off, s[0:3], 0 offset:316
	s_waitcnt vmcnt(3)
	buffer_store_dword v1, off, s[0:3], 0 offset:312
	s_waitcnt vmcnt(3)
	buffer_store_dword v86, off, s[0:3], 0 offset:316
	s_waitcnt vmcnt(3)
	buffer_store_dword v87, v0, s[0:3], 0 offen
	s_waitcnt vmcnt(3)
	buffer_store_dword v88, v0, s[0:3], 0 offen offset:4
.LBB41_264:
	s_or_b64 exec, exec, s[4:5]
	v_pk_mov_b32 v[0:1], s[10:11], s[10:11] op_sel:[0,1]
	flat_load_dword v0, v[0:1] offset:152
	s_waitcnt vmcnt(0) lgkmcnt(0)
	v_add_u32_e32 v0, -1, v0
	v_cmp_ne_u32_e32 vcc, 38, v0
	s_and_saveexec_b64 s[4:5], vcc
	s_cbranch_execz .LBB41_266
; %bb.265:
	v_mov_b32_e32 v1, 0
	v_lshl_add_u32 v0, v0, 3, v1
	buffer_load_dword v1, v0, s[0:3], 0 offen
	buffer_load_dword v86, v0, s[0:3], 0 offen offset:4
	buffer_load_dword v87, off, s[0:3], 0 offset:308
	buffer_load_dword v88, off, s[0:3], 0 offset:304
	s_waitcnt vmcnt(3)
	buffer_store_dword v1, off, s[0:3], 0 offset:304
	s_waitcnt vmcnt(3)
	buffer_store_dword v86, off, s[0:3], 0 offset:308
	s_waitcnt vmcnt(3)
	buffer_store_dword v87, v0, s[0:3], 0 offen offset:4
	s_waitcnt vmcnt(3)
	buffer_store_dword v88, v0, s[0:3], 0 offen
.LBB41_266:
	s_or_b64 exec, exec, s[4:5]
	v_pk_mov_b32 v[0:1], s[10:11], s[10:11] op_sel:[0,1]
	flat_load_dword v0, v[0:1] offset:148
	s_waitcnt vmcnt(0) lgkmcnt(0)
	v_add_u32_e32 v0, -1, v0
	v_cmp_ne_u32_e32 vcc, 37, v0
	s_and_saveexec_b64 s[4:5], vcc
	s_cbranch_execz .LBB41_268
; %bb.267:
	v_mov_b32_e32 v1, 0
	v_lshl_add_u32 v0, v0, 3, v1
	buffer_load_dword v1, v0, s[0:3], 0 offen
	buffer_load_dword v86, v0, s[0:3], 0 offen offset:4
	buffer_load_dword v87, off, s[0:3], 0 offset:296
	buffer_load_dword v88, off, s[0:3], 0 offset:300
	s_waitcnt vmcnt(3)
	buffer_store_dword v1, off, s[0:3], 0 offset:296
	s_waitcnt vmcnt(3)
	buffer_store_dword v86, off, s[0:3], 0 offset:300
	s_waitcnt vmcnt(3)
	buffer_store_dword v87, v0, s[0:3], 0 offen
	s_waitcnt vmcnt(3)
	buffer_store_dword v88, v0, s[0:3], 0 offen offset:4
.LBB41_268:
	s_or_b64 exec, exec, s[4:5]
	v_pk_mov_b32 v[0:1], s[10:11], s[10:11] op_sel:[0,1]
	flat_load_dword v0, v[0:1] offset:144
	s_waitcnt vmcnt(0) lgkmcnt(0)
	v_add_u32_e32 v0, -1, v0
	v_cmp_ne_u32_e32 vcc, 36, v0
	s_and_saveexec_b64 s[4:5], vcc
	s_cbranch_execz .LBB41_270
; %bb.269:
	v_mov_b32_e32 v1, 0
	v_lshl_add_u32 v0, v0, 3, v1
	buffer_load_dword v1, v0, s[0:3], 0 offen
	buffer_load_dword v86, v0, s[0:3], 0 offen offset:4
	buffer_load_dword v87, off, s[0:3], 0 offset:292
	buffer_load_dword v88, off, s[0:3], 0 offset:288
	s_waitcnt vmcnt(3)
	buffer_store_dword v1, off, s[0:3], 0 offset:288
	s_waitcnt vmcnt(3)
	buffer_store_dword v86, off, s[0:3], 0 offset:292
	s_waitcnt vmcnt(3)
	buffer_store_dword v87, v0, s[0:3], 0 offen offset:4
	s_waitcnt vmcnt(3)
	buffer_store_dword v88, v0, s[0:3], 0 offen
.LBB41_270:
	;; [unrolled: 48-line block ×19, first 2 shown]
	s_or_b64 exec, exec, s[4:5]
	v_pk_mov_b32 v[0:1], s[10:11], s[10:11] op_sel:[0,1]
	flat_load_dword v0, v[0:1] offset:4
	s_waitcnt vmcnt(0) lgkmcnt(0)
	v_add_u32_e32 v0, -1, v0
	v_cmp_ne_u32_e32 vcc, 1, v0
	s_and_saveexec_b64 s[4:5], vcc
	s_cbranch_execz .LBB41_340
; %bb.339:
	v_mov_b32_e32 v1, 0
	v_lshl_add_u32 v0, v0, 3, v1
	buffer_load_dword v1, v0, s[0:3], 0 offen
	buffer_load_dword v86, v0, s[0:3], 0 offen offset:4
	buffer_load_dword v87, off, s[0:3], 0 offset:8
	buffer_load_dword v88, off, s[0:3], 0 offset:12
	s_waitcnt vmcnt(3)
	buffer_store_dword v1, off, s[0:3], 0 offset:8
	s_waitcnt vmcnt(3)
	buffer_store_dword v86, off, s[0:3], 0 offset:12
	s_waitcnt vmcnt(3)
	buffer_store_dword v87, v0, s[0:3], 0 offen
	s_waitcnt vmcnt(3)
	buffer_store_dword v88, v0, s[0:3], 0 offen offset:4
.LBB41_340:
	s_or_b64 exec, exec, s[4:5]
	v_pk_mov_b32 v[0:1], s[10:11], s[10:11] op_sel:[0,1]
	flat_load_dword v86, v[0:1]
	s_nop 0
	buffer_load_dword v0, off, s[0:3], 0
	buffer_load_dword v1, off, s[0:3], 0 offset:4
	s_waitcnt vmcnt(0) lgkmcnt(0)
	v_add_u32_e32 v86, -1, v86
	v_cmp_ne_u32_e32 vcc, 0, v86
	s_and_saveexec_b64 s[4:5], vcc
	s_cbranch_execz .LBB41_342
; %bb.341:
	v_mov_b32_e32 v87, 0
	v_lshl_add_u32 v86, v86, 3, v87
	buffer_load_dword v87, v86, s[0:3], 0 offen offset:4
	buffer_load_dword v88, v86, s[0:3], 0 offen
	s_waitcnt vmcnt(1)
	buffer_store_dword v87, off, s[0:3], 0 offset:4
	s_waitcnt vmcnt(1)
	buffer_store_dword v88, off, s[0:3], 0
	buffer_store_dword v1, v86, s[0:3], 0 offen offset:4
	buffer_store_dword v0, v86, s[0:3], 0 offen
	buffer_load_dword v0, off, s[0:3], 0
	s_nop 0
	buffer_load_dword v1, off, s[0:3], 0 offset:4
.LBB41_342:
	s_or_b64 exec, exec, s[4:5]
.LBB41_343:
	s_waitcnt vmcnt(0)
	global_store_dwordx2 v[84:85], v[0:1], off
	buffer_load_dword v0, off, s[0:3], 0 offset:8
	s_nop 0
	buffer_load_dword v1, off, s[0:3], 0 offset:12
	buffer_load_dword v84, off, s[0:3], 0 offset:16
	;; [unrolled: 1-line block ×15, first 2 shown]
	s_waitcnt vmcnt(14)
	global_store_dwordx2 v[82:83], v[0:1], off
	s_waitcnt vmcnt(13)
	global_store_dwordx2 v[2:3], v[84:85], off
	;; [unrolled: 2-line block ×8, first 2 shown]
	buffer_load_dword v0, off, s[0:3], 0 offset:72
	buffer_load_dword v1, off, s[0:3], 0 offset:76
	s_waitcnt vmcnt(0)
	global_store_dwordx2 v[14:15], v[0:1], off
	buffer_load_dword v0, off, s[0:3], 0 offset:80
	s_nop 0
	buffer_load_dword v1, off, s[0:3], 0 offset:84
	s_waitcnt vmcnt(0)
	global_store_dwordx2 v[16:17], v[0:1], off
	buffer_load_dword v0, off, s[0:3], 0 offset:88
	s_nop 0
	;; [unrolled: 5-line block ×32, first 2 shown]
	buffer_load_dword v1, off, s[0:3], 0 offset:332
	s_waitcnt vmcnt(0)
	global_store_dwordx2 v[66:67], v[0:1], off
	s_endpgm
	.section	.rodata,"a",@progbits
	.p2align	6, 0x0
	.amdhsa_kernel _ZN9rocsolver6v33100L18getri_kernel_smallILi42EdPdEEvT1_iilPiilS4_bb
		.amdhsa_group_segment_fixed_size 680
		.amdhsa_private_segment_fixed_size 352
		.amdhsa_kernarg_size 60
		.amdhsa_user_sgpr_count 8
		.amdhsa_user_sgpr_private_segment_buffer 1
		.amdhsa_user_sgpr_dispatch_ptr 0
		.amdhsa_user_sgpr_queue_ptr 0
		.amdhsa_user_sgpr_kernarg_segment_ptr 1
		.amdhsa_user_sgpr_dispatch_id 0
		.amdhsa_user_sgpr_flat_scratch_init 1
		.amdhsa_user_sgpr_kernarg_preload_length 0
		.amdhsa_user_sgpr_kernarg_preload_offset 0
		.amdhsa_user_sgpr_private_segment_size 0
		.amdhsa_uses_dynamic_stack 0
		.amdhsa_system_sgpr_private_segment_wavefront_offset 1
		.amdhsa_system_sgpr_workgroup_id_x 1
		.amdhsa_system_sgpr_workgroup_id_y 0
		.amdhsa_system_sgpr_workgroup_id_z 0
		.amdhsa_system_sgpr_workgroup_info 0
		.amdhsa_system_vgpr_workitem_id 0
		.amdhsa_next_free_vgpr 126
		.amdhsa_next_free_sgpr 23
		.amdhsa_accum_offset 128
		.amdhsa_reserve_vcc 1
		.amdhsa_reserve_flat_scratch 1
		.amdhsa_float_round_mode_32 0
		.amdhsa_float_round_mode_16_64 0
		.amdhsa_float_denorm_mode_32 3
		.amdhsa_float_denorm_mode_16_64 3
		.amdhsa_dx10_clamp 1
		.amdhsa_ieee_mode 1
		.amdhsa_fp16_overflow 0
		.amdhsa_tg_split 0
		.amdhsa_exception_fp_ieee_invalid_op 0
		.amdhsa_exception_fp_denorm_src 0
		.amdhsa_exception_fp_ieee_div_zero 0
		.amdhsa_exception_fp_ieee_overflow 0
		.amdhsa_exception_fp_ieee_underflow 0
		.amdhsa_exception_fp_ieee_inexact 0
		.amdhsa_exception_int_div_zero 0
	.end_amdhsa_kernel
	.section	.text._ZN9rocsolver6v33100L18getri_kernel_smallILi42EdPdEEvT1_iilPiilS4_bb,"axG",@progbits,_ZN9rocsolver6v33100L18getri_kernel_smallILi42EdPdEEvT1_iilPiilS4_bb,comdat
.Lfunc_end41:
	.size	_ZN9rocsolver6v33100L18getri_kernel_smallILi42EdPdEEvT1_iilPiilS4_bb, .Lfunc_end41-_ZN9rocsolver6v33100L18getri_kernel_smallILi42EdPdEEvT1_iilPiilS4_bb
                                        ; -- End function
	.section	.AMDGPU.csdata,"",@progbits
; Kernel info:
; codeLenInByte = 46216
; NumSgprs: 29
; NumVgprs: 126
; NumAgprs: 0
; TotalNumVgprs: 126
; ScratchSize: 352
; MemoryBound: 0
; FloatMode: 240
; IeeeMode: 1
; LDSByteSize: 680 bytes/workgroup (compile time only)
; SGPRBlocks: 3
; VGPRBlocks: 15
; NumSGPRsForWavesPerEU: 29
; NumVGPRsForWavesPerEU: 126
; AccumOffset: 128
; Occupancy: 4
; WaveLimiterHint : 1
; COMPUTE_PGM_RSRC2:SCRATCH_EN: 1
; COMPUTE_PGM_RSRC2:USER_SGPR: 8
; COMPUTE_PGM_RSRC2:TRAP_HANDLER: 0
; COMPUTE_PGM_RSRC2:TGID_X_EN: 1
; COMPUTE_PGM_RSRC2:TGID_Y_EN: 0
; COMPUTE_PGM_RSRC2:TGID_Z_EN: 0
; COMPUTE_PGM_RSRC2:TIDIG_COMP_CNT: 0
; COMPUTE_PGM_RSRC3_GFX90A:ACCUM_OFFSET: 31
; COMPUTE_PGM_RSRC3_GFX90A:TG_SPLIT: 0
	.section	.text._ZN9rocsolver6v33100L18getri_kernel_smallILi43EdPdEEvT1_iilPiilS4_bb,"axG",@progbits,_ZN9rocsolver6v33100L18getri_kernel_smallILi43EdPdEEvT1_iilPiilS4_bb,comdat
	.globl	_ZN9rocsolver6v33100L18getri_kernel_smallILi43EdPdEEvT1_iilPiilS4_bb ; -- Begin function _ZN9rocsolver6v33100L18getri_kernel_smallILi43EdPdEEvT1_iilPiilS4_bb
	.p2align	8
	.type	_ZN9rocsolver6v33100L18getri_kernel_smallILi43EdPdEEvT1_iilPiilS4_bb,@function
_ZN9rocsolver6v33100L18getri_kernel_smallILi43EdPdEEvT1_iilPiilS4_bb: ; @_ZN9rocsolver6v33100L18getri_kernel_smallILi43EdPdEEvT1_iilPiilS4_bb
; %bb.0:
	s_add_u32 flat_scratch_lo, s6, s9
	s_addc_u32 flat_scratch_hi, s7, 0
	s_add_u32 s0, s0, s9
	s_addc_u32 s1, s1, 0
	v_cmp_gt_u32_e32 vcc, 43, v0
	s_and_saveexec_b64 s[6:7], vcc
	s_cbranch_execz .LBB42_180
; %bb.1:
	s_load_dword s22, s[4:5], 0x38
	s_load_dwordx4 s[16:19], s[4:5], 0x10
	s_load_dwordx4 s[12:15], s[4:5], 0x28
                                        ; implicit-def: $sgpr10_sgpr11
	s_waitcnt lgkmcnt(0)
	s_bitcmp1_b32 s22, 8
	s_cselect_b64 s[20:21], -1, 0
	s_ashr_i32 s9, s8, 31
	s_bfe_u32 s6, s22, 0x10008
	s_cmp_eq_u32 s6, 0
	s_cbranch_scc1 .LBB42_3
; %bb.2:
	s_load_dword s6, s[4:5], 0x20
	s_mul_i32 s7, s8, s13
	s_mul_hi_u32 s10, s8, s12
	s_mul_i32 s11, s9, s12
	s_add_i32 s10, s10, s7
	s_add_i32 s11, s10, s11
	s_mul_i32 s10, s8, s12
	s_waitcnt lgkmcnt(0)
	s_ashr_i32 s7, s6, 31
	s_lshl_b64 s[10:11], s[10:11], 2
	s_add_u32 s10, s18, s10
	s_addc_u32 s11, s19, s11
	s_lshl_b64 s[6:7], s[6:7], 2
	s_add_u32 s10, s10, s6
	s_addc_u32 s11, s11, s7
.LBB42_3:
	s_load_dwordx4 s[4:7], s[4:5], 0x0
	s_mul_i32 s12, s8, s17
	s_mul_hi_u32 s13, s8, s16
	s_add_i32 s17, s13, s12
	s_waitcnt lgkmcnt(0)
	s_ashr_i32 s13, s6, 31
	s_mov_b32 s12, s6
	s_mul_i32 s6, s9, s16
	s_add_i32 s17, s17, s6
	s_mul_i32 s16, s8, s16
	s_lshl_b64 s[16:17], s[16:17], 3
	s_add_u32 s6, s4, s16
	s_addc_u32 s16, s5, s17
	s_lshl_b64 s[4:5], s[12:13], 3
	s_add_u32 s4, s6, s4
	s_addc_u32 s5, s16, s5
	s_add_i32 s6, s7, s7
	v_add_u32_e32 v4, s6, v0
	v_ashrrev_i32_e32 v5, 31, v4
	v_lshlrev_b64 v[2:3], 3, v[4:5]
	v_add_u32_e32 v6, s7, v4
	v_mov_b32_e32 v1, s5
	v_add_co_u32_e32 v2, vcc, s4, v2
	v_ashrrev_i32_e32 v7, 31, v6
	v_addc_co_u32_e32 v3, vcc, v1, v3, vcc
	v_lshlrev_b64 v[4:5], 3, v[6:7]
	v_add_u32_e32 v8, s7, v6
	v_add_co_u32_e32 v4, vcc, s4, v4
	v_ashrrev_i32_e32 v9, 31, v8
	v_addc_co_u32_e32 v5, vcc, v1, v5, vcc
	v_lshlrev_b64 v[6:7], 3, v[8:9]
	v_add_u32_e32 v10, s7, v8
	;; [unrolled: 5-line block ×5, first 2 shown]
	v_add_co_u32_e32 v12, vcc, s4, v12
	v_ashrrev_i32_e32 v15, 31, v14
	v_addc_co_u32_e32 v13, vcc, v1, v13, vcc
	v_lshlrev_b64 v[16:17], 3, v[14:15]
	v_add_co_u32_e32 v18, vcc, s4, v16
	v_add_u32_e32 v16, s7, v14
	v_addc_co_u32_e32 v19, vcc, v1, v17, vcc
	v_ashrrev_i32_e32 v17, 31, v16
	v_lshlrev_b64 v[14:15], 3, v[16:17]
	v_add_u32_e32 v20, s7, v16
	v_add_co_u32_e32 v14, vcc, s4, v14
	v_ashrrev_i32_e32 v21, 31, v20
	v_addc_co_u32_e32 v15, vcc, v1, v15, vcc
	v_lshlrev_b64 v[16:17], 3, v[20:21]
	v_add_u32_e32 v22, s7, v20
	v_add_co_u32_e32 v16, vcc, s4, v16
	v_ashrrev_i32_e32 v23, 31, v22
	v_addc_co_u32_e32 v17, vcc, v1, v17, vcc
	;; [unrolled: 5-line block ×25, first 2 shown]
	v_lshlrev_b64 v[66:67], 3, v[68:69]
	v_add_co_u32_e32 v66, vcc, s4, v66
	v_add_u32_e32 v70, s7, v68
	v_addc_co_u32_e32 v67, vcc, v1, v67, vcc
	v_ashrrev_i32_e32 v71, 31, v70
	v_lshlrev_b32_e32 v1, 3, v0
	v_lshlrev_b64 v[68:69], 3, v[70:71]
	global_load_dwordx2 v[88:89], v1, s[4:5]
	global_load_dwordx2 v[92:93], v[2:3], off
	global_load_dwordx2 v[94:95], v[4:5], off
	;; [unrolled: 1-line block ×3, first 2 shown]
	v_mov_b32_e32 v71, s5
	v_add_co_u32_e32 v86, vcc, s4, v1
	s_ashr_i32 s13, s7, 31
	s_mov_b32 s12, s7
	v_addc_co_u32_e32 v87, vcc, 0, v71, vcc
	s_lshl_b64 s[12:13], s[12:13], 3
	v_mov_b32_e32 v71, s13
	v_add_co_u32_e32 v84, vcc, s12, v86
	v_addc_co_u32_e32 v85, vcc, v87, v71, vcc
	global_load_dwordx2 v[90:91], v[84:85], off
	global_load_dwordx2 v[98:99], v[8:9], off
	;; [unrolled: 1-line block ×4, first 2 shown]
	v_add_u32_e32 v70, s7, v70
	v_mov_b32_e32 v72, s5
	v_add_co_u32_e32 v68, vcc, s4, v68
	v_ashrrev_i32_e32 v71, 31, v70
	v_addc_co_u32_e32 v69, vcc, v72, v69, vcc
	v_lshlrev_b64 v[72:73], 3, v[70:71]
	v_add_u32_e32 v70, s7, v70
	v_mov_b32_e32 v74, s5
	v_add_co_u32_e32 v72, vcc, s4, v72
	v_ashrrev_i32_e32 v71, 31, v70
	v_addc_co_u32_e32 v73, vcc, v74, v73, vcc
	v_lshlrev_b64 v[74:75], 3, v[70:71]
	;; [unrolled: 6-line block ×7, first 2 shown]
	global_load_dwordx2 v[104:105], v[18:19], off
	global_load_dwordx2 v[108:109], v[16:17], off
	;; [unrolled: 1-line block ×3, first 2 shown]
	v_mov_b32_e32 v118, s5
	global_load_dwordx2 v[110:111], v[20:21], off
	global_load_dwordx2 v[112:113], v[22:23], off
	;; [unrolled: 1-line block ×4, first 2 shown]
	v_add_co_u32_e32 v70, vcc, s4, v70
	v_addc_co_u32_e32 v71, vcc, v118, v71, vcc
	global_load_dwordx2 v[118:119], v[28:29], off
	global_load_dwordx2 v[120:121], v[30:31], off
	;; [unrolled: 1-line block ×3, first 2 shown]
	s_waitcnt vmcnt(17)
	buffer_store_dword v89, off, s[0:3], 0 offset:4
	buffer_store_dword v88, off, s[0:3], 0
	global_load_dwordx2 v[88:89], v[32:33], off
	s_waitcnt vmcnt(16)
	buffer_store_dword v91, off, s[0:3], 0 offset:12
	buffer_store_dword v90, off, s[0:3], 0 offset:8
	global_load_dwordx2 v[90:91], v[34:35], off
	s_nop 0
	buffer_store_dword v93, off, s[0:3], 0 offset:20
	buffer_store_dword v92, off, s[0:3], 0 offset:16
	global_load_dwordx2 v[92:93], v[36:37], off
	s_nop 0
	;; [unrolled: 4-line block ×3, first 2 shown]
	buffer_store_dword v97, off, s[0:3], 0 offset:36
	buffer_store_dword v96, off, s[0:3], 0 offset:32
	global_load_dwordx2 v[96:97], v[40:41], off
	s_waitcnt vmcnt(27)
	buffer_store_dword v99, off, s[0:3], 0 offset:44
	buffer_store_dword v98, off, s[0:3], 0 offset:40
	global_load_dwordx2 v[98:99], v[42:43], off
	s_waitcnt vmcnt(29)
	buffer_store_dword v101, off, s[0:3], 0 offset:52
	buffer_store_dword v100, off, s[0:3], 0 offset:48
	global_load_dwordx2 v[100:101], v[44:45], off
	s_waitcnt vmcnt(31)
	buffer_store_dword v103, off, s[0:3], 0 offset:60
	buffer_store_dword v102, off, s[0:3], 0 offset:56
	global_load_dwordx2 v[102:103], v[46:47], off
	s_waitcnt vmcnt(33)
	buffer_store_dword v105, off, s[0:3], 0 offset:68
	buffer_store_dword v104, off, s[0:3], 0 offset:64
	s_waitcnt vmcnt(33)
	buffer_store_dword v106, off, s[0:3], 0 offset:72
	buffer_store_dword v107, off, s[0:3], 0 offset:76
	;; [unrolled: 1-line block ×4, first 2 shown]
	s_waitcnt vmcnt(36)
	buffer_store_dword v110, off, s[0:3], 0 offset:88
	buffer_store_dword v111, off, s[0:3], 0 offset:92
	s_waitcnt vmcnt(37)
	buffer_store_dword v112, off, s[0:3], 0 offset:96
	buffer_store_dword v113, off, s[0:3], 0 offset:100
	;; [unrolled: 3-line block ×6, first 2 shown]
	global_load_dwordx2 v[104:105], v[48:49], off
	global_load_dwordx2 v[106:107], v[50:51], off
	;; [unrolled: 1-line block ×9, first 2 shown]
	s_bitcmp0_b32 s22, 0
	s_waitcnt vmcnt(48)
	buffer_store_dword v88, off, s[0:3], 0 offset:136
	buffer_store_dword v89, off, s[0:3], 0 offset:140
	global_load_dwordx2 v[88:89], v[52:53], off
	s_mov_b64 s[6:7], -1
	s_waitcnt vmcnt(48)
	buffer_store_dword v90, off, s[0:3], 0 offset:144
	buffer_store_dword v91, off, s[0:3], 0 offset:148
	global_load_dwordx2 v[90:91], v[56:57], off
	s_waitcnt vmcnt(48)
	buffer_store_dword v93, off, s[0:3], 0 offset:156
	buffer_store_dword v92, off, s[0:3], 0 offset:152
	global_load_dwordx2 v[92:93], v[60:61], off
	;; [unrolled: 4-line block ×7, first 2 shown]
	s_waitcnt vmcnt(32)
	buffer_store_dword v105, off, s[0:3], 0 offset:204
	buffer_store_dword v104, off, s[0:3], 0 offset:200
	s_waitcnt vmcnt(33)
	buffer_store_dword v107, off, s[0:3], 0 offset:212
	buffer_store_dword v106, off, s[0:3], 0 offset:208
	;; [unrolled: 3-line block ×3, first 2 shown]
	buffer_store_dword v108, off, s[0:3], 0 offset:224
	buffer_store_dword v109, off, s[0:3], 0 offset:228
	s_waitcnt vmcnt(26)
	buffer_store_dword v90, off, s[0:3], 0 offset:232
	buffer_store_dword v91, off, s[0:3], 0 offset:236
	buffer_store_dword v110, off, s[0:3], 0 offset:240
	buffer_store_dword v111, off, s[0:3], 0 offset:244
	s_waitcnt vmcnt(27)
	buffer_store_dword v93, off, s[0:3], 0 offset:252
	buffer_store_dword v92, off, s[0:3], 0 offset:248
	;; [unrolled: 5-line block ×7, first 2 shown]
	buffer_store_dword v122, off, s[0:3], 0 offset:336
	buffer_store_dword v123, off, s[0:3], 0 offset:340
	s_cbranch_scc1 .LBB42_178
; %bb.4:
	v_cmp_eq_u32_e64 s[4:5], 0, v0
	s_and_saveexec_b64 s[6:7], s[4:5]
	s_cbranch_execz .LBB42_6
; %bb.5:
	v_mov_b32_e32 v88, 0
	ds_write_b32 v88, v88 offset:344
.LBB42_6:
	s_or_b64 exec, exec, s[6:7]
	v_mov_b32_e32 v88, 0
	v_lshl_add_u32 v88, v0, 3, v88
	s_waitcnt lgkmcnt(0)
	; wave barrier
	s_waitcnt lgkmcnt(0)
	buffer_load_dword v90, v88, s[0:3], 0 offen
	buffer_load_dword v91, v88, s[0:3], 0 offen offset:4
	s_waitcnt vmcnt(0)
	v_cmp_eq_f64_e32 vcc, 0, v[90:91]
	s_and_saveexec_b64 s[12:13], vcc
	s_cbranch_execz .LBB42_10
; %bb.7:
	v_mov_b32_e32 v89, 0
	ds_read_b32 v91, v89 offset:344
	v_add_u32_e32 v90, 1, v0
	s_waitcnt lgkmcnt(0)
	v_readfirstlane_b32 s6, v91
	s_cmp_eq_u32 s6, 0
	s_cselect_b64 s[16:17], -1, 0
	v_cmp_gt_i32_e32 vcc, s6, v90
	s_or_b64 s[16:17], s[16:17], vcc
	s_and_b64 exec, exec, s[16:17]
	s_cbranch_execz .LBB42_10
; %bb.8:
	s_mov_b64 s[16:17], 0
	v_mov_b32_e32 v91, s6
.LBB42_9:                               ; =>This Inner Loop Header: Depth=1
	ds_cmpst_rtn_b32 v91, v89, v91, v90 offset:344
	s_waitcnt lgkmcnt(0)
	v_cmp_ne_u32_e32 vcc, 0, v91
	v_cmp_le_i32_e64 s[6:7], v91, v90
	s_and_b64 s[6:7], vcc, s[6:7]
	s_and_b64 s[6:7], exec, s[6:7]
	s_or_b64 s[16:17], s[6:7], s[16:17]
	s_andn2_b64 exec, exec, s[16:17]
	s_cbranch_execnz .LBB42_9
.LBB42_10:
	s_or_b64 exec, exec, s[12:13]
	v_mov_b32_e32 v90, 0
	s_waitcnt lgkmcnt(0)
	; wave barrier
	ds_read_b32 v89, v90 offset:344
	s_and_saveexec_b64 s[6:7], s[4:5]
	s_cbranch_execz .LBB42_12
; %bb.11:
	s_lshl_b64 s[12:13], s[8:9], 2
	s_add_u32 s12, s14, s12
	s_addc_u32 s13, s15, s13
	s_waitcnt lgkmcnt(0)
	global_store_dword v90, v89, s[12:13]
.LBB42_12:
	s_or_b64 exec, exec, s[6:7]
	s_waitcnt lgkmcnt(0)
	v_cmp_ne_u32_e32 vcc, 0, v89
	s_mov_b64 s[6:7], 0
	s_cbranch_vccnz .LBB42_178
; %bb.13:
	buffer_load_dword v90, v88, s[0:3], 0 offen
	buffer_load_dword v91, v88, s[0:3], 0 offen offset:4
	s_waitcnt vmcnt(0)
	v_div_scale_f64 v[92:93], s[6:7], v[90:91], v[90:91], 1.0
	v_rcp_f64_e32 v[94:95], v[92:93]
	v_div_scale_f64 v[96:97], vcc, 1.0, v[90:91], 1.0
	v_fma_f64 v[98:99], -v[92:93], v[94:95], 1.0
	v_fmac_f64_e32 v[94:95], v[94:95], v[98:99]
	v_fma_f64 v[98:99], -v[92:93], v[94:95], 1.0
	v_fmac_f64_e32 v[94:95], v[94:95], v[98:99]
	v_mul_f64 v[98:99], v[96:97], v[94:95]
	v_fma_f64 v[92:93], -v[92:93], v[98:99], v[96:97]
	v_div_fmas_f64 v[92:93], v[92:93], v[94:95], v[98:99]
	v_div_fixup_f64 v[92:93], v[92:93], v[90:91], 1.0
	buffer_store_dword v93, v88, s[0:3], 0 offen offset:4
	buffer_store_dword v92, v88, s[0:3], 0 offen
	buffer_load_dword v95, off, s[0:3], 0 offset:12
	buffer_load_dword v94, off, s[0:3], 0 offset:8
	v_add_u32_e32 v90, 0x160, v1
	v_xor_b32_e32 v93, 0x80000000, v93
	s_waitcnt vmcnt(0)
	ds_write2_b64 v1, v[92:93], v[94:95] offset1:44
	s_waitcnt lgkmcnt(0)
	; wave barrier
	s_waitcnt lgkmcnt(0)
	s_and_saveexec_b64 s[6:7], s[4:5]
	s_cbranch_execz .LBB42_15
; %bb.14:
	buffer_load_dword v92, v88, s[0:3], 0 offen
	buffer_load_dword v93, v88, s[0:3], 0 offen offset:4
	v_mov_b32_e32 v89, 0
	ds_read_b64 v[94:95], v90
	ds_read_b64 v[96:97], v89 offset:8
	s_waitcnt vmcnt(0) lgkmcnt(1)
	v_fma_f64 v[92:93], v[92:93], v[94:95], 0
	s_waitcnt lgkmcnt(0)
	v_mul_f64 v[92:93], v[92:93], v[96:97]
	buffer_store_dword v92, off, s[0:3], 0 offset:8
	buffer_store_dword v93, off, s[0:3], 0 offset:12
.LBB42_15:
	s_or_b64 exec, exec, s[6:7]
	s_waitcnt lgkmcnt(0)
	; wave barrier
	buffer_load_dword v92, off, s[0:3], 0 offset:16
	buffer_load_dword v93, off, s[0:3], 0 offset:20
	v_cmp_gt_u32_e32 vcc, 2, v0
	s_waitcnt vmcnt(0)
	ds_write_b64 v90, v[92:93]
	s_waitcnt lgkmcnt(0)
	; wave barrier
	s_waitcnt lgkmcnt(0)
	s_and_saveexec_b64 s[6:7], vcc
	s_cbranch_execz .LBB42_17
; %bb.16:
	buffer_load_dword v89, v88, s[0:3], 0 offen offset:4
	buffer_load_dword v96, off, s[0:3], 0 offset:8
	s_nop 0
	buffer_load_dword v88, v88, s[0:3], 0 offen
	s_nop 0
	buffer_load_dword v97, off, s[0:3], 0 offset:12
	ds_read_b64 v[98:99], v90
	v_mov_b32_e32 v91, 0
	ds_read2_b64 v[92:95], v91 offset0:2 offset1:45
	s_waitcnt vmcnt(1) lgkmcnt(1)
	v_fma_f64 v[88:89], v[88:89], v[98:99], 0
	s_waitcnt vmcnt(0) lgkmcnt(0)
	v_fma_f64 v[94:95], v[96:97], v[94:95], v[88:89]
	v_cndmask_b32_e64 v89, v89, v95, s[4:5]
	v_cndmask_b32_e64 v88, v88, v94, s[4:5]
	v_mul_f64 v[88:89], v[88:89], v[92:93]
	buffer_store_dword v89, off, s[0:3], 0 offset:20
	buffer_store_dword v88, off, s[0:3], 0 offset:16
.LBB42_17:
	s_or_b64 exec, exec, s[6:7]
	s_waitcnt lgkmcnt(0)
	; wave barrier
	buffer_load_dword v88, off, s[0:3], 0 offset:24
	buffer_load_dword v89, off, s[0:3], 0 offset:28
	v_cmp_gt_u32_e32 vcc, 3, v0
	v_add_u32_e32 v91, -1, v0
	s_waitcnt vmcnt(0)
	ds_write_b64 v90, v[88:89]
	s_waitcnt lgkmcnt(0)
	; wave barrier
	s_waitcnt lgkmcnt(0)
	s_and_saveexec_b64 s[4:5], vcc
	s_cbranch_execz .LBB42_21
; %bb.18:
	v_add_u32_e32 v92, -1, v0
	v_add_u32_e32 v93, 0x160, v1
	v_add_u32_e32 v94, 0, v1
	s_mov_b64 s[6:7], 0
	v_pk_mov_b32 v[88:89], 0, 0
.LBB42_19:                              ; =>This Inner Loop Header: Depth=1
	buffer_load_dword v96, v94, s[0:3], 0 offen
	buffer_load_dword v97, v94, s[0:3], 0 offen offset:4
	ds_read_b64 v[98:99], v93
	v_add_u32_e32 v92, 1, v92
	v_cmp_lt_u32_e32 vcc, 1, v92
	v_add_u32_e32 v93, 8, v93
	v_add_u32_e32 v94, 8, v94
	s_or_b64 s[6:7], vcc, s[6:7]
	s_waitcnt vmcnt(0) lgkmcnt(0)
	v_fmac_f64_e32 v[88:89], v[96:97], v[98:99]
	s_andn2_b64 exec, exec, s[6:7]
	s_cbranch_execnz .LBB42_19
; %bb.20:
	s_or_b64 exec, exec, s[6:7]
	v_mov_b32_e32 v92, 0
	ds_read_b64 v[92:93], v92 offset:24
	s_waitcnt lgkmcnt(0)
	v_mul_f64 v[88:89], v[88:89], v[92:93]
	buffer_store_dword v89, off, s[0:3], 0 offset:28
	buffer_store_dword v88, off, s[0:3], 0 offset:24
.LBB42_21:
	s_or_b64 exec, exec, s[4:5]
	s_waitcnt lgkmcnt(0)
	; wave barrier
	buffer_load_dword v88, off, s[0:3], 0 offset:32
	buffer_load_dword v89, off, s[0:3], 0 offset:36
	v_cmp_gt_u32_e32 vcc, 4, v0
	s_waitcnt vmcnt(0)
	ds_write_b64 v90, v[88:89]
	s_waitcnt lgkmcnt(0)
	; wave barrier
	s_waitcnt lgkmcnt(0)
	s_and_saveexec_b64 s[4:5], vcc
	s_cbranch_execz .LBB42_25
; %bb.22:
	v_add_u32_e32 v92, -1, v0
	v_add_u32_e32 v93, 0x160, v1
	v_add_u32_e32 v94, 0, v1
	s_mov_b64 s[6:7], 0
	v_pk_mov_b32 v[88:89], 0, 0
.LBB42_23:                              ; =>This Inner Loop Header: Depth=1
	buffer_load_dword v96, v94, s[0:3], 0 offen
	buffer_load_dword v97, v94, s[0:3], 0 offen offset:4
	ds_read_b64 v[98:99], v93
	v_add_u32_e32 v92, 1, v92
	v_cmp_lt_u32_e32 vcc, 2, v92
	v_add_u32_e32 v93, 8, v93
	v_add_u32_e32 v94, 8, v94
	s_or_b64 s[6:7], vcc, s[6:7]
	s_waitcnt vmcnt(0) lgkmcnt(0)
	v_fmac_f64_e32 v[88:89], v[96:97], v[98:99]
	s_andn2_b64 exec, exec, s[6:7]
	s_cbranch_execnz .LBB42_23
; %bb.24:
	s_or_b64 exec, exec, s[6:7]
	v_mov_b32_e32 v92, 0
	ds_read_b64 v[92:93], v92 offset:32
	s_waitcnt lgkmcnt(0)
	v_mul_f64 v[88:89], v[88:89], v[92:93]
	buffer_store_dword v89, off, s[0:3], 0 offset:36
	buffer_store_dword v88, off, s[0:3], 0 offset:32
.LBB42_25:
	s_or_b64 exec, exec, s[4:5]
	s_waitcnt lgkmcnt(0)
	; wave barrier
	buffer_load_dword v88, off, s[0:3], 0 offset:40
	buffer_load_dword v89, off, s[0:3], 0 offset:44
	v_cmp_gt_u32_e32 vcc, 5, v0
	s_waitcnt vmcnt(0)
	ds_write_b64 v90, v[88:89]
	s_waitcnt lgkmcnt(0)
	; wave barrier
	s_waitcnt lgkmcnt(0)
	s_and_saveexec_b64 s[4:5], vcc
	s_cbranch_execz .LBB42_29
; %bb.26:
	v_add_u32_e32 v92, -1, v0
	v_add_u32_e32 v93, 0x160, v1
	v_add_u32_e32 v94, 0, v1
	s_mov_b64 s[6:7], 0
	v_pk_mov_b32 v[88:89], 0, 0
.LBB42_27:                              ; =>This Inner Loop Header: Depth=1
	buffer_load_dword v96, v94, s[0:3], 0 offen
	buffer_load_dword v97, v94, s[0:3], 0 offen offset:4
	ds_read_b64 v[98:99], v93
	v_add_u32_e32 v92, 1, v92
	v_cmp_lt_u32_e32 vcc, 3, v92
	v_add_u32_e32 v93, 8, v93
	v_add_u32_e32 v94, 8, v94
	s_or_b64 s[6:7], vcc, s[6:7]
	s_waitcnt vmcnt(0) lgkmcnt(0)
	v_fmac_f64_e32 v[88:89], v[96:97], v[98:99]
	s_andn2_b64 exec, exec, s[6:7]
	s_cbranch_execnz .LBB42_27
; %bb.28:
	s_or_b64 exec, exec, s[6:7]
	v_mov_b32_e32 v92, 0
	ds_read_b64 v[92:93], v92 offset:40
	s_waitcnt lgkmcnt(0)
	v_mul_f64 v[88:89], v[88:89], v[92:93]
	buffer_store_dword v89, off, s[0:3], 0 offset:44
	buffer_store_dword v88, off, s[0:3], 0 offset:40
.LBB42_29:
	s_or_b64 exec, exec, s[4:5]
	s_waitcnt lgkmcnt(0)
	; wave barrier
	buffer_load_dword v88, off, s[0:3], 0 offset:48
	buffer_load_dword v89, off, s[0:3], 0 offset:52
	v_cmp_gt_u32_e32 vcc, 6, v0
	s_waitcnt vmcnt(0)
	ds_write_b64 v90, v[88:89]
	s_waitcnt lgkmcnt(0)
	; wave barrier
	s_waitcnt lgkmcnt(0)
	s_and_saveexec_b64 s[4:5], vcc
	s_cbranch_execz .LBB42_33
; %bb.30:
	v_add_u32_e32 v92, -1, v0
	v_add_u32_e32 v93, 0x160, v1
	v_add_u32_e32 v94, 0, v1
	s_mov_b64 s[6:7], 0
	v_pk_mov_b32 v[88:89], 0, 0
.LBB42_31:                              ; =>This Inner Loop Header: Depth=1
	buffer_load_dword v96, v94, s[0:3], 0 offen
	buffer_load_dword v97, v94, s[0:3], 0 offen offset:4
	ds_read_b64 v[98:99], v93
	v_add_u32_e32 v92, 1, v92
	v_cmp_lt_u32_e32 vcc, 4, v92
	v_add_u32_e32 v93, 8, v93
	v_add_u32_e32 v94, 8, v94
	s_or_b64 s[6:7], vcc, s[6:7]
	s_waitcnt vmcnt(0) lgkmcnt(0)
	v_fmac_f64_e32 v[88:89], v[96:97], v[98:99]
	s_andn2_b64 exec, exec, s[6:7]
	s_cbranch_execnz .LBB42_31
; %bb.32:
	s_or_b64 exec, exec, s[6:7]
	v_mov_b32_e32 v92, 0
	ds_read_b64 v[92:93], v92 offset:48
	s_waitcnt lgkmcnt(0)
	v_mul_f64 v[88:89], v[88:89], v[92:93]
	buffer_store_dword v89, off, s[0:3], 0 offset:52
	buffer_store_dword v88, off, s[0:3], 0 offset:48
.LBB42_33:
	s_or_b64 exec, exec, s[4:5]
	s_waitcnt lgkmcnt(0)
	; wave barrier
	buffer_load_dword v88, off, s[0:3], 0 offset:56
	buffer_load_dword v89, off, s[0:3], 0 offset:60
	v_cmp_gt_u32_e32 vcc, 7, v0
	s_waitcnt vmcnt(0)
	ds_write_b64 v90, v[88:89]
	s_waitcnt lgkmcnt(0)
	; wave barrier
	s_waitcnt lgkmcnt(0)
	s_and_saveexec_b64 s[4:5], vcc
	s_cbranch_execz .LBB42_37
; %bb.34:
	v_add_u32_e32 v92, -1, v0
	v_add_u32_e32 v93, 0x160, v1
	v_add_u32_e32 v94, 0, v1
	s_mov_b64 s[6:7], 0
	v_pk_mov_b32 v[88:89], 0, 0
.LBB42_35:                              ; =>This Inner Loop Header: Depth=1
	buffer_load_dword v96, v94, s[0:3], 0 offen
	buffer_load_dword v97, v94, s[0:3], 0 offen offset:4
	ds_read_b64 v[98:99], v93
	v_add_u32_e32 v92, 1, v92
	v_cmp_lt_u32_e32 vcc, 5, v92
	v_add_u32_e32 v93, 8, v93
	v_add_u32_e32 v94, 8, v94
	s_or_b64 s[6:7], vcc, s[6:7]
	s_waitcnt vmcnt(0) lgkmcnt(0)
	v_fmac_f64_e32 v[88:89], v[96:97], v[98:99]
	s_andn2_b64 exec, exec, s[6:7]
	s_cbranch_execnz .LBB42_35
; %bb.36:
	s_or_b64 exec, exec, s[6:7]
	v_mov_b32_e32 v92, 0
	ds_read_b64 v[92:93], v92 offset:56
	s_waitcnt lgkmcnt(0)
	v_mul_f64 v[88:89], v[88:89], v[92:93]
	buffer_store_dword v89, off, s[0:3], 0 offset:60
	buffer_store_dword v88, off, s[0:3], 0 offset:56
.LBB42_37:
	s_or_b64 exec, exec, s[4:5]
	s_waitcnt lgkmcnt(0)
	; wave barrier
	buffer_load_dword v88, off, s[0:3], 0 offset:64
	buffer_load_dword v89, off, s[0:3], 0 offset:68
	v_cmp_gt_u32_e32 vcc, 8, v0
	s_waitcnt vmcnt(0)
	ds_write_b64 v90, v[88:89]
	s_waitcnt lgkmcnt(0)
	; wave barrier
	s_waitcnt lgkmcnt(0)
	s_and_saveexec_b64 s[4:5], vcc
	s_cbranch_execz .LBB42_41
; %bb.38:
	v_add_u32_e32 v92, -1, v0
	v_add_u32_e32 v93, 0x160, v1
	v_add_u32_e32 v94, 0, v1
	s_mov_b64 s[6:7], 0
	v_pk_mov_b32 v[88:89], 0, 0
.LBB42_39:                              ; =>This Inner Loop Header: Depth=1
	buffer_load_dword v96, v94, s[0:3], 0 offen
	buffer_load_dword v97, v94, s[0:3], 0 offen offset:4
	ds_read_b64 v[98:99], v93
	v_add_u32_e32 v92, 1, v92
	v_cmp_lt_u32_e32 vcc, 6, v92
	v_add_u32_e32 v93, 8, v93
	v_add_u32_e32 v94, 8, v94
	s_or_b64 s[6:7], vcc, s[6:7]
	s_waitcnt vmcnt(0) lgkmcnt(0)
	v_fmac_f64_e32 v[88:89], v[96:97], v[98:99]
	s_andn2_b64 exec, exec, s[6:7]
	s_cbranch_execnz .LBB42_39
; %bb.40:
	s_or_b64 exec, exec, s[6:7]
	v_mov_b32_e32 v92, 0
	ds_read_b64 v[92:93], v92 offset:64
	s_waitcnt lgkmcnt(0)
	v_mul_f64 v[88:89], v[88:89], v[92:93]
	buffer_store_dword v89, off, s[0:3], 0 offset:68
	buffer_store_dword v88, off, s[0:3], 0 offset:64
.LBB42_41:
	s_or_b64 exec, exec, s[4:5]
	s_waitcnt lgkmcnt(0)
	; wave barrier
	buffer_load_dword v88, off, s[0:3], 0 offset:72
	buffer_load_dword v89, off, s[0:3], 0 offset:76
	v_cmp_gt_u32_e32 vcc, 9, v0
	s_waitcnt vmcnt(0)
	ds_write_b64 v90, v[88:89]
	s_waitcnt lgkmcnt(0)
	; wave barrier
	s_waitcnt lgkmcnt(0)
	s_and_saveexec_b64 s[4:5], vcc
	s_cbranch_execz .LBB42_45
; %bb.42:
	v_add_u32_e32 v92, -1, v0
	v_add_u32_e32 v93, 0x160, v1
	v_add_u32_e32 v94, 0, v1
	s_mov_b64 s[6:7], 0
	v_pk_mov_b32 v[88:89], 0, 0
.LBB42_43:                              ; =>This Inner Loop Header: Depth=1
	buffer_load_dword v96, v94, s[0:3], 0 offen
	buffer_load_dword v97, v94, s[0:3], 0 offen offset:4
	ds_read_b64 v[98:99], v93
	v_add_u32_e32 v92, 1, v92
	v_cmp_lt_u32_e32 vcc, 7, v92
	v_add_u32_e32 v93, 8, v93
	v_add_u32_e32 v94, 8, v94
	s_or_b64 s[6:7], vcc, s[6:7]
	s_waitcnt vmcnt(0) lgkmcnt(0)
	v_fmac_f64_e32 v[88:89], v[96:97], v[98:99]
	s_andn2_b64 exec, exec, s[6:7]
	s_cbranch_execnz .LBB42_43
; %bb.44:
	s_or_b64 exec, exec, s[6:7]
	v_mov_b32_e32 v92, 0
	ds_read_b64 v[92:93], v92 offset:72
	s_waitcnt lgkmcnt(0)
	v_mul_f64 v[88:89], v[88:89], v[92:93]
	buffer_store_dword v89, off, s[0:3], 0 offset:76
	buffer_store_dword v88, off, s[0:3], 0 offset:72
.LBB42_45:
	s_or_b64 exec, exec, s[4:5]
	s_waitcnt lgkmcnt(0)
	; wave barrier
	buffer_load_dword v88, off, s[0:3], 0 offset:80
	buffer_load_dword v89, off, s[0:3], 0 offset:84
	v_cmp_gt_u32_e32 vcc, 10, v0
	s_waitcnt vmcnt(0)
	ds_write_b64 v90, v[88:89]
	s_waitcnt lgkmcnt(0)
	; wave barrier
	s_waitcnt lgkmcnt(0)
	s_and_saveexec_b64 s[4:5], vcc
	s_cbranch_execz .LBB42_49
; %bb.46:
	v_add_u32_e32 v92, -1, v0
	v_add_u32_e32 v93, 0x160, v1
	v_add_u32_e32 v94, 0, v1
	s_mov_b64 s[6:7], 0
	v_pk_mov_b32 v[88:89], 0, 0
.LBB42_47:                              ; =>This Inner Loop Header: Depth=1
	buffer_load_dword v96, v94, s[0:3], 0 offen
	buffer_load_dword v97, v94, s[0:3], 0 offen offset:4
	ds_read_b64 v[98:99], v93
	v_add_u32_e32 v92, 1, v92
	v_cmp_lt_u32_e32 vcc, 8, v92
	v_add_u32_e32 v93, 8, v93
	v_add_u32_e32 v94, 8, v94
	s_or_b64 s[6:7], vcc, s[6:7]
	s_waitcnt vmcnt(0) lgkmcnt(0)
	v_fmac_f64_e32 v[88:89], v[96:97], v[98:99]
	s_andn2_b64 exec, exec, s[6:7]
	s_cbranch_execnz .LBB42_47
; %bb.48:
	s_or_b64 exec, exec, s[6:7]
	v_mov_b32_e32 v92, 0
	ds_read_b64 v[92:93], v92 offset:80
	s_waitcnt lgkmcnt(0)
	v_mul_f64 v[88:89], v[88:89], v[92:93]
	buffer_store_dword v89, off, s[0:3], 0 offset:84
	buffer_store_dword v88, off, s[0:3], 0 offset:80
.LBB42_49:
	s_or_b64 exec, exec, s[4:5]
	s_waitcnt lgkmcnt(0)
	; wave barrier
	buffer_load_dword v88, off, s[0:3], 0 offset:88
	buffer_load_dword v89, off, s[0:3], 0 offset:92
	v_cmp_gt_u32_e32 vcc, 11, v0
	s_waitcnt vmcnt(0)
	ds_write_b64 v90, v[88:89]
	s_waitcnt lgkmcnt(0)
	; wave barrier
	s_waitcnt lgkmcnt(0)
	s_and_saveexec_b64 s[4:5], vcc
	s_cbranch_execz .LBB42_53
; %bb.50:
	v_add_u32_e32 v92, -1, v0
	v_add_u32_e32 v93, 0x160, v1
	v_add_u32_e32 v94, 0, v1
	s_mov_b64 s[6:7], 0
	v_pk_mov_b32 v[88:89], 0, 0
.LBB42_51:                              ; =>This Inner Loop Header: Depth=1
	buffer_load_dword v96, v94, s[0:3], 0 offen
	buffer_load_dword v97, v94, s[0:3], 0 offen offset:4
	ds_read_b64 v[98:99], v93
	v_add_u32_e32 v92, 1, v92
	v_cmp_lt_u32_e32 vcc, 9, v92
	v_add_u32_e32 v93, 8, v93
	v_add_u32_e32 v94, 8, v94
	s_or_b64 s[6:7], vcc, s[6:7]
	s_waitcnt vmcnt(0) lgkmcnt(0)
	v_fmac_f64_e32 v[88:89], v[96:97], v[98:99]
	s_andn2_b64 exec, exec, s[6:7]
	s_cbranch_execnz .LBB42_51
; %bb.52:
	s_or_b64 exec, exec, s[6:7]
	v_mov_b32_e32 v92, 0
	ds_read_b64 v[92:93], v92 offset:88
	s_waitcnt lgkmcnt(0)
	v_mul_f64 v[88:89], v[88:89], v[92:93]
	buffer_store_dword v89, off, s[0:3], 0 offset:92
	buffer_store_dword v88, off, s[0:3], 0 offset:88
.LBB42_53:
	s_or_b64 exec, exec, s[4:5]
	s_waitcnt lgkmcnt(0)
	; wave barrier
	buffer_load_dword v88, off, s[0:3], 0 offset:96
	buffer_load_dword v89, off, s[0:3], 0 offset:100
	v_cmp_gt_u32_e32 vcc, 12, v0
	s_waitcnt vmcnt(0)
	ds_write_b64 v90, v[88:89]
	s_waitcnt lgkmcnt(0)
	; wave barrier
	s_waitcnt lgkmcnt(0)
	s_and_saveexec_b64 s[4:5], vcc
	s_cbranch_execz .LBB42_57
; %bb.54:
	v_add_u32_e32 v92, -1, v0
	v_add_u32_e32 v93, 0x160, v1
	v_add_u32_e32 v94, 0, v1
	s_mov_b64 s[6:7], 0
	v_pk_mov_b32 v[88:89], 0, 0
.LBB42_55:                              ; =>This Inner Loop Header: Depth=1
	buffer_load_dword v96, v94, s[0:3], 0 offen
	buffer_load_dword v97, v94, s[0:3], 0 offen offset:4
	ds_read_b64 v[98:99], v93
	v_add_u32_e32 v92, 1, v92
	v_cmp_lt_u32_e32 vcc, 10, v92
	v_add_u32_e32 v93, 8, v93
	v_add_u32_e32 v94, 8, v94
	s_or_b64 s[6:7], vcc, s[6:7]
	s_waitcnt vmcnt(0) lgkmcnt(0)
	v_fmac_f64_e32 v[88:89], v[96:97], v[98:99]
	s_andn2_b64 exec, exec, s[6:7]
	s_cbranch_execnz .LBB42_55
; %bb.56:
	s_or_b64 exec, exec, s[6:7]
	v_mov_b32_e32 v92, 0
	ds_read_b64 v[92:93], v92 offset:96
	s_waitcnt lgkmcnt(0)
	v_mul_f64 v[88:89], v[88:89], v[92:93]
	buffer_store_dword v89, off, s[0:3], 0 offset:100
	buffer_store_dword v88, off, s[0:3], 0 offset:96
.LBB42_57:
	s_or_b64 exec, exec, s[4:5]
	s_waitcnt lgkmcnt(0)
	; wave barrier
	buffer_load_dword v88, off, s[0:3], 0 offset:104
	buffer_load_dword v89, off, s[0:3], 0 offset:108
	v_cmp_gt_u32_e32 vcc, 13, v0
	s_waitcnt vmcnt(0)
	ds_write_b64 v90, v[88:89]
	s_waitcnt lgkmcnt(0)
	; wave barrier
	s_waitcnt lgkmcnt(0)
	s_and_saveexec_b64 s[4:5], vcc
	s_cbranch_execz .LBB42_61
; %bb.58:
	v_add_u32_e32 v92, -1, v0
	v_add_u32_e32 v93, 0x160, v1
	v_add_u32_e32 v94, 0, v1
	s_mov_b64 s[6:7], 0
	v_pk_mov_b32 v[88:89], 0, 0
.LBB42_59:                              ; =>This Inner Loop Header: Depth=1
	buffer_load_dword v96, v94, s[0:3], 0 offen
	buffer_load_dword v97, v94, s[0:3], 0 offen offset:4
	ds_read_b64 v[98:99], v93
	v_add_u32_e32 v92, 1, v92
	v_cmp_lt_u32_e32 vcc, 11, v92
	v_add_u32_e32 v93, 8, v93
	v_add_u32_e32 v94, 8, v94
	s_or_b64 s[6:7], vcc, s[6:7]
	s_waitcnt vmcnt(0) lgkmcnt(0)
	v_fmac_f64_e32 v[88:89], v[96:97], v[98:99]
	s_andn2_b64 exec, exec, s[6:7]
	s_cbranch_execnz .LBB42_59
; %bb.60:
	s_or_b64 exec, exec, s[6:7]
	v_mov_b32_e32 v92, 0
	ds_read_b64 v[92:93], v92 offset:104
	s_waitcnt lgkmcnt(0)
	v_mul_f64 v[88:89], v[88:89], v[92:93]
	buffer_store_dword v89, off, s[0:3], 0 offset:108
	buffer_store_dword v88, off, s[0:3], 0 offset:104
.LBB42_61:
	s_or_b64 exec, exec, s[4:5]
	s_waitcnt lgkmcnt(0)
	; wave barrier
	buffer_load_dword v88, off, s[0:3], 0 offset:112
	buffer_load_dword v89, off, s[0:3], 0 offset:116
	v_cmp_gt_u32_e32 vcc, 14, v0
	s_waitcnt vmcnt(0)
	ds_write_b64 v90, v[88:89]
	s_waitcnt lgkmcnt(0)
	; wave barrier
	s_waitcnt lgkmcnt(0)
	s_and_saveexec_b64 s[4:5], vcc
	s_cbranch_execz .LBB42_65
; %bb.62:
	v_add_u32_e32 v92, -1, v0
	v_add_u32_e32 v93, 0x160, v1
	v_add_u32_e32 v94, 0, v1
	s_mov_b64 s[6:7], 0
	v_pk_mov_b32 v[88:89], 0, 0
.LBB42_63:                              ; =>This Inner Loop Header: Depth=1
	buffer_load_dword v96, v94, s[0:3], 0 offen
	buffer_load_dword v97, v94, s[0:3], 0 offen offset:4
	ds_read_b64 v[98:99], v93
	v_add_u32_e32 v92, 1, v92
	v_cmp_lt_u32_e32 vcc, 12, v92
	v_add_u32_e32 v93, 8, v93
	v_add_u32_e32 v94, 8, v94
	s_or_b64 s[6:7], vcc, s[6:7]
	s_waitcnt vmcnt(0) lgkmcnt(0)
	v_fmac_f64_e32 v[88:89], v[96:97], v[98:99]
	s_andn2_b64 exec, exec, s[6:7]
	s_cbranch_execnz .LBB42_63
; %bb.64:
	s_or_b64 exec, exec, s[6:7]
	v_mov_b32_e32 v92, 0
	ds_read_b64 v[92:93], v92 offset:112
	s_waitcnt lgkmcnt(0)
	v_mul_f64 v[88:89], v[88:89], v[92:93]
	buffer_store_dword v89, off, s[0:3], 0 offset:116
	buffer_store_dword v88, off, s[0:3], 0 offset:112
.LBB42_65:
	s_or_b64 exec, exec, s[4:5]
	s_waitcnt lgkmcnt(0)
	; wave barrier
	buffer_load_dword v88, off, s[0:3], 0 offset:120
	buffer_load_dword v89, off, s[0:3], 0 offset:124
	v_cmp_gt_u32_e32 vcc, 15, v0
	s_waitcnt vmcnt(0)
	ds_write_b64 v90, v[88:89]
	s_waitcnt lgkmcnt(0)
	; wave barrier
	s_waitcnt lgkmcnt(0)
	s_and_saveexec_b64 s[4:5], vcc
	s_cbranch_execz .LBB42_69
; %bb.66:
	v_add_u32_e32 v92, -1, v0
	v_add_u32_e32 v93, 0x160, v1
	v_add_u32_e32 v94, 0, v1
	s_mov_b64 s[6:7], 0
	v_pk_mov_b32 v[88:89], 0, 0
.LBB42_67:                              ; =>This Inner Loop Header: Depth=1
	buffer_load_dword v96, v94, s[0:3], 0 offen
	buffer_load_dword v97, v94, s[0:3], 0 offen offset:4
	ds_read_b64 v[98:99], v93
	v_add_u32_e32 v92, 1, v92
	v_cmp_lt_u32_e32 vcc, 13, v92
	v_add_u32_e32 v93, 8, v93
	v_add_u32_e32 v94, 8, v94
	s_or_b64 s[6:7], vcc, s[6:7]
	s_waitcnt vmcnt(0) lgkmcnt(0)
	v_fmac_f64_e32 v[88:89], v[96:97], v[98:99]
	s_andn2_b64 exec, exec, s[6:7]
	s_cbranch_execnz .LBB42_67
; %bb.68:
	s_or_b64 exec, exec, s[6:7]
	v_mov_b32_e32 v92, 0
	ds_read_b64 v[92:93], v92 offset:120
	s_waitcnt lgkmcnt(0)
	v_mul_f64 v[88:89], v[88:89], v[92:93]
	buffer_store_dword v89, off, s[0:3], 0 offset:124
	buffer_store_dword v88, off, s[0:3], 0 offset:120
.LBB42_69:
	s_or_b64 exec, exec, s[4:5]
	s_waitcnt lgkmcnt(0)
	; wave barrier
	buffer_load_dword v88, off, s[0:3], 0 offset:128
	buffer_load_dword v89, off, s[0:3], 0 offset:132
	v_cmp_gt_u32_e32 vcc, 16, v0
	s_waitcnt vmcnt(0)
	ds_write_b64 v90, v[88:89]
	s_waitcnt lgkmcnt(0)
	; wave barrier
	s_waitcnt lgkmcnt(0)
	s_and_saveexec_b64 s[4:5], vcc
	s_cbranch_execz .LBB42_73
; %bb.70:
	v_add_u32_e32 v92, -1, v0
	v_add_u32_e32 v93, 0x160, v1
	v_add_u32_e32 v94, 0, v1
	s_mov_b64 s[6:7], 0
	v_pk_mov_b32 v[88:89], 0, 0
.LBB42_71:                              ; =>This Inner Loop Header: Depth=1
	buffer_load_dword v96, v94, s[0:3], 0 offen
	buffer_load_dword v97, v94, s[0:3], 0 offen offset:4
	ds_read_b64 v[98:99], v93
	v_add_u32_e32 v92, 1, v92
	v_cmp_lt_u32_e32 vcc, 14, v92
	v_add_u32_e32 v93, 8, v93
	v_add_u32_e32 v94, 8, v94
	s_or_b64 s[6:7], vcc, s[6:7]
	s_waitcnt vmcnt(0) lgkmcnt(0)
	v_fmac_f64_e32 v[88:89], v[96:97], v[98:99]
	s_andn2_b64 exec, exec, s[6:7]
	s_cbranch_execnz .LBB42_71
; %bb.72:
	s_or_b64 exec, exec, s[6:7]
	v_mov_b32_e32 v92, 0
	ds_read_b64 v[92:93], v92 offset:128
	s_waitcnt lgkmcnt(0)
	v_mul_f64 v[88:89], v[88:89], v[92:93]
	buffer_store_dword v89, off, s[0:3], 0 offset:132
	buffer_store_dword v88, off, s[0:3], 0 offset:128
.LBB42_73:
	s_or_b64 exec, exec, s[4:5]
	s_waitcnt lgkmcnt(0)
	; wave barrier
	buffer_load_dword v88, off, s[0:3], 0 offset:136
	buffer_load_dword v89, off, s[0:3], 0 offset:140
	v_cmp_gt_u32_e32 vcc, 17, v0
	s_waitcnt vmcnt(0)
	ds_write_b64 v90, v[88:89]
	s_waitcnt lgkmcnt(0)
	; wave barrier
	s_waitcnt lgkmcnt(0)
	s_and_saveexec_b64 s[4:5], vcc
	s_cbranch_execz .LBB42_77
; %bb.74:
	v_add_u32_e32 v92, -1, v0
	v_add_u32_e32 v93, 0x160, v1
	v_add_u32_e32 v94, 0, v1
	s_mov_b64 s[6:7], 0
	v_pk_mov_b32 v[88:89], 0, 0
.LBB42_75:                              ; =>This Inner Loop Header: Depth=1
	buffer_load_dword v96, v94, s[0:3], 0 offen
	buffer_load_dword v97, v94, s[0:3], 0 offen offset:4
	ds_read_b64 v[98:99], v93
	v_add_u32_e32 v92, 1, v92
	v_cmp_lt_u32_e32 vcc, 15, v92
	v_add_u32_e32 v93, 8, v93
	v_add_u32_e32 v94, 8, v94
	s_or_b64 s[6:7], vcc, s[6:7]
	s_waitcnt vmcnt(0) lgkmcnt(0)
	v_fmac_f64_e32 v[88:89], v[96:97], v[98:99]
	s_andn2_b64 exec, exec, s[6:7]
	s_cbranch_execnz .LBB42_75
; %bb.76:
	s_or_b64 exec, exec, s[6:7]
	v_mov_b32_e32 v92, 0
	ds_read_b64 v[92:93], v92 offset:136
	s_waitcnt lgkmcnt(0)
	v_mul_f64 v[88:89], v[88:89], v[92:93]
	buffer_store_dword v89, off, s[0:3], 0 offset:140
	buffer_store_dword v88, off, s[0:3], 0 offset:136
.LBB42_77:
	s_or_b64 exec, exec, s[4:5]
	s_waitcnt lgkmcnt(0)
	; wave barrier
	buffer_load_dword v88, off, s[0:3], 0 offset:144
	buffer_load_dword v89, off, s[0:3], 0 offset:148
	v_cmp_gt_u32_e32 vcc, 18, v0
	s_waitcnt vmcnt(0)
	ds_write_b64 v90, v[88:89]
	s_waitcnt lgkmcnt(0)
	; wave barrier
	s_waitcnt lgkmcnt(0)
	s_and_saveexec_b64 s[4:5], vcc
	s_cbranch_execz .LBB42_81
; %bb.78:
	v_add_u32_e32 v92, -1, v0
	v_add_u32_e32 v93, 0x160, v1
	v_add_u32_e32 v94, 0, v1
	s_mov_b64 s[6:7], 0
	v_pk_mov_b32 v[88:89], 0, 0
.LBB42_79:                              ; =>This Inner Loop Header: Depth=1
	buffer_load_dword v96, v94, s[0:3], 0 offen
	buffer_load_dword v97, v94, s[0:3], 0 offen offset:4
	ds_read_b64 v[98:99], v93
	v_add_u32_e32 v92, 1, v92
	v_cmp_lt_u32_e32 vcc, 16, v92
	v_add_u32_e32 v93, 8, v93
	v_add_u32_e32 v94, 8, v94
	s_or_b64 s[6:7], vcc, s[6:7]
	s_waitcnt vmcnt(0) lgkmcnt(0)
	v_fmac_f64_e32 v[88:89], v[96:97], v[98:99]
	s_andn2_b64 exec, exec, s[6:7]
	s_cbranch_execnz .LBB42_79
; %bb.80:
	s_or_b64 exec, exec, s[6:7]
	v_mov_b32_e32 v92, 0
	ds_read_b64 v[92:93], v92 offset:144
	s_waitcnt lgkmcnt(0)
	v_mul_f64 v[88:89], v[88:89], v[92:93]
	buffer_store_dword v89, off, s[0:3], 0 offset:148
	buffer_store_dword v88, off, s[0:3], 0 offset:144
.LBB42_81:
	s_or_b64 exec, exec, s[4:5]
	s_waitcnt lgkmcnt(0)
	; wave barrier
	buffer_load_dword v88, off, s[0:3], 0 offset:152
	buffer_load_dword v89, off, s[0:3], 0 offset:156
	v_cmp_gt_u32_e32 vcc, 19, v0
	s_waitcnt vmcnt(0)
	ds_write_b64 v90, v[88:89]
	s_waitcnt lgkmcnt(0)
	; wave barrier
	s_waitcnt lgkmcnt(0)
	s_and_saveexec_b64 s[4:5], vcc
	s_cbranch_execz .LBB42_85
; %bb.82:
	v_add_u32_e32 v92, -1, v0
	v_add_u32_e32 v93, 0x160, v1
	v_add_u32_e32 v94, 0, v1
	s_mov_b64 s[6:7], 0
	v_pk_mov_b32 v[88:89], 0, 0
.LBB42_83:                              ; =>This Inner Loop Header: Depth=1
	buffer_load_dword v96, v94, s[0:3], 0 offen
	buffer_load_dword v97, v94, s[0:3], 0 offen offset:4
	ds_read_b64 v[98:99], v93
	v_add_u32_e32 v92, 1, v92
	v_cmp_lt_u32_e32 vcc, 17, v92
	v_add_u32_e32 v93, 8, v93
	v_add_u32_e32 v94, 8, v94
	s_or_b64 s[6:7], vcc, s[6:7]
	s_waitcnt vmcnt(0) lgkmcnt(0)
	v_fmac_f64_e32 v[88:89], v[96:97], v[98:99]
	s_andn2_b64 exec, exec, s[6:7]
	s_cbranch_execnz .LBB42_83
; %bb.84:
	s_or_b64 exec, exec, s[6:7]
	v_mov_b32_e32 v92, 0
	ds_read_b64 v[92:93], v92 offset:152
	s_waitcnt lgkmcnt(0)
	v_mul_f64 v[88:89], v[88:89], v[92:93]
	buffer_store_dword v89, off, s[0:3], 0 offset:156
	buffer_store_dword v88, off, s[0:3], 0 offset:152
.LBB42_85:
	s_or_b64 exec, exec, s[4:5]
	s_waitcnt lgkmcnt(0)
	; wave barrier
	buffer_load_dword v88, off, s[0:3], 0 offset:160
	buffer_load_dword v89, off, s[0:3], 0 offset:164
	v_cmp_gt_u32_e32 vcc, 20, v0
	s_waitcnt vmcnt(0)
	ds_write_b64 v90, v[88:89]
	s_waitcnt lgkmcnt(0)
	; wave barrier
	s_waitcnt lgkmcnt(0)
	s_and_saveexec_b64 s[4:5], vcc
	s_cbranch_execz .LBB42_89
; %bb.86:
	v_add_u32_e32 v92, -1, v0
	v_add_u32_e32 v93, 0x160, v1
	v_add_u32_e32 v94, 0, v1
	s_mov_b64 s[6:7], 0
	v_pk_mov_b32 v[88:89], 0, 0
.LBB42_87:                              ; =>This Inner Loop Header: Depth=1
	buffer_load_dword v96, v94, s[0:3], 0 offen
	buffer_load_dword v97, v94, s[0:3], 0 offen offset:4
	ds_read_b64 v[98:99], v93
	v_add_u32_e32 v92, 1, v92
	v_cmp_lt_u32_e32 vcc, 18, v92
	v_add_u32_e32 v93, 8, v93
	v_add_u32_e32 v94, 8, v94
	s_or_b64 s[6:7], vcc, s[6:7]
	s_waitcnt vmcnt(0) lgkmcnt(0)
	v_fmac_f64_e32 v[88:89], v[96:97], v[98:99]
	s_andn2_b64 exec, exec, s[6:7]
	s_cbranch_execnz .LBB42_87
; %bb.88:
	s_or_b64 exec, exec, s[6:7]
	v_mov_b32_e32 v92, 0
	ds_read_b64 v[92:93], v92 offset:160
	s_waitcnt lgkmcnt(0)
	v_mul_f64 v[88:89], v[88:89], v[92:93]
	buffer_store_dword v89, off, s[0:3], 0 offset:164
	buffer_store_dword v88, off, s[0:3], 0 offset:160
.LBB42_89:
	s_or_b64 exec, exec, s[4:5]
	s_waitcnt lgkmcnt(0)
	; wave barrier
	buffer_load_dword v88, off, s[0:3], 0 offset:168
	buffer_load_dword v89, off, s[0:3], 0 offset:172
	v_cmp_gt_u32_e32 vcc, 21, v0
	s_waitcnt vmcnt(0)
	ds_write_b64 v90, v[88:89]
	s_waitcnt lgkmcnt(0)
	; wave barrier
	s_waitcnt lgkmcnt(0)
	s_and_saveexec_b64 s[4:5], vcc
	s_cbranch_execz .LBB42_93
; %bb.90:
	v_add_u32_e32 v92, -1, v0
	v_add_u32_e32 v93, 0x160, v1
	v_add_u32_e32 v94, 0, v1
	s_mov_b64 s[6:7], 0
	v_pk_mov_b32 v[88:89], 0, 0
.LBB42_91:                              ; =>This Inner Loop Header: Depth=1
	buffer_load_dword v96, v94, s[0:3], 0 offen
	buffer_load_dword v97, v94, s[0:3], 0 offen offset:4
	ds_read_b64 v[98:99], v93
	v_add_u32_e32 v92, 1, v92
	v_cmp_lt_u32_e32 vcc, 19, v92
	v_add_u32_e32 v93, 8, v93
	v_add_u32_e32 v94, 8, v94
	s_or_b64 s[6:7], vcc, s[6:7]
	s_waitcnt vmcnt(0) lgkmcnt(0)
	v_fmac_f64_e32 v[88:89], v[96:97], v[98:99]
	s_andn2_b64 exec, exec, s[6:7]
	s_cbranch_execnz .LBB42_91
; %bb.92:
	s_or_b64 exec, exec, s[6:7]
	v_mov_b32_e32 v92, 0
	ds_read_b64 v[92:93], v92 offset:168
	s_waitcnt lgkmcnt(0)
	v_mul_f64 v[88:89], v[88:89], v[92:93]
	buffer_store_dword v89, off, s[0:3], 0 offset:172
	buffer_store_dword v88, off, s[0:3], 0 offset:168
.LBB42_93:
	s_or_b64 exec, exec, s[4:5]
	s_waitcnt lgkmcnt(0)
	; wave barrier
	buffer_load_dword v88, off, s[0:3], 0 offset:176
	buffer_load_dword v89, off, s[0:3], 0 offset:180
	v_cmp_gt_u32_e32 vcc, 22, v0
	s_waitcnt vmcnt(0)
	ds_write_b64 v90, v[88:89]
	s_waitcnt lgkmcnt(0)
	; wave barrier
	s_waitcnt lgkmcnt(0)
	s_and_saveexec_b64 s[4:5], vcc
	s_cbranch_execz .LBB42_97
; %bb.94:
	v_add_u32_e32 v92, -1, v0
	v_add_u32_e32 v93, 0x160, v1
	v_add_u32_e32 v94, 0, v1
	s_mov_b64 s[6:7], 0
	v_pk_mov_b32 v[88:89], 0, 0
.LBB42_95:                              ; =>This Inner Loop Header: Depth=1
	buffer_load_dword v96, v94, s[0:3], 0 offen
	buffer_load_dword v97, v94, s[0:3], 0 offen offset:4
	ds_read_b64 v[98:99], v93
	v_add_u32_e32 v92, 1, v92
	v_cmp_lt_u32_e32 vcc, 20, v92
	v_add_u32_e32 v93, 8, v93
	v_add_u32_e32 v94, 8, v94
	s_or_b64 s[6:7], vcc, s[6:7]
	s_waitcnt vmcnt(0) lgkmcnt(0)
	v_fmac_f64_e32 v[88:89], v[96:97], v[98:99]
	s_andn2_b64 exec, exec, s[6:7]
	s_cbranch_execnz .LBB42_95
; %bb.96:
	s_or_b64 exec, exec, s[6:7]
	v_mov_b32_e32 v92, 0
	ds_read_b64 v[92:93], v92 offset:176
	s_waitcnt lgkmcnt(0)
	v_mul_f64 v[88:89], v[88:89], v[92:93]
	buffer_store_dword v89, off, s[0:3], 0 offset:180
	buffer_store_dword v88, off, s[0:3], 0 offset:176
.LBB42_97:
	s_or_b64 exec, exec, s[4:5]
	s_waitcnt lgkmcnt(0)
	; wave barrier
	buffer_load_dword v88, off, s[0:3], 0 offset:184
	buffer_load_dword v89, off, s[0:3], 0 offset:188
	v_cmp_gt_u32_e32 vcc, 23, v0
	s_waitcnt vmcnt(0)
	ds_write_b64 v90, v[88:89]
	s_waitcnt lgkmcnt(0)
	; wave barrier
	s_waitcnt lgkmcnt(0)
	s_and_saveexec_b64 s[4:5], vcc
	s_cbranch_execz .LBB42_101
; %bb.98:
	v_add_u32_e32 v92, -1, v0
	v_add_u32_e32 v93, 0x160, v1
	v_add_u32_e32 v94, 0, v1
	s_mov_b64 s[6:7], 0
	v_pk_mov_b32 v[88:89], 0, 0
.LBB42_99:                              ; =>This Inner Loop Header: Depth=1
	buffer_load_dword v96, v94, s[0:3], 0 offen
	buffer_load_dword v97, v94, s[0:3], 0 offen offset:4
	ds_read_b64 v[98:99], v93
	v_add_u32_e32 v92, 1, v92
	v_cmp_lt_u32_e32 vcc, 21, v92
	v_add_u32_e32 v93, 8, v93
	v_add_u32_e32 v94, 8, v94
	s_or_b64 s[6:7], vcc, s[6:7]
	s_waitcnt vmcnt(0) lgkmcnt(0)
	v_fmac_f64_e32 v[88:89], v[96:97], v[98:99]
	s_andn2_b64 exec, exec, s[6:7]
	s_cbranch_execnz .LBB42_99
; %bb.100:
	s_or_b64 exec, exec, s[6:7]
	v_mov_b32_e32 v92, 0
	ds_read_b64 v[92:93], v92 offset:184
	s_waitcnt lgkmcnt(0)
	v_mul_f64 v[88:89], v[88:89], v[92:93]
	buffer_store_dword v89, off, s[0:3], 0 offset:188
	buffer_store_dword v88, off, s[0:3], 0 offset:184
.LBB42_101:
	s_or_b64 exec, exec, s[4:5]
	s_waitcnt lgkmcnt(0)
	; wave barrier
	buffer_load_dword v88, off, s[0:3], 0 offset:192
	buffer_load_dword v89, off, s[0:3], 0 offset:196
	v_cmp_gt_u32_e32 vcc, 24, v0
	s_waitcnt vmcnt(0)
	ds_write_b64 v90, v[88:89]
	s_waitcnt lgkmcnt(0)
	; wave barrier
	s_waitcnt lgkmcnt(0)
	s_and_saveexec_b64 s[4:5], vcc
	s_cbranch_execz .LBB42_105
; %bb.102:
	v_add_u32_e32 v92, -1, v0
	v_add_u32_e32 v93, 0x160, v1
	v_add_u32_e32 v94, 0, v1
	s_mov_b64 s[6:7], 0
	v_pk_mov_b32 v[88:89], 0, 0
.LBB42_103:                             ; =>This Inner Loop Header: Depth=1
	buffer_load_dword v96, v94, s[0:3], 0 offen
	buffer_load_dword v97, v94, s[0:3], 0 offen offset:4
	ds_read_b64 v[98:99], v93
	v_add_u32_e32 v92, 1, v92
	v_cmp_lt_u32_e32 vcc, 22, v92
	v_add_u32_e32 v93, 8, v93
	v_add_u32_e32 v94, 8, v94
	s_or_b64 s[6:7], vcc, s[6:7]
	s_waitcnt vmcnt(0) lgkmcnt(0)
	v_fmac_f64_e32 v[88:89], v[96:97], v[98:99]
	s_andn2_b64 exec, exec, s[6:7]
	s_cbranch_execnz .LBB42_103
; %bb.104:
	s_or_b64 exec, exec, s[6:7]
	v_mov_b32_e32 v92, 0
	ds_read_b64 v[92:93], v92 offset:192
	s_waitcnt lgkmcnt(0)
	v_mul_f64 v[88:89], v[88:89], v[92:93]
	buffer_store_dword v89, off, s[0:3], 0 offset:196
	buffer_store_dword v88, off, s[0:3], 0 offset:192
.LBB42_105:
	s_or_b64 exec, exec, s[4:5]
	s_waitcnt lgkmcnt(0)
	; wave barrier
	buffer_load_dword v88, off, s[0:3], 0 offset:200
	buffer_load_dword v89, off, s[0:3], 0 offset:204
	v_cmp_gt_u32_e32 vcc, 25, v0
	s_waitcnt vmcnt(0)
	ds_write_b64 v90, v[88:89]
	s_waitcnt lgkmcnt(0)
	; wave barrier
	s_waitcnt lgkmcnt(0)
	s_and_saveexec_b64 s[4:5], vcc
	s_cbranch_execz .LBB42_109
; %bb.106:
	v_add_u32_e32 v92, -1, v0
	v_add_u32_e32 v93, 0x160, v1
	v_add_u32_e32 v94, 0, v1
	s_mov_b64 s[6:7], 0
	v_pk_mov_b32 v[88:89], 0, 0
.LBB42_107:                             ; =>This Inner Loop Header: Depth=1
	buffer_load_dword v96, v94, s[0:3], 0 offen
	buffer_load_dword v97, v94, s[0:3], 0 offen offset:4
	ds_read_b64 v[98:99], v93
	v_add_u32_e32 v92, 1, v92
	v_cmp_lt_u32_e32 vcc, 23, v92
	v_add_u32_e32 v93, 8, v93
	v_add_u32_e32 v94, 8, v94
	s_or_b64 s[6:7], vcc, s[6:7]
	s_waitcnt vmcnt(0) lgkmcnt(0)
	v_fmac_f64_e32 v[88:89], v[96:97], v[98:99]
	s_andn2_b64 exec, exec, s[6:7]
	s_cbranch_execnz .LBB42_107
; %bb.108:
	s_or_b64 exec, exec, s[6:7]
	v_mov_b32_e32 v92, 0
	ds_read_b64 v[92:93], v92 offset:200
	s_waitcnt lgkmcnt(0)
	v_mul_f64 v[88:89], v[88:89], v[92:93]
	buffer_store_dword v89, off, s[0:3], 0 offset:204
	buffer_store_dword v88, off, s[0:3], 0 offset:200
.LBB42_109:
	s_or_b64 exec, exec, s[4:5]
	s_waitcnt lgkmcnt(0)
	; wave barrier
	buffer_load_dword v88, off, s[0:3], 0 offset:208
	buffer_load_dword v89, off, s[0:3], 0 offset:212
	v_cmp_gt_u32_e32 vcc, 26, v0
	;; [unrolled: 41-line block ×17, first 2 shown]
	s_waitcnt vmcnt(0)
	ds_write_b64 v90, v[88:89]
	s_waitcnt lgkmcnt(0)
	; wave barrier
	s_waitcnt lgkmcnt(0)
	s_and_saveexec_b64 s[4:5], vcc
	s_cbranch_execz .LBB42_173
; %bb.170:
	v_add_u32_e32 v92, -1, v0
	v_add_u32_e32 v93, 0x160, v1
	v_add_u32_e32 v94, 0, v1
	s_mov_b64 s[6:7], 0
	v_pk_mov_b32 v[88:89], 0, 0
.LBB42_171:                             ; =>This Inner Loop Header: Depth=1
	buffer_load_dword v96, v94, s[0:3], 0 offen
	buffer_load_dword v97, v94, s[0:3], 0 offen offset:4
	ds_read_b64 v[98:99], v93
	v_add_u32_e32 v92, 1, v92
	v_cmp_lt_u32_e32 vcc, 39, v92
	v_add_u32_e32 v93, 8, v93
	v_add_u32_e32 v94, 8, v94
	s_or_b64 s[6:7], vcc, s[6:7]
	s_waitcnt vmcnt(0) lgkmcnt(0)
	v_fmac_f64_e32 v[88:89], v[96:97], v[98:99]
	s_andn2_b64 exec, exec, s[6:7]
	s_cbranch_execnz .LBB42_171
; %bb.172:
	s_or_b64 exec, exec, s[6:7]
	v_mov_b32_e32 v92, 0
	ds_read_b64 v[92:93], v92 offset:328
	s_waitcnt lgkmcnt(0)
	v_mul_f64 v[88:89], v[88:89], v[92:93]
	buffer_store_dword v89, off, s[0:3], 0 offset:332
	buffer_store_dword v88, off, s[0:3], 0 offset:328
.LBB42_173:
	s_or_b64 exec, exec, s[4:5]
	s_waitcnt lgkmcnt(0)
	; wave barrier
	buffer_load_dword v88, off, s[0:3], 0 offset:336
	buffer_load_dword v89, off, s[0:3], 0 offset:340
	v_cmp_ne_u32_e32 vcc, 42, v0
	s_waitcnt vmcnt(0)
	ds_write_b64 v90, v[88:89]
	s_waitcnt lgkmcnt(0)
	; wave barrier
	s_waitcnt lgkmcnt(0)
	s_and_saveexec_b64 s[4:5], vcc
	s_cbranch_execz .LBB42_177
; %bb.174:
	v_add_u32_e32 v90, 0x160, v1
	v_add_u32_e32 v1, 0, v1
	s_mov_b64 s[6:7], 0
	v_pk_mov_b32 v[88:89], 0, 0
.LBB42_175:                             ; =>This Inner Loop Header: Depth=1
	buffer_load_dword v92, v1, s[0:3], 0 offen
	buffer_load_dword v93, v1, s[0:3], 0 offen offset:4
	ds_read_b64 v[94:95], v90
	v_add_u32_e32 v91, 1, v91
	v_cmp_lt_u32_e32 vcc, 40, v91
	v_add_u32_e32 v90, 8, v90
	v_add_u32_e32 v1, 8, v1
	s_or_b64 s[6:7], vcc, s[6:7]
	s_waitcnt vmcnt(0) lgkmcnt(0)
	v_fmac_f64_e32 v[88:89], v[92:93], v[94:95]
	s_andn2_b64 exec, exec, s[6:7]
	s_cbranch_execnz .LBB42_175
; %bb.176:
	s_or_b64 exec, exec, s[6:7]
	v_mov_b32_e32 v1, 0
	ds_read_b64 v[90:91], v1 offset:336
	s_waitcnt lgkmcnt(0)
	v_mul_f64 v[88:89], v[88:89], v[90:91]
	buffer_store_dword v89, off, s[0:3], 0 offset:340
	buffer_store_dword v88, off, s[0:3], 0 offset:336
.LBB42_177:
	s_or_b64 exec, exec, s[4:5]
	s_mov_b64 s[6:7], -1
	s_waitcnt lgkmcnt(0)
	; wave barrier
.LBB42_178:
	s_and_b64 vcc, exec, s[6:7]
	s_cbranch_vccz .LBB42_180
; %bb.179:
	s_lshl_b64 s[4:5], s[8:9], 2
	s_add_u32 s4, s14, s4
	s_addc_u32 s5, s15, s5
	v_mov_b32_e32 v1, 0
	global_load_dword v1, v1, s[4:5]
	s_waitcnt vmcnt(0)
	v_cmp_ne_u32_e32 vcc, 0, v1
	s_cbranch_vccz .LBB42_181
.LBB42_180:
	s_endpgm
.LBB42_181:
	v_mov_b32_e32 v1, 0x160
	v_lshl_add_u32 v1, v0, 3, v1
	v_cmp_eq_u32_e32 vcc, 42, v0
	s_and_saveexec_b64 s[4:5], vcc
	s_cbranch_execz .LBB42_183
; %bb.182:
	buffer_load_dword v88, off, s[0:3], 0 offset:328
	buffer_load_dword v89, off, s[0:3], 0 offset:332
	v_mov_b32_e32 v90, 0
	buffer_store_dword v90, off, s[0:3], 0 offset:328
	buffer_store_dword v90, off, s[0:3], 0 offset:332
	s_waitcnt vmcnt(2)
	ds_write_b64 v1, v[88:89]
.LBB42_183:
	s_or_b64 exec, exec, s[4:5]
	s_waitcnt lgkmcnt(0)
	; wave barrier
	s_waitcnt lgkmcnt(0)
	buffer_load_dword v90, off, s[0:3], 0 offset:336
	buffer_load_dword v91, off, s[0:3], 0 offset:340
	;; [unrolled: 1-line block ×4, first 2 shown]
	v_mov_b32_e32 v88, 0
	ds_read_b64 v[94:95], v88 offset:688
	v_cmp_lt_u32_e32 vcc, 40, v0
	s_waitcnt vmcnt(2) lgkmcnt(0)
	v_fma_f64 v[90:91], v[90:91], v[94:95], 0
	s_waitcnt vmcnt(0)
	v_add_f64 v[90:91], v[92:93], -v[90:91]
	buffer_store_dword v90, off, s[0:3], 0 offset:328
	buffer_store_dword v91, off, s[0:3], 0 offset:332
	s_and_saveexec_b64 s[4:5], vcc
	s_cbranch_execz .LBB42_185
; %bb.184:
	buffer_load_dword v90, off, s[0:3], 0 offset:320
	buffer_load_dword v91, off, s[0:3], 0 offset:324
	s_waitcnt vmcnt(0)
	ds_write_b64 v1, v[90:91]
	buffer_store_dword v88, off, s[0:3], 0 offset:320
	buffer_store_dword v88, off, s[0:3], 0 offset:324
.LBB42_185:
	s_or_b64 exec, exec, s[4:5]
	s_waitcnt lgkmcnt(0)
	; wave barrier
	s_waitcnt lgkmcnt(0)
	buffer_load_dword v92, off, s[0:3], 0 offset:328
	buffer_load_dword v93, off, s[0:3], 0 offset:332
	;; [unrolled: 1-line block ×6, first 2 shown]
	ds_read2_b64 v[88:91], v88 offset0:85 offset1:86
	v_cmp_lt_u32_e32 vcc, 39, v0
	s_waitcnt vmcnt(4) lgkmcnt(0)
	v_fma_f64 v[88:89], v[92:93], v[88:89], 0
	s_waitcnt vmcnt(2)
	v_fmac_f64_e32 v[88:89], v[94:95], v[90:91]
	s_waitcnt vmcnt(0)
	v_add_f64 v[88:89], v[96:97], -v[88:89]
	buffer_store_dword v88, off, s[0:3], 0 offset:320
	buffer_store_dword v89, off, s[0:3], 0 offset:324
	s_and_saveexec_b64 s[4:5], vcc
	s_cbranch_execz .LBB42_187
; %bb.186:
	buffer_load_dword v88, off, s[0:3], 0 offset:312
	buffer_load_dword v89, off, s[0:3], 0 offset:316
	v_mov_b32_e32 v90, 0
	buffer_store_dword v90, off, s[0:3], 0 offset:312
	buffer_store_dword v90, off, s[0:3], 0 offset:316
	s_waitcnt vmcnt(2)
	ds_write_b64 v1, v[88:89]
.LBB42_187:
	s_or_b64 exec, exec, s[4:5]
	s_waitcnt lgkmcnt(0)
	; wave barrier
	s_waitcnt lgkmcnt(0)
	buffer_load_dword v94, off, s[0:3], 0 offset:320
	buffer_load_dword v95, off, s[0:3], 0 offset:324
	;; [unrolled: 1-line block ×8, first 2 shown]
	v_mov_b32_e32 v88, 0
	ds_read_b128 v[90:93], v88 offset:672
	ds_read_b64 v[102:103], v88 offset:688
	v_cmp_lt_u32_e32 vcc, 38, v0
	s_waitcnt vmcnt(6) lgkmcnt(1)
	v_fma_f64 v[90:91], v[94:95], v[90:91], 0
	s_waitcnt vmcnt(4)
	v_fmac_f64_e32 v[90:91], v[96:97], v[92:93]
	s_waitcnt vmcnt(2) lgkmcnt(0)
	v_fmac_f64_e32 v[90:91], v[98:99], v[102:103]
	s_waitcnt vmcnt(0)
	v_add_f64 v[90:91], v[100:101], -v[90:91]
	buffer_store_dword v90, off, s[0:3], 0 offset:312
	buffer_store_dword v91, off, s[0:3], 0 offset:316
	s_and_saveexec_b64 s[4:5], vcc
	s_cbranch_execz .LBB42_189
; %bb.188:
	buffer_load_dword v90, off, s[0:3], 0 offset:304
	buffer_load_dword v91, off, s[0:3], 0 offset:308
	s_waitcnt vmcnt(0)
	ds_write_b64 v1, v[90:91]
	buffer_store_dword v88, off, s[0:3], 0 offset:304
	buffer_store_dword v88, off, s[0:3], 0 offset:308
.LBB42_189:
	s_or_b64 exec, exec, s[4:5]
	s_waitcnt lgkmcnt(0)
	; wave barrier
	s_waitcnt lgkmcnt(0)
	buffer_load_dword v98, off, s[0:3], 0 offset:312
	buffer_load_dword v99, off, s[0:3], 0 offset:316
	;; [unrolled: 1-line block ×10, first 2 shown]
	ds_read2_b64 v[90:93], v88 offset0:83 offset1:84
	ds_read2_b64 v[94:97], v88 offset0:85 offset1:86
	v_cmp_lt_u32_e32 vcc, 37, v0
	s_waitcnt vmcnt(8) lgkmcnt(1)
	v_fma_f64 v[88:89], v[98:99], v[90:91], 0
	s_waitcnt vmcnt(6)
	v_fmac_f64_e32 v[88:89], v[100:101], v[92:93]
	s_waitcnt vmcnt(4) lgkmcnt(0)
	v_fmac_f64_e32 v[88:89], v[102:103], v[94:95]
	s_waitcnt vmcnt(2)
	v_fmac_f64_e32 v[88:89], v[104:105], v[96:97]
	s_waitcnt vmcnt(0)
	v_add_f64 v[88:89], v[106:107], -v[88:89]
	buffer_store_dword v88, off, s[0:3], 0 offset:304
	buffer_store_dword v89, off, s[0:3], 0 offset:308
	s_and_saveexec_b64 s[4:5], vcc
	s_cbranch_execz .LBB42_191
; %bb.190:
	buffer_load_dword v88, off, s[0:3], 0 offset:296
	buffer_load_dword v89, off, s[0:3], 0 offset:300
	v_mov_b32_e32 v90, 0
	buffer_store_dword v90, off, s[0:3], 0 offset:296
	buffer_store_dword v90, off, s[0:3], 0 offset:300
	s_waitcnt vmcnt(2)
	ds_write_b64 v1, v[88:89]
.LBB42_191:
	s_or_b64 exec, exec, s[4:5]
	s_waitcnt lgkmcnt(0)
	; wave barrier
	s_waitcnt lgkmcnt(0)
	buffer_load_dword v98, off, s[0:3], 0 offset:304
	buffer_load_dword v99, off, s[0:3], 0 offset:308
	;; [unrolled: 1-line block ×12, first 2 shown]
	v_mov_b32_e32 v88, 0
	ds_read_b128 v[90:93], v88 offset:656
	ds_read_b128 v[94:97], v88 offset:672
	ds_read_b64 v[110:111], v88 offset:688
	v_cmp_lt_u32_e32 vcc, 36, v0
	s_waitcnt vmcnt(10) lgkmcnt(2)
	v_fma_f64 v[90:91], v[98:99], v[90:91], 0
	s_waitcnt vmcnt(8)
	v_fmac_f64_e32 v[90:91], v[100:101], v[92:93]
	s_waitcnt vmcnt(6) lgkmcnt(1)
	v_fmac_f64_e32 v[90:91], v[102:103], v[94:95]
	s_waitcnt vmcnt(4)
	v_fmac_f64_e32 v[90:91], v[104:105], v[96:97]
	s_waitcnt vmcnt(2) lgkmcnt(0)
	v_fmac_f64_e32 v[90:91], v[106:107], v[110:111]
	s_waitcnt vmcnt(0)
	v_add_f64 v[90:91], v[108:109], -v[90:91]
	buffer_store_dword v90, off, s[0:3], 0 offset:296
	buffer_store_dword v91, off, s[0:3], 0 offset:300
	s_and_saveexec_b64 s[4:5], vcc
	s_cbranch_execz .LBB42_193
; %bb.192:
	buffer_load_dword v90, off, s[0:3], 0 offset:288
	buffer_load_dword v91, off, s[0:3], 0 offset:292
	s_waitcnt vmcnt(0)
	ds_write_b64 v1, v[90:91]
	buffer_store_dword v88, off, s[0:3], 0 offset:288
	buffer_store_dword v88, off, s[0:3], 0 offset:292
.LBB42_193:
	s_or_b64 exec, exec, s[4:5]
	s_waitcnt lgkmcnt(0)
	; wave barrier
	s_waitcnt lgkmcnt(0)
	buffer_load_dword v102, off, s[0:3], 0 offset:296
	buffer_load_dword v103, off, s[0:3], 0 offset:300
	buffer_load_dword v104, off, s[0:3], 0 offset:304
	buffer_load_dword v105, off, s[0:3], 0 offset:308
	buffer_load_dword v106, off, s[0:3], 0 offset:312
	buffer_load_dword v107, off, s[0:3], 0 offset:316
	buffer_load_dword v108, off, s[0:3], 0 offset:320
	buffer_load_dword v109, off, s[0:3], 0 offset:324
	buffer_load_dword v110, off, s[0:3], 0 offset:328
	buffer_load_dword v111, off, s[0:3], 0 offset:332
	buffer_load_dword v112, off, s[0:3], 0 offset:336
	buffer_load_dword v113, off, s[0:3], 0 offset:340
	buffer_load_dword v114, off, s[0:3], 0 offset:288
	buffer_load_dword v115, off, s[0:3], 0 offset:292
	ds_read2_b64 v[90:93], v88 offset0:81 offset1:82
	ds_read2_b64 v[94:97], v88 offset0:83 offset1:84
	;; [unrolled: 1-line block ×3, first 2 shown]
	v_cmp_lt_u32_e32 vcc, 35, v0
	s_waitcnt vmcnt(12) lgkmcnt(2)
	v_fma_f64 v[88:89], v[102:103], v[90:91], 0
	s_waitcnt vmcnt(10)
	v_fmac_f64_e32 v[88:89], v[104:105], v[92:93]
	s_waitcnt vmcnt(8) lgkmcnt(1)
	v_fmac_f64_e32 v[88:89], v[106:107], v[94:95]
	s_waitcnt vmcnt(6)
	v_fmac_f64_e32 v[88:89], v[108:109], v[96:97]
	s_waitcnt vmcnt(4) lgkmcnt(0)
	v_fmac_f64_e32 v[88:89], v[110:111], v[98:99]
	s_waitcnt vmcnt(2)
	v_fmac_f64_e32 v[88:89], v[112:113], v[100:101]
	s_waitcnt vmcnt(0)
	v_add_f64 v[88:89], v[114:115], -v[88:89]
	buffer_store_dword v88, off, s[0:3], 0 offset:288
	buffer_store_dword v89, off, s[0:3], 0 offset:292
	s_and_saveexec_b64 s[4:5], vcc
	s_cbranch_execz .LBB42_195
; %bb.194:
	buffer_load_dword v88, off, s[0:3], 0 offset:280
	buffer_load_dword v89, off, s[0:3], 0 offset:284
	v_mov_b32_e32 v90, 0
	buffer_store_dword v90, off, s[0:3], 0 offset:280
	buffer_store_dword v90, off, s[0:3], 0 offset:284
	s_waitcnt vmcnt(2)
	ds_write_b64 v1, v[88:89]
.LBB42_195:
	s_or_b64 exec, exec, s[4:5]
	s_waitcnt lgkmcnt(0)
	; wave barrier
	s_waitcnt lgkmcnt(0)
	buffer_load_dword v102, off, s[0:3], 0 offset:288
	buffer_load_dword v103, off, s[0:3], 0 offset:292
	;; [unrolled: 1-line block ×16, first 2 shown]
	v_mov_b32_e32 v88, 0
	ds_read_b128 v[90:93], v88 offset:640
	ds_read_b128 v[94:97], v88 offset:656
	ds_read_b128 v[98:101], v88 offset:672
	ds_read_b64 v[118:119], v88 offset:688
	v_cmp_lt_u32_e32 vcc, 34, v0
	s_waitcnt vmcnt(14) lgkmcnt(3)
	v_fma_f64 v[90:91], v[102:103], v[90:91], 0
	s_waitcnt vmcnt(12)
	v_fmac_f64_e32 v[90:91], v[104:105], v[92:93]
	s_waitcnt vmcnt(10) lgkmcnt(2)
	v_fmac_f64_e32 v[90:91], v[106:107], v[94:95]
	s_waitcnt vmcnt(8)
	v_fmac_f64_e32 v[90:91], v[108:109], v[96:97]
	s_waitcnt vmcnt(6) lgkmcnt(1)
	v_fmac_f64_e32 v[90:91], v[110:111], v[98:99]
	;; [unrolled: 4-line block ×3, first 2 shown]
	s_waitcnt vmcnt(0)
	v_add_f64 v[90:91], v[116:117], -v[90:91]
	buffer_store_dword v90, off, s[0:3], 0 offset:280
	buffer_store_dword v91, off, s[0:3], 0 offset:284
	s_and_saveexec_b64 s[4:5], vcc
	s_cbranch_execz .LBB42_197
; %bb.196:
	buffer_load_dword v90, off, s[0:3], 0 offset:272
	buffer_load_dword v91, off, s[0:3], 0 offset:276
	s_waitcnt vmcnt(0)
	ds_write_b64 v1, v[90:91]
	buffer_store_dword v88, off, s[0:3], 0 offset:272
	buffer_store_dword v88, off, s[0:3], 0 offset:276
.LBB42_197:
	s_or_b64 exec, exec, s[4:5]
	s_waitcnt lgkmcnt(0)
	; wave barrier
	s_waitcnt lgkmcnt(0)
	buffer_load_dword v106, off, s[0:3], 0 offset:280
	buffer_load_dword v107, off, s[0:3], 0 offset:284
	;; [unrolled: 1-line block ×18, first 2 shown]
	ds_read2_b64 v[90:93], v88 offset0:79 offset1:80
	ds_read2_b64 v[94:97], v88 offset0:81 offset1:82
	;; [unrolled: 1-line block ×4, first 2 shown]
	v_cmp_lt_u32_e32 vcc, 33, v0
	s_waitcnt vmcnt(16) lgkmcnt(3)
	v_fma_f64 v[88:89], v[106:107], v[90:91], 0
	s_waitcnt vmcnt(14)
	v_fmac_f64_e32 v[88:89], v[108:109], v[92:93]
	s_waitcnt vmcnt(12) lgkmcnt(2)
	v_fmac_f64_e32 v[88:89], v[110:111], v[94:95]
	s_waitcnt vmcnt(10)
	v_fmac_f64_e32 v[88:89], v[112:113], v[96:97]
	s_waitcnt vmcnt(8) lgkmcnt(1)
	v_fmac_f64_e32 v[88:89], v[114:115], v[98:99]
	;; [unrolled: 4-line block ×3, first 2 shown]
	s_waitcnt vmcnt(2)
	v_fmac_f64_e32 v[88:89], v[120:121], v[104:105]
	s_waitcnt vmcnt(0)
	v_add_f64 v[88:89], v[122:123], -v[88:89]
	buffer_store_dword v88, off, s[0:3], 0 offset:272
	buffer_store_dword v89, off, s[0:3], 0 offset:276
	s_and_saveexec_b64 s[4:5], vcc
	s_cbranch_execz .LBB42_199
; %bb.198:
	buffer_load_dword v88, off, s[0:3], 0 offset:264
	buffer_load_dword v89, off, s[0:3], 0 offset:268
	v_mov_b32_e32 v90, 0
	buffer_store_dword v90, off, s[0:3], 0 offset:264
	buffer_store_dword v90, off, s[0:3], 0 offset:268
	s_waitcnt vmcnt(2)
	ds_write_b64 v1, v[88:89]
.LBB42_199:
	s_or_b64 exec, exec, s[4:5]
	s_waitcnt lgkmcnt(0)
	; wave barrier
	s_waitcnt lgkmcnt(0)
	buffer_load_dword v106, off, s[0:3], 0 offset:264
	buffer_load_dword v107, off, s[0:3], 0 offset:268
	;; [unrolled: 1-line block ×16, first 2 shown]
	v_mov_b32_e32 v88, 0
	ds_read_b128 v[90:93], v88 offset:624
	ds_read_b128 v[94:97], v88 offset:640
	;; [unrolled: 1-line block ×4, first 2 shown]
	v_cmp_lt_u32_e32 vcc, 32, v0
	s_waitcnt vmcnt(12) lgkmcnt(3)
	v_fma_f64 v[90:91], v[108:109], v[90:91], 0
	s_waitcnt vmcnt(10)
	v_fmac_f64_e32 v[90:91], v[110:111], v[92:93]
	buffer_load_dword v93, off, s[0:3], 0 offset:332
	buffer_load_dword v92, off, s[0:3], 0 offset:328
	s_waitcnt vmcnt(10) lgkmcnt(2)
	v_fmac_f64_e32 v[90:91], v[112:113], v[94:95]
	s_waitcnt vmcnt(8)
	v_fmac_f64_e32 v[90:91], v[114:115], v[96:97]
	s_waitcnt vmcnt(6) lgkmcnt(1)
	v_fmac_f64_e32 v[90:91], v[116:117], v[98:99]
	s_waitcnt vmcnt(4)
	v_fmac_f64_e32 v[90:91], v[118:119], v[100:101]
	;; [unrolled: 4-line block ×3, first 2 shown]
	buffer_load_dword v93, off, s[0:3], 0 offset:340
	buffer_load_dword v92, off, s[0:3], 0 offset:336
	ds_read_b64 v[94:95], v88 offset:688
	s_waitcnt vmcnt(0) lgkmcnt(0)
	v_fmac_f64_e32 v[90:91], v[92:93], v[94:95]
	v_add_f64 v[90:91], v[106:107], -v[90:91]
	buffer_store_dword v90, off, s[0:3], 0 offset:264
	buffer_store_dword v91, off, s[0:3], 0 offset:268
	s_and_saveexec_b64 s[4:5], vcc
	s_cbranch_execz .LBB42_201
; %bb.200:
	buffer_load_dword v90, off, s[0:3], 0 offset:256
	buffer_load_dword v91, off, s[0:3], 0 offset:260
	s_waitcnt vmcnt(0)
	ds_write_b64 v1, v[90:91]
	buffer_store_dword v88, off, s[0:3], 0 offset:256
	buffer_store_dword v88, off, s[0:3], 0 offset:260
.LBB42_201:
	s_or_b64 exec, exec, s[4:5]
	s_waitcnt lgkmcnt(0)
	; wave barrier
	s_waitcnt lgkmcnt(0)
	buffer_load_dword v94, off, s[0:3], 0 offset:256
	buffer_load_dword v95, off, s[0:3], 0 offset:260
	;; [unrolled: 1-line block ×16, first 2 shown]
	ds_read2_b64 v[90:93], v88 offset0:77 offset1:78
	v_cmp_lt_u32_e32 vcc, 31, v0
	s_waitcnt vmcnt(12) lgkmcnt(0)
	v_fma_f64 v[96:97], v[96:97], v[90:91], 0
	s_waitcnt vmcnt(10)
	v_fmac_f64_e32 v[96:97], v[98:99], v[92:93]
	ds_read2_b64 v[90:93], v88 offset0:79 offset1:80
	s_waitcnt vmcnt(8) lgkmcnt(0)
	v_fmac_f64_e32 v[96:97], v[100:101], v[90:91]
	s_waitcnt vmcnt(6)
	v_fmac_f64_e32 v[96:97], v[102:103], v[92:93]
	ds_read2_b64 v[90:93], v88 offset0:81 offset1:82
	s_waitcnt vmcnt(4) lgkmcnt(0)
	v_fmac_f64_e32 v[96:97], v[104:105], v[90:91]
	;; [unrolled: 5-line block ×3, first 2 shown]
	buffer_load_dword v91, off, s[0:3], 0 offset:324
	buffer_load_dword v90, off, s[0:3], 0 offset:320
	s_waitcnt vmcnt(0)
	v_fmac_f64_e32 v[96:97], v[90:91], v[92:93]
	buffer_load_dword v93, off, s[0:3], 0 offset:332
	buffer_load_dword v92, off, s[0:3], 0 offset:328
	ds_read2_b64 v[88:91], v88 offset0:85 offset1:86
	s_waitcnt vmcnt(0) lgkmcnt(0)
	v_fmac_f64_e32 v[96:97], v[92:93], v[88:89]
	buffer_load_dword v89, off, s[0:3], 0 offset:340
	buffer_load_dword v88, off, s[0:3], 0 offset:336
	s_waitcnt vmcnt(0)
	v_fmac_f64_e32 v[96:97], v[88:89], v[90:91]
	v_add_f64 v[88:89], v[94:95], -v[96:97]
	buffer_store_dword v88, off, s[0:3], 0 offset:256
	buffer_store_dword v89, off, s[0:3], 0 offset:260
	s_and_saveexec_b64 s[4:5], vcc
	s_cbranch_execz .LBB42_203
; %bb.202:
	buffer_load_dword v88, off, s[0:3], 0 offset:248
	buffer_load_dword v89, off, s[0:3], 0 offset:252
	v_mov_b32_e32 v90, 0
	buffer_store_dword v90, off, s[0:3], 0 offset:248
	buffer_store_dword v90, off, s[0:3], 0 offset:252
	s_waitcnt vmcnt(2)
	ds_write_b64 v1, v[88:89]
.LBB42_203:
	s_or_b64 exec, exec, s[4:5]
	s_waitcnt lgkmcnt(0)
	; wave barrier
	s_waitcnt lgkmcnt(0)
	buffer_load_dword v106, off, s[0:3], 0 offset:248
	buffer_load_dword v107, off, s[0:3], 0 offset:252
	;; [unrolled: 1-line block ×16, first 2 shown]
	v_mov_b32_e32 v88, 0
	ds_read_b128 v[90:93], v88 offset:608
	ds_read_b128 v[94:97], v88 offset:624
	;; [unrolled: 1-line block ×4, first 2 shown]
	v_cmp_lt_u32_e32 vcc, 30, v0
	s_waitcnt vmcnt(12) lgkmcnt(3)
	v_fma_f64 v[108:109], v[108:109], v[90:91], 0
	buffer_load_dword v91, off, s[0:3], 0 offset:316
	buffer_load_dword v90, off, s[0:3], 0 offset:312
	s_waitcnt vmcnt(12)
	v_fmac_f64_e32 v[108:109], v[110:111], v[92:93]
	s_waitcnt vmcnt(10) lgkmcnt(2)
	v_fmac_f64_e32 v[108:109], v[112:113], v[94:95]
	buffer_load_dword v95, off, s[0:3], 0 offset:324
	buffer_load_dword v94, off, s[0:3], 0 offset:320
	s_waitcnt vmcnt(10)
	v_fmac_f64_e32 v[108:109], v[114:115], v[96:97]
	s_waitcnt vmcnt(8) lgkmcnt(1)
	v_fmac_f64_e32 v[108:109], v[116:117], v[98:99]
	s_waitcnt vmcnt(6)
	v_fmac_f64_e32 v[108:109], v[118:119], v[100:101]
	s_waitcnt vmcnt(4) lgkmcnt(0)
	v_fmac_f64_e32 v[108:109], v[120:121], v[102:103]
	s_waitcnt vmcnt(2)
	v_fmac_f64_e32 v[108:109], v[90:91], v[104:105]
	ds_read_b128 v[90:93], v88 offset:672
	s_waitcnt vmcnt(0) lgkmcnt(0)
	v_fmac_f64_e32 v[108:109], v[94:95], v[90:91]
	buffer_load_dword v91, off, s[0:3], 0 offset:332
	buffer_load_dword v90, off, s[0:3], 0 offset:328
	s_waitcnt vmcnt(0)
	v_fmac_f64_e32 v[108:109], v[90:91], v[92:93]
	buffer_load_dword v91, off, s[0:3], 0 offset:340
	buffer_load_dword v90, off, s[0:3], 0 offset:336
	ds_read_b64 v[92:93], v88 offset:688
	s_waitcnt vmcnt(0) lgkmcnt(0)
	v_fmac_f64_e32 v[108:109], v[90:91], v[92:93]
	v_add_f64 v[90:91], v[106:107], -v[108:109]
	buffer_store_dword v91, off, s[0:3], 0 offset:252
	buffer_store_dword v90, off, s[0:3], 0 offset:248
	s_and_saveexec_b64 s[4:5], vcc
	s_cbranch_execz .LBB42_205
; %bb.204:
	buffer_load_dword v90, off, s[0:3], 0 offset:240
	buffer_load_dword v91, off, s[0:3], 0 offset:244
	s_waitcnt vmcnt(0)
	ds_write_b64 v1, v[90:91]
	buffer_store_dword v88, off, s[0:3], 0 offset:240
	buffer_store_dword v88, off, s[0:3], 0 offset:244
.LBB42_205:
	s_or_b64 exec, exec, s[4:5]
	s_waitcnt lgkmcnt(0)
	; wave barrier
	s_waitcnt lgkmcnt(0)
	buffer_load_dword v94, off, s[0:3], 0 offset:240
	buffer_load_dword v95, off, s[0:3], 0 offset:244
	;; [unrolled: 1-line block ×16, first 2 shown]
	ds_read2_b64 v[90:93], v88 offset0:75 offset1:76
	v_cmp_lt_u32_e32 vcc, 29, v0
	s_waitcnt vmcnt(12) lgkmcnt(0)
	v_fma_f64 v[96:97], v[96:97], v[90:91], 0
	s_waitcnt vmcnt(10)
	v_fmac_f64_e32 v[96:97], v[98:99], v[92:93]
	ds_read2_b64 v[90:93], v88 offset0:77 offset1:78
	s_waitcnt vmcnt(8) lgkmcnt(0)
	v_fmac_f64_e32 v[96:97], v[100:101], v[90:91]
	s_waitcnt vmcnt(6)
	v_fmac_f64_e32 v[96:97], v[102:103], v[92:93]
	ds_read2_b64 v[90:93], v88 offset0:79 offset1:80
	s_waitcnt vmcnt(4) lgkmcnt(0)
	v_fmac_f64_e32 v[96:97], v[104:105], v[90:91]
	;; [unrolled: 5-line block ×3, first 2 shown]
	buffer_load_dword v91, off, s[0:3], 0 offset:308
	buffer_load_dword v90, off, s[0:3], 0 offset:304
	buffer_load_dword v99, off, s[0:3], 0 offset:316
	buffer_load_dword v98, off, s[0:3], 0 offset:312
	s_waitcnt vmcnt(2)
	v_fmac_f64_e32 v[96:97], v[90:91], v[92:93]
	ds_read2_b64 v[90:93], v88 offset0:83 offset1:84
	s_waitcnt vmcnt(0) lgkmcnt(0)
	v_fmac_f64_e32 v[96:97], v[98:99], v[90:91]
	buffer_load_dword v91, off, s[0:3], 0 offset:324
	buffer_load_dword v90, off, s[0:3], 0 offset:320
	s_waitcnt vmcnt(0)
	v_fmac_f64_e32 v[96:97], v[90:91], v[92:93]
	buffer_load_dword v93, off, s[0:3], 0 offset:332
	buffer_load_dword v92, off, s[0:3], 0 offset:328
	ds_read2_b64 v[88:91], v88 offset0:85 offset1:86
	s_waitcnt vmcnt(0) lgkmcnt(0)
	v_fmac_f64_e32 v[96:97], v[92:93], v[88:89]
	buffer_load_dword v89, off, s[0:3], 0 offset:340
	buffer_load_dword v88, off, s[0:3], 0 offset:336
	s_waitcnt vmcnt(0)
	v_fmac_f64_e32 v[96:97], v[88:89], v[90:91]
	v_add_f64 v[88:89], v[94:95], -v[96:97]
	buffer_store_dword v89, off, s[0:3], 0 offset:244
	buffer_store_dword v88, off, s[0:3], 0 offset:240
	s_and_saveexec_b64 s[4:5], vcc
	s_cbranch_execz .LBB42_207
; %bb.206:
	buffer_load_dword v88, off, s[0:3], 0 offset:232
	buffer_load_dword v89, off, s[0:3], 0 offset:236
	v_mov_b32_e32 v90, 0
	buffer_store_dword v90, off, s[0:3], 0 offset:232
	buffer_store_dword v90, off, s[0:3], 0 offset:236
	s_waitcnt vmcnt(2)
	ds_write_b64 v1, v[88:89]
.LBB42_207:
	s_or_b64 exec, exec, s[4:5]
	s_waitcnt lgkmcnt(0)
	; wave barrier
	s_waitcnt lgkmcnt(0)
	buffer_load_dword v106, off, s[0:3], 0 offset:232
	buffer_load_dword v107, off, s[0:3], 0 offset:236
	;; [unrolled: 1-line block ×16, first 2 shown]
	v_mov_b32_e32 v88, 0
	ds_read_b128 v[90:93], v88 offset:592
	ds_read_b128 v[94:97], v88 offset:608
	;; [unrolled: 1-line block ×4, first 2 shown]
	v_cmp_lt_u32_e32 vcc, 28, v0
	s_waitcnt vmcnt(12) lgkmcnt(3)
	v_fma_f64 v[108:109], v[108:109], v[90:91], 0
	buffer_load_dword v91, off, s[0:3], 0 offset:300
	buffer_load_dword v90, off, s[0:3], 0 offset:296
	s_waitcnt vmcnt(12)
	v_fmac_f64_e32 v[108:109], v[110:111], v[92:93]
	s_waitcnt vmcnt(10) lgkmcnt(2)
	v_fmac_f64_e32 v[108:109], v[112:113], v[94:95]
	buffer_load_dword v95, off, s[0:3], 0 offset:308
	buffer_load_dword v94, off, s[0:3], 0 offset:304
	s_waitcnt vmcnt(10)
	v_fmac_f64_e32 v[108:109], v[114:115], v[96:97]
	s_waitcnt vmcnt(8) lgkmcnt(1)
	v_fmac_f64_e32 v[108:109], v[116:117], v[98:99]
	s_waitcnt vmcnt(6)
	v_fmac_f64_e32 v[108:109], v[118:119], v[100:101]
	s_waitcnt vmcnt(4) lgkmcnt(0)
	v_fmac_f64_e32 v[108:109], v[120:121], v[102:103]
	s_waitcnt vmcnt(2)
	v_fmac_f64_e32 v[108:109], v[90:91], v[104:105]
	ds_read_b128 v[90:93], v88 offset:656
	s_waitcnt vmcnt(0) lgkmcnt(0)
	v_fmac_f64_e32 v[108:109], v[94:95], v[90:91]
	buffer_load_dword v91, off, s[0:3], 0 offset:316
	buffer_load_dword v90, off, s[0:3], 0 offset:312
	;; [unrolled: 1-line block ×4, first 2 shown]
	s_waitcnt vmcnt(2)
	v_fmac_f64_e32 v[108:109], v[90:91], v[92:93]
	ds_read_b128 v[90:93], v88 offset:672
	s_waitcnt vmcnt(0) lgkmcnt(0)
	v_fmac_f64_e32 v[108:109], v[94:95], v[90:91]
	buffer_load_dword v91, off, s[0:3], 0 offset:332
	buffer_load_dword v90, off, s[0:3], 0 offset:328
	s_waitcnt vmcnt(0)
	v_fmac_f64_e32 v[108:109], v[90:91], v[92:93]
	buffer_load_dword v91, off, s[0:3], 0 offset:340
	buffer_load_dword v90, off, s[0:3], 0 offset:336
	ds_read_b64 v[92:93], v88 offset:688
	s_waitcnt vmcnt(0) lgkmcnt(0)
	v_fmac_f64_e32 v[108:109], v[90:91], v[92:93]
	v_add_f64 v[90:91], v[106:107], -v[108:109]
	buffer_store_dword v91, off, s[0:3], 0 offset:236
	buffer_store_dword v90, off, s[0:3], 0 offset:232
	s_and_saveexec_b64 s[4:5], vcc
	s_cbranch_execz .LBB42_209
; %bb.208:
	buffer_load_dword v90, off, s[0:3], 0 offset:224
	buffer_load_dword v91, off, s[0:3], 0 offset:228
	s_waitcnt vmcnt(0)
	ds_write_b64 v1, v[90:91]
	buffer_store_dword v88, off, s[0:3], 0 offset:224
	buffer_store_dword v88, off, s[0:3], 0 offset:228
.LBB42_209:
	s_or_b64 exec, exec, s[4:5]
	s_waitcnt lgkmcnt(0)
	; wave barrier
	s_waitcnt lgkmcnt(0)
	buffer_load_dword v94, off, s[0:3], 0 offset:224
	buffer_load_dword v95, off, s[0:3], 0 offset:228
	;; [unrolled: 1-line block ×16, first 2 shown]
	ds_read2_b64 v[90:93], v88 offset0:73 offset1:74
	v_cmp_lt_u32_e32 vcc, 27, v0
	s_waitcnt vmcnt(12) lgkmcnt(0)
	v_fma_f64 v[96:97], v[96:97], v[90:91], 0
	s_waitcnt vmcnt(10)
	v_fmac_f64_e32 v[96:97], v[98:99], v[92:93]
	ds_read2_b64 v[90:93], v88 offset0:75 offset1:76
	s_waitcnt vmcnt(8) lgkmcnt(0)
	v_fmac_f64_e32 v[96:97], v[100:101], v[90:91]
	s_waitcnt vmcnt(6)
	v_fmac_f64_e32 v[96:97], v[102:103], v[92:93]
	ds_read2_b64 v[90:93], v88 offset0:77 offset1:78
	s_waitcnt vmcnt(4) lgkmcnt(0)
	v_fmac_f64_e32 v[96:97], v[104:105], v[90:91]
	;; [unrolled: 5-line block ×3, first 2 shown]
	buffer_load_dword v91, off, s[0:3], 0 offset:292
	buffer_load_dword v90, off, s[0:3], 0 offset:288
	;; [unrolled: 1-line block ×4, first 2 shown]
	s_waitcnt vmcnt(2)
	v_fmac_f64_e32 v[96:97], v[90:91], v[92:93]
	ds_read2_b64 v[90:93], v88 offset0:81 offset1:82
	s_waitcnt vmcnt(0) lgkmcnt(0)
	v_fmac_f64_e32 v[96:97], v[98:99], v[90:91]
	buffer_load_dword v91, off, s[0:3], 0 offset:308
	buffer_load_dword v90, off, s[0:3], 0 offset:304
	;; [unrolled: 1-line block ×4, first 2 shown]
	s_waitcnt vmcnt(2)
	v_fmac_f64_e32 v[96:97], v[90:91], v[92:93]
	ds_read2_b64 v[90:93], v88 offset0:83 offset1:84
	s_waitcnt vmcnt(0) lgkmcnt(0)
	v_fmac_f64_e32 v[96:97], v[98:99], v[90:91]
	buffer_load_dword v91, off, s[0:3], 0 offset:324
	buffer_load_dword v90, off, s[0:3], 0 offset:320
	s_waitcnt vmcnt(0)
	v_fmac_f64_e32 v[96:97], v[90:91], v[92:93]
	buffer_load_dword v93, off, s[0:3], 0 offset:332
	buffer_load_dword v92, off, s[0:3], 0 offset:328
	ds_read2_b64 v[88:91], v88 offset0:85 offset1:86
	s_waitcnt vmcnt(0) lgkmcnt(0)
	v_fmac_f64_e32 v[96:97], v[92:93], v[88:89]
	buffer_load_dword v89, off, s[0:3], 0 offset:340
	buffer_load_dword v88, off, s[0:3], 0 offset:336
	s_waitcnt vmcnt(0)
	v_fmac_f64_e32 v[96:97], v[88:89], v[90:91]
	v_add_f64 v[88:89], v[94:95], -v[96:97]
	buffer_store_dword v89, off, s[0:3], 0 offset:228
	buffer_store_dword v88, off, s[0:3], 0 offset:224
	s_and_saveexec_b64 s[4:5], vcc
	s_cbranch_execz .LBB42_211
; %bb.210:
	buffer_load_dword v88, off, s[0:3], 0 offset:216
	buffer_load_dword v89, off, s[0:3], 0 offset:220
	v_mov_b32_e32 v90, 0
	buffer_store_dword v90, off, s[0:3], 0 offset:216
	buffer_store_dword v90, off, s[0:3], 0 offset:220
	s_waitcnt vmcnt(2)
	ds_write_b64 v1, v[88:89]
.LBB42_211:
	s_or_b64 exec, exec, s[4:5]
	s_waitcnt lgkmcnt(0)
	; wave barrier
	s_waitcnt lgkmcnt(0)
	buffer_load_dword v106, off, s[0:3], 0 offset:216
	buffer_load_dword v107, off, s[0:3], 0 offset:220
	;; [unrolled: 1-line block ×16, first 2 shown]
	v_mov_b32_e32 v88, 0
	ds_read_b128 v[90:93], v88 offset:576
	ds_read_b128 v[94:97], v88 offset:592
	;; [unrolled: 1-line block ×4, first 2 shown]
	v_cmp_lt_u32_e32 vcc, 26, v0
	s_waitcnt vmcnt(12) lgkmcnt(3)
	v_fma_f64 v[108:109], v[108:109], v[90:91], 0
	buffer_load_dword v91, off, s[0:3], 0 offset:284
	buffer_load_dword v90, off, s[0:3], 0 offset:280
	s_waitcnt vmcnt(12)
	v_fmac_f64_e32 v[108:109], v[110:111], v[92:93]
	s_waitcnt vmcnt(10) lgkmcnt(2)
	v_fmac_f64_e32 v[108:109], v[112:113], v[94:95]
	buffer_load_dword v95, off, s[0:3], 0 offset:292
	buffer_load_dword v94, off, s[0:3], 0 offset:288
	s_waitcnt vmcnt(10)
	v_fmac_f64_e32 v[108:109], v[114:115], v[96:97]
	s_waitcnt vmcnt(8) lgkmcnt(1)
	v_fmac_f64_e32 v[108:109], v[116:117], v[98:99]
	s_waitcnt vmcnt(6)
	v_fmac_f64_e32 v[108:109], v[118:119], v[100:101]
	s_waitcnt vmcnt(4) lgkmcnt(0)
	v_fmac_f64_e32 v[108:109], v[120:121], v[102:103]
	s_waitcnt vmcnt(2)
	v_fmac_f64_e32 v[108:109], v[90:91], v[104:105]
	ds_read_b128 v[90:93], v88 offset:640
	s_waitcnt vmcnt(0) lgkmcnt(0)
	v_fmac_f64_e32 v[108:109], v[94:95], v[90:91]
	buffer_load_dword v91, off, s[0:3], 0 offset:300
	buffer_load_dword v90, off, s[0:3], 0 offset:296
	;; [unrolled: 1-line block ×4, first 2 shown]
	s_waitcnt vmcnt(2)
	v_fmac_f64_e32 v[108:109], v[90:91], v[92:93]
	ds_read_b128 v[90:93], v88 offset:656
	s_waitcnt vmcnt(0) lgkmcnt(0)
	v_fmac_f64_e32 v[108:109], v[94:95], v[90:91]
	buffer_load_dword v91, off, s[0:3], 0 offset:316
	buffer_load_dword v90, off, s[0:3], 0 offset:312
	;; [unrolled: 1-line block ×4, first 2 shown]
	s_waitcnt vmcnt(2)
	v_fmac_f64_e32 v[108:109], v[90:91], v[92:93]
	ds_read_b128 v[90:93], v88 offset:672
	s_waitcnt vmcnt(0) lgkmcnt(0)
	v_fmac_f64_e32 v[108:109], v[94:95], v[90:91]
	buffer_load_dword v91, off, s[0:3], 0 offset:332
	buffer_load_dword v90, off, s[0:3], 0 offset:328
	s_waitcnt vmcnt(0)
	v_fmac_f64_e32 v[108:109], v[90:91], v[92:93]
	buffer_load_dword v91, off, s[0:3], 0 offset:340
	buffer_load_dword v90, off, s[0:3], 0 offset:336
	ds_read_b64 v[92:93], v88 offset:688
	s_waitcnt vmcnt(0) lgkmcnt(0)
	v_fmac_f64_e32 v[108:109], v[90:91], v[92:93]
	v_add_f64 v[90:91], v[106:107], -v[108:109]
	buffer_store_dword v91, off, s[0:3], 0 offset:220
	buffer_store_dword v90, off, s[0:3], 0 offset:216
	s_and_saveexec_b64 s[4:5], vcc
	s_cbranch_execz .LBB42_213
; %bb.212:
	buffer_load_dword v90, off, s[0:3], 0 offset:208
	buffer_load_dword v91, off, s[0:3], 0 offset:212
	s_waitcnt vmcnt(0)
	ds_write_b64 v1, v[90:91]
	buffer_store_dword v88, off, s[0:3], 0 offset:208
	buffer_store_dword v88, off, s[0:3], 0 offset:212
.LBB42_213:
	s_or_b64 exec, exec, s[4:5]
	s_waitcnt lgkmcnt(0)
	; wave barrier
	s_waitcnt lgkmcnt(0)
	buffer_load_dword v94, off, s[0:3], 0 offset:208
	buffer_load_dword v95, off, s[0:3], 0 offset:212
	;; [unrolled: 1-line block ×16, first 2 shown]
	ds_read2_b64 v[90:93], v88 offset0:71 offset1:72
	v_cmp_lt_u32_e32 vcc, 25, v0
	s_waitcnt vmcnt(12) lgkmcnt(0)
	v_fma_f64 v[96:97], v[96:97], v[90:91], 0
	s_waitcnt vmcnt(10)
	v_fmac_f64_e32 v[96:97], v[98:99], v[92:93]
	ds_read2_b64 v[90:93], v88 offset0:73 offset1:74
	s_waitcnt vmcnt(8) lgkmcnt(0)
	v_fmac_f64_e32 v[96:97], v[100:101], v[90:91]
	s_waitcnt vmcnt(6)
	v_fmac_f64_e32 v[96:97], v[102:103], v[92:93]
	ds_read2_b64 v[90:93], v88 offset0:75 offset1:76
	s_waitcnt vmcnt(4) lgkmcnt(0)
	v_fmac_f64_e32 v[96:97], v[104:105], v[90:91]
	;; [unrolled: 5-line block ×3, first 2 shown]
	buffer_load_dword v91, off, s[0:3], 0 offset:276
	buffer_load_dword v90, off, s[0:3], 0 offset:272
	buffer_load_dword v99, off, s[0:3], 0 offset:284
	buffer_load_dword v98, off, s[0:3], 0 offset:280
	s_waitcnt vmcnt(2)
	v_fmac_f64_e32 v[96:97], v[90:91], v[92:93]
	ds_read2_b64 v[90:93], v88 offset0:79 offset1:80
	s_waitcnt vmcnt(0) lgkmcnt(0)
	v_fmac_f64_e32 v[96:97], v[98:99], v[90:91]
	buffer_load_dword v91, off, s[0:3], 0 offset:292
	buffer_load_dword v90, off, s[0:3], 0 offset:288
	buffer_load_dword v99, off, s[0:3], 0 offset:300
	buffer_load_dword v98, off, s[0:3], 0 offset:296
	s_waitcnt vmcnt(2)
	v_fmac_f64_e32 v[96:97], v[90:91], v[92:93]
	ds_read2_b64 v[90:93], v88 offset0:81 offset1:82
	s_waitcnt vmcnt(0) lgkmcnt(0)
	v_fmac_f64_e32 v[96:97], v[98:99], v[90:91]
	;; [unrolled: 9-line block ×3, first 2 shown]
	buffer_load_dword v91, off, s[0:3], 0 offset:324
	buffer_load_dword v90, off, s[0:3], 0 offset:320
	s_waitcnt vmcnt(0)
	v_fmac_f64_e32 v[96:97], v[90:91], v[92:93]
	buffer_load_dword v93, off, s[0:3], 0 offset:332
	buffer_load_dword v92, off, s[0:3], 0 offset:328
	ds_read2_b64 v[88:91], v88 offset0:85 offset1:86
	s_waitcnt vmcnt(0) lgkmcnt(0)
	v_fmac_f64_e32 v[96:97], v[92:93], v[88:89]
	buffer_load_dword v89, off, s[0:3], 0 offset:340
	buffer_load_dword v88, off, s[0:3], 0 offset:336
	s_waitcnt vmcnt(0)
	v_fmac_f64_e32 v[96:97], v[88:89], v[90:91]
	v_add_f64 v[88:89], v[94:95], -v[96:97]
	buffer_store_dword v89, off, s[0:3], 0 offset:212
	buffer_store_dword v88, off, s[0:3], 0 offset:208
	s_and_saveexec_b64 s[4:5], vcc
	s_cbranch_execz .LBB42_215
; %bb.214:
	buffer_load_dword v88, off, s[0:3], 0 offset:200
	buffer_load_dword v89, off, s[0:3], 0 offset:204
	v_mov_b32_e32 v90, 0
	buffer_store_dword v90, off, s[0:3], 0 offset:200
	buffer_store_dword v90, off, s[0:3], 0 offset:204
	s_waitcnt vmcnt(2)
	ds_write_b64 v1, v[88:89]
.LBB42_215:
	s_or_b64 exec, exec, s[4:5]
	s_waitcnt lgkmcnt(0)
	; wave barrier
	s_waitcnt lgkmcnt(0)
	buffer_load_dword v88, off, s[0:3], 0 offset:200
	buffer_load_dword v89, off, s[0:3], 0 offset:204
	;; [unrolled: 1-line block ×16, first 2 shown]
	v_mov_b32_e32 v92, 0
	ds_read_b128 v[94:97], v92 offset:560
	ds_read_b128 v[98:101], v92 offset:576
	;; [unrolled: 1-line block ×4, first 2 shown]
	v_cmp_lt_u32_e32 vcc, 24, v0
	s_waitcnt vmcnt(12) lgkmcnt(3)
	v_fma_f64 v[90:91], v[90:91], v[94:95], 0
	buffer_load_dword v95, off, s[0:3], 0 offset:268
	buffer_load_dword v94, off, s[0:3], 0 offset:264
	s_waitcnt vmcnt(12)
	v_fmac_f64_e32 v[90:91], v[110:111], v[96:97]
	s_waitcnt vmcnt(10) lgkmcnt(2)
	v_fmac_f64_e32 v[90:91], v[112:113], v[98:99]
	buffer_load_dword v99, off, s[0:3], 0 offset:276
	buffer_load_dword v98, off, s[0:3], 0 offset:272
	s_waitcnt vmcnt(10)
	v_fmac_f64_e32 v[90:91], v[114:115], v[100:101]
	s_waitcnt vmcnt(8) lgkmcnt(1)
	v_fmac_f64_e32 v[90:91], v[116:117], v[102:103]
	s_waitcnt vmcnt(6)
	v_fmac_f64_e32 v[90:91], v[118:119], v[104:105]
	s_waitcnt vmcnt(4) lgkmcnt(0)
	v_fmac_f64_e32 v[90:91], v[120:121], v[106:107]
	s_waitcnt vmcnt(2)
	v_fmac_f64_e32 v[90:91], v[94:95], v[108:109]
	ds_read_b128 v[94:97], v92 offset:624
	s_waitcnt vmcnt(0) lgkmcnt(0)
	v_fmac_f64_e32 v[90:91], v[98:99], v[94:95]
	buffer_load_dword v95, off, s[0:3], 0 offset:284
	buffer_load_dword v94, off, s[0:3], 0 offset:280
	buffer_load_dword v99, off, s[0:3], 0 offset:292
	buffer_load_dword v98, off, s[0:3], 0 offset:288
	s_waitcnt vmcnt(2)
	v_fmac_f64_e32 v[90:91], v[94:95], v[96:97]
	ds_read_b128 v[94:97], v92 offset:640
	s_waitcnt vmcnt(0) lgkmcnt(0)
	v_fmac_f64_e32 v[90:91], v[98:99], v[94:95]
	buffer_load_dword v95, off, s[0:3], 0 offset:300
	buffer_load_dword v94, off, s[0:3], 0 offset:296
	buffer_load_dword v99, off, s[0:3], 0 offset:308
	buffer_load_dword v98, off, s[0:3], 0 offset:304
	s_waitcnt vmcnt(2)
	v_fmac_f64_e32 v[90:91], v[94:95], v[96:97]
	ds_read_b128 v[94:97], v92 offset:656
	s_waitcnt vmcnt(0) lgkmcnt(0)
	v_fmac_f64_e32 v[90:91], v[98:99], v[94:95]
	buffer_load_dword v95, off, s[0:3], 0 offset:316
	buffer_load_dword v94, off, s[0:3], 0 offset:312
	buffer_load_dword v99, off, s[0:3], 0 offset:324
	buffer_load_dword v98, off, s[0:3], 0 offset:320
	s_waitcnt vmcnt(2)
	v_fmac_f64_e32 v[90:91], v[94:95], v[96:97]
	ds_read_b128 v[94:97], v92 offset:672
	s_waitcnt vmcnt(0) lgkmcnt(0)
	v_fmac_f64_e32 v[90:91], v[98:99], v[94:95]
	buffer_load_dword v95, off, s[0:3], 0 offset:332
	buffer_load_dword v94, off, s[0:3], 0 offset:328
	s_waitcnt vmcnt(0)
	v_fmac_f64_e32 v[90:91], v[94:95], v[96:97]
	buffer_load_dword v95, off, s[0:3], 0 offset:340
	buffer_load_dword v94, off, s[0:3], 0 offset:336
	ds_read_b64 v[96:97], v92 offset:688
	s_waitcnt vmcnt(0) lgkmcnt(0)
	v_fmac_f64_e32 v[90:91], v[94:95], v[96:97]
	v_add_f64 v[88:89], v[88:89], -v[90:91]
	buffer_store_dword v89, off, s[0:3], 0 offset:204
	buffer_store_dword v88, off, s[0:3], 0 offset:200
	s_and_saveexec_b64 s[4:5], vcc
	s_cbranch_execz .LBB42_217
; %bb.216:
	buffer_load_dword v88, off, s[0:3], 0 offset:192
	buffer_load_dword v89, off, s[0:3], 0 offset:196
	s_waitcnt vmcnt(0)
	ds_write_b64 v1, v[88:89]
	buffer_store_dword v92, off, s[0:3], 0 offset:192
	buffer_store_dword v92, off, s[0:3], 0 offset:196
.LBB42_217:
	s_or_b64 exec, exec, s[4:5]
	s_waitcnt lgkmcnt(0)
	; wave barrier
	s_waitcnt lgkmcnt(0)
	buffer_load_dword v88, off, s[0:3], 0 offset:192
	buffer_load_dword v89, off, s[0:3], 0 offset:196
	;; [unrolled: 1-line block ×16, first 2 shown]
	ds_read2_b64 v[94:97], v92 offset0:69 offset1:70
	v_cmp_lt_u32_e32 vcc, 23, v0
	s_waitcnt vmcnt(12) lgkmcnt(0)
	v_fma_f64 v[90:91], v[90:91], v[94:95], 0
	s_waitcnt vmcnt(10)
	v_fmac_f64_e32 v[90:91], v[98:99], v[96:97]
	ds_read2_b64 v[94:97], v92 offset0:71 offset1:72
	s_waitcnt vmcnt(8) lgkmcnt(0)
	v_fmac_f64_e32 v[90:91], v[100:101], v[94:95]
	s_waitcnt vmcnt(6)
	v_fmac_f64_e32 v[90:91], v[102:103], v[96:97]
	ds_read2_b64 v[94:97], v92 offset0:73 offset1:74
	s_waitcnt vmcnt(4) lgkmcnt(0)
	v_fmac_f64_e32 v[90:91], v[104:105], v[94:95]
	;; [unrolled: 5-line block ×3, first 2 shown]
	buffer_load_dword v95, off, s[0:3], 0 offset:260
	buffer_load_dword v94, off, s[0:3], 0 offset:256
	buffer_load_dword v99, off, s[0:3], 0 offset:268
	buffer_load_dword v98, off, s[0:3], 0 offset:264
	s_waitcnt vmcnt(2)
	v_fmac_f64_e32 v[90:91], v[94:95], v[96:97]
	ds_read2_b64 v[94:97], v92 offset0:77 offset1:78
	s_waitcnt vmcnt(0) lgkmcnt(0)
	v_fmac_f64_e32 v[90:91], v[98:99], v[94:95]
	buffer_load_dword v95, off, s[0:3], 0 offset:276
	buffer_load_dword v94, off, s[0:3], 0 offset:272
	buffer_load_dword v99, off, s[0:3], 0 offset:284
	buffer_load_dword v98, off, s[0:3], 0 offset:280
	s_waitcnt vmcnt(2)
	v_fmac_f64_e32 v[90:91], v[94:95], v[96:97]
	ds_read2_b64 v[94:97], v92 offset0:79 offset1:80
	s_waitcnt vmcnt(0) lgkmcnt(0)
	v_fmac_f64_e32 v[90:91], v[98:99], v[94:95]
	;; [unrolled: 9-line block ×4, first 2 shown]
	buffer_load_dword v95, off, s[0:3], 0 offset:324
	buffer_load_dword v94, off, s[0:3], 0 offset:320
	s_waitcnt vmcnt(0)
	v_fmac_f64_e32 v[90:91], v[94:95], v[96:97]
	buffer_load_dword v97, off, s[0:3], 0 offset:332
	buffer_load_dword v96, off, s[0:3], 0 offset:328
	ds_read2_b64 v[92:95], v92 offset0:85 offset1:86
	s_waitcnt vmcnt(0) lgkmcnt(0)
	v_fmac_f64_e32 v[90:91], v[96:97], v[92:93]
	buffer_load_dword v93, off, s[0:3], 0 offset:340
	buffer_load_dword v92, off, s[0:3], 0 offset:336
	s_waitcnt vmcnt(0)
	v_fmac_f64_e32 v[90:91], v[92:93], v[94:95]
	v_add_f64 v[88:89], v[88:89], -v[90:91]
	buffer_store_dword v89, off, s[0:3], 0 offset:196
	buffer_store_dword v88, off, s[0:3], 0 offset:192
	s_and_saveexec_b64 s[4:5], vcc
	s_cbranch_execz .LBB42_219
; %bb.218:
	buffer_load_dword v88, off, s[0:3], 0 offset:184
	buffer_load_dword v89, off, s[0:3], 0 offset:188
	v_mov_b32_e32 v90, 0
	buffer_store_dword v90, off, s[0:3], 0 offset:184
	buffer_store_dword v90, off, s[0:3], 0 offset:188
	s_waitcnt vmcnt(2)
	ds_write_b64 v1, v[88:89]
.LBB42_219:
	s_or_b64 exec, exec, s[4:5]
	s_waitcnt lgkmcnt(0)
	; wave barrier
	s_waitcnt lgkmcnt(0)
	buffer_load_dword v88, off, s[0:3], 0 offset:184
	buffer_load_dword v89, off, s[0:3], 0 offset:188
	;; [unrolled: 1-line block ×16, first 2 shown]
	v_mov_b32_e32 v92, 0
	ds_read_b128 v[94:97], v92 offset:544
	ds_read_b128 v[98:101], v92 offset:560
	;; [unrolled: 1-line block ×4, first 2 shown]
	v_cmp_lt_u32_e32 vcc, 22, v0
	s_waitcnt vmcnt(12) lgkmcnt(3)
	v_fma_f64 v[90:91], v[90:91], v[94:95], 0
	buffer_load_dword v95, off, s[0:3], 0 offset:252
	buffer_load_dword v94, off, s[0:3], 0 offset:248
	s_waitcnt vmcnt(12)
	v_fmac_f64_e32 v[90:91], v[110:111], v[96:97]
	s_waitcnt vmcnt(10) lgkmcnt(2)
	v_fmac_f64_e32 v[90:91], v[112:113], v[98:99]
	buffer_load_dword v99, off, s[0:3], 0 offset:260
	buffer_load_dword v98, off, s[0:3], 0 offset:256
	s_waitcnt vmcnt(10)
	v_fmac_f64_e32 v[90:91], v[114:115], v[100:101]
	s_waitcnt vmcnt(8) lgkmcnt(1)
	v_fmac_f64_e32 v[90:91], v[116:117], v[102:103]
	s_waitcnt vmcnt(6)
	v_fmac_f64_e32 v[90:91], v[118:119], v[104:105]
	s_waitcnt vmcnt(4) lgkmcnt(0)
	v_fmac_f64_e32 v[90:91], v[120:121], v[106:107]
	s_waitcnt vmcnt(2)
	v_fmac_f64_e32 v[90:91], v[94:95], v[108:109]
	ds_read_b128 v[94:97], v92 offset:608
	s_waitcnt vmcnt(0) lgkmcnt(0)
	v_fmac_f64_e32 v[90:91], v[98:99], v[94:95]
	buffer_load_dword v95, off, s[0:3], 0 offset:268
	buffer_load_dword v94, off, s[0:3], 0 offset:264
	buffer_load_dword v99, off, s[0:3], 0 offset:276
	buffer_load_dword v98, off, s[0:3], 0 offset:272
	s_waitcnt vmcnt(2)
	v_fmac_f64_e32 v[90:91], v[94:95], v[96:97]
	ds_read_b128 v[94:97], v92 offset:624
	s_waitcnt vmcnt(0) lgkmcnt(0)
	v_fmac_f64_e32 v[90:91], v[98:99], v[94:95]
	buffer_load_dword v95, off, s[0:3], 0 offset:284
	buffer_load_dword v94, off, s[0:3], 0 offset:280
	buffer_load_dword v99, off, s[0:3], 0 offset:292
	buffer_load_dword v98, off, s[0:3], 0 offset:288
	;; [unrolled: 9-line block ×4, first 2 shown]
	s_waitcnt vmcnt(2)
	v_fmac_f64_e32 v[90:91], v[94:95], v[96:97]
	ds_read_b128 v[94:97], v92 offset:672
	s_waitcnt vmcnt(0) lgkmcnt(0)
	v_fmac_f64_e32 v[90:91], v[98:99], v[94:95]
	buffer_load_dword v95, off, s[0:3], 0 offset:332
	buffer_load_dword v94, off, s[0:3], 0 offset:328
	s_waitcnt vmcnt(0)
	v_fmac_f64_e32 v[90:91], v[94:95], v[96:97]
	buffer_load_dword v95, off, s[0:3], 0 offset:340
	buffer_load_dword v94, off, s[0:3], 0 offset:336
	ds_read_b64 v[96:97], v92 offset:688
	s_waitcnt vmcnt(0) lgkmcnt(0)
	v_fmac_f64_e32 v[90:91], v[94:95], v[96:97]
	v_add_f64 v[88:89], v[88:89], -v[90:91]
	buffer_store_dword v89, off, s[0:3], 0 offset:188
	buffer_store_dword v88, off, s[0:3], 0 offset:184
	s_and_saveexec_b64 s[4:5], vcc
	s_cbranch_execz .LBB42_221
; %bb.220:
	buffer_load_dword v88, off, s[0:3], 0 offset:176
	buffer_load_dword v89, off, s[0:3], 0 offset:180
	s_waitcnt vmcnt(0)
	ds_write_b64 v1, v[88:89]
	buffer_store_dword v92, off, s[0:3], 0 offset:176
	buffer_store_dword v92, off, s[0:3], 0 offset:180
.LBB42_221:
	s_or_b64 exec, exec, s[4:5]
	s_waitcnt lgkmcnt(0)
	; wave barrier
	s_waitcnt lgkmcnt(0)
	buffer_load_dword v88, off, s[0:3], 0 offset:176
	buffer_load_dword v89, off, s[0:3], 0 offset:180
	;; [unrolled: 1-line block ×16, first 2 shown]
	ds_read2_b64 v[94:97], v92 offset0:67 offset1:68
	v_cmp_lt_u32_e32 vcc, 21, v0
	s_waitcnt vmcnt(12) lgkmcnt(0)
	v_fma_f64 v[90:91], v[90:91], v[94:95], 0
	s_waitcnt vmcnt(10)
	v_fmac_f64_e32 v[90:91], v[98:99], v[96:97]
	ds_read2_b64 v[94:97], v92 offset0:69 offset1:70
	s_waitcnt vmcnt(8) lgkmcnt(0)
	v_fmac_f64_e32 v[90:91], v[100:101], v[94:95]
	s_waitcnt vmcnt(6)
	v_fmac_f64_e32 v[90:91], v[102:103], v[96:97]
	ds_read2_b64 v[94:97], v92 offset0:71 offset1:72
	s_waitcnt vmcnt(4) lgkmcnt(0)
	v_fmac_f64_e32 v[90:91], v[104:105], v[94:95]
	;; [unrolled: 5-line block ×3, first 2 shown]
	buffer_load_dword v95, off, s[0:3], 0 offset:244
	buffer_load_dword v94, off, s[0:3], 0 offset:240
	buffer_load_dword v99, off, s[0:3], 0 offset:252
	buffer_load_dword v98, off, s[0:3], 0 offset:248
	s_waitcnt vmcnt(2)
	v_fmac_f64_e32 v[90:91], v[94:95], v[96:97]
	ds_read2_b64 v[94:97], v92 offset0:75 offset1:76
	s_waitcnt vmcnt(0) lgkmcnt(0)
	v_fmac_f64_e32 v[90:91], v[98:99], v[94:95]
	buffer_load_dword v95, off, s[0:3], 0 offset:260
	buffer_load_dword v94, off, s[0:3], 0 offset:256
	buffer_load_dword v99, off, s[0:3], 0 offset:268
	buffer_load_dword v98, off, s[0:3], 0 offset:264
	s_waitcnt vmcnt(2)
	v_fmac_f64_e32 v[90:91], v[94:95], v[96:97]
	ds_read2_b64 v[94:97], v92 offset0:77 offset1:78
	s_waitcnt vmcnt(0) lgkmcnt(0)
	v_fmac_f64_e32 v[90:91], v[98:99], v[94:95]
	;; [unrolled: 9-line block ×5, first 2 shown]
	buffer_load_dword v95, off, s[0:3], 0 offset:324
	buffer_load_dword v94, off, s[0:3], 0 offset:320
	s_waitcnt vmcnt(0)
	v_fmac_f64_e32 v[90:91], v[94:95], v[96:97]
	buffer_load_dword v97, off, s[0:3], 0 offset:332
	buffer_load_dword v96, off, s[0:3], 0 offset:328
	ds_read2_b64 v[92:95], v92 offset0:85 offset1:86
	s_waitcnt vmcnt(0) lgkmcnt(0)
	v_fmac_f64_e32 v[90:91], v[96:97], v[92:93]
	buffer_load_dword v93, off, s[0:3], 0 offset:340
	buffer_load_dword v92, off, s[0:3], 0 offset:336
	s_waitcnt vmcnt(0)
	v_fmac_f64_e32 v[90:91], v[92:93], v[94:95]
	v_add_f64 v[88:89], v[88:89], -v[90:91]
	buffer_store_dword v89, off, s[0:3], 0 offset:180
	buffer_store_dword v88, off, s[0:3], 0 offset:176
	s_and_saveexec_b64 s[4:5], vcc
	s_cbranch_execz .LBB42_223
; %bb.222:
	buffer_load_dword v88, off, s[0:3], 0 offset:168
	buffer_load_dword v89, off, s[0:3], 0 offset:172
	v_mov_b32_e32 v90, 0
	buffer_store_dword v90, off, s[0:3], 0 offset:168
	buffer_store_dword v90, off, s[0:3], 0 offset:172
	s_waitcnt vmcnt(2)
	ds_write_b64 v1, v[88:89]
.LBB42_223:
	s_or_b64 exec, exec, s[4:5]
	s_waitcnt lgkmcnt(0)
	; wave barrier
	s_waitcnt lgkmcnt(0)
	buffer_load_dword v88, off, s[0:3], 0 offset:168
	buffer_load_dword v89, off, s[0:3], 0 offset:172
	;; [unrolled: 1-line block ×16, first 2 shown]
	v_mov_b32_e32 v92, 0
	ds_read_b128 v[94:97], v92 offset:528
	ds_read_b128 v[98:101], v92 offset:544
	;; [unrolled: 1-line block ×4, first 2 shown]
	v_cmp_lt_u32_e32 vcc, 20, v0
	s_waitcnt vmcnt(12) lgkmcnt(3)
	v_fma_f64 v[90:91], v[90:91], v[94:95], 0
	buffer_load_dword v95, off, s[0:3], 0 offset:236
	buffer_load_dword v94, off, s[0:3], 0 offset:232
	s_waitcnt vmcnt(12)
	v_fmac_f64_e32 v[90:91], v[110:111], v[96:97]
	s_waitcnt vmcnt(10) lgkmcnt(2)
	v_fmac_f64_e32 v[90:91], v[112:113], v[98:99]
	buffer_load_dword v99, off, s[0:3], 0 offset:244
	buffer_load_dword v98, off, s[0:3], 0 offset:240
	s_waitcnt vmcnt(10)
	v_fmac_f64_e32 v[90:91], v[114:115], v[100:101]
	s_waitcnt vmcnt(8) lgkmcnt(1)
	v_fmac_f64_e32 v[90:91], v[116:117], v[102:103]
	s_waitcnt vmcnt(6)
	v_fmac_f64_e32 v[90:91], v[118:119], v[104:105]
	s_waitcnt vmcnt(4) lgkmcnt(0)
	v_fmac_f64_e32 v[90:91], v[120:121], v[106:107]
	s_waitcnt vmcnt(2)
	v_fmac_f64_e32 v[90:91], v[94:95], v[108:109]
	ds_read_b128 v[94:97], v92 offset:592
	s_waitcnt vmcnt(0) lgkmcnt(0)
	v_fmac_f64_e32 v[90:91], v[98:99], v[94:95]
	buffer_load_dword v95, off, s[0:3], 0 offset:252
	buffer_load_dword v94, off, s[0:3], 0 offset:248
	buffer_load_dword v99, off, s[0:3], 0 offset:260
	buffer_load_dword v98, off, s[0:3], 0 offset:256
	s_waitcnt vmcnt(2)
	v_fmac_f64_e32 v[90:91], v[94:95], v[96:97]
	ds_read_b128 v[94:97], v92 offset:608
	s_waitcnt vmcnt(0) lgkmcnt(0)
	v_fmac_f64_e32 v[90:91], v[98:99], v[94:95]
	buffer_load_dword v95, off, s[0:3], 0 offset:268
	buffer_load_dword v94, off, s[0:3], 0 offset:264
	buffer_load_dword v99, off, s[0:3], 0 offset:276
	buffer_load_dword v98, off, s[0:3], 0 offset:272
	;; [unrolled: 9-line block ×5, first 2 shown]
	s_waitcnt vmcnt(2)
	v_fmac_f64_e32 v[90:91], v[94:95], v[96:97]
	ds_read_b128 v[94:97], v92 offset:672
	s_waitcnt vmcnt(0) lgkmcnt(0)
	v_fmac_f64_e32 v[90:91], v[98:99], v[94:95]
	buffer_load_dword v95, off, s[0:3], 0 offset:332
	buffer_load_dword v94, off, s[0:3], 0 offset:328
	s_waitcnt vmcnt(0)
	v_fmac_f64_e32 v[90:91], v[94:95], v[96:97]
	buffer_load_dword v95, off, s[0:3], 0 offset:340
	buffer_load_dword v94, off, s[0:3], 0 offset:336
	ds_read_b64 v[96:97], v92 offset:688
	s_waitcnt vmcnt(0) lgkmcnt(0)
	v_fmac_f64_e32 v[90:91], v[94:95], v[96:97]
	v_add_f64 v[88:89], v[88:89], -v[90:91]
	buffer_store_dword v89, off, s[0:3], 0 offset:172
	buffer_store_dword v88, off, s[0:3], 0 offset:168
	s_and_saveexec_b64 s[4:5], vcc
	s_cbranch_execz .LBB42_225
; %bb.224:
	buffer_load_dword v88, off, s[0:3], 0 offset:160
	buffer_load_dword v89, off, s[0:3], 0 offset:164
	s_waitcnt vmcnt(0)
	ds_write_b64 v1, v[88:89]
	buffer_store_dword v92, off, s[0:3], 0 offset:160
	buffer_store_dword v92, off, s[0:3], 0 offset:164
.LBB42_225:
	s_or_b64 exec, exec, s[4:5]
	s_waitcnt lgkmcnt(0)
	; wave barrier
	s_waitcnt lgkmcnt(0)
	buffer_load_dword v88, off, s[0:3], 0 offset:160
	buffer_load_dword v89, off, s[0:3], 0 offset:164
	;; [unrolled: 1-line block ×16, first 2 shown]
	ds_read2_b64 v[94:97], v92 offset0:65 offset1:66
	v_cmp_lt_u32_e32 vcc, 19, v0
	s_waitcnt vmcnt(12) lgkmcnt(0)
	v_fma_f64 v[90:91], v[90:91], v[94:95], 0
	s_waitcnt vmcnt(10)
	v_fmac_f64_e32 v[90:91], v[98:99], v[96:97]
	ds_read2_b64 v[94:97], v92 offset0:67 offset1:68
	s_waitcnt vmcnt(8) lgkmcnt(0)
	v_fmac_f64_e32 v[90:91], v[100:101], v[94:95]
	s_waitcnt vmcnt(6)
	v_fmac_f64_e32 v[90:91], v[102:103], v[96:97]
	ds_read2_b64 v[94:97], v92 offset0:69 offset1:70
	s_waitcnt vmcnt(4) lgkmcnt(0)
	v_fmac_f64_e32 v[90:91], v[104:105], v[94:95]
	;; [unrolled: 5-line block ×3, first 2 shown]
	buffer_load_dword v95, off, s[0:3], 0 offset:228
	buffer_load_dword v94, off, s[0:3], 0 offset:224
	buffer_load_dword v99, off, s[0:3], 0 offset:236
	buffer_load_dword v98, off, s[0:3], 0 offset:232
	s_waitcnt vmcnt(2)
	v_fmac_f64_e32 v[90:91], v[94:95], v[96:97]
	ds_read2_b64 v[94:97], v92 offset0:73 offset1:74
	s_waitcnt vmcnt(0) lgkmcnt(0)
	v_fmac_f64_e32 v[90:91], v[98:99], v[94:95]
	buffer_load_dword v95, off, s[0:3], 0 offset:244
	buffer_load_dword v94, off, s[0:3], 0 offset:240
	buffer_load_dword v99, off, s[0:3], 0 offset:252
	buffer_load_dword v98, off, s[0:3], 0 offset:248
	s_waitcnt vmcnt(2)
	v_fmac_f64_e32 v[90:91], v[94:95], v[96:97]
	ds_read2_b64 v[94:97], v92 offset0:75 offset1:76
	s_waitcnt vmcnt(0) lgkmcnt(0)
	v_fmac_f64_e32 v[90:91], v[98:99], v[94:95]
	;; [unrolled: 9-line block ×6, first 2 shown]
	buffer_load_dword v95, off, s[0:3], 0 offset:324
	buffer_load_dword v94, off, s[0:3], 0 offset:320
	s_waitcnt vmcnt(0)
	v_fmac_f64_e32 v[90:91], v[94:95], v[96:97]
	buffer_load_dword v97, off, s[0:3], 0 offset:332
	buffer_load_dword v96, off, s[0:3], 0 offset:328
	ds_read2_b64 v[92:95], v92 offset0:85 offset1:86
	s_waitcnt vmcnt(0) lgkmcnt(0)
	v_fmac_f64_e32 v[90:91], v[96:97], v[92:93]
	buffer_load_dword v93, off, s[0:3], 0 offset:340
	buffer_load_dword v92, off, s[0:3], 0 offset:336
	s_waitcnt vmcnt(0)
	v_fmac_f64_e32 v[90:91], v[92:93], v[94:95]
	v_add_f64 v[88:89], v[88:89], -v[90:91]
	buffer_store_dword v89, off, s[0:3], 0 offset:164
	buffer_store_dword v88, off, s[0:3], 0 offset:160
	s_and_saveexec_b64 s[4:5], vcc
	s_cbranch_execz .LBB42_227
; %bb.226:
	buffer_load_dword v88, off, s[0:3], 0 offset:152
	buffer_load_dword v89, off, s[0:3], 0 offset:156
	v_mov_b32_e32 v90, 0
	buffer_store_dword v90, off, s[0:3], 0 offset:152
	buffer_store_dword v90, off, s[0:3], 0 offset:156
	s_waitcnt vmcnt(2)
	ds_write_b64 v1, v[88:89]
.LBB42_227:
	s_or_b64 exec, exec, s[4:5]
	s_waitcnt lgkmcnt(0)
	; wave barrier
	s_waitcnt lgkmcnt(0)
	buffer_load_dword v88, off, s[0:3], 0 offset:152
	buffer_load_dword v89, off, s[0:3], 0 offset:156
	;; [unrolled: 1-line block ×16, first 2 shown]
	v_mov_b32_e32 v92, 0
	ds_read_b128 v[94:97], v92 offset:512
	ds_read_b128 v[98:101], v92 offset:528
	;; [unrolled: 1-line block ×4, first 2 shown]
	v_cmp_lt_u32_e32 vcc, 18, v0
	s_waitcnt vmcnt(12) lgkmcnt(3)
	v_fma_f64 v[90:91], v[90:91], v[94:95], 0
	buffer_load_dword v95, off, s[0:3], 0 offset:220
	buffer_load_dword v94, off, s[0:3], 0 offset:216
	s_waitcnt vmcnt(12)
	v_fmac_f64_e32 v[90:91], v[110:111], v[96:97]
	s_waitcnt vmcnt(10) lgkmcnt(2)
	v_fmac_f64_e32 v[90:91], v[112:113], v[98:99]
	buffer_load_dword v99, off, s[0:3], 0 offset:228
	buffer_load_dword v98, off, s[0:3], 0 offset:224
	s_waitcnt vmcnt(10)
	v_fmac_f64_e32 v[90:91], v[114:115], v[100:101]
	s_waitcnt vmcnt(8) lgkmcnt(1)
	v_fmac_f64_e32 v[90:91], v[116:117], v[102:103]
	s_waitcnt vmcnt(6)
	v_fmac_f64_e32 v[90:91], v[118:119], v[104:105]
	s_waitcnt vmcnt(4) lgkmcnt(0)
	v_fmac_f64_e32 v[90:91], v[120:121], v[106:107]
	s_waitcnt vmcnt(2)
	v_fmac_f64_e32 v[90:91], v[94:95], v[108:109]
	ds_read_b128 v[94:97], v92 offset:576
	s_waitcnt vmcnt(0) lgkmcnt(0)
	v_fmac_f64_e32 v[90:91], v[98:99], v[94:95]
	buffer_load_dword v95, off, s[0:3], 0 offset:236
	buffer_load_dword v94, off, s[0:3], 0 offset:232
	buffer_load_dword v99, off, s[0:3], 0 offset:244
	buffer_load_dword v98, off, s[0:3], 0 offset:240
	s_waitcnt vmcnt(2)
	v_fmac_f64_e32 v[90:91], v[94:95], v[96:97]
	ds_read_b128 v[94:97], v92 offset:592
	s_waitcnt vmcnt(0) lgkmcnt(0)
	v_fmac_f64_e32 v[90:91], v[98:99], v[94:95]
	buffer_load_dword v95, off, s[0:3], 0 offset:252
	buffer_load_dword v94, off, s[0:3], 0 offset:248
	buffer_load_dword v99, off, s[0:3], 0 offset:260
	buffer_load_dword v98, off, s[0:3], 0 offset:256
	;; [unrolled: 9-line block ×6, first 2 shown]
	s_waitcnt vmcnt(2)
	v_fmac_f64_e32 v[90:91], v[94:95], v[96:97]
	ds_read_b128 v[94:97], v92 offset:672
	s_waitcnt vmcnt(0) lgkmcnt(0)
	v_fmac_f64_e32 v[90:91], v[98:99], v[94:95]
	buffer_load_dword v95, off, s[0:3], 0 offset:332
	buffer_load_dword v94, off, s[0:3], 0 offset:328
	s_waitcnt vmcnt(0)
	v_fmac_f64_e32 v[90:91], v[94:95], v[96:97]
	buffer_load_dword v95, off, s[0:3], 0 offset:340
	buffer_load_dword v94, off, s[0:3], 0 offset:336
	ds_read_b64 v[96:97], v92 offset:688
	s_waitcnt vmcnt(0) lgkmcnt(0)
	v_fmac_f64_e32 v[90:91], v[94:95], v[96:97]
	v_add_f64 v[88:89], v[88:89], -v[90:91]
	buffer_store_dword v89, off, s[0:3], 0 offset:156
	buffer_store_dword v88, off, s[0:3], 0 offset:152
	s_and_saveexec_b64 s[4:5], vcc
	s_cbranch_execz .LBB42_229
; %bb.228:
	buffer_load_dword v88, off, s[0:3], 0 offset:144
	buffer_load_dword v89, off, s[0:3], 0 offset:148
	s_waitcnt vmcnt(0)
	ds_write_b64 v1, v[88:89]
	buffer_store_dword v92, off, s[0:3], 0 offset:144
	buffer_store_dword v92, off, s[0:3], 0 offset:148
.LBB42_229:
	s_or_b64 exec, exec, s[4:5]
	s_waitcnt lgkmcnt(0)
	; wave barrier
	s_waitcnt lgkmcnt(0)
	buffer_load_dword v88, off, s[0:3], 0 offset:144
	buffer_load_dword v89, off, s[0:3], 0 offset:148
	;; [unrolled: 1-line block ×16, first 2 shown]
	ds_read2_b64 v[94:97], v92 offset0:63 offset1:64
	v_cmp_lt_u32_e32 vcc, 17, v0
	s_waitcnt vmcnt(12) lgkmcnt(0)
	v_fma_f64 v[90:91], v[90:91], v[94:95], 0
	s_waitcnt vmcnt(10)
	v_fmac_f64_e32 v[90:91], v[98:99], v[96:97]
	ds_read2_b64 v[94:97], v92 offset0:65 offset1:66
	s_waitcnt vmcnt(8) lgkmcnt(0)
	v_fmac_f64_e32 v[90:91], v[100:101], v[94:95]
	s_waitcnt vmcnt(6)
	v_fmac_f64_e32 v[90:91], v[102:103], v[96:97]
	ds_read2_b64 v[94:97], v92 offset0:67 offset1:68
	s_waitcnt vmcnt(4) lgkmcnt(0)
	v_fmac_f64_e32 v[90:91], v[104:105], v[94:95]
	;; [unrolled: 5-line block ×3, first 2 shown]
	buffer_load_dword v95, off, s[0:3], 0 offset:212
	buffer_load_dword v94, off, s[0:3], 0 offset:208
	buffer_load_dword v99, off, s[0:3], 0 offset:220
	buffer_load_dword v98, off, s[0:3], 0 offset:216
	s_waitcnt vmcnt(2)
	v_fmac_f64_e32 v[90:91], v[94:95], v[96:97]
	ds_read2_b64 v[94:97], v92 offset0:71 offset1:72
	s_waitcnt vmcnt(0) lgkmcnt(0)
	v_fmac_f64_e32 v[90:91], v[98:99], v[94:95]
	buffer_load_dword v95, off, s[0:3], 0 offset:228
	buffer_load_dword v94, off, s[0:3], 0 offset:224
	buffer_load_dword v99, off, s[0:3], 0 offset:236
	buffer_load_dword v98, off, s[0:3], 0 offset:232
	s_waitcnt vmcnt(2)
	v_fmac_f64_e32 v[90:91], v[94:95], v[96:97]
	ds_read2_b64 v[94:97], v92 offset0:73 offset1:74
	s_waitcnt vmcnt(0) lgkmcnt(0)
	v_fmac_f64_e32 v[90:91], v[98:99], v[94:95]
	;; [unrolled: 9-line block ×7, first 2 shown]
	buffer_load_dword v95, off, s[0:3], 0 offset:324
	buffer_load_dword v94, off, s[0:3], 0 offset:320
	s_waitcnt vmcnt(0)
	v_fmac_f64_e32 v[90:91], v[94:95], v[96:97]
	buffer_load_dword v97, off, s[0:3], 0 offset:332
	buffer_load_dword v96, off, s[0:3], 0 offset:328
	ds_read2_b64 v[92:95], v92 offset0:85 offset1:86
	s_waitcnt vmcnt(0) lgkmcnt(0)
	v_fmac_f64_e32 v[90:91], v[96:97], v[92:93]
	buffer_load_dword v93, off, s[0:3], 0 offset:340
	buffer_load_dword v92, off, s[0:3], 0 offset:336
	s_waitcnt vmcnt(0)
	v_fmac_f64_e32 v[90:91], v[92:93], v[94:95]
	v_add_f64 v[88:89], v[88:89], -v[90:91]
	buffer_store_dword v89, off, s[0:3], 0 offset:148
	buffer_store_dword v88, off, s[0:3], 0 offset:144
	s_and_saveexec_b64 s[4:5], vcc
	s_cbranch_execz .LBB42_231
; %bb.230:
	buffer_load_dword v88, off, s[0:3], 0 offset:136
	buffer_load_dword v89, off, s[0:3], 0 offset:140
	v_mov_b32_e32 v90, 0
	buffer_store_dword v90, off, s[0:3], 0 offset:136
	buffer_store_dword v90, off, s[0:3], 0 offset:140
	s_waitcnt vmcnt(2)
	ds_write_b64 v1, v[88:89]
.LBB42_231:
	s_or_b64 exec, exec, s[4:5]
	s_waitcnt lgkmcnt(0)
	; wave barrier
	s_waitcnt lgkmcnt(0)
	buffer_load_dword v88, off, s[0:3], 0 offset:136
	buffer_load_dword v89, off, s[0:3], 0 offset:140
	;; [unrolled: 1-line block ×16, first 2 shown]
	v_mov_b32_e32 v92, 0
	ds_read_b128 v[94:97], v92 offset:496
	ds_read_b128 v[98:101], v92 offset:512
	;; [unrolled: 1-line block ×4, first 2 shown]
	v_cmp_lt_u32_e32 vcc, 16, v0
	s_waitcnt vmcnt(12) lgkmcnt(3)
	v_fma_f64 v[90:91], v[90:91], v[94:95], 0
	buffer_load_dword v95, off, s[0:3], 0 offset:204
	buffer_load_dword v94, off, s[0:3], 0 offset:200
	s_waitcnt vmcnt(12)
	v_fmac_f64_e32 v[90:91], v[110:111], v[96:97]
	s_waitcnt vmcnt(10) lgkmcnt(2)
	v_fmac_f64_e32 v[90:91], v[112:113], v[98:99]
	buffer_load_dword v99, off, s[0:3], 0 offset:212
	buffer_load_dword v98, off, s[0:3], 0 offset:208
	s_waitcnt vmcnt(10)
	v_fmac_f64_e32 v[90:91], v[114:115], v[100:101]
	s_waitcnt vmcnt(8) lgkmcnt(1)
	v_fmac_f64_e32 v[90:91], v[116:117], v[102:103]
	s_waitcnt vmcnt(6)
	v_fmac_f64_e32 v[90:91], v[118:119], v[104:105]
	s_waitcnt vmcnt(4) lgkmcnt(0)
	v_fmac_f64_e32 v[90:91], v[120:121], v[106:107]
	s_waitcnt vmcnt(2)
	v_fmac_f64_e32 v[90:91], v[94:95], v[108:109]
	ds_read_b128 v[94:97], v92 offset:560
	s_waitcnt vmcnt(0) lgkmcnt(0)
	v_fmac_f64_e32 v[90:91], v[98:99], v[94:95]
	buffer_load_dword v95, off, s[0:3], 0 offset:220
	buffer_load_dword v94, off, s[0:3], 0 offset:216
	buffer_load_dword v99, off, s[0:3], 0 offset:228
	buffer_load_dword v98, off, s[0:3], 0 offset:224
	s_waitcnt vmcnt(2)
	v_fmac_f64_e32 v[90:91], v[94:95], v[96:97]
	ds_read_b128 v[94:97], v92 offset:576
	s_waitcnt vmcnt(0) lgkmcnt(0)
	v_fmac_f64_e32 v[90:91], v[98:99], v[94:95]
	buffer_load_dword v95, off, s[0:3], 0 offset:236
	buffer_load_dword v94, off, s[0:3], 0 offset:232
	buffer_load_dword v99, off, s[0:3], 0 offset:244
	buffer_load_dword v98, off, s[0:3], 0 offset:240
	;; [unrolled: 9-line block ×7, first 2 shown]
	s_waitcnt vmcnt(2)
	v_fmac_f64_e32 v[90:91], v[94:95], v[96:97]
	ds_read_b128 v[94:97], v92 offset:672
	s_waitcnt vmcnt(0) lgkmcnt(0)
	v_fmac_f64_e32 v[90:91], v[98:99], v[94:95]
	buffer_load_dword v95, off, s[0:3], 0 offset:332
	buffer_load_dword v94, off, s[0:3], 0 offset:328
	s_waitcnt vmcnt(0)
	v_fmac_f64_e32 v[90:91], v[94:95], v[96:97]
	buffer_load_dword v95, off, s[0:3], 0 offset:340
	buffer_load_dword v94, off, s[0:3], 0 offset:336
	ds_read_b64 v[96:97], v92 offset:688
	s_waitcnt vmcnt(0) lgkmcnt(0)
	v_fmac_f64_e32 v[90:91], v[94:95], v[96:97]
	v_add_f64 v[88:89], v[88:89], -v[90:91]
	buffer_store_dword v89, off, s[0:3], 0 offset:140
	buffer_store_dword v88, off, s[0:3], 0 offset:136
	s_and_saveexec_b64 s[4:5], vcc
	s_cbranch_execz .LBB42_233
; %bb.232:
	buffer_load_dword v88, off, s[0:3], 0 offset:128
	buffer_load_dword v89, off, s[0:3], 0 offset:132
	s_waitcnt vmcnt(0)
	ds_write_b64 v1, v[88:89]
	buffer_store_dword v92, off, s[0:3], 0 offset:128
	buffer_store_dword v92, off, s[0:3], 0 offset:132
.LBB42_233:
	s_or_b64 exec, exec, s[4:5]
	s_waitcnt lgkmcnt(0)
	; wave barrier
	s_waitcnt lgkmcnt(0)
	buffer_load_dword v88, off, s[0:3], 0 offset:128
	buffer_load_dword v89, off, s[0:3], 0 offset:132
	;; [unrolled: 1-line block ×16, first 2 shown]
	ds_read2_b64 v[94:97], v92 offset0:61 offset1:62
	v_cmp_lt_u32_e32 vcc, 15, v0
	s_waitcnt vmcnt(12) lgkmcnt(0)
	v_fma_f64 v[90:91], v[90:91], v[94:95], 0
	s_waitcnt vmcnt(10)
	v_fmac_f64_e32 v[90:91], v[98:99], v[96:97]
	ds_read2_b64 v[94:97], v92 offset0:63 offset1:64
	s_waitcnt vmcnt(8) lgkmcnt(0)
	v_fmac_f64_e32 v[90:91], v[100:101], v[94:95]
	s_waitcnt vmcnt(6)
	v_fmac_f64_e32 v[90:91], v[102:103], v[96:97]
	ds_read2_b64 v[94:97], v92 offset0:65 offset1:66
	s_waitcnt vmcnt(4) lgkmcnt(0)
	v_fmac_f64_e32 v[90:91], v[104:105], v[94:95]
	;; [unrolled: 5-line block ×3, first 2 shown]
	buffer_load_dword v95, off, s[0:3], 0 offset:196
	buffer_load_dword v94, off, s[0:3], 0 offset:192
	buffer_load_dword v99, off, s[0:3], 0 offset:204
	buffer_load_dword v98, off, s[0:3], 0 offset:200
	s_waitcnt vmcnt(2)
	v_fmac_f64_e32 v[90:91], v[94:95], v[96:97]
	ds_read2_b64 v[94:97], v92 offset0:69 offset1:70
	s_waitcnt vmcnt(0) lgkmcnt(0)
	v_fmac_f64_e32 v[90:91], v[98:99], v[94:95]
	buffer_load_dword v95, off, s[0:3], 0 offset:212
	buffer_load_dword v94, off, s[0:3], 0 offset:208
	buffer_load_dword v99, off, s[0:3], 0 offset:220
	buffer_load_dword v98, off, s[0:3], 0 offset:216
	s_waitcnt vmcnt(2)
	v_fmac_f64_e32 v[90:91], v[94:95], v[96:97]
	ds_read2_b64 v[94:97], v92 offset0:71 offset1:72
	s_waitcnt vmcnt(0) lgkmcnt(0)
	v_fmac_f64_e32 v[90:91], v[98:99], v[94:95]
	;; [unrolled: 9-line block ×8, first 2 shown]
	buffer_load_dword v95, off, s[0:3], 0 offset:324
	buffer_load_dword v94, off, s[0:3], 0 offset:320
	s_waitcnt vmcnt(0)
	v_fmac_f64_e32 v[90:91], v[94:95], v[96:97]
	buffer_load_dword v97, off, s[0:3], 0 offset:332
	buffer_load_dword v96, off, s[0:3], 0 offset:328
	ds_read2_b64 v[92:95], v92 offset0:85 offset1:86
	s_waitcnt vmcnt(0) lgkmcnt(0)
	v_fmac_f64_e32 v[90:91], v[96:97], v[92:93]
	buffer_load_dword v93, off, s[0:3], 0 offset:340
	buffer_load_dword v92, off, s[0:3], 0 offset:336
	s_waitcnt vmcnt(0)
	v_fmac_f64_e32 v[90:91], v[92:93], v[94:95]
	v_add_f64 v[88:89], v[88:89], -v[90:91]
	buffer_store_dword v89, off, s[0:3], 0 offset:132
	buffer_store_dword v88, off, s[0:3], 0 offset:128
	s_and_saveexec_b64 s[4:5], vcc
	s_cbranch_execz .LBB42_235
; %bb.234:
	buffer_load_dword v88, off, s[0:3], 0 offset:120
	buffer_load_dword v89, off, s[0:3], 0 offset:124
	v_mov_b32_e32 v90, 0
	buffer_store_dword v90, off, s[0:3], 0 offset:120
	buffer_store_dword v90, off, s[0:3], 0 offset:124
	s_waitcnt vmcnt(2)
	ds_write_b64 v1, v[88:89]
.LBB42_235:
	s_or_b64 exec, exec, s[4:5]
	s_waitcnt lgkmcnt(0)
	; wave barrier
	s_waitcnt lgkmcnt(0)
	buffer_load_dword v88, off, s[0:3], 0 offset:120
	buffer_load_dword v89, off, s[0:3], 0 offset:124
	;; [unrolled: 1-line block ×16, first 2 shown]
	v_mov_b32_e32 v92, 0
	ds_read_b128 v[94:97], v92 offset:480
	ds_read_b128 v[98:101], v92 offset:496
	;; [unrolled: 1-line block ×4, first 2 shown]
	v_cmp_lt_u32_e32 vcc, 14, v0
	s_waitcnt vmcnt(12) lgkmcnt(3)
	v_fma_f64 v[90:91], v[90:91], v[94:95], 0
	buffer_load_dword v95, off, s[0:3], 0 offset:188
	buffer_load_dword v94, off, s[0:3], 0 offset:184
	s_waitcnt vmcnt(12)
	v_fmac_f64_e32 v[90:91], v[110:111], v[96:97]
	s_waitcnt vmcnt(10) lgkmcnt(2)
	v_fmac_f64_e32 v[90:91], v[112:113], v[98:99]
	buffer_load_dword v99, off, s[0:3], 0 offset:196
	buffer_load_dword v98, off, s[0:3], 0 offset:192
	s_waitcnt vmcnt(10)
	v_fmac_f64_e32 v[90:91], v[114:115], v[100:101]
	s_waitcnt vmcnt(8) lgkmcnt(1)
	v_fmac_f64_e32 v[90:91], v[116:117], v[102:103]
	s_waitcnt vmcnt(6)
	v_fmac_f64_e32 v[90:91], v[118:119], v[104:105]
	s_waitcnt vmcnt(4) lgkmcnt(0)
	v_fmac_f64_e32 v[90:91], v[120:121], v[106:107]
	s_waitcnt vmcnt(2)
	v_fmac_f64_e32 v[90:91], v[94:95], v[108:109]
	ds_read_b128 v[94:97], v92 offset:544
	s_waitcnt vmcnt(0) lgkmcnt(0)
	v_fmac_f64_e32 v[90:91], v[98:99], v[94:95]
	buffer_load_dword v95, off, s[0:3], 0 offset:204
	buffer_load_dword v94, off, s[0:3], 0 offset:200
	buffer_load_dword v99, off, s[0:3], 0 offset:212
	buffer_load_dword v98, off, s[0:3], 0 offset:208
	s_waitcnt vmcnt(2)
	v_fmac_f64_e32 v[90:91], v[94:95], v[96:97]
	ds_read_b128 v[94:97], v92 offset:560
	s_waitcnt vmcnt(0) lgkmcnt(0)
	v_fmac_f64_e32 v[90:91], v[98:99], v[94:95]
	buffer_load_dword v95, off, s[0:3], 0 offset:220
	buffer_load_dword v94, off, s[0:3], 0 offset:216
	buffer_load_dword v99, off, s[0:3], 0 offset:228
	buffer_load_dword v98, off, s[0:3], 0 offset:224
	;; [unrolled: 9-line block ×8, first 2 shown]
	s_waitcnt vmcnt(2)
	v_fmac_f64_e32 v[90:91], v[94:95], v[96:97]
	ds_read_b128 v[94:97], v92 offset:672
	s_waitcnt vmcnt(0) lgkmcnt(0)
	v_fmac_f64_e32 v[90:91], v[98:99], v[94:95]
	buffer_load_dword v95, off, s[0:3], 0 offset:332
	buffer_load_dword v94, off, s[0:3], 0 offset:328
	s_waitcnt vmcnt(0)
	v_fmac_f64_e32 v[90:91], v[94:95], v[96:97]
	buffer_load_dword v95, off, s[0:3], 0 offset:340
	buffer_load_dword v94, off, s[0:3], 0 offset:336
	ds_read_b64 v[96:97], v92 offset:688
	s_waitcnt vmcnt(0) lgkmcnt(0)
	v_fmac_f64_e32 v[90:91], v[94:95], v[96:97]
	v_add_f64 v[88:89], v[88:89], -v[90:91]
	buffer_store_dword v89, off, s[0:3], 0 offset:124
	buffer_store_dword v88, off, s[0:3], 0 offset:120
	s_and_saveexec_b64 s[4:5], vcc
	s_cbranch_execz .LBB42_237
; %bb.236:
	buffer_load_dword v88, off, s[0:3], 0 offset:112
	buffer_load_dword v89, off, s[0:3], 0 offset:116
	s_waitcnt vmcnt(0)
	ds_write_b64 v1, v[88:89]
	buffer_store_dword v92, off, s[0:3], 0 offset:112
	buffer_store_dword v92, off, s[0:3], 0 offset:116
.LBB42_237:
	s_or_b64 exec, exec, s[4:5]
	s_waitcnt lgkmcnt(0)
	; wave barrier
	s_waitcnt lgkmcnt(0)
	buffer_load_dword v88, off, s[0:3], 0 offset:112
	buffer_load_dword v89, off, s[0:3], 0 offset:116
	;; [unrolled: 1-line block ×16, first 2 shown]
	ds_read2_b64 v[94:97], v92 offset0:59 offset1:60
	v_cmp_lt_u32_e32 vcc, 13, v0
	s_waitcnt vmcnt(12) lgkmcnt(0)
	v_fma_f64 v[90:91], v[90:91], v[94:95], 0
	s_waitcnt vmcnt(10)
	v_fmac_f64_e32 v[90:91], v[98:99], v[96:97]
	ds_read2_b64 v[94:97], v92 offset0:61 offset1:62
	s_waitcnt vmcnt(8) lgkmcnt(0)
	v_fmac_f64_e32 v[90:91], v[100:101], v[94:95]
	s_waitcnt vmcnt(6)
	v_fmac_f64_e32 v[90:91], v[102:103], v[96:97]
	ds_read2_b64 v[94:97], v92 offset0:63 offset1:64
	s_waitcnt vmcnt(4) lgkmcnt(0)
	v_fmac_f64_e32 v[90:91], v[104:105], v[94:95]
	;; [unrolled: 5-line block ×3, first 2 shown]
	buffer_load_dword v95, off, s[0:3], 0 offset:180
	buffer_load_dword v94, off, s[0:3], 0 offset:176
	buffer_load_dword v99, off, s[0:3], 0 offset:188
	buffer_load_dword v98, off, s[0:3], 0 offset:184
	s_waitcnt vmcnt(2)
	v_fmac_f64_e32 v[90:91], v[94:95], v[96:97]
	ds_read2_b64 v[94:97], v92 offset0:67 offset1:68
	s_waitcnt vmcnt(0) lgkmcnt(0)
	v_fmac_f64_e32 v[90:91], v[98:99], v[94:95]
	buffer_load_dword v95, off, s[0:3], 0 offset:196
	buffer_load_dword v94, off, s[0:3], 0 offset:192
	buffer_load_dword v99, off, s[0:3], 0 offset:204
	buffer_load_dword v98, off, s[0:3], 0 offset:200
	s_waitcnt vmcnt(2)
	v_fmac_f64_e32 v[90:91], v[94:95], v[96:97]
	ds_read2_b64 v[94:97], v92 offset0:69 offset1:70
	s_waitcnt vmcnt(0) lgkmcnt(0)
	v_fmac_f64_e32 v[90:91], v[98:99], v[94:95]
	buffer_load_dword v95, off, s[0:3], 0 offset:212
	buffer_load_dword v94, off, s[0:3], 0 offset:208
	buffer_load_dword v99, off, s[0:3], 0 offset:220
	buffer_load_dword v98, off, s[0:3], 0 offset:216
	s_waitcnt vmcnt(2)
	v_fmac_f64_e32 v[90:91], v[94:95], v[96:97]
	ds_read2_b64 v[94:97], v92 offset0:71 offset1:72
	s_waitcnt vmcnt(0) lgkmcnt(0)
	v_fmac_f64_e32 v[90:91], v[98:99], v[94:95]
	buffer_load_dword v95, off, s[0:3], 0 offset:228
	buffer_load_dword v94, off, s[0:3], 0 offset:224
	buffer_load_dword v99, off, s[0:3], 0 offset:236
	buffer_load_dword v98, off, s[0:3], 0 offset:232
	s_waitcnt vmcnt(2)
	v_fmac_f64_e32 v[90:91], v[94:95], v[96:97]
	ds_read2_b64 v[94:97], v92 offset0:73 offset1:74
	s_waitcnt vmcnt(0) lgkmcnt(0)
	v_fmac_f64_e32 v[90:91], v[98:99], v[94:95]
	buffer_load_dword v95, off, s[0:3], 0 offset:244
	buffer_load_dword v94, off, s[0:3], 0 offset:240
	buffer_load_dword v99, off, s[0:3], 0 offset:252
	buffer_load_dword v98, off, s[0:3], 0 offset:248
	s_waitcnt vmcnt(2)
	v_fmac_f64_e32 v[90:91], v[94:95], v[96:97]
	ds_read2_b64 v[94:97], v92 offset0:75 offset1:76
	s_waitcnt vmcnt(0) lgkmcnt(0)
	v_fmac_f64_e32 v[90:91], v[98:99], v[94:95]
	buffer_load_dword v95, off, s[0:3], 0 offset:260
	buffer_load_dword v94, off, s[0:3], 0 offset:256
	buffer_load_dword v99, off, s[0:3], 0 offset:268
	buffer_load_dword v98, off, s[0:3], 0 offset:264
	s_waitcnt vmcnt(2)
	v_fmac_f64_e32 v[90:91], v[94:95], v[96:97]
	ds_read2_b64 v[94:97], v92 offset0:77 offset1:78
	s_waitcnt vmcnt(0) lgkmcnt(0)
	v_fmac_f64_e32 v[90:91], v[98:99], v[94:95]
	buffer_load_dword v95, off, s[0:3], 0 offset:276
	buffer_load_dword v94, off, s[0:3], 0 offset:272
	buffer_load_dword v99, off, s[0:3], 0 offset:284
	buffer_load_dword v98, off, s[0:3], 0 offset:280
	s_waitcnt vmcnt(2)
	v_fmac_f64_e32 v[90:91], v[94:95], v[96:97]
	ds_read2_b64 v[94:97], v92 offset0:79 offset1:80
	s_waitcnt vmcnt(0) lgkmcnt(0)
	v_fmac_f64_e32 v[90:91], v[98:99], v[94:95]
	buffer_load_dword v95, off, s[0:3], 0 offset:292
	buffer_load_dword v94, off, s[0:3], 0 offset:288
	buffer_load_dword v99, off, s[0:3], 0 offset:300
	buffer_load_dword v98, off, s[0:3], 0 offset:296
	s_waitcnt vmcnt(2)
	v_fmac_f64_e32 v[90:91], v[94:95], v[96:97]
	ds_read2_b64 v[94:97], v92 offset0:81 offset1:82
	s_waitcnt vmcnt(0) lgkmcnt(0)
	v_fmac_f64_e32 v[90:91], v[98:99], v[94:95]
	buffer_load_dword v95, off, s[0:3], 0 offset:308
	buffer_load_dword v94, off, s[0:3], 0 offset:304
	buffer_load_dword v99, off, s[0:3], 0 offset:316
	buffer_load_dword v98, off, s[0:3], 0 offset:312
	s_waitcnt vmcnt(2)
	v_fmac_f64_e32 v[90:91], v[94:95], v[96:97]
	ds_read2_b64 v[94:97], v92 offset0:83 offset1:84
	s_waitcnt vmcnt(0) lgkmcnt(0)
	v_fmac_f64_e32 v[90:91], v[98:99], v[94:95]
	buffer_load_dword v95, off, s[0:3], 0 offset:324
	buffer_load_dword v94, off, s[0:3], 0 offset:320
	s_waitcnt vmcnt(0)
	v_fmac_f64_e32 v[90:91], v[94:95], v[96:97]
	buffer_load_dword v97, off, s[0:3], 0 offset:332
	buffer_load_dword v96, off, s[0:3], 0 offset:328
	ds_read2_b64 v[92:95], v92 offset0:85 offset1:86
	s_waitcnt vmcnt(0) lgkmcnt(0)
	v_fmac_f64_e32 v[90:91], v[96:97], v[92:93]
	buffer_load_dword v93, off, s[0:3], 0 offset:340
	buffer_load_dword v92, off, s[0:3], 0 offset:336
	s_waitcnt vmcnt(0)
	v_fmac_f64_e32 v[90:91], v[92:93], v[94:95]
	v_add_f64 v[88:89], v[88:89], -v[90:91]
	buffer_store_dword v89, off, s[0:3], 0 offset:116
	buffer_store_dword v88, off, s[0:3], 0 offset:112
	s_and_saveexec_b64 s[4:5], vcc
	s_cbranch_execz .LBB42_239
; %bb.238:
	buffer_load_dword v88, off, s[0:3], 0 offset:104
	buffer_load_dword v89, off, s[0:3], 0 offset:108
	v_mov_b32_e32 v90, 0
	buffer_store_dword v90, off, s[0:3], 0 offset:104
	buffer_store_dword v90, off, s[0:3], 0 offset:108
	s_waitcnt vmcnt(2)
	ds_write_b64 v1, v[88:89]
.LBB42_239:
	s_or_b64 exec, exec, s[4:5]
	s_waitcnt lgkmcnt(0)
	; wave barrier
	s_waitcnt lgkmcnt(0)
	buffer_load_dword v88, off, s[0:3], 0 offset:104
	buffer_load_dword v89, off, s[0:3], 0 offset:108
	;; [unrolled: 1-line block ×16, first 2 shown]
	v_mov_b32_e32 v92, 0
	ds_read_b128 v[94:97], v92 offset:464
	ds_read_b128 v[98:101], v92 offset:480
	;; [unrolled: 1-line block ×4, first 2 shown]
	v_cmp_lt_u32_e32 vcc, 12, v0
	s_waitcnt vmcnt(12) lgkmcnt(3)
	v_fma_f64 v[90:91], v[90:91], v[94:95], 0
	buffer_load_dword v95, off, s[0:3], 0 offset:172
	buffer_load_dword v94, off, s[0:3], 0 offset:168
	s_waitcnt vmcnt(12)
	v_fmac_f64_e32 v[90:91], v[110:111], v[96:97]
	s_waitcnt vmcnt(10) lgkmcnt(2)
	v_fmac_f64_e32 v[90:91], v[112:113], v[98:99]
	buffer_load_dword v99, off, s[0:3], 0 offset:180
	buffer_load_dword v98, off, s[0:3], 0 offset:176
	s_waitcnt vmcnt(10)
	v_fmac_f64_e32 v[90:91], v[114:115], v[100:101]
	s_waitcnt vmcnt(8) lgkmcnt(1)
	v_fmac_f64_e32 v[90:91], v[116:117], v[102:103]
	s_waitcnt vmcnt(6)
	v_fmac_f64_e32 v[90:91], v[118:119], v[104:105]
	s_waitcnt vmcnt(4) lgkmcnt(0)
	v_fmac_f64_e32 v[90:91], v[120:121], v[106:107]
	s_waitcnt vmcnt(2)
	v_fmac_f64_e32 v[90:91], v[94:95], v[108:109]
	ds_read_b128 v[94:97], v92 offset:528
	s_waitcnt vmcnt(0) lgkmcnt(0)
	v_fmac_f64_e32 v[90:91], v[98:99], v[94:95]
	buffer_load_dword v95, off, s[0:3], 0 offset:188
	buffer_load_dword v94, off, s[0:3], 0 offset:184
	buffer_load_dword v99, off, s[0:3], 0 offset:196
	buffer_load_dword v98, off, s[0:3], 0 offset:192
	s_waitcnt vmcnt(2)
	v_fmac_f64_e32 v[90:91], v[94:95], v[96:97]
	ds_read_b128 v[94:97], v92 offset:544
	s_waitcnt vmcnt(0) lgkmcnt(0)
	v_fmac_f64_e32 v[90:91], v[98:99], v[94:95]
	buffer_load_dword v95, off, s[0:3], 0 offset:204
	buffer_load_dword v94, off, s[0:3], 0 offset:200
	buffer_load_dword v99, off, s[0:3], 0 offset:212
	buffer_load_dword v98, off, s[0:3], 0 offset:208
	;; [unrolled: 9-line block ×9, first 2 shown]
	s_waitcnt vmcnt(2)
	v_fmac_f64_e32 v[90:91], v[94:95], v[96:97]
	ds_read_b128 v[94:97], v92 offset:672
	s_waitcnt vmcnt(0) lgkmcnt(0)
	v_fmac_f64_e32 v[90:91], v[98:99], v[94:95]
	buffer_load_dword v95, off, s[0:3], 0 offset:332
	buffer_load_dword v94, off, s[0:3], 0 offset:328
	s_waitcnt vmcnt(0)
	v_fmac_f64_e32 v[90:91], v[94:95], v[96:97]
	buffer_load_dword v95, off, s[0:3], 0 offset:340
	buffer_load_dword v94, off, s[0:3], 0 offset:336
	ds_read_b64 v[96:97], v92 offset:688
	s_waitcnt vmcnt(0) lgkmcnt(0)
	v_fmac_f64_e32 v[90:91], v[94:95], v[96:97]
	v_add_f64 v[88:89], v[88:89], -v[90:91]
	buffer_store_dword v89, off, s[0:3], 0 offset:108
	buffer_store_dword v88, off, s[0:3], 0 offset:104
	s_and_saveexec_b64 s[4:5], vcc
	s_cbranch_execz .LBB42_241
; %bb.240:
	buffer_load_dword v88, off, s[0:3], 0 offset:96
	buffer_load_dword v89, off, s[0:3], 0 offset:100
	s_waitcnt vmcnt(0)
	ds_write_b64 v1, v[88:89]
	buffer_store_dword v92, off, s[0:3], 0 offset:96
	buffer_store_dword v92, off, s[0:3], 0 offset:100
.LBB42_241:
	s_or_b64 exec, exec, s[4:5]
	s_waitcnt lgkmcnt(0)
	; wave barrier
	s_waitcnt lgkmcnt(0)
	buffer_load_dword v88, off, s[0:3], 0 offset:96
	buffer_load_dword v89, off, s[0:3], 0 offset:100
	;; [unrolled: 1-line block ×16, first 2 shown]
	ds_read2_b64 v[94:97], v92 offset0:57 offset1:58
	v_cmp_lt_u32_e32 vcc, 11, v0
	s_waitcnt vmcnt(12) lgkmcnt(0)
	v_fma_f64 v[90:91], v[90:91], v[94:95], 0
	s_waitcnt vmcnt(10)
	v_fmac_f64_e32 v[90:91], v[98:99], v[96:97]
	ds_read2_b64 v[94:97], v92 offset0:59 offset1:60
	s_waitcnt vmcnt(8) lgkmcnt(0)
	v_fmac_f64_e32 v[90:91], v[100:101], v[94:95]
	s_waitcnt vmcnt(6)
	v_fmac_f64_e32 v[90:91], v[102:103], v[96:97]
	ds_read2_b64 v[94:97], v92 offset0:61 offset1:62
	s_waitcnt vmcnt(4) lgkmcnt(0)
	v_fmac_f64_e32 v[90:91], v[104:105], v[94:95]
	;; [unrolled: 5-line block ×3, first 2 shown]
	buffer_load_dword v95, off, s[0:3], 0 offset:164
	buffer_load_dword v94, off, s[0:3], 0 offset:160
	buffer_load_dword v99, off, s[0:3], 0 offset:172
	buffer_load_dword v98, off, s[0:3], 0 offset:168
	s_waitcnt vmcnt(2)
	v_fmac_f64_e32 v[90:91], v[94:95], v[96:97]
	ds_read2_b64 v[94:97], v92 offset0:65 offset1:66
	s_waitcnt vmcnt(0) lgkmcnt(0)
	v_fmac_f64_e32 v[90:91], v[98:99], v[94:95]
	buffer_load_dword v95, off, s[0:3], 0 offset:180
	buffer_load_dword v94, off, s[0:3], 0 offset:176
	buffer_load_dword v99, off, s[0:3], 0 offset:188
	buffer_load_dword v98, off, s[0:3], 0 offset:184
	s_waitcnt vmcnt(2)
	v_fmac_f64_e32 v[90:91], v[94:95], v[96:97]
	ds_read2_b64 v[94:97], v92 offset0:67 offset1:68
	s_waitcnt vmcnt(0) lgkmcnt(0)
	v_fmac_f64_e32 v[90:91], v[98:99], v[94:95]
	;; [unrolled: 9-line block ×10, first 2 shown]
	buffer_load_dword v95, off, s[0:3], 0 offset:324
	buffer_load_dword v94, off, s[0:3], 0 offset:320
	s_waitcnt vmcnt(0)
	v_fmac_f64_e32 v[90:91], v[94:95], v[96:97]
	buffer_load_dword v97, off, s[0:3], 0 offset:332
	buffer_load_dword v96, off, s[0:3], 0 offset:328
	ds_read2_b64 v[92:95], v92 offset0:85 offset1:86
	s_waitcnt vmcnt(0) lgkmcnt(0)
	v_fmac_f64_e32 v[90:91], v[96:97], v[92:93]
	buffer_load_dword v93, off, s[0:3], 0 offset:340
	buffer_load_dword v92, off, s[0:3], 0 offset:336
	s_waitcnt vmcnt(0)
	v_fmac_f64_e32 v[90:91], v[92:93], v[94:95]
	v_add_f64 v[88:89], v[88:89], -v[90:91]
	buffer_store_dword v89, off, s[0:3], 0 offset:100
	buffer_store_dword v88, off, s[0:3], 0 offset:96
	s_and_saveexec_b64 s[4:5], vcc
	s_cbranch_execz .LBB42_243
; %bb.242:
	buffer_load_dword v88, off, s[0:3], 0 offset:88
	buffer_load_dword v89, off, s[0:3], 0 offset:92
	v_mov_b32_e32 v90, 0
	buffer_store_dword v90, off, s[0:3], 0 offset:88
	buffer_store_dword v90, off, s[0:3], 0 offset:92
	s_waitcnt vmcnt(2)
	ds_write_b64 v1, v[88:89]
.LBB42_243:
	s_or_b64 exec, exec, s[4:5]
	s_waitcnt lgkmcnt(0)
	; wave barrier
	s_waitcnt lgkmcnt(0)
	buffer_load_dword v88, off, s[0:3], 0 offset:88
	buffer_load_dword v89, off, s[0:3], 0 offset:92
	;; [unrolled: 1-line block ×16, first 2 shown]
	v_mov_b32_e32 v92, 0
	ds_read_b128 v[94:97], v92 offset:448
	ds_read_b128 v[98:101], v92 offset:464
	;; [unrolled: 1-line block ×4, first 2 shown]
	v_cmp_lt_u32_e32 vcc, 10, v0
	s_waitcnt vmcnt(12) lgkmcnt(3)
	v_fma_f64 v[90:91], v[90:91], v[94:95], 0
	buffer_load_dword v95, off, s[0:3], 0 offset:156
	buffer_load_dword v94, off, s[0:3], 0 offset:152
	s_waitcnt vmcnt(12)
	v_fmac_f64_e32 v[90:91], v[110:111], v[96:97]
	s_waitcnt vmcnt(10) lgkmcnt(2)
	v_fmac_f64_e32 v[90:91], v[112:113], v[98:99]
	buffer_load_dword v99, off, s[0:3], 0 offset:164
	buffer_load_dword v98, off, s[0:3], 0 offset:160
	s_waitcnt vmcnt(10)
	v_fmac_f64_e32 v[90:91], v[114:115], v[100:101]
	s_waitcnt vmcnt(8) lgkmcnt(1)
	v_fmac_f64_e32 v[90:91], v[116:117], v[102:103]
	s_waitcnt vmcnt(6)
	v_fmac_f64_e32 v[90:91], v[118:119], v[104:105]
	s_waitcnt vmcnt(4) lgkmcnt(0)
	v_fmac_f64_e32 v[90:91], v[120:121], v[106:107]
	s_waitcnt vmcnt(2)
	v_fmac_f64_e32 v[90:91], v[94:95], v[108:109]
	ds_read_b128 v[94:97], v92 offset:512
	s_waitcnt vmcnt(0) lgkmcnt(0)
	v_fmac_f64_e32 v[90:91], v[98:99], v[94:95]
	buffer_load_dword v95, off, s[0:3], 0 offset:172
	buffer_load_dword v94, off, s[0:3], 0 offset:168
	buffer_load_dword v99, off, s[0:3], 0 offset:180
	buffer_load_dword v98, off, s[0:3], 0 offset:176
	s_waitcnt vmcnt(2)
	v_fmac_f64_e32 v[90:91], v[94:95], v[96:97]
	ds_read_b128 v[94:97], v92 offset:528
	s_waitcnt vmcnt(0) lgkmcnt(0)
	v_fmac_f64_e32 v[90:91], v[98:99], v[94:95]
	buffer_load_dword v95, off, s[0:3], 0 offset:188
	buffer_load_dword v94, off, s[0:3], 0 offset:184
	buffer_load_dword v99, off, s[0:3], 0 offset:196
	buffer_load_dword v98, off, s[0:3], 0 offset:192
	;; [unrolled: 9-line block ×10, first 2 shown]
	s_waitcnt vmcnt(2)
	v_fmac_f64_e32 v[90:91], v[94:95], v[96:97]
	ds_read_b128 v[94:97], v92 offset:672
	s_waitcnt vmcnt(0) lgkmcnt(0)
	v_fmac_f64_e32 v[90:91], v[98:99], v[94:95]
	buffer_load_dword v95, off, s[0:3], 0 offset:332
	buffer_load_dword v94, off, s[0:3], 0 offset:328
	s_waitcnt vmcnt(0)
	v_fmac_f64_e32 v[90:91], v[94:95], v[96:97]
	buffer_load_dword v95, off, s[0:3], 0 offset:340
	buffer_load_dword v94, off, s[0:3], 0 offset:336
	ds_read_b64 v[96:97], v92 offset:688
	s_waitcnt vmcnt(0) lgkmcnt(0)
	v_fmac_f64_e32 v[90:91], v[94:95], v[96:97]
	v_add_f64 v[88:89], v[88:89], -v[90:91]
	buffer_store_dword v89, off, s[0:3], 0 offset:92
	buffer_store_dword v88, off, s[0:3], 0 offset:88
	s_and_saveexec_b64 s[4:5], vcc
	s_cbranch_execz .LBB42_245
; %bb.244:
	buffer_load_dword v88, off, s[0:3], 0 offset:80
	buffer_load_dword v89, off, s[0:3], 0 offset:84
	s_waitcnt vmcnt(0)
	ds_write_b64 v1, v[88:89]
	buffer_store_dword v92, off, s[0:3], 0 offset:80
	buffer_store_dword v92, off, s[0:3], 0 offset:84
.LBB42_245:
	s_or_b64 exec, exec, s[4:5]
	s_waitcnt lgkmcnt(0)
	; wave barrier
	s_waitcnt lgkmcnt(0)
	buffer_load_dword v88, off, s[0:3], 0 offset:80
	buffer_load_dword v89, off, s[0:3], 0 offset:84
	;; [unrolled: 1-line block ×16, first 2 shown]
	ds_read2_b64 v[94:97], v92 offset0:55 offset1:56
	v_cmp_lt_u32_e32 vcc, 9, v0
	s_waitcnt vmcnt(12) lgkmcnt(0)
	v_fma_f64 v[90:91], v[90:91], v[94:95], 0
	s_waitcnt vmcnt(10)
	v_fmac_f64_e32 v[90:91], v[98:99], v[96:97]
	ds_read2_b64 v[94:97], v92 offset0:57 offset1:58
	s_waitcnt vmcnt(8) lgkmcnt(0)
	v_fmac_f64_e32 v[90:91], v[100:101], v[94:95]
	s_waitcnt vmcnt(6)
	v_fmac_f64_e32 v[90:91], v[102:103], v[96:97]
	ds_read2_b64 v[94:97], v92 offset0:59 offset1:60
	s_waitcnt vmcnt(4) lgkmcnt(0)
	v_fmac_f64_e32 v[90:91], v[104:105], v[94:95]
	;; [unrolled: 5-line block ×3, first 2 shown]
	buffer_load_dword v95, off, s[0:3], 0 offset:148
	buffer_load_dword v94, off, s[0:3], 0 offset:144
	buffer_load_dword v99, off, s[0:3], 0 offset:156
	buffer_load_dword v98, off, s[0:3], 0 offset:152
	s_waitcnt vmcnt(2)
	v_fmac_f64_e32 v[90:91], v[94:95], v[96:97]
	ds_read2_b64 v[94:97], v92 offset0:63 offset1:64
	s_waitcnt vmcnt(0) lgkmcnt(0)
	v_fmac_f64_e32 v[90:91], v[98:99], v[94:95]
	buffer_load_dword v95, off, s[0:3], 0 offset:164
	buffer_load_dword v94, off, s[0:3], 0 offset:160
	buffer_load_dword v99, off, s[0:3], 0 offset:172
	buffer_load_dword v98, off, s[0:3], 0 offset:168
	s_waitcnt vmcnt(2)
	v_fmac_f64_e32 v[90:91], v[94:95], v[96:97]
	ds_read2_b64 v[94:97], v92 offset0:65 offset1:66
	s_waitcnt vmcnt(0) lgkmcnt(0)
	v_fmac_f64_e32 v[90:91], v[98:99], v[94:95]
	;; [unrolled: 9-line block ×11, first 2 shown]
	buffer_load_dword v95, off, s[0:3], 0 offset:324
	buffer_load_dword v94, off, s[0:3], 0 offset:320
	s_waitcnt vmcnt(0)
	v_fmac_f64_e32 v[90:91], v[94:95], v[96:97]
	buffer_load_dword v97, off, s[0:3], 0 offset:332
	buffer_load_dword v96, off, s[0:3], 0 offset:328
	ds_read2_b64 v[92:95], v92 offset0:85 offset1:86
	s_waitcnt vmcnt(0) lgkmcnt(0)
	v_fmac_f64_e32 v[90:91], v[96:97], v[92:93]
	buffer_load_dword v93, off, s[0:3], 0 offset:340
	buffer_load_dword v92, off, s[0:3], 0 offset:336
	s_waitcnt vmcnt(0)
	v_fmac_f64_e32 v[90:91], v[92:93], v[94:95]
	v_add_f64 v[88:89], v[88:89], -v[90:91]
	buffer_store_dword v89, off, s[0:3], 0 offset:84
	buffer_store_dword v88, off, s[0:3], 0 offset:80
	s_and_saveexec_b64 s[4:5], vcc
	s_cbranch_execz .LBB42_247
; %bb.246:
	buffer_load_dword v88, off, s[0:3], 0 offset:72
	buffer_load_dword v89, off, s[0:3], 0 offset:76
	v_mov_b32_e32 v90, 0
	buffer_store_dword v90, off, s[0:3], 0 offset:72
	buffer_store_dword v90, off, s[0:3], 0 offset:76
	s_waitcnt vmcnt(2)
	ds_write_b64 v1, v[88:89]
.LBB42_247:
	s_or_b64 exec, exec, s[4:5]
	s_waitcnt lgkmcnt(0)
	; wave barrier
	s_waitcnt lgkmcnt(0)
	buffer_load_dword v88, off, s[0:3], 0 offset:72
	buffer_load_dword v89, off, s[0:3], 0 offset:76
	;; [unrolled: 1-line block ×16, first 2 shown]
	v_mov_b32_e32 v92, 0
	ds_read_b128 v[94:97], v92 offset:432
	ds_read_b128 v[98:101], v92 offset:448
	ds_read_b128 v[102:105], v92 offset:464
	ds_read_b128 v[106:109], v92 offset:480
	v_cmp_lt_u32_e32 vcc, 8, v0
	s_waitcnt vmcnt(12) lgkmcnt(3)
	v_fma_f64 v[90:91], v[90:91], v[94:95], 0
	buffer_load_dword v95, off, s[0:3], 0 offset:140
	buffer_load_dword v94, off, s[0:3], 0 offset:136
	s_waitcnt vmcnt(12)
	v_fmac_f64_e32 v[90:91], v[110:111], v[96:97]
	s_waitcnt vmcnt(10) lgkmcnt(2)
	v_fmac_f64_e32 v[90:91], v[112:113], v[98:99]
	buffer_load_dword v99, off, s[0:3], 0 offset:148
	buffer_load_dword v98, off, s[0:3], 0 offset:144
	s_waitcnt vmcnt(10)
	v_fmac_f64_e32 v[90:91], v[114:115], v[100:101]
	s_waitcnt vmcnt(8) lgkmcnt(1)
	v_fmac_f64_e32 v[90:91], v[116:117], v[102:103]
	s_waitcnt vmcnt(6)
	v_fmac_f64_e32 v[90:91], v[118:119], v[104:105]
	s_waitcnt vmcnt(4) lgkmcnt(0)
	v_fmac_f64_e32 v[90:91], v[120:121], v[106:107]
	s_waitcnt vmcnt(2)
	v_fmac_f64_e32 v[90:91], v[94:95], v[108:109]
	ds_read_b128 v[94:97], v92 offset:496
	s_waitcnt vmcnt(0) lgkmcnt(0)
	v_fmac_f64_e32 v[90:91], v[98:99], v[94:95]
	buffer_load_dword v95, off, s[0:3], 0 offset:156
	buffer_load_dword v94, off, s[0:3], 0 offset:152
	buffer_load_dword v99, off, s[0:3], 0 offset:164
	buffer_load_dword v98, off, s[0:3], 0 offset:160
	s_waitcnt vmcnt(2)
	v_fmac_f64_e32 v[90:91], v[94:95], v[96:97]
	ds_read_b128 v[94:97], v92 offset:512
	s_waitcnt vmcnt(0) lgkmcnt(0)
	v_fmac_f64_e32 v[90:91], v[98:99], v[94:95]
	buffer_load_dword v95, off, s[0:3], 0 offset:172
	buffer_load_dword v94, off, s[0:3], 0 offset:168
	buffer_load_dword v99, off, s[0:3], 0 offset:180
	buffer_load_dword v98, off, s[0:3], 0 offset:176
	s_waitcnt vmcnt(2)
	v_fmac_f64_e32 v[90:91], v[94:95], v[96:97]
	ds_read_b128 v[94:97], v92 offset:528
	s_waitcnt vmcnt(0) lgkmcnt(0)
	v_fmac_f64_e32 v[90:91], v[98:99], v[94:95]
	buffer_load_dword v95, off, s[0:3], 0 offset:188
	buffer_load_dword v94, off, s[0:3], 0 offset:184
	buffer_load_dword v99, off, s[0:3], 0 offset:196
	buffer_load_dword v98, off, s[0:3], 0 offset:192
	s_waitcnt vmcnt(2)
	v_fmac_f64_e32 v[90:91], v[94:95], v[96:97]
	ds_read_b128 v[94:97], v92 offset:544
	s_waitcnt vmcnt(0) lgkmcnt(0)
	v_fmac_f64_e32 v[90:91], v[98:99], v[94:95]
	buffer_load_dword v95, off, s[0:3], 0 offset:204
	buffer_load_dword v94, off, s[0:3], 0 offset:200
	buffer_load_dword v99, off, s[0:3], 0 offset:212
	buffer_load_dword v98, off, s[0:3], 0 offset:208
	s_waitcnt vmcnt(2)
	v_fmac_f64_e32 v[90:91], v[94:95], v[96:97]
	ds_read_b128 v[94:97], v92 offset:560
	s_waitcnt vmcnt(0) lgkmcnt(0)
	v_fmac_f64_e32 v[90:91], v[98:99], v[94:95]
	buffer_load_dword v95, off, s[0:3], 0 offset:220
	buffer_load_dword v94, off, s[0:3], 0 offset:216
	buffer_load_dword v99, off, s[0:3], 0 offset:228
	buffer_load_dword v98, off, s[0:3], 0 offset:224
	s_waitcnt vmcnt(2)
	v_fmac_f64_e32 v[90:91], v[94:95], v[96:97]
	ds_read_b128 v[94:97], v92 offset:576
	s_waitcnt vmcnt(0) lgkmcnt(0)
	v_fmac_f64_e32 v[90:91], v[98:99], v[94:95]
	buffer_load_dword v95, off, s[0:3], 0 offset:236
	buffer_load_dword v94, off, s[0:3], 0 offset:232
	buffer_load_dword v99, off, s[0:3], 0 offset:244
	buffer_load_dword v98, off, s[0:3], 0 offset:240
	s_waitcnt vmcnt(2)
	v_fmac_f64_e32 v[90:91], v[94:95], v[96:97]
	ds_read_b128 v[94:97], v92 offset:592
	s_waitcnt vmcnt(0) lgkmcnt(0)
	v_fmac_f64_e32 v[90:91], v[98:99], v[94:95]
	buffer_load_dword v95, off, s[0:3], 0 offset:252
	buffer_load_dword v94, off, s[0:3], 0 offset:248
	buffer_load_dword v99, off, s[0:3], 0 offset:260
	buffer_load_dword v98, off, s[0:3], 0 offset:256
	s_waitcnt vmcnt(2)
	v_fmac_f64_e32 v[90:91], v[94:95], v[96:97]
	ds_read_b128 v[94:97], v92 offset:608
	s_waitcnt vmcnt(0) lgkmcnt(0)
	v_fmac_f64_e32 v[90:91], v[98:99], v[94:95]
	buffer_load_dword v95, off, s[0:3], 0 offset:268
	buffer_load_dword v94, off, s[0:3], 0 offset:264
	buffer_load_dword v99, off, s[0:3], 0 offset:276
	buffer_load_dword v98, off, s[0:3], 0 offset:272
	s_waitcnt vmcnt(2)
	v_fmac_f64_e32 v[90:91], v[94:95], v[96:97]
	ds_read_b128 v[94:97], v92 offset:624
	s_waitcnt vmcnt(0) lgkmcnt(0)
	v_fmac_f64_e32 v[90:91], v[98:99], v[94:95]
	buffer_load_dword v95, off, s[0:3], 0 offset:284
	buffer_load_dword v94, off, s[0:3], 0 offset:280
	buffer_load_dword v99, off, s[0:3], 0 offset:292
	buffer_load_dword v98, off, s[0:3], 0 offset:288
	s_waitcnt vmcnt(2)
	v_fmac_f64_e32 v[90:91], v[94:95], v[96:97]
	ds_read_b128 v[94:97], v92 offset:640
	s_waitcnt vmcnt(0) lgkmcnt(0)
	v_fmac_f64_e32 v[90:91], v[98:99], v[94:95]
	buffer_load_dword v95, off, s[0:3], 0 offset:300
	buffer_load_dword v94, off, s[0:3], 0 offset:296
	buffer_load_dword v99, off, s[0:3], 0 offset:308
	buffer_load_dword v98, off, s[0:3], 0 offset:304
	s_waitcnt vmcnt(2)
	v_fmac_f64_e32 v[90:91], v[94:95], v[96:97]
	ds_read_b128 v[94:97], v92 offset:656
	s_waitcnt vmcnt(0) lgkmcnt(0)
	v_fmac_f64_e32 v[90:91], v[98:99], v[94:95]
	buffer_load_dword v95, off, s[0:3], 0 offset:316
	buffer_load_dword v94, off, s[0:3], 0 offset:312
	buffer_load_dword v99, off, s[0:3], 0 offset:324
	buffer_load_dword v98, off, s[0:3], 0 offset:320
	s_waitcnt vmcnt(2)
	v_fmac_f64_e32 v[90:91], v[94:95], v[96:97]
	ds_read_b128 v[94:97], v92 offset:672
	s_waitcnt vmcnt(0) lgkmcnt(0)
	v_fmac_f64_e32 v[90:91], v[98:99], v[94:95]
	buffer_load_dword v95, off, s[0:3], 0 offset:332
	buffer_load_dword v94, off, s[0:3], 0 offset:328
	s_waitcnt vmcnt(0)
	v_fmac_f64_e32 v[90:91], v[94:95], v[96:97]
	buffer_load_dword v95, off, s[0:3], 0 offset:340
	buffer_load_dword v94, off, s[0:3], 0 offset:336
	ds_read_b64 v[96:97], v92 offset:688
	s_waitcnt vmcnt(0) lgkmcnt(0)
	v_fmac_f64_e32 v[90:91], v[94:95], v[96:97]
	v_add_f64 v[88:89], v[88:89], -v[90:91]
	buffer_store_dword v89, off, s[0:3], 0 offset:76
	buffer_store_dword v88, off, s[0:3], 0 offset:72
	s_and_saveexec_b64 s[4:5], vcc
	s_cbranch_execz .LBB42_249
; %bb.248:
	buffer_load_dword v88, off, s[0:3], 0 offset:64
	buffer_load_dword v89, off, s[0:3], 0 offset:68
	s_waitcnt vmcnt(0)
	ds_write_b64 v1, v[88:89]
	buffer_store_dword v92, off, s[0:3], 0 offset:64
	buffer_store_dword v92, off, s[0:3], 0 offset:68
.LBB42_249:
	s_or_b64 exec, exec, s[4:5]
	s_waitcnt lgkmcnt(0)
	; wave barrier
	s_waitcnt lgkmcnt(0)
	buffer_load_dword v88, off, s[0:3], 0 offset:64
	buffer_load_dword v89, off, s[0:3], 0 offset:68
	;; [unrolled: 1-line block ×16, first 2 shown]
	ds_read2_b64 v[94:97], v92 offset0:53 offset1:54
	v_cmp_lt_u32_e32 vcc, 7, v0
	s_waitcnt vmcnt(12) lgkmcnt(0)
	v_fma_f64 v[90:91], v[90:91], v[94:95], 0
	s_waitcnt vmcnt(10)
	v_fmac_f64_e32 v[90:91], v[98:99], v[96:97]
	ds_read2_b64 v[94:97], v92 offset0:55 offset1:56
	s_waitcnt vmcnt(8) lgkmcnt(0)
	v_fmac_f64_e32 v[90:91], v[100:101], v[94:95]
	s_waitcnt vmcnt(6)
	v_fmac_f64_e32 v[90:91], v[102:103], v[96:97]
	ds_read2_b64 v[94:97], v92 offset0:57 offset1:58
	s_waitcnt vmcnt(4) lgkmcnt(0)
	v_fmac_f64_e32 v[90:91], v[104:105], v[94:95]
	s_waitcnt vmcnt(2)
	v_fmac_f64_e32 v[90:91], v[106:107], v[96:97]
	ds_read2_b64 v[94:97], v92 offset0:59 offset1:60
	s_waitcnt vmcnt(0) lgkmcnt(0)
	v_fmac_f64_e32 v[90:91], v[108:109], v[94:95]
	buffer_load_dword v95, off, s[0:3], 0 offset:132
	buffer_load_dword v94, off, s[0:3], 0 offset:128
	buffer_load_dword v99, off, s[0:3], 0 offset:140
	buffer_load_dword v98, off, s[0:3], 0 offset:136
	s_waitcnt vmcnt(2)
	v_fmac_f64_e32 v[90:91], v[94:95], v[96:97]
	ds_read2_b64 v[94:97], v92 offset0:61 offset1:62
	s_waitcnt vmcnt(0) lgkmcnt(0)
	v_fmac_f64_e32 v[90:91], v[98:99], v[94:95]
	buffer_load_dword v95, off, s[0:3], 0 offset:148
	buffer_load_dword v94, off, s[0:3], 0 offset:144
	buffer_load_dword v99, off, s[0:3], 0 offset:156
	buffer_load_dword v98, off, s[0:3], 0 offset:152
	s_waitcnt vmcnt(2)
	v_fmac_f64_e32 v[90:91], v[94:95], v[96:97]
	ds_read2_b64 v[94:97], v92 offset0:63 offset1:64
	s_waitcnt vmcnt(0) lgkmcnt(0)
	v_fmac_f64_e32 v[90:91], v[98:99], v[94:95]
	;; [unrolled: 9-line block ×12, first 2 shown]
	buffer_load_dword v95, off, s[0:3], 0 offset:324
	buffer_load_dword v94, off, s[0:3], 0 offset:320
	s_waitcnt vmcnt(0)
	v_fmac_f64_e32 v[90:91], v[94:95], v[96:97]
	buffer_load_dword v97, off, s[0:3], 0 offset:332
	buffer_load_dword v96, off, s[0:3], 0 offset:328
	ds_read2_b64 v[92:95], v92 offset0:85 offset1:86
	s_waitcnt vmcnt(0) lgkmcnt(0)
	v_fmac_f64_e32 v[90:91], v[96:97], v[92:93]
	buffer_load_dword v93, off, s[0:3], 0 offset:340
	buffer_load_dword v92, off, s[0:3], 0 offset:336
	s_waitcnt vmcnt(0)
	v_fmac_f64_e32 v[90:91], v[92:93], v[94:95]
	v_add_f64 v[88:89], v[88:89], -v[90:91]
	buffer_store_dword v89, off, s[0:3], 0 offset:68
	buffer_store_dword v88, off, s[0:3], 0 offset:64
	s_and_saveexec_b64 s[4:5], vcc
	s_cbranch_execz .LBB42_251
; %bb.250:
	buffer_load_dword v88, off, s[0:3], 0 offset:56
	buffer_load_dword v89, off, s[0:3], 0 offset:60
	v_mov_b32_e32 v90, 0
	buffer_store_dword v90, off, s[0:3], 0 offset:56
	buffer_store_dword v90, off, s[0:3], 0 offset:60
	s_waitcnt vmcnt(2)
	ds_write_b64 v1, v[88:89]
.LBB42_251:
	s_or_b64 exec, exec, s[4:5]
	s_waitcnt lgkmcnt(0)
	; wave barrier
	s_waitcnt lgkmcnt(0)
	buffer_load_dword v88, off, s[0:3], 0 offset:56
	buffer_load_dword v89, off, s[0:3], 0 offset:60
	;; [unrolled: 1-line block ×16, first 2 shown]
	v_mov_b32_e32 v92, 0
	ds_read_b128 v[94:97], v92 offset:416
	ds_read_b128 v[98:101], v92 offset:432
	;; [unrolled: 1-line block ×4, first 2 shown]
	v_cmp_lt_u32_e32 vcc, 6, v0
	s_waitcnt vmcnt(12) lgkmcnt(3)
	v_fma_f64 v[90:91], v[90:91], v[94:95], 0
	buffer_load_dword v95, off, s[0:3], 0 offset:124
	buffer_load_dword v94, off, s[0:3], 0 offset:120
	s_waitcnt vmcnt(12)
	v_fmac_f64_e32 v[90:91], v[110:111], v[96:97]
	s_waitcnt vmcnt(10) lgkmcnt(2)
	v_fmac_f64_e32 v[90:91], v[112:113], v[98:99]
	buffer_load_dword v99, off, s[0:3], 0 offset:132
	buffer_load_dword v98, off, s[0:3], 0 offset:128
	s_waitcnt vmcnt(10)
	v_fmac_f64_e32 v[90:91], v[114:115], v[100:101]
	s_waitcnt vmcnt(8) lgkmcnt(1)
	v_fmac_f64_e32 v[90:91], v[116:117], v[102:103]
	s_waitcnt vmcnt(6)
	v_fmac_f64_e32 v[90:91], v[118:119], v[104:105]
	s_waitcnt vmcnt(4) lgkmcnt(0)
	v_fmac_f64_e32 v[90:91], v[120:121], v[106:107]
	s_waitcnt vmcnt(2)
	v_fmac_f64_e32 v[90:91], v[94:95], v[108:109]
	ds_read_b128 v[94:97], v92 offset:480
	s_waitcnt vmcnt(0) lgkmcnt(0)
	v_fmac_f64_e32 v[90:91], v[98:99], v[94:95]
	buffer_load_dword v95, off, s[0:3], 0 offset:140
	buffer_load_dword v94, off, s[0:3], 0 offset:136
	buffer_load_dword v99, off, s[0:3], 0 offset:148
	buffer_load_dword v98, off, s[0:3], 0 offset:144
	s_waitcnt vmcnt(2)
	v_fmac_f64_e32 v[90:91], v[94:95], v[96:97]
	ds_read_b128 v[94:97], v92 offset:496
	s_waitcnt vmcnt(0) lgkmcnt(0)
	v_fmac_f64_e32 v[90:91], v[98:99], v[94:95]
	buffer_load_dword v95, off, s[0:3], 0 offset:156
	buffer_load_dword v94, off, s[0:3], 0 offset:152
	buffer_load_dword v99, off, s[0:3], 0 offset:164
	buffer_load_dword v98, off, s[0:3], 0 offset:160
	;; [unrolled: 9-line block ×12, first 2 shown]
	s_waitcnt vmcnt(2)
	v_fmac_f64_e32 v[90:91], v[94:95], v[96:97]
	ds_read_b128 v[94:97], v92 offset:672
	s_waitcnt vmcnt(0) lgkmcnt(0)
	v_fmac_f64_e32 v[90:91], v[98:99], v[94:95]
	buffer_load_dword v95, off, s[0:3], 0 offset:332
	buffer_load_dword v94, off, s[0:3], 0 offset:328
	s_waitcnt vmcnt(0)
	v_fmac_f64_e32 v[90:91], v[94:95], v[96:97]
	buffer_load_dword v95, off, s[0:3], 0 offset:340
	buffer_load_dword v94, off, s[0:3], 0 offset:336
	ds_read_b64 v[96:97], v92 offset:688
	s_waitcnt vmcnt(0) lgkmcnt(0)
	v_fmac_f64_e32 v[90:91], v[94:95], v[96:97]
	v_add_f64 v[88:89], v[88:89], -v[90:91]
	buffer_store_dword v89, off, s[0:3], 0 offset:60
	buffer_store_dword v88, off, s[0:3], 0 offset:56
	s_and_saveexec_b64 s[4:5], vcc
	s_cbranch_execz .LBB42_253
; %bb.252:
	buffer_load_dword v88, off, s[0:3], 0 offset:48
	buffer_load_dword v89, off, s[0:3], 0 offset:52
	s_waitcnt vmcnt(0)
	ds_write_b64 v1, v[88:89]
	buffer_store_dword v92, off, s[0:3], 0 offset:48
	buffer_store_dword v92, off, s[0:3], 0 offset:52
.LBB42_253:
	s_or_b64 exec, exec, s[4:5]
	s_waitcnt lgkmcnt(0)
	; wave barrier
	s_waitcnt lgkmcnt(0)
	buffer_load_dword v88, off, s[0:3], 0 offset:48
	buffer_load_dword v89, off, s[0:3], 0 offset:52
	;; [unrolled: 1-line block ×16, first 2 shown]
	ds_read2_b64 v[94:97], v92 offset0:51 offset1:52
	v_cmp_lt_u32_e32 vcc, 5, v0
	s_waitcnt vmcnt(12) lgkmcnt(0)
	v_fma_f64 v[90:91], v[90:91], v[94:95], 0
	s_waitcnt vmcnt(10)
	v_fmac_f64_e32 v[90:91], v[98:99], v[96:97]
	ds_read2_b64 v[94:97], v92 offset0:53 offset1:54
	s_waitcnt vmcnt(8) lgkmcnt(0)
	v_fmac_f64_e32 v[90:91], v[100:101], v[94:95]
	s_waitcnt vmcnt(6)
	v_fmac_f64_e32 v[90:91], v[102:103], v[96:97]
	ds_read2_b64 v[94:97], v92 offset0:55 offset1:56
	s_waitcnt vmcnt(4) lgkmcnt(0)
	v_fmac_f64_e32 v[90:91], v[104:105], v[94:95]
	;; [unrolled: 5-line block ×3, first 2 shown]
	buffer_load_dword v95, off, s[0:3], 0 offset:116
	buffer_load_dword v94, off, s[0:3], 0 offset:112
	buffer_load_dword v99, off, s[0:3], 0 offset:124
	buffer_load_dword v98, off, s[0:3], 0 offset:120
	s_waitcnt vmcnt(2)
	v_fmac_f64_e32 v[90:91], v[94:95], v[96:97]
	ds_read2_b64 v[94:97], v92 offset0:59 offset1:60
	s_waitcnt vmcnt(0) lgkmcnt(0)
	v_fmac_f64_e32 v[90:91], v[98:99], v[94:95]
	buffer_load_dword v95, off, s[0:3], 0 offset:132
	buffer_load_dword v94, off, s[0:3], 0 offset:128
	buffer_load_dword v99, off, s[0:3], 0 offset:140
	buffer_load_dword v98, off, s[0:3], 0 offset:136
	s_waitcnt vmcnt(2)
	v_fmac_f64_e32 v[90:91], v[94:95], v[96:97]
	ds_read2_b64 v[94:97], v92 offset0:61 offset1:62
	s_waitcnt vmcnt(0) lgkmcnt(0)
	v_fmac_f64_e32 v[90:91], v[98:99], v[94:95]
	;; [unrolled: 9-line block ×13, first 2 shown]
	buffer_load_dword v95, off, s[0:3], 0 offset:324
	buffer_load_dword v94, off, s[0:3], 0 offset:320
	s_waitcnt vmcnt(0)
	v_fmac_f64_e32 v[90:91], v[94:95], v[96:97]
	buffer_load_dword v97, off, s[0:3], 0 offset:332
	buffer_load_dword v96, off, s[0:3], 0 offset:328
	ds_read2_b64 v[92:95], v92 offset0:85 offset1:86
	s_waitcnt vmcnt(0) lgkmcnt(0)
	v_fmac_f64_e32 v[90:91], v[96:97], v[92:93]
	buffer_load_dword v93, off, s[0:3], 0 offset:340
	buffer_load_dword v92, off, s[0:3], 0 offset:336
	s_waitcnt vmcnt(0)
	v_fmac_f64_e32 v[90:91], v[92:93], v[94:95]
	v_add_f64 v[88:89], v[88:89], -v[90:91]
	buffer_store_dword v89, off, s[0:3], 0 offset:52
	buffer_store_dword v88, off, s[0:3], 0 offset:48
	s_and_saveexec_b64 s[4:5], vcc
	s_cbranch_execz .LBB42_255
; %bb.254:
	buffer_load_dword v88, off, s[0:3], 0 offset:40
	buffer_load_dword v89, off, s[0:3], 0 offset:44
	v_mov_b32_e32 v90, 0
	buffer_store_dword v90, off, s[0:3], 0 offset:40
	buffer_store_dword v90, off, s[0:3], 0 offset:44
	s_waitcnt vmcnt(2)
	ds_write_b64 v1, v[88:89]
.LBB42_255:
	s_or_b64 exec, exec, s[4:5]
	s_waitcnt lgkmcnt(0)
	; wave barrier
	s_waitcnt lgkmcnt(0)
	buffer_load_dword v88, off, s[0:3], 0 offset:40
	buffer_load_dword v89, off, s[0:3], 0 offset:44
	;; [unrolled: 1-line block ×16, first 2 shown]
	v_mov_b32_e32 v92, 0
	ds_read_b128 v[94:97], v92 offset:400
	ds_read_b128 v[98:101], v92 offset:416
	;; [unrolled: 1-line block ×4, first 2 shown]
	v_cmp_lt_u32_e32 vcc, 4, v0
	s_waitcnt vmcnt(12) lgkmcnt(3)
	v_fma_f64 v[90:91], v[90:91], v[94:95], 0
	buffer_load_dword v95, off, s[0:3], 0 offset:108
	buffer_load_dword v94, off, s[0:3], 0 offset:104
	s_waitcnt vmcnt(12)
	v_fmac_f64_e32 v[90:91], v[110:111], v[96:97]
	s_waitcnt vmcnt(10) lgkmcnt(2)
	v_fmac_f64_e32 v[90:91], v[112:113], v[98:99]
	buffer_load_dword v99, off, s[0:3], 0 offset:116
	buffer_load_dword v98, off, s[0:3], 0 offset:112
	s_waitcnt vmcnt(10)
	v_fmac_f64_e32 v[90:91], v[114:115], v[100:101]
	s_waitcnt vmcnt(8) lgkmcnt(1)
	v_fmac_f64_e32 v[90:91], v[116:117], v[102:103]
	s_waitcnt vmcnt(6)
	v_fmac_f64_e32 v[90:91], v[118:119], v[104:105]
	s_waitcnt vmcnt(4) lgkmcnt(0)
	v_fmac_f64_e32 v[90:91], v[120:121], v[106:107]
	s_waitcnt vmcnt(2)
	v_fmac_f64_e32 v[90:91], v[94:95], v[108:109]
	ds_read_b128 v[94:97], v92 offset:464
	s_waitcnt vmcnt(0) lgkmcnt(0)
	v_fmac_f64_e32 v[90:91], v[98:99], v[94:95]
	buffer_load_dword v95, off, s[0:3], 0 offset:124
	buffer_load_dword v94, off, s[0:3], 0 offset:120
	buffer_load_dword v99, off, s[0:3], 0 offset:132
	buffer_load_dword v98, off, s[0:3], 0 offset:128
	s_waitcnt vmcnt(2)
	v_fmac_f64_e32 v[90:91], v[94:95], v[96:97]
	ds_read_b128 v[94:97], v92 offset:480
	s_waitcnt vmcnt(0) lgkmcnt(0)
	v_fmac_f64_e32 v[90:91], v[98:99], v[94:95]
	buffer_load_dword v95, off, s[0:3], 0 offset:140
	buffer_load_dword v94, off, s[0:3], 0 offset:136
	buffer_load_dword v99, off, s[0:3], 0 offset:148
	buffer_load_dword v98, off, s[0:3], 0 offset:144
	;; [unrolled: 9-line block ×13, first 2 shown]
	s_waitcnt vmcnt(2)
	v_fmac_f64_e32 v[90:91], v[94:95], v[96:97]
	ds_read_b128 v[94:97], v92 offset:672
	s_waitcnt vmcnt(0) lgkmcnt(0)
	v_fmac_f64_e32 v[90:91], v[98:99], v[94:95]
	buffer_load_dword v95, off, s[0:3], 0 offset:332
	buffer_load_dword v94, off, s[0:3], 0 offset:328
	s_waitcnt vmcnt(0)
	v_fmac_f64_e32 v[90:91], v[94:95], v[96:97]
	buffer_load_dword v95, off, s[0:3], 0 offset:340
	buffer_load_dword v94, off, s[0:3], 0 offset:336
	ds_read_b64 v[96:97], v92 offset:688
	s_waitcnt vmcnt(0) lgkmcnt(0)
	v_fmac_f64_e32 v[90:91], v[94:95], v[96:97]
	v_add_f64 v[88:89], v[88:89], -v[90:91]
	buffer_store_dword v89, off, s[0:3], 0 offset:44
	buffer_store_dword v88, off, s[0:3], 0 offset:40
	s_and_saveexec_b64 s[4:5], vcc
	s_cbranch_execz .LBB42_257
; %bb.256:
	buffer_load_dword v88, off, s[0:3], 0 offset:32
	buffer_load_dword v89, off, s[0:3], 0 offset:36
	s_waitcnt vmcnt(0)
	ds_write_b64 v1, v[88:89]
	buffer_store_dword v92, off, s[0:3], 0 offset:32
	buffer_store_dword v92, off, s[0:3], 0 offset:36
.LBB42_257:
	s_or_b64 exec, exec, s[4:5]
	s_waitcnt lgkmcnt(0)
	; wave barrier
	s_waitcnt lgkmcnt(0)
	buffer_load_dword v88, off, s[0:3], 0 offset:32
	buffer_load_dword v89, off, s[0:3], 0 offset:36
	;; [unrolled: 1-line block ×16, first 2 shown]
	ds_read2_b64 v[94:97], v92 offset0:49 offset1:50
	v_cmp_lt_u32_e32 vcc, 3, v0
	s_waitcnt vmcnt(12) lgkmcnt(0)
	v_fma_f64 v[90:91], v[90:91], v[94:95], 0
	s_waitcnt vmcnt(10)
	v_fmac_f64_e32 v[90:91], v[98:99], v[96:97]
	ds_read2_b64 v[94:97], v92 offset0:51 offset1:52
	s_waitcnt vmcnt(8) lgkmcnt(0)
	v_fmac_f64_e32 v[90:91], v[100:101], v[94:95]
	s_waitcnt vmcnt(6)
	v_fmac_f64_e32 v[90:91], v[102:103], v[96:97]
	ds_read2_b64 v[94:97], v92 offset0:53 offset1:54
	s_waitcnt vmcnt(4) lgkmcnt(0)
	v_fmac_f64_e32 v[90:91], v[104:105], v[94:95]
	;; [unrolled: 5-line block ×3, first 2 shown]
	buffer_load_dword v95, off, s[0:3], 0 offset:100
	buffer_load_dword v94, off, s[0:3], 0 offset:96
	buffer_load_dword v99, off, s[0:3], 0 offset:108
	buffer_load_dword v98, off, s[0:3], 0 offset:104
	s_waitcnt vmcnt(2)
	v_fmac_f64_e32 v[90:91], v[94:95], v[96:97]
	ds_read2_b64 v[94:97], v92 offset0:57 offset1:58
	s_waitcnt vmcnt(0) lgkmcnt(0)
	v_fmac_f64_e32 v[90:91], v[98:99], v[94:95]
	buffer_load_dword v95, off, s[0:3], 0 offset:116
	buffer_load_dword v94, off, s[0:3], 0 offset:112
	buffer_load_dword v99, off, s[0:3], 0 offset:124
	buffer_load_dword v98, off, s[0:3], 0 offset:120
	s_waitcnt vmcnt(2)
	v_fmac_f64_e32 v[90:91], v[94:95], v[96:97]
	ds_read2_b64 v[94:97], v92 offset0:59 offset1:60
	s_waitcnt vmcnt(0) lgkmcnt(0)
	v_fmac_f64_e32 v[90:91], v[98:99], v[94:95]
	;; [unrolled: 9-line block ×14, first 2 shown]
	buffer_load_dword v95, off, s[0:3], 0 offset:324
	buffer_load_dword v94, off, s[0:3], 0 offset:320
	s_waitcnt vmcnt(0)
	v_fmac_f64_e32 v[90:91], v[94:95], v[96:97]
	buffer_load_dword v97, off, s[0:3], 0 offset:332
	buffer_load_dword v96, off, s[0:3], 0 offset:328
	ds_read2_b64 v[92:95], v92 offset0:85 offset1:86
	s_waitcnt vmcnt(0) lgkmcnt(0)
	v_fmac_f64_e32 v[90:91], v[96:97], v[92:93]
	buffer_load_dword v93, off, s[0:3], 0 offset:340
	buffer_load_dword v92, off, s[0:3], 0 offset:336
	s_waitcnt vmcnt(0)
	v_fmac_f64_e32 v[90:91], v[92:93], v[94:95]
	v_add_f64 v[88:89], v[88:89], -v[90:91]
	buffer_store_dword v89, off, s[0:3], 0 offset:36
	buffer_store_dword v88, off, s[0:3], 0 offset:32
	s_and_saveexec_b64 s[4:5], vcc
	s_cbranch_execz .LBB42_259
; %bb.258:
	buffer_load_dword v88, off, s[0:3], 0 offset:24
	buffer_load_dword v89, off, s[0:3], 0 offset:28
	v_mov_b32_e32 v90, 0
	buffer_store_dword v90, off, s[0:3], 0 offset:24
	buffer_store_dword v90, off, s[0:3], 0 offset:28
	s_waitcnt vmcnt(2)
	ds_write_b64 v1, v[88:89]
.LBB42_259:
	s_or_b64 exec, exec, s[4:5]
	s_waitcnt lgkmcnt(0)
	; wave barrier
	s_waitcnt lgkmcnt(0)
	buffer_load_dword v88, off, s[0:3], 0 offset:24
	buffer_load_dword v89, off, s[0:3], 0 offset:28
	;; [unrolled: 1-line block ×16, first 2 shown]
	v_mov_b32_e32 v92, 0
	ds_read_b128 v[94:97], v92 offset:384
	ds_read_b128 v[98:101], v92 offset:400
	;; [unrolled: 1-line block ×4, first 2 shown]
	v_cmp_lt_u32_e32 vcc, 2, v0
	s_waitcnt vmcnt(12) lgkmcnt(3)
	v_fma_f64 v[90:91], v[90:91], v[94:95], 0
	buffer_load_dword v95, off, s[0:3], 0 offset:92
	buffer_load_dword v94, off, s[0:3], 0 offset:88
	s_waitcnt vmcnt(12)
	v_fmac_f64_e32 v[90:91], v[110:111], v[96:97]
	s_waitcnt vmcnt(10) lgkmcnt(2)
	v_fmac_f64_e32 v[90:91], v[112:113], v[98:99]
	buffer_load_dword v99, off, s[0:3], 0 offset:100
	buffer_load_dword v98, off, s[0:3], 0 offset:96
	s_waitcnt vmcnt(10)
	v_fmac_f64_e32 v[90:91], v[114:115], v[100:101]
	s_waitcnt vmcnt(8) lgkmcnt(1)
	v_fmac_f64_e32 v[90:91], v[116:117], v[102:103]
	s_waitcnt vmcnt(6)
	v_fmac_f64_e32 v[90:91], v[118:119], v[104:105]
	s_waitcnt vmcnt(4) lgkmcnt(0)
	v_fmac_f64_e32 v[90:91], v[120:121], v[106:107]
	s_waitcnt vmcnt(2)
	v_fmac_f64_e32 v[90:91], v[94:95], v[108:109]
	ds_read_b128 v[94:97], v92 offset:448
	s_waitcnt vmcnt(0) lgkmcnt(0)
	v_fmac_f64_e32 v[90:91], v[98:99], v[94:95]
	buffer_load_dword v95, off, s[0:3], 0 offset:108
	buffer_load_dword v94, off, s[0:3], 0 offset:104
	buffer_load_dword v99, off, s[0:3], 0 offset:116
	buffer_load_dword v98, off, s[0:3], 0 offset:112
	s_waitcnt vmcnt(2)
	v_fmac_f64_e32 v[90:91], v[94:95], v[96:97]
	ds_read_b128 v[94:97], v92 offset:464
	s_waitcnt vmcnt(0) lgkmcnt(0)
	v_fmac_f64_e32 v[90:91], v[98:99], v[94:95]
	buffer_load_dword v95, off, s[0:3], 0 offset:124
	buffer_load_dword v94, off, s[0:3], 0 offset:120
	buffer_load_dword v99, off, s[0:3], 0 offset:132
	buffer_load_dword v98, off, s[0:3], 0 offset:128
	;; [unrolled: 9-line block ×14, first 2 shown]
	s_waitcnt vmcnt(2)
	v_fmac_f64_e32 v[90:91], v[94:95], v[96:97]
	ds_read_b128 v[94:97], v92 offset:672
	s_waitcnt vmcnt(0) lgkmcnt(0)
	v_fmac_f64_e32 v[90:91], v[98:99], v[94:95]
	buffer_load_dword v95, off, s[0:3], 0 offset:332
	buffer_load_dword v94, off, s[0:3], 0 offset:328
	s_waitcnt vmcnt(0)
	v_fmac_f64_e32 v[90:91], v[94:95], v[96:97]
	buffer_load_dword v95, off, s[0:3], 0 offset:340
	buffer_load_dword v94, off, s[0:3], 0 offset:336
	ds_read_b64 v[96:97], v92 offset:688
	s_waitcnt vmcnt(0) lgkmcnt(0)
	v_fmac_f64_e32 v[90:91], v[94:95], v[96:97]
	v_add_f64 v[88:89], v[88:89], -v[90:91]
	buffer_store_dword v89, off, s[0:3], 0 offset:28
	buffer_store_dword v88, off, s[0:3], 0 offset:24
	s_and_saveexec_b64 s[4:5], vcc
	s_cbranch_execz .LBB42_261
; %bb.260:
	buffer_load_dword v88, off, s[0:3], 0 offset:16
	buffer_load_dword v89, off, s[0:3], 0 offset:20
	s_waitcnt vmcnt(0)
	ds_write_b64 v1, v[88:89]
	buffer_store_dword v92, off, s[0:3], 0 offset:16
	buffer_store_dword v92, off, s[0:3], 0 offset:20
.LBB42_261:
	s_or_b64 exec, exec, s[4:5]
	s_waitcnt lgkmcnt(0)
	; wave barrier
	s_waitcnt lgkmcnt(0)
	buffer_load_dword v88, off, s[0:3], 0 offset:16
	buffer_load_dword v89, off, s[0:3], 0 offset:20
	;; [unrolled: 1-line block ×16, first 2 shown]
	ds_read2_b64 v[94:97], v92 offset0:47 offset1:48
	v_cmp_lt_u32_e32 vcc, 1, v0
	s_waitcnt vmcnt(12) lgkmcnt(0)
	v_fma_f64 v[90:91], v[90:91], v[94:95], 0
	s_waitcnt vmcnt(10)
	v_fmac_f64_e32 v[90:91], v[98:99], v[96:97]
	ds_read2_b64 v[94:97], v92 offset0:49 offset1:50
	s_waitcnt vmcnt(8) lgkmcnt(0)
	v_fmac_f64_e32 v[90:91], v[100:101], v[94:95]
	s_waitcnt vmcnt(6)
	v_fmac_f64_e32 v[90:91], v[102:103], v[96:97]
	ds_read2_b64 v[94:97], v92 offset0:51 offset1:52
	s_waitcnt vmcnt(4) lgkmcnt(0)
	v_fmac_f64_e32 v[90:91], v[104:105], v[94:95]
	;; [unrolled: 5-line block ×3, first 2 shown]
	buffer_load_dword v95, off, s[0:3], 0 offset:84
	buffer_load_dword v94, off, s[0:3], 0 offset:80
	buffer_load_dword v99, off, s[0:3], 0 offset:92
	buffer_load_dword v98, off, s[0:3], 0 offset:88
	s_waitcnt vmcnt(2)
	v_fmac_f64_e32 v[90:91], v[94:95], v[96:97]
	ds_read2_b64 v[94:97], v92 offset0:55 offset1:56
	s_waitcnt vmcnt(0) lgkmcnt(0)
	v_fmac_f64_e32 v[90:91], v[98:99], v[94:95]
	buffer_load_dword v95, off, s[0:3], 0 offset:100
	buffer_load_dword v94, off, s[0:3], 0 offset:96
	buffer_load_dword v99, off, s[0:3], 0 offset:108
	buffer_load_dword v98, off, s[0:3], 0 offset:104
	s_waitcnt vmcnt(2)
	v_fmac_f64_e32 v[90:91], v[94:95], v[96:97]
	ds_read2_b64 v[94:97], v92 offset0:57 offset1:58
	s_waitcnt vmcnt(0) lgkmcnt(0)
	v_fmac_f64_e32 v[90:91], v[98:99], v[94:95]
	;; [unrolled: 9-line block ×15, first 2 shown]
	buffer_load_dword v95, off, s[0:3], 0 offset:324
	buffer_load_dword v94, off, s[0:3], 0 offset:320
	s_waitcnt vmcnt(0)
	v_fmac_f64_e32 v[90:91], v[94:95], v[96:97]
	buffer_load_dword v97, off, s[0:3], 0 offset:332
	buffer_load_dword v96, off, s[0:3], 0 offset:328
	ds_read2_b64 v[92:95], v92 offset0:85 offset1:86
	s_waitcnt vmcnt(0) lgkmcnt(0)
	v_fmac_f64_e32 v[90:91], v[96:97], v[92:93]
	buffer_load_dword v93, off, s[0:3], 0 offset:340
	buffer_load_dword v92, off, s[0:3], 0 offset:336
	s_waitcnt vmcnt(0)
	v_fmac_f64_e32 v[90:91], v[92:93], v[94:95]
	v_add_f64 v[88:89], v[88:89], -v[90:91]
	buffer_store_dword v89, off, s[0:3], 0 offset:20
	buffer_store_dword v88, off, s[0:3], 0 offset:16
	s_and_saveexec_b64 s[4:5], vcc
	s_cbranch_execz .LBB42_263
; %bb.262:
	buffer_load_dword v88, off, s[0:3], 0 offset:8
	buffer_load_dword v89, off, s[0:3], 0 offset:12
	v_mov_b32_e32 v90, 0
	buffer_store_dword v90, off, s[0:3], 0 offset:8
	buffer_store_dword v90, off, s[0:3], 0 offset:12
	s_waitcnt vmcnt(2)
	ds_write_b64 v1, v[88:89]
.LBB42_263:
	s_or_b64 exec, exec, s[4:5]
	s_waitcnt lgkmcnt(0)
	; wave barrier
	s_waitcnt lgkmcnt(0)
	buffer_load_dword v88, off, s[0:3], 0 offset:8
	buffer_load_dword v89, off, s[0:3], 0 offset:12
	;; [unrolled: 1-line block ×16, first 2 shown]
	v_mov_b32_e32 v92, 0
	ds_read_b128 v[94:97], v92 offset:368
	ds_read_b128 v[98:101], v92 offset:384
	;; [unrolled: 1-line block ×4, first 2 shown]
	v_cmp_ne_u32_e32 vcc, 0, v0
	s_waitcnt vmcnt(12) lgkmcnt(3)
	v_fma_f64 v[90:91], v[90:91], v[94:95], 0
	buffer_load_dword v95, off, s[0:3], 0 offset:76
	buffer_load_dword v94, off, s[0:3], 0 offset:72
	s_waitcnt vmcnt(12)
	v_fmac_f64_e32 v[90:91], v[110:111], v[96:97]
	s_waitcnt vmcnt(10) lgkmcnt(2)
	v_fmac_f64_e32 v[90:91], v[112:113], v[98:99]
	buffer_load_dword v99, off, s[0:3], 0 offset:84
	buffer_load_dword v98, off, s[0:3], 0 offset:80
	s_waitcnt vmcnt(10)
	v_fmac_f64_e32 v[90:91], v[114:115], v[100:101]
	s_waitcnt vmcnt(8) lgkmcnt(1)
	v_fmac_f64_e32 v[90:91], v[116:117], v[102:103]
	s_waitcnt vmcnt(6)
	v_fmac_f64_e32 v[90:91], v[118:119], v[104:105]
	s_waitcnt vmcnt(4) lgkmcnt(0)
	v_fmac_f64_e32 v[90:91], v[120:121], v[106:107]
	s_waitcnt vmcnt(2)
	v_fmac_f64_e32 v[90:91], v[94:95], v[108:109]
	ds_read_b128 v[94:97], v92 offset:432
	s_waitcnt vmcnt(0) lgkmcnt(0)
	v_fmac_f64_e32 v[90:91], v[98:99], v[94:95]
	buffer_load_dword v95, off, s[0:3], 0 offset:92
	buffer_load_dword v94, off, s[0:3], 0 offset:88
	buffer_load_dword v99, off, s[0:3], 0 offset:100
	buffer_load_dword v98, off, s[0:3], 0 offset:96
	s_waitcnt vmcnt(2)
	v_fmac_f64_e32 v[90:91], v[94:95], v[96:97]
	ds_read_b128 v[94:97], v92 offset:448
	s_waitcnt vmcnt(0) lgkmcnt(0)
	v_fmac_f64_e32 v[90:91], v[98:99], v[94:95]
	buffer_load_dword v95, off, s[0:3], 0 offset:108
	buffer_load_dword v94, off, s[0:3], 0 offset:104
	buffer_load_dword v99, off, s[0:3], 0 offset:116
	buffer_load_dword v98, off, s[0:3], 0 offset:112
	;; [unrolled: 9-line block ×15, first 2 shown]
	s_waitcnt vmcnt(2)
	v_fmac_f64_e32 v[90:91], v[94:95], v[96:97]
	ds_read_b128 v[94:97], v92 offset:672
	s_waitcnt vmcnt(0) lgkmcnt(0)
	v_fmac_f64_e32 v[90:91], v[98:99], v[94:95]
	buffer_load_dword v95, off, s[0:3], 0 offset:332
	buffer_load_dword v94, off, s[0:3], 0 offset:328
	s_waitcnt vmcnt(0)
	v_fmac_f64_e32 v[90:91], v[94:95], v[96:97]
	buffer_load_dword v95, off, s[0:3], 0 offset:340
	buffer_load_dword v94, off, s[0:3], 0 offset:336
	ds_read_b64 v[96:97], v92 offset:688
	s_waitcnt vmcnt(0) lgkmcnt(0)
	v_fmac_f64_e32 v[90:91], v[94:95], v[96:97]
	v_add_f64 v[88:89], v[88:89], -v[90:91]
	buffer_store_dword v89, off, s[0:3], 0 offset:12
	buffer_store_dword v88, off, s[0:3], 0 offset:8
	s_and_saveexec_b64 s[4:5], vcc
	s_cbranch_execz .LBB42_265
; %bb.264:
	buffer_load_dword v88, off, s[0:3], 0
	buffer_load_dword v89, off, s[0:3], 0 offset:4
	s_waitcnt vmcnt(0)
	ds_write_b64 v1, v[88:89]
	buffer_store_dword v92, off, s[0:3], 0
	buffer_store_dword v92, off, s[0:3], 0 offset:4
.LBB42_265:
	s_or_b64 exec, exec, s[4:5]
	s_waitcnt lgkmcnt(0)
	; wave barrier
	s_waitcnt lgkmcnt(0)
	buffer_load_dword v0, off, s[0:3], 0
	buffer_load_dword v1, off, s[0:3], 0 offset:4
	buffer_load_dword v94, off, s[0:3], 0 offset:8
	;; [unrolled: 1-line block ×15, first 2 shown]
	ds_read2_b64 v[88:91], v92 offset0:45 offset1:46
	s_and_b64 vcc, exec, s[20:21]
	s_waitcnt vmcnt(12) lgkmcnt(0)
	v_fma_f64 v[88:89], v[94:95], v[88:89], 0
	s_waitcnt vmcnt(10)
	v_fmac_f64_e32 v[88:89], v[96:97], v[90:91]
	ds_read2_b64 v[94:97], v92 offset0:47 offset1:48
	s_waitcnt vmcnt(8) lgkmcnt(0)
	v_fmac_f64_e32 v[88:89], v[98:99], v[94:95]
	s_waitcnt vmcnt(6)
	v_fmac_f64_e32 v[88:89], v[100:101], v[96:97]
	ds_read2_b64 v[94:97], v92 offset0:49 offset1:50
	s_waitcnt vmcnt(4) lgkmcnt(0)
	v_fmac_f64_e32 v[88:89], v[102:103], v[94:95]
	s_waitcnt vmcnt(2)
	v_fmac_f64_e32 v[88:89], v[104:105], v[96:97]
	ds_read2_b64 v[94:97], v92 offset0:51 offset1:52
	buffer_load_dword v91, off, s[0:3], 0 offset:68
	buffer_load_dword v90, off, s[0:3], 0 offset:64
	s_waitcnt vmcnt(2) lgkmcnt(0)
	v_fmac_f64_e32 v[88:89], v[106:107], v[94:95]
	s_waitcnt vmcnt(0)
	v_fmac_f64_e32 v[88:89], v[90:91], v[96:97]
	buffer_load_dword v91, off, s[0:3], 0 offset:76
	buffer_load_dword v90, off, s[0:3], 0 offset:72
	ds_read2_b64 v[94:97], v92 offset0:53 offset1:54
	s_waitcnt vmcnt(0) lgkmcnt(0)
	v_fmac_f64_e32 v[88:89], v[90:91], v[94:95]
	buffer_load_dword v91, off, s[0:3], 0 offset:84
	buffer_load_dword v90, off, s[0:3], 0 offset:80
	s_waitcnt vmcnt(0)
	v_fmac_f64_e32 v[88:89], v[90:91], v[96:97]
	buffer_load_dword v91, off, s[0:3], 0 offset:92
	buffer_load_dword v90, off, s[0:3], 0 offset:88
	ds_read2_b64 v[94:97], v92 offset0:55 offset1:56
	s_waitcnt vmcnt(0) lgkmcnt(0)
	v_fmac_f64_e32 v[88:89], v[90:91], v[94:95]
	buffer_load_dword v91, off, s[0:3], 0 offset:100
	buffer_load_dword v90, off, s[0:3], 0 offset:96
	;; [unrolled: 9-line block ×17, first 2 shown]
	s_waitcnt vmcnt(0)
	v_fmac_f64_e32 v[88:89], v[92:93], v[94:95]
	v_add_f64 v[0:1], v[0:1], -v[88:89]
	buffer_store_dword v1, off, s[0:3], 0 offset:4
	buffer_store_dword v0, off, s[0:3], 0
	s_cbranch_vccz .LBB42_351
; %bb.266:
	v_pk_mov_b32 v[0:1], s[10:11], s[10:11] op_sel:[0,1]
	flat_load_dword v0, v[0:1] offset:164
	s_waitcnt vmcnt(0) lgkmcnt(0)
	v_add_u32_e32 v0, -1, v0
	v_cmp_ne_u32_e32 vcc, 41, v0
	s_and_saveexec_b64 s[4:5], vcc
	s_cbranch_execz .LBB42_268
; %bb.267:
	v_mov_b32_e32 v1, 0
	v_lshl_add_u32 v0, v0, 3, v1
	buffer_load_dword v1, v0, s[0:3], 0 offen
	buffer_load_dword v88, v0, s[0:3], 0 offen offset:4
	s_waitcnt vmcnt(1)
	buffer_store_dword v1, off, s[0:3], 0 offset:328
	s_waitcnt vmcnt(1)
	buffer_store_dword v88, off, s[0:3], 0 offset:332
	buffer_store_dword v90, v0, s[0:3], 0 offen
	buffer_store_dword v91, v0, s[0:3], 0 offen offset:4
.LBB42_268:
	s_or_b64 exec, exec, s[4:5]
	v_pk_mov_b32 v[0:1], s[10:11], s[10:11] op_sel:[0,1]
	flat_load_dword v0, v[0:1] offset:160
	s_waitcnt vmcnt(0) lgkmcnt(0)
	v_add_u32_e32 v0, -1, v0
	v_cmp_ne_u32_e32 vcc, 40, v0
	s_and_saveexec_b64 s[4:5], vcc
	s_cbranch_execz .LBB42_270
; %bb.269:
	v_mov_b32_e32 v1, 0
	v_lshl_add_u32 v0, v0, 3, v1
	buffer_load_dword v1, v0, s[0:3], 0 offen
	buffer_load_dword v88, v0, s[0:3], 0 offen offset:4
	buffer_load_dword v89, off, s[0:3], 0 offset:324
	buffer_load_dword v90, off, s[0:3], 0 offset:320
	s_waitcnt vmcnt(3)
	buffer_store_dword v1, off, s[0:3], 0 offset:320
	s_waitcnt vmcnt(3)
	buffer_store_dword v88, off, s[0:3], 0 offset:324
	s_waitcnt vmcnt(3)
	buffer_store_dword v89, v0, s[0:3], 0 offen offset:4
	s_waitcnt vmcnt(3)
	buffer_store_dword v90, v0, s[0:3], 0 offen
.LBB42_270:
	s_or_b64 exec, exec, s[4:5]
	v_pk_mov_b32 v[0:1], s[10:11], s[10:11] op_sel:[0,1]
	flat_load_dword v0, v[0:1] offset:156
	s_waitcnt vmcnt(0) lgkmcnt(0)
	v_add_u32_e32 v0, -1, v0
	v_cmp_ne_u32_e32 vcc, 39, v0
	s_and_saveexec_b64 s[4:5], vcc
	s_cbranch_execz .LBB42_272
; %bb.271:
	v_mov_b32_e32 v1, 0
	v_lshl_add_u32 v0, v0, 3, v1
	buffer_load_dword v1, v0, s[0:3], 0 offen
	buffer_load_dword v88, v0, s[0:3], 0 offen offset:4
	buffer_load_dword v89, off, s[0:3], 0 offset:312
	buffer_load_dword v90, off, s[0:3], 0 offset:316
	s_waitcnt vmcnt(3)
	buffer_store_dword v1, off, s[0:3], 0 offset:312
	s_waitcnt vmcnt(3)
	buffer_store_dword v88, off, s[0:3], 0 offset:316
	s_waitcnt vmcnt(3)
	buffer_store_dword v89, v0, s[0:3], 0 offen
	s_waitcnt vmcnt(3)
	buffer_store_dword v90, v0, s[0:3], 0 offen offset:4
.LBB42_272:
	s_or_b64 exec, exec, s[4:5]
	v_pk_mov_b32 v[0:1], s[10:11], s[10:11] op_sel:[0,1]
	flat_load_dword v0, v[0:1] offset:152
	s_waitcnt vmcnt(0) lgkmcnt(0)
	v_add_u32_e32 v0, -1, v0
	v_cmp_ne_u32_e32 vcc, 38, v0
	s_and_saveexec_b64 s[4:5], vcc
	s_cbranch_execz .LBB42_274
; %bb.273:
	v_mov_b32_e32 v1, 0
	v_lshl_add_u32 v0, v0, 3, v1
	buffer_load_dword v1, v0, s[0:3], 0 offen
	buffer_load_dword v88, v0, s[0:3], 0 offen offset:4
	buffer_load_dword v89, off, s[0:3], 0 offset:308
	buffer_load_dword v90, off, s[0:3], 0 offset:304
	s_waitcnt vmcnt(3)
	buffer_store_dword v1, off, s[0:3], 0 offset:304
	s_waitcnt vmcnt(3)
	buffer_store_dword v88, off, s[0:3], 0 offset:308
	s_waitcnt vmcnt(3)
	buffer_store_dword v89, v0, s[0:3], 0 offen offset:4
	s_waitcnt vmcnt(3)
	buffer_store_dword v90, v0, s[0:3], 0 offen
.LBB42_274:
	s_or_b64 exec, exec, s[4:5]
	v_pk_mov_b32 v[0:1], s[10:11], s[10:11] op_sel:[0,1]
	flat_load_dword v0, v[0:1] offset:148
	s_waitcnt vmcnt(0) lgkmcnt(0)
	v_add_u32_e32 v0, -1, v0
	v_cmp_ne_u32_e32 vcc, 37, v0
	s_and_saveexec_b64 s[4:5], vcc
	s_cbranch_execz .LBB42_276
; %bb.275:
	v_mov_b32_e32 v1, 0
	v_lshl_add_u32 v0, v0, 3, v1
	buffer_load_dword v1, v0, s[0:3], 0 offen
	buffer_load_dword v88, v0, s[0:3], 0 offen offset:4
	buffer_load_dword v89, off, s[0:3], 0 offset:296
	buffer_load_dword v90, off, s[0:3], 0 offset:300
	s_waitcnt vmcnt(3)
	buffer_store_dword v1, off, s[0:3], 0 offset:296
	s_waitcnt vmcnt(3)
	buffer_store_dword v88, off, s[0:3], 0 offset:300
	s_waitcnt vmcnt(3)
	buffer_store_dword v89, v0, s[0:3], 0 offen
	s_waitcnt vmcnt(3)
	buffer_store_dword v90, v0, s[0:3], 0 offen offset:4
.LBB42_276:
	;; [unrolled: 48-line block ×20, first 2 shown]
	s_or_b64 exec, exec, s[4:5]
	v_pk_mov_b32 v[0:1], s[10:11], s[10:11] op_sel:[0,1]
	flat_load_dword v88, v[0:1]
	s_nop 0
	buffer_load_dword v0, off, s[0:3], 0
	buffer_load_dword v1, off, s[0:3], 0 offset:4
	s_waitcnt vmcnt(0) lgkmcnt(0)
	v_add_u32_e32 v88, -1, v88
	v_cmp_ne_u32_e32 vcc, 0, v88
	s_and_saveexec_b64 s[4:5], vcc
	s_cbranch_execz .LBB42_350
; %bb.349:
	v_mov_b32_e32 v89, 0
	v_lshl_add_u32 v88, v88, 3, v89
	buffer_load_dword v89, v88, s[0:3], 0 offen offset:4
	buffer_load_dword v90, v88, s[0:3], 0 offen
	s_waitcnt vmcnt(1)
	buffer_store_dword v89, off, s[0:3], 0 offset:4
	s_waitcnt vmcnt(1)
	buffer_store_dword v90, off, s[0:3], 0
	buffer_store_dword v1, v88, s[0:3], 0 offen offset:4
	buffer_store_dword v0, v88, s[0:3], 0 offen
	buffer_load_dword v0, off, s[0:3], 0
	s_nop 0
	buffer_load_dword v1, off, s[0:3], 0 offset:4
.LBB42_350:
	s_or_b64 exec, exec, s[4:5]
.LBB42_351:
	s_waitcnt vmcnt(0)
	global_store_dwordx2 v[86:87], v[0:1], off
	buffer_load_dword v0, off, s[0:3], 0 offset:8
	s_nop 0
	buffer_load_dword v1, off, s[0:3], 0 offset:12
	buffer_load_dword v86, off, s[0:3], 0 offset:16
	;; [unrolled: 1-line block ×15, first 2 shown]
	s_waitcnt vmcnt(14)
	global_store_dwordx2 v[84:85], v[0:1], off
	s_waitcnt vmcnt(13)
	global_store_dwordx2 v[2:3], v[86:87], off
	;; [unrolled: 2-line block ×8, first 2 shown]
	buffer_load_dword v0, off, s[0:3], 0 offset:72
	buffer_load_dword v1, off, s[0:3], 0 offset:76
	s_waitcnt vmcnt(0)
	global_store_dwordx2 v[14:15], v[0:1], off
	buffer_load_dword v0, off, s[0:3], 0 offset:80
	s_nop 0
	buffer_load_dword v1, off, s[0:3], 0 offset:84
	s_waitcnt vmcnt(0)
	global_store_dwordx2 v[16:17], v[0:1], off
	buffer_load_dword v0, off, s[0:3], 0 offset:88
	s_nop 0
	;; [unrolled: 5-line block ×33, first 2 shown]
	buffer_load_dword v1, off, s[0:3], 0 offset:340
	s_waitcnt vmcnt(0)
	global_store_dwordx2 v[70:71], v[0:1], off
	s_endpgm
	.section	.rodata,"a",@progbits
	.p2align	6, 0x0
	.amdhsa_kernel _ZN9rocsolver6v33100L18getri_kernel_smallILi43EdPdEEvT1_iilPiilS4_bb
		.amdhsa_group_segment_fixed_size 696
		.amdhsa_private_segment_fixed_size 352
		.amdhsa_kernarg_size 60
		.amdhsa_user_sgpr_count 8
		.amdhsa_user_sgpr_private_segment_buffer 1
		.amdhsa_user_sgpr_dispatch_ptr 0
		.amdhsa_user_sgpr_queue_ptr 0
		.amdhsa_user_sgpr_kernarg_segment_ptr 1
		.amdhsa_user_sgpr_dispatch_id 0
		.amdhsa_user_sgpr_flat_scratch_init 1
		.amdhsa_user_sgpr_kernarg_preload_length 0
		.amdhsa_user_sgpr_kernarg_preload_offset 0
		.amdhsa_user_sgpr_private_segment_size 0
		.amdhsa_uses_dynamic_stack 0
		.amdhsa_system_sgpr_private_segment_wavefront_offset 1
		.amdhsa_system_sgpr_workgroup_id_x 1
		.amdhsa_system_sgpr_workgroup_id_y 0
		.amdhsa_system_sgpr_workgroup_id_z 0
		.amdhsa_system_sgpr_workgroup_info 0
		.amdhsa_system_vgpr_workitem_id 0
		.amdhsa_next_free_vgpr 124
		.amdhsa_next_free_sgpr 23
		.amdhsa_accum_offset 124
		.amdhsa_reserve_vcc 1
		.amdhsa_reserve_flat_scratch 1
		.amdhsa_float_round_mode_32 0
		.amdhsa_float_round_mode_16_64 0
		.amdhsa_float_denorm_mode_32 3
		.amdhsa_float_denorm_mode_16_64 3
		.amdhsa_dx10_clamp 1
		.amdhsa_ieee_mode 1
		.amdhsa_fp16_overflow 0
		.amdhsa_tg_split 0
		.amdhsa_exception_fp_ieee_invalid_op 0
		.amdhsa_exception_fp_denorm_src 0
		.amdhsa_exception_fp_ieee_div_zero 0
		.amdhsa_exception_fp_ieee_overflow 0
		.amdhsa_exception_fp_ieee_underflow 0
		.amdhsa_exception_fp_ieee_inexact 0
		.amdhsa_exception_int_div_zero 0
	.end_amdhsa_kernel
	.section	.text._ZN9rocsolver6v33100L18getri_kernel_smallILi43EdPdEEvT1_iilPiilS4_bb,"axG",@progbits,_ZN9rocsolver6v33100L18getri_kernel_smallILi43EdPdEEvT1_iilPiilS4_bb,comdat
.Lfunc_end42:
	.size	_ZN9rocsolver6v33100L18getri_kernel_smallILi43EdPdEEvT1_iilPiilS4_bb, .Lfunc_end42-_ZN9rocsolver6v33100L18getri_kernel_smallILi43EdPdEEvT1_iilPiilS4_bb
                                        ; -- End function
	.section	.AMDGPU.csdata,"",@progbits
; Kernel info:
; codeLenInByte = 47884
; NumSgprs: 29
; NumVgprs: 124
; NumAgprs: 0
; TotalNumVgprs: 124
; ScratchSize: 352
; MemoryBound: 1
; FloatMode: 240
; IeeeMode: 1
; LDSByteSize: 696 bytes/workgroup (compile time only)
; SGPRBlocks: 3
; VGPRBlocks: 15
; NumSGPRsForWavesPerEU: 29
; NumVGPRsForWavesPerEU: 124
; AccumOffset: 124
; Occupancy: 4
; WaveLimiterHint : 1
; COMPUTE_PGM_RSRC2:SCRATCH_EN: 1
; COMPUTE_PGM_RSRC2:USER_SGPR: 8
; COMPUTE_PGM_RSRC2:TRAP_HANDLER: 0
; COMPUTE_PGM_RSRC2:TGID_X_EN: 1
; COMPUTE_PGM_RSRC2:TGID_Y_EN: 0
; COMPUTE_PGM_RSRC2:TGID_Z_EN: 0
; COMPUTE_PGM_RSRC2:TIDIG_COMP_CNT: 0
; COMPUTE_PGM_RSRC3_GFX90A:ACCUM_OFFSET: 30
; COMPUTE_PGM_RSRC3_GFX90A:TG_SPLIT: 0
	.section	.text._ZN9rocsolver6v33100L18getri_kernel_smallILi44EdPdEEvT1_iilPiilS4_bb,"axG",@progbits,_ZN9rocsolver6v33100L18getri_kernel_smallILi44EdPdEEvT1_iilPiilS4_bb,comdat
	.globl	_ZN9rocsolver6v33100L18getri_kernel_smallILi44EdPdEEvT1_iilPiilS4_bb ; -- Begin function _ZN9rocsolver6v33100L18getri_kernel_smallILi44EdPdEEvT1_iilPiilS4_bb
	.p2align	8
	.type	_ZN9rocsolver6v33100L18getri_kernel_smallILi44EdPdEEvT1_iilPiilS4_bb,@function
_ZN9rocsolver6v33100L18getri_kernel_smallILi44EdPdEEvT1_iilPiilS4_bb: ; @_ZN9rocsolver6v33100L18getri_kernel_smallILi44EdPdEEvT1_iilPiilS4_bb
; %bb.0:
	s_add_u32 flat_scratch_lo, s6, s9
	s_addc_u32 flat_scratch_hi, s7, 0
	s_add_u32 s0, s0, s9
	s_addc_u32 s1, s1, 0
	v_cmp_gt_u32_e32 vcc, 44, v0
	s_and_saveexec_b64 s[6:7], vcc
	s_cbranch_execz .LBB43_184
; %bb.1:
	s_load_dword s22, s[4:5], 0x38
	s_load_dwordx4 s[16:19], s[4:5], 0x10
	s_load_dwordx4 s[12:15], s[4:5], 0x28
                                        ; implicit-def: $sgpr10_sgpr11
	s_waitcnt lgkmcnt(0)
	s_bitcmp1_b32 s22, 8
	s_cselect_b64 s[20:21], -1, 0
	s_ashr_i32 s9, s8, 31
	s_bfe_u32 s6, s22, 0x10008
	s_cmp_eq_u32 s6, 0
	s_cbranch_scc1 .LBB43_3
; %bb.2:
	s_load_dword s6, s[4:5], 0x20
	s_mul_i32 s7, s8, s13
	s_mul_hi_u32 s10, s8, s12
	s_mul_i32 s11, s9, s12
	s_add_i32 s10, s10, s7
	s_add_i32 s11, s10, s11
	s_mul_i32 s10, s8, s12
	s_waitcnt lgkmcnt(0)
	s_ashr_i32 s7, s6, 31
	s_lshl_b64 s[10:11], s[10:11], 2
	s_add_u32 s10, s18, s10
	s_addc_u32 s11, s19, s11
	s_lshl_b64 s[6:7], s[6:7], 2
	s_add_u32 s10, s10, s6
	s_addc_u32 s11, s11, s7
.LBB43_3:
	s_load_dwordx4 s[4:7], s[4:5], 0x0
	s_mul_i32 s12, s8, s17
	s_mul_hi_u32 s13, s8, s16
	s_add_i32 s17, s13, s12
	s_waitcnt lgkmcnt(0)
	s_ashr_i32 s13, s6, 31
	s_mov_b32 s12, s6
	s_mul_i32 s6, s9, s16
	s_add_i32 s17, s17, s6
	s_mul_i32 s16, s8, s16
	s_lshl_b64 s[16:17], s[16:17], 3
	s_add_u32 s6, s4, s16
	s_addc_u32 s16, s5, s17
	s_lshl_b64 s[4:5], s[12:13], 3
	s_add_u32 s4, s6, s4
	s_addc_u32 s5, s16, s5
	s_add_i32 s6, s7, s7
	v_add_u32_e32 v4, s6, v0
	v_ashrrev_i32_e32 v5, 31, v4
	v_lshlrev_b64 v[2:3], 3, v[4:5]
	v_add_u32_e32 v6, s7, v4
	v_mov_b32_e32 v1, s5
	v_add_co_u32_e32 v2, vcc, s4, v2
	v_ashrrev_i32_e32 v7, 31, v6
	v_addc_co_u32_e32 v3, vcc, v1, v3, vcc
	v_lshlrev_b64 v[4:5], 3, v[6:7]
	v_add_u32_e32 v8, s7, v6
	v_add_co_u32_e32 v4, vcc, s4, v4
	v_ashrrev_i32_e32 v9, 31, v8
	v_addc_co_u32_e32 v5, vcc, v1, v5, vcc
	v_lshlrev_b64 v[6:7], 3, v[8:9]
	v_add_u32_e32 v10, s7, v8
	;; [unrolled: 5-line block ×5, first 2 shown]
	v_add_co_u32_e32 v12, vcc, s4, v12
	v_ashrrev_i32_e32 v15, 31, v14
	v_addc_co_u32_e32 v13, vcc, v1, v13, vcc
	v_lshlrev_b64 v[16:17], 3, v[14:15]
	v_add_co_u32_e32 v18, vcc, s4, v16
	v_add_u32_e32 v16, s7, v14
	v_addc_co_u32_e32 v19, vcc, v1, v17, vcc
	v_ashrrev_i32_e32 v17, 31, v16
	v_lshlrev_b64 v[14:15], 3, v[16:17]
	v_add_u32_e32 v20, s7, v16
	v_add_co_u32_e32 v14, vcc, s4, v14
	v_ashrrev_i32_e32 v21, 31, v20
	v_addc_co_u32_e32 v15, vcc, v1, v15, vcc
	v_lshlrev_b64 v[16:17], 3, v[20:21]
	v_add_u32_e32 v22, s7, v20
	v_add_co_u32_e32 v16, vcc, s4, v16
	v_ashrrev_i32_e32 v23, 31, v22
	v_addc_co_u32_e32 v17, vcc, v1, v17, vcc
	;; [unrolled: 5-line block ×26, first 2 shown]
	v_lshlrev_b64 v[68:69], 3, v[70:71]
	v_add_co_u32_e32 v68, vcc, s4, v68
	v_addc_co_u32_e32 v69, vcc, v1, v69, vcc
	v_lshlrev_b32_e32 v1, 3, v0
	global_load_dwordx2 v[90:91], v1, s[4:5]
	global_load_dwordx2 v[94:95], v[2:3], off
	global_load_dwordx2 v[96:97], v[4:5], off
	global_load_dwordx2 v[98:99], v[6:7], off
	v_mov_b32_e32 v71, s5
	v_add_co_u32_e32 v88, vcc, s4, v1
	s_ashr_i32 s13, s7, 31
	s_mov_b32 s12, s7
	v_addc_co_u32_e32 v89, vcc, 0, v71, vcc
	s_lshl_b64 s[12:13], s[12:13], 3
	v_mov_b32_e32 v71, s13
	v_add_co_u32_e32 v86, vcc, s12, v88
	v_addc_co_u32_e32 v87, vcc, v89, v71, vcc
	global_load_dwordx2 v[92:93], v[86:87], off
	global_load_dwordx2 v[106:107], v[18:19], off
	;; [unrolled: 1-line block ×7, first 2 shown]
	v_add_u32_e32 v70, s7, v70
	v_ashrrev_i32_e32 v71, 31, v70
	v_lshlrev_b64 v[72:73], 3, v[70:71]
	v_add_u32_e32 v70, s7, v70
	v_mov_b32_e32 v74, s5
	v_add_co_u32_e32 v72, vcc, s4, v72
	v_ashrrev_i32_e32 v71, 31, v70
	v_addc_co_u32_e32 v73, vcc, v74, v73, vcc
	v_lshlrev_b64 v[74:75], 3, v[70:71]
	v_add_u32_e32 v70, s7, v70
	v_mov_b32_e32 v76, s5
	v_add_co_u32_e32 v74, vcc, s4, v74
	v_ashrrev_i32_e32 v71, 31, v70
	v_addc_co_u32_e32 v75, vcc, v76, v75, vcc
	;; [unrolled: 6-line block ×7, first 2 shown]
	v_lshlrev_b64 v[70:71], 3, v[70:71]
	v_add_co_u32_e32 v70, vcc, s4, v70
	v_addc_co_u32_e32 v71, vcc, v112, v71, vcc
	global_load_dwordx2 v[112:113], v[70:71], off
	global_load_dwordx2 v[114:115], v[20:21], off
	;; [unrolled: 1-line block ×6, first 2 shown]
	s_bitcmp0_b32 s22, 0
	s_waitcnt vmcnt(16)
	buffer_store_dword v91, off, s[0:3], 0 offset:4
	buffer_store_dword v90, off, s[0:3], 0
	global_load_dwordx2 v[90:91], v[24:25], off
	s_mov_b64 s[6:7], -1
	s_waitcnt vmcnt(18)
	buffer_store_dword v95, off, s[0:3], 0 offset:20
	buffer_store_dword v94, off, s[0:3], 0 offset:16
	global_load_dwordx2 v[94:95], v[32:33], off
	s_waitcnt vmcnt(20)
	buffer_store_dword v97, off, s[0:3], 0 offset:28
	buffer_store_dword v96, off, s[0:3], 0 offset:24
	global_load_dwordx2 v[96:97], v[36:37], off
	;; [unrolled: 4-line block ×3, first 2 shown]
	s_nop 0
	buffer_store_dword v99, off, s[0:3], 0 offset:36
	buffer_store_dword v98, off, s[0:3], 0 offset:32
	global_load_dwordx2 v[98:99], v[38:39], off
	s_waitcnt vmcnt(24)
	buffer_store_dword v101, off, s[0:3], 0 offset:44
	buffer_store_dword v100, off, s[0:3], 0 offset:40
	global_load_dwordx2 v[100:101], v[40:41], off
	s_waitcnt vmcnt(26)
	;; [unrolled: 4-line block ×3, first 2 shown]
	buffer_store_dword v105, off, s[0:3], 0 offset:60
	buffer_store_dword v104, off, s[0:3], 0 offset:56
	global_load_dwordx2 v[104:105], v[44:45], off
	s_nop 0
	buffer_store_dword v107, off, s[0:3], 0 offset:68
	buffer_store_dword v106, off, s[0:3], 0 offset:64
	global_load_dwordx2 v[106:107], v[46:47], off
	s_waitcnt vmcnt(33)
	buffer_store_dword v108, off, s[0:3], 0 offset:72
	buffer_store_dword v109, off, s[0:3], 0 offset:76
	global_load_dwordx2 v[108:109], v[48:49], off
	s_nop 0
	buffer_store_dword v110, off, s[0:3], 0 offset:80
	buffer_store_dword v111, off, s[0:3], 0 offset:84
	global_load_dwordx2 v[110:111], v[50:51], off
	s_waitcnt vmcnt(37)
	buffer_store_dword v114, off, s[0:3], 0 offset:88
	buffer_store_dword v115, off, s[0:3], 0 offset:92
	s_waitcnt vmcnt(38)
	buffer_store_dword v116, off, s[0:3], 0 offset:96
	buffer_store_dword v117, off, s[0:3], 0 offset:100
	;; [unrolled: 3-line block ×3, first 2 shown]
	buffer_store_dword v119, off, s[0:3], 0 offset:116
	buffer_store_dword v118, off, s[0:3], 0 offset:112
	s_waitcnt vmcnt(29)
	buffer_store_dword v92, off, s[0:3], 0 offset:120
	buffer_store_dword v93, off, s[0:3], 0 offset:124
	;; [unrolled: 1-line block ×9, first 2 shown]
	global_load_dwordx2 v[90:91], v[52:53], off
	global_load_dwordx2 v[92:93], v[54:55], off
	;; [unrolled: 1-line block ×8, first 2 shown]
	s_nop 0
	buffer_store_dword v96, off, s[0:3], 0 offset:152
	global_load_dwordx2 v[96:97], v[58:59], off
	s_waitcnt vmcnt(45)
	buffer_store_dword v99, off, s[0:3], 0 offset:164
	buffer_store_dword v98, off, s[0:3], 0 offset:160
	global_load_dwordx2 v[98:99], v[60:61], off
	s_waitcnt vmcnt(45)
	buffer_store_dword v100, off, s[0:3], 0 offset:168
	;; [unrolled: 4-line block ×8, first 2 shown]
	buffer_store_dword v91, off, s[0:3], 0 offset:220
	s_waitcnt vmcnt(31)
	buffer_store_dword v92, off, s[0:3], 0 offset:224
	buffer_store_dword v93, off, s[0:3], 0 offset:228
	s_waitcnt vmcnt(32)
	buffer_store_dword v94, off, s[0:3], 0 offset:232
	;; [unrolled: 3-line block ×5, first 2 shown]
	buffer_store_dword v100, off, s[0:3], 0 offset:256
	buffer_store_dword v114, off, s[0:3], 0 offset:264
	buffer_store_dword v115, off, s[0:3], 0 offset:268
	s_waitcnt vmcnt(26)
	buffer_store_dword v102, off, s[0:3], 0 offset:272
	buffer_store_dword v103, off, s[0:3], 0 offset:276
	buffer_store_dword v116, off, s[0:3], 0 offset:280
	buffer_store_dword v117, off, s[0:3], 0 offset:284
	s_waitcnt vmcnt(27)
	buffer_store_dword v104, off, s[0:3], 0 offset:288
	;; [unrolled: 5-line block ×5, first 2 shown]
	buffer_store_dword v111, off, s[0:3], 0 offset:340
	buffer_store_dword v113, off, s[0:3], 0 offset:348
	;; [unrolled: 1-line block ×3, first 2 shown]
	s_cbranch_scc1 .LBB43_182
; %bb.4:
	v_cmp_eq_u32_e64 s[4:5], 0, v0
	s_and_saveexec_b64 s[6:7], s[4:5]
	s_cbranch_execz .LBB43_6
; %bb.5:
	v_mov_b32_e32 v90, 0
	ds_write_b32 v90, v90 offset:704
.LBB43_6:
	s_or_b64 exec, exec, s[6:7]
	v_mov_b32_e32 v90, 0
	v_lshl_add_u32 v90, v0, 3, v90
	s_waitcnt lgkmcnt(0)
	; wave barrier
	s_waitcnt lgkmcnt(0)
	buffer_load_dword v92, v90, s[0:3], 0 offen
	buffer_load_dword v93, v90, s[0:3], 0 offen offset:4
	s_waitcnt vmcnt(0)
	v_cmp_eq_f64_e32 vcc, 0, v[92:93]
	s_and_saveexec_b64 s[12:13], vcc
	s_cbranch_execz .LBB43_10
; %bb.7:
	v_mov_b32_e32 v91, 0
	ds_read_b32 v93, v91 offset:704
	v_add_u32_e32 v92, 1, v0
	s_waitcnt lgkmcnt(0)
	v_readfirstlane_b32 s6, v93
	s_cmp_eq_u32 s6, 0
	s_cselect_b64 s[16:17], -1, 0
	v_cmp_gt_i32_e32 vcc, s6, v92
	s_or_b64 s[16:17], s[16:17], vcc
	s_and_b64 exec, exec, s[16:17]
	s_cbranch_execz .LBB43_10
; %bb.8:
	s_mov_b64 s[16:17], 0
	v_mov_b32_e32 v93, s6
.LBB43_9:                               ; =>This Inner Loop Header: Depth=1
	ds_cmpst_rtn_b32 v93, v91, v93, v92 offset:704
	s_waitcnt lgkmcnt(0)
	v_cmp_ne_u32_e32 vcc, 0, v93
	v_cmp_le_i32_e64 s[6:7], v93, v92
	s_and_b64 s[6:7], vcc, s[6:7]
	s_and_b64 s[6:7], exec, s[6:7]
	s_or_b64 s[16:17], s[6:7], s[16:17]
	s_andn2_b64 exec, exec, s[16:17]
	s_cbranch_execnz .LBB43_9
.LBB43_10:
	s_or_b64 exec, exec, s[12:13]
	v_mov_b32_e32 v92, 0
	s_waitcnt lgkmcnt(0)
	; wave barrier
	ds_read_b32 v91, v92 offset:704
	s_and_saveexec_b64 s[6:7], s[4:5]
	s_cbranch_execz .LBB43_12
; %bb.11:
	s_lshl_b64 s[12:13], s[8:9], 2
	s_add_u32 s12, s14, s12
	s_addc_u32 s13, s15, s13
	s_waitcnt lgkmcnt(0)
	global_store_dword v92, v91, s[12:13]
.LBB43_12:
	s_or_b64 exec, exec, s[6:7]
	s_waitcnt lgkmcnt(0)
	v_cmp_ne_u32_e32 vcc, 0, v91
	s_mov_b64 s[6:7], 0
	s_cbranch_vccnz .LBB43_182
; %bb.13:
	buffer_load_dword v92, v90, s[0:3], 0 offen
	buffer_load_dword v93, v90, s[0:3], 0 offen offset:4
	s_waitcnt vmcnt(0)
	v_div_scale_f64 v[94:95], s[6:7], v[92:93], v[92:93], 1.0
	v_rcp_f64_e32 v[96:97], v[94:95]
	v_div_scale_f64 v[98:99], vcc, 1.0, v[92:93], 1.0
	v_fma_f64 v[100:101], -v[94:95], v[96:97], 1.0
	v_fmac_f64_e32 v[96:97], v[96:97], v[100:101]
	v_fma_f64 v[100:101], -v[94:95], v[96:97], 1.0
	v_fmac_f64_e32 v[96:97], v[96:97], v[100:101]
	v_mul_f64 v[100:101], v[98:99], v[96:97]
	v_fma_f64 v[94:95], -v[94:95], v[100:101], v[98:99]
	v_div_fmas_f64 v[94:95], v[94:95], v[96:97], v[100:101]
	v_div_fixup_f64 v[94:95], v[94:95], v[92:93], 1.0
	buffer_store_dword v95, v90, s[0:3], 0 offen offset:4
	buffer_store_dword v94, v90, s[0:3], 0 offen
	buffer_load_dword v97, off, s[0:3], 0 offset:12
	buffer_load_dword v96, off, s[0:3], 0 offset:8
	v_add_u32_e32 v92, 0x160, v1
	v_xor_b32_e32 v95, 0x80000000, v95
	s_waitcnt vmcnt(0)
	ds_write2_b64 v1, v[94:95], v[96:97] offset1:44
	s_waitcnt lgkmcnt(0)
	; wave barrier
	s_waitcnt lgkmcnt(0)
	s_and_saveexec_b64 s[6:7], s[4:5]
	s_cbranch_execz .LBB43_15
; %bb.14:
	buffer_load_dword v94, v90, s[0:3], 0 offen
	buffer_load_dword v95, v90, s[0:3], 0 offen offset:4
	v_mov_b32_e32 v91, 0
	ds_read_b64 v[96:97], v92
	ds_read_b64 v[98:99], v91 offset:8
	s_waitcnt vmcnt(0) lgkmcnt(1)
	v_fma_f64 v[94:95], v[94:95], v[96:97], 0
	s_waitcnt lgkmcnt(0)
	v_mul_f64 v[94:95], v[94:95], v[98:99]
	buffer_store_dword v94, off, s[0:3], 0 offset:8
	buffer_store_dword v95, off, s[0:3], 0 offset:12
.LBB43_15:
	s_or_b64 exec, exec, s[6:7]
	s_waitcnt lgkmcnt(0)
	; wave barrier
	buffer_load_dword v94, off, s[0:3], 0 offset:16
	buffer_load_dword v95, off, s[0:3], 0 offset:20
	v_cmp_gt_u32_e32 vcc, 2, v0
	s_waitcnt vmcnt(0)
	ds_write_b64 v92, v[94:95]
	s_waitcnt lgkmcnt(0)
	; wave barrier
	s_waitcnt lgkmcnt(0)
	s_and_saveexec_b64 s[6:7], vcc
	s_cbranch_execz .LBB43_17
; %bb.16:
	buffer_load_dword v91, v90, s[0:3], 0 offen offset:4
	buffer_load_dword v98, off, s[0:3], 0 offset:8
	s_nop 0
	buffer_load_dword v90, v90, s[0:3], 0 offen
	s_nop 0
	buffer_load_dword v99, off, s[0:3], 0 offset:12
	ds_read_b64 v[100:101], v92
	v_mov_b32_e32 v93, 0
	ds_read2_b64 v[94:97], v93 offset0:2 offset1:45
	s_waitcnt vmcnt(1) lgkmcnt(1)
	v_fma_f64 v[90:91], v[90:91], v[100:101], 0
	s_waitcnt vmcnt(0) lgkmcnt(0)
	v_fma_f64 v[96:97], v[98:99], v[96:97], v[90:91]
	v_cndmask_b32_e64 v91, v91, v97, s[4:5]
	v_cndmask_b32_e64 v90, v90, v96, s[4:5]
	v_mul_f64 v[90:91], v[90:91], v[94:95]
	buffer_store_dword v91, off, s[0:3], 0 offset:20
	buffer_store_dword v90, off, s[0:3], 0 offset:16
.LBB43_17:
	s_or_b64 exec, exec, s[6:7]
	s_waitcnt lgkmcnt(0)
	; wave barrier
	buffer_load_dword v90, off, s[0:3], 0 offset:24
	buffer_load_dword v91, off, s[0:3], 0 offset:28
	v_cmp_gt_u32_e32 vcc, 3, v0
	v_add_u32_e32 v93, -1, v0
	s_waitcnt vmcnt(0)
	ds_write_b64 v92, v[90:91]
	s_waitcnt lgkmcnt(0)
	; wave barrier
	s_waitcnt lgkmcnt(0)
	s_and_saveexec_b64 s[4:5], vcc
	s_cbranch_execz .LBB43_21
; %bb.18:
	v_add_u32_e32 v94, -1, v0
	v_add_u32_e32 v95, 0x160, v1
	v_add_u32_e32 v96, 0, v1
	s_mov_b64 s[6:7], 0
	v_pk_mov_b32 v[90:91], 0, 0
.LBB43_19:                              ; =>This Inner Loop Header: Depth=1
	buffer_load_dword v98, v96, s[0:3], 0 offen
	buffer_load_dword v99, v96, s[0:3], 0 offen offset:4
	ds_read_b64 v[100:101], v95
	v_add_u32_e32 v94, 1, v94
	v_cmp_lt_u32_e32 vcc, 1, v94
	v_add_u32_e32 v95, 8, v95
	v_add_u32_e32 v96, 8, v96
	s_or_b64 s[6:7], vcc, s[6:7]
	s_waitcnt vmcnt(0) lgkmcnt(0)
	v_fmac_f64_e32 v[90:91], v[98:99], v[100:101]
	s_andn2_b64 exec, exec, s[6:7]
	s_cbranch_execnz .LBB43_19
; %bb.20:
	s_or_b64 exec, exec, s[6:7]
	v_mov_b32_e32 v94, 0
	ds_read_b64 v[94:95], v94 offset:24
	s_waitcnt lgkmcnt(0)
	v_mul_f64 v[90:91], v[90:91], v[94:95]
	buffer_store_dword v91, off, s[0:3], 0 offset:28
	buffer_store_dword v90, off, s[0:3], 0 offset:24
.LBB43_21:
	s_or_b64 exec, exec, s[4:5]
	s_waitcnt lgkmcnt(0)
	; wave barrier
	buffer_load_dword v90, off, s[0:3], 0 offset:32
	buffer_load_dword v91, off, s[0:3], 0 offset:36
	v_cmp_gt_u32_e32 vcc, 4, v0
	s_waitcnt vmcnt(0)
	ds_write_b64 v92, v[90:91]
	s_waitcnt lgkmcnt(0)
	; wave barrier
	s_waitcnt lgkmcnt(0)
	s_and_saveexec_b64 s[4:5], vcc
	s_cbranch_execz .LBB43_25
; %bb.22:
	v_add_u32_e32 v94, -1, v0
	v_add_u32_e32 v95, 0x160, v1
	v_add_u32_e32 v96, 0, v1
	s_mov_b64 s[6:7], 0
	v_pk_mov_b32 v[90:91], 0, 0
.LBB43_23:                              ; =>This Inner Loop Header: Depth=1
	buffer_load_dword v98, v96, s[0:3], 0 offen
	buffer_load_dword v99, v96, s[0:3], 0 offen offset:4
	ds_read_b64 v[100:101], v95
	v_add_u32_e32 v94, 1, v94
	v_cmp_lt_u32_e32 vcc, 2, v94
	v_add_u32_e32 v95, 8, v95
	v_add_u32_e32 v96, 8, v96
	s_or_b64 s[6:7], vcc, s[6:7]
	s_waitcnt vmcnt(0) lgkmcnt(0)
	v_fmac_f64_e32 v[90:91], v[98:99], v[100:101]
	s_andn2_b64 exec, exec, s[6:7]
	s_cbranch_execnz .LBB43_23
; %bb.24:
	s_or_b64 exec, exec, s[6:7]
	v_mov_b32_e32 v94, 0
	ds_read_b64 v[94:95], v94 offset:32
	s_waitcnt lgkmcnt(0)
	v_mul_f64 v[90:91], v[90:91], v[94:95]
	buffer_store_dword v91, off, s[0:3], 0 offset:36
	buffer_store_dword v90, off, s[0:3], 0 offset:32
.LBB43_25:
	s_or_b64 exec, exec, s[4:5]
	s_waitcnt lgkmcnt(0)
	; wave barrier
	buffer_load_dword v90, off, s[0:3], 0 offset:40
	buffer_load_dword v91, off, s[0:3], 0 offset:44
	v_cmp_gt_u32_e32 vcc, 5, v0
	;; [unrolled: 41-line block ×21, first 2 shown]
	s_waitcnt vmcnt(0)
	ds_write_b64 v92, v[90:91]
	s_waitcnt lgkmcnt(0)
	; wave barrier
	s_waitcnt lgkmcnt(0)
	s_and_saveexec_b64 s[4:5], vcc
	s_cbranch_execz .LBB43_105
; %bb.102:
	v_add_u32_e32 v94, -1, v0
	v_add_u32_e32 v95, 0x160, v1
	v_add_u32_e32 v96, 0, v1
	s_mov_b64 s[6:7], 0
	v_pk_mov_b32 v[90:91], 0, 0
.LBB43_103:                             ; =>This Inner Loop Header: Depth=1
	buffer_load_dword v98, v96, s[0:3], 0 offen
	buffer_load_dword v99, v96, s[0:3], 0 offen offset:4
	ds_read_b64 v[100:101], v95
	v_add_u32_e32 v94, 1, v94
	v_cmp_lt_u32_e32 vcc, 22, v94
	v_add_u32_e32 v95, 8, v95
	v_add_u32_e32 v96, 8, v96
	s_or_b64 s[6:7], vcc, s[6:7]
	s_waitcnt vmcnt(0) lgkmcnt(0)
	v_fmac_f64_e32 v[90:91], v[98:99], v[100:101]
	s_andn2_b64 exec, exec, s[6:7]
	s_cbranch_execnz .LBB43_103
; %bb.104:
	s_or_b64 exec, exec, s[6:7]
	v_mov_b32_e32 v94, 0
	ds_read_b64 v[94:95], v94 offset:192
	s_waitcnt lgkmcnt(0)
	v_mul_f64 v[90:91], v[90:91], v[94:95]
	buffer_store_dword v91, off, s[0:3], 0 offset:196
	buffer_store_dword v90, off, s[0:3], 0 offset:192
.LBB43_105:
	s_or_b64 exec, exec, s[4:5]
	s_waitcnt lgkmcnt(0)
	; wave barrier
	buffer_load_dword v90, off, s[0:3], 0 offset:200
	buffer_load_dword v91, off, s[0:3], 0 offset:204
	v_cmp_gt_u32_e32 vcc, 25, v0
	s_waitcnt vmcnt(0)
	ds_write_b64 v92, v[90:91]
	s_waitcnt lgkmcnt(0)
	; wave barrier
	s_waitcnt lgkmcnt(0)
	s_and_saveexec_b64 s[4:5], vcc
	s_cbranch_execz .LBB43_109
; %bb.106:
	v_add_u32_e32 v94, -1, v0
	v_add_u32_e32 v95, 0x160, v1
	v_add_u32_e32 v96, 0, v1
	s_mov_b64 s[6:7], 0
	v_pk_mov_b32 v[90:91], 0, 0
.LBB43_107:                             ; =>This Inner Loop Header: Depth=1
	buffer_load_dword v98, v96, s[0:3], 0 offen
	buffer_load_dword v99, v96, s[0:3], 0 offen offset:4
	ds_read_b64 v[100:101], v95
	v_add_u32_e32 v94, 1, v94
	v_cmp_lt_u32_e32 vcc, 23, v94
	v_add_u32_e32 v95, 8, v95
	v_add_u32_e32 v96, 8, v96
	s_or_b64 s[6:7], vcc, s[6:7]
	s_waitcnt vmcnt(0) lgkmcnt(0)
	v_fmac_f64_e32 v[90:91], v[98:99], v[100:101]
	s_andn2_b64 exec, exec, s[6:7]
	s_cbranch_execnz .LBB43_107
; %bb.108:
	s_or_b64 exec, exec, s[6:7]
	v_mov_b32_e32 v94, 0
	ds_read_b64 v[94:95], v94 offset:200
	s_waitcnt lgkmcnt(0)
	v_mul_f64 v[90:91], v[90:91], v[94:95]
	buffer_store_dword v91, off, s[0:3], 0 offset:204
	buffer_store_dword v90, off, s[0:3], 0 offset:200
.LBB43_109:
	s_or_b64 exec, exec, s[4:5]
	s_waitcnt lgkmcnt(0)
	; wave barrier
	buffer_load_dword v90, off, s[0:3], 0 offset:208
	buffer_load_dword v91, off, s[0:3], 0 offset:212
	v_cmp_gt_u32_e32 vcc, 26, v0
	;; [unrolled: 41-line block ×18, first 2 shown]
	s_waitcnt vmcnt(0)
	ds_write_b64 v92, v[90:91]
	s_waitcnt lgkmcnt(0)
	; wave barrier
	s_waitcnt lgkmcnt(0)
	s_and_saveexec_b64 s[4:5], vcc
	s_cbranch_execz .LBB43_177
; %bb.174:
	v_add_u32_e32 v94, -1, v0
	v_add_u32_e32 v95, 0x160, v1
	v_add_u32_e32 v96, 0, v1
	s_mov_b64 s[6:7], 0
	v_pk_mov_b32 v[90:91], 0, 0
.LBB43_175:                             ; =>This Inner Loop Header: Depth=1
	buffer_load_dword v98, v96, s[0:3], 0 offen
	buffer_load_dword v99, v96, s[0:3], 0 offen offset:4
	ds_read_b64 v[100:101], v95
	v_add_u32_e32 v94, 1, v94
	v_cmp_lt_u32_e32 vcc, 40, v94
	v_add_u32_e32 v95, 8, v95
	v_add_u32_e32 v96, 8, v96
	s_or_b64 s[6:7], vcc, s[6:7]
	s_waitcnt vmcnt(0) lgkmcnt(0)
	v_fmac_f64_e32 v[90:91], v[98:99], v[100:101]
	s_andn2_b64 exec, exec, s[6:7]
	s_cbranch_execnz .LBB43_175
; %bb.176:
	s_or_b64 exec, exec, s[6:7]
	v_mov_b32_e32 v94, 0
	ds_read_b64 v[94:95], v94 offset:336
	s_waitcnt lgkmcnt(0)
	v_mul_f64 v[90:91], v[90:91], v[94:95]
	buffer_store_dword v91, off, s[0:3], 0 offset:340
	buffer_store_dword v90, off, s[0:3], 0 offset:336
.LBB43_177:
	s_or_b64 exec, exec, s[4:5]
	s_waitcnt lgkmcnt(0)
	; wave barrier
	buffer_load_dword v90, off, s[0:3], 0 offset:344
	buffer_load_dword v91, off, s[0:3], 0 offset:348
	v_cmp_ne_u32_e32 vcc, 43, v0
	s_waitcnt vmcnt(0)
	ds_write_b64 v92, v[90:91]
	s_waitcnt lgkmcnt(0)
	; wave barrier
	s_waitcnt lgkmcnt(0)
	s_and_saveexec_b64 s[4:5], vcc
	s_cbranch_execz .LBB43_181
; %bb.178:
	v_add_u32_e32 v92, 0x160, v1
	v_add_u32_e32 v1, 0, v1
	s_mov_b64 s[6:7], 0
	v_pk_mov_b32 v[90:91], 0, 0
.LBB43_179:                             ; =>This Inner Loop Header: Depth=1
	buffer_load_dword v94, v1, s[0:3], 0 offen
	buffer_load_dword v95, v1, s[0:3], 0 offen offset:4
	ds_read_b64 v[96:97], v92
	v_add_u32_e32 v93, 1, v93
	v_cmp_lt_u32_e32 vcc, 41, v93
	v_add_u32_e32 v92, 8, v92
	v_add_u32_e32 v1, 8, v1
	s_or_b64 s[6:7], vcc, s[6:7]
	s_waitcnt vmcnt(0) lgkmcnt(0)
	v_fmac_f64_e32 v[90:91], v[94:95], v[96:97]
	s_andn2_b64 exec, exec, s[6:7]
	s_cbranch_execnz .LBB43_179
; %bb.180:
	s_or_b64 exec, exec, s[6:7]
	v_mov_b32_e32 v1, 0
	ds_read_b64 v[92:93], v1 offset:344
	s_waitcnt lgkmcnt(0)
	v_mul_f64 v[90:91], v[90:91], v[92:93]
	buffer_store_dword v91, off, s[0:3], 0 offset:348
	buffer_store_dword v90, off, s[0:3], 0 offset:344
.LBB43_181:
	s_or_b64 exec, exec, s[4:5]
	s_mov_b64 s[6:7], -1
	s_waitcnt lgkmcnt(0)
	; wave barrier
.LBB43_182:
	s_and_b64 vcc, exec, s[6:7]
	s_cbranch_vccz .LBB43_184
; %bb.183:
	s_lshl_b64 s[4:5], s[8:9], 2
	s_add_u32 s4, s14, s4
	s_addc_u32 s5, s15, s5
	v_mov_b32_e32 v1, 0
	global_load_dword v1, v1, s[4:5]
	s_waitcnt vmcnt(0)
	v_cmp_ne_u32_e32 vcc, 0, v1
	s_cbranch_vccz .LBB43_185
.LBB43_184:
	s_endpgm
.LBB43_185:
	v_mov_b32_e32 v1, 0x160
	v_lshl_add_u32 v1, v0, 3, v1
	v_cmp_eq_u32_e32 vcc, 43, v0
	s_and_saveexec_b64 s[4:5], vcc
	s_cbranch_execz .LBB43_187
; %bb.186:
	buffer_load_dword v90, off, s[0:3], 0 offset:336
	buffer_load_dword v91, off, s[0:3], 0 offset:340
	v_mov_b32_e32 v92, 0
	buffer_store_dword v92, off, s[0:3], 0 offset:336
	buffer_store_dword v92, off, s[0:3], 0 offset:340
	s_waitcnt vmcnt(2)
	ds_write_b64 v1, v[90:91]
.LBB43_187:
	s_or_b64 exec, exec, s[4:5]
	s_waitcnt lgkmcnt(0)
	; wave barrier
	s_waitcnt lgkmcnt(0)
	buffer_load_dword v92, off, s[0:3], 0 offset:344
	buffer_load_dword v93, off, s[0:3], 0 offset:348
	;; [unrolled: 1-line block ×4, first 2 shown]
	v_mov_b32_e32 v90, 0
	ds_read_b64 v[96:97], v90 offset:696
	v_cmp_lt_u32_e32 vcc, 41, v0
	s_waitcnt vmcnt(2) lgkmcnt(0)
	v_fma_f64 v[92:93], v[92:93], v[96:97], 0
	s_waitcnt vmcnt(0)
	v_add_f64 v[92:93], v[94:95], -v[92:93]
	buffer_store_dword v92, off, s[0:3], 0 offset:336
	buffer_store_dword v93, off, s[0:3], 0 offset:340
	s_and_saveexec_b64 s[4:5], vcc
	s_cbranch_execz .LBB43_189
; %bb.188:
	buffer_load_dword v92, off, s[0:3], 0 offset:328
	buffer_load_dword v93, off, s[0:3], 0 offset:332
	s_waitcnt vmcnt(0)
	ds_write_b64 v1, v[92:93]
	buffer_store_dword v90, off, s[0:3], 0 offset:328
	buffer_store_dword v90, off, s[0:3], 0 offset:332
.LBB43_189:
	s_or_b64 exec, exec, s[4:5]
	s_waitcnt lgkmcnt(0)
	; wave barrier
	s_waitcnt lgkmcnt(0)
	buffer_load_dword v94, off, s[0:3], 0 offset:336
	buffer_load_dword v95, off, s[0:3], 0 offset:340
	;; [unrolled: 1-line block ×6, first 2 shown]
	ds_read_b128 v[90:93], v90 offset:688
	v_cmp_lt_u32_e32 vcc, 40, v0
	s_waitcnt vmcnt(4) lgkmcnt(0)
	v_fma_f64 v[90:91], v[94:95], v[90:91], 0
	s_waitcnt vmcnt(2)
	v_fmac_f64_e32 v[90:91], v[96:97], v[92:93]
	s_waitcnt vmcnt(0)
	v_add_f64 v[90:91], v[98:99], -v[90:91]
	buffer_store_dword v90, off, s[0:3], 0 offset:328
	buffer_store_dword v91, off, s[0:3], 0 offset:332
	s_and_saveexec_b64 s[4:5], vcc
	s_cbranch_execz .LBB43_191
; %bb.190:
	buffer_load_dword v90, off, s[0:3], 0 offset:320
	buffer_load_dword v91, off, s[0:3], 0 offset:324
	v_mov_b32_e32 v92, 0
	buffer_store_dword v92, off, s[0:3], 0 offset:320
	buffer_store_dword v92, off, s[0:3], 0 offset:324
	s_waitcnt vmcnt(2)
	ds_write_b64 v1, v[90:91]
.LBB43_191:
	s_or_b64 exec, exec, s[4:5]
	s_waitcnt lgkmcnt(0)
	; wave barrier
	s_waitcnt lgkmcnt(0)
	buffer_load_dword v96, off, s[0:3], 0 offset:328
	buffer_load_dword v97, off, s[0:3], 0 offset:332
	;; [unrolled: 1-line block ×8, first 2 shown]
	v_mov_b32_e32 v90, 0
	ds_read2_b64 v[92:95], v90 offset0:85 offset1:86
	ds_read_b64 v[104:105], v90 offset:696
	v_cmp_lt_u32_e32 vcc, 39, v0
	s_waitcnt vmcnt(6) lgkmcnt(1)
	v_fma_f64 v[92:93], v[96:97], v[92:93], 0
	s_waitcnt vmcnt(4)
	v_fmac_f64_e32 v[92:93], v[98:99], v[94:95]
	s_waitcnt vmcnt(2) lgkmcnt(0)
	v_fmac_f64_e32 v[92:93], v[100:101], v[104:105]
	s_waitcnt vmcnt(0)
	v_add_f64 v[92:93], v[102:103], -v[92:93]
	buffer_store_dword v92, off, s[0:3], 0 offset:320
	buffer_store_dword v93, off, s[0:3], 0 offset:324
	s_and_saveexec_b64 s[4:5], vcc
	s_cbranch_execz .LBB43_193
; %bb.192:
	buffer_load_dword v92, off, s[0:3], 0 offset:312
	buffer_load_dword v93, off, s[0:3], 0 offset:316
	s_waitcnt vmcnt(0)
	ds_write_b64 v1, v[92:93]
	buffer_store_dword v90, off, s[0:3], 0 offset:312
	buffer_store_dword v90, off, s[0:3], 0 offset:316
.LBB43_193:
	s_or_b64 exec, exec, s[4:5]
	s_waitcnt lgkmcnt(0)
	; wave barrier
	s_waitcnt lgkmcnt(0)
	buffer_load_dword v100, off, s[0:3], 0 offset:320
	buffer_load_dword v101, off, s[0:3], 0 offset:324
	;; [unrolled: 1-line block ×10, first 2 shown]
	ds_read_b128 v[92:95], v90 offset:672
	ds_read_b128 v[96:99], v90 offset:688
	v_cmp_lt_u32_e32 vcc, 38, v0
	s_waitcnt vmcnt(8) lgkmcnt(1)
	v_fma_f64 v[90:91], v[100:101], v[92:93], 0
	s_waitcnt vmcnt(6)
	v_fmac_f64_e32 v[90:91], v[102:103], v[94:95]
	s_waitcnt vmcnt(4) lgkmcnt(0)
	v_fmac_f64_e32 v[90:91], v[104:105], v[96:97]
	s_waitcnt vmcnt(2)
	v_fmac_f64_e32 v[90:91], v[106:107], v[98:99]
	s_waitcnt vmcnt(0)
	v_add_f64 v[90:91], v[108:109], -v[90:91]
	buffer_store_dword v90, off, s[0:3], 0 offset:312
	buffer_store_dword v91, off, s[0:3], 0 offset:316
	s_and_saveexec_b64 s[4:5], vcc
	s_cbranch_execz .LBB43_195
; %bb.194:
	buffer_load_dword v90, off, s[0:3], 0 offset:304
	buffer_load_dword v91, off, s[0:3], 0 offset:308
	v_mov_b32_e32 v92, 0
	buffer_store_dword v92, off, s[0:3], 0 offset:304
	buffer_store_dword v92, off, s[0:3], 0 offset:308
	s_waitcnt vmcnt(2)
	ds_write_b64 v1, v[90:91]
.LBB43_195:
	s_or_b64 exec, exec, s[4:5]
	s_waitcnt lgkmcnt(0)
	; wave barrier
	s_waitcnt lgkmcnt(0)
	buffer_load_dword v100, off, s[0:3], 0 offset:312
	buffer_load_dword v101, off, s[0:3], 0 offset:316
	;; [unrolled: 1-line block ×12, first 2 shown]
	v_mov_b32_e32 v90, 0
	ds_read2_b64 v[92:95], v90 offset0:83 offset1:84
	ds_read2_b64 v[96:99], v90 offset0:85 offset1:86
	ds_read_b64 v[112:113], v90 offset:696
	v_cmp_lt_u32_e32 vcc, 37, v0
	s_waitcnt vmcnt(10) lgkmcnt(2)
	v_fma_f64 v[92:93], v[100:101], v[92:93], 0
	s_waitcnt vmcnt(8)
	v_fmac_f64_e32 v[92:93], v[102:103], v[94:95]
	s_waitcnt vmcnt(6) lgkmcnt(1)
	v_fmac_f64_e32 v[92:93], v[104:105], v[96:97]
	s_waitcnt vmcnt(4)
	v_fmac_f64_e32 v[92:93], v[106:107], v[98:99]
	s_waitcnt vmcnt(2) lgkmcnt(0)
	v_fmac_f64_e32 v[92:93], v[108:109], v[112:113]
	s_waitcnt vmcnt(0)
	v_add_f64 v[92:93], v[110:111], -v[92:93]
	buffer_store_dword v92, off, s[0:3], 0 offset:304
	buffer_store_dword v93, off, s[0:3], 0 offset:308
	s_and_saveexec_b64 s[4:5], vcc
	s_cbranch_execz .LBB43_197
; %bb.196:
	buffer_load_dword v92, off, s[0:3], 0 offset:296
	buffer_load_dword v93, off, s[0:3], 0 offset:300
	s_waitcnt vmcnt(0)
	ds_write_b64 v1, v[92:93]
	buffer_store_dword v90, off, s[0:3], 0 offset:296
	buffer_store_dword v90, off, s[0:3], 0 offset:300
.LBB43_197:
	s_or_b64 exec, exec, s[4:5]
	s_waitcnt lgkmcnt(0)
	; wave barrier
	s_waitcnt lgkmcnt(0)
	buffer_load_dword v104, off, s[0:3], 0 offset:304
	buffer_load_dword v105, off, s[0:3], 0 offset:308
	;; [unrolled: 1-line block ×14, first 2 shown]
	ds_read_b128 v[92:95], v90 offset:656
	ds_read_b128 v[96:99], v90 offset:672
	;; [unrolled: 1-line block ×3, first 2 shown]
	v_cmp_lt_u32_e32 vcc, 36, v0
	s_waitcnt vmcnt(12) lgkmcnt(2)
	v_fma_f64 v[90:91], v[104:105], v[92:93], 0
	s_waitcnt vmcnt(10)
	v_fmac_f64_e32 v[90:91], v[106:107], v[94:95]
	s_waitcnt vmcnt(8) lgkmcnt(1)
	v_fmac_f64_e32 v[90:91], v[108:109], v[96:97]
	s_waitcnt vmcnt(6)
	v_fmac_f64_e32 v[90:91], v[110:111], v[98:99]
	s_waitcnt vmcnt(4) lgkmcnt(0)
	v_fmac_f64_e32 v[90:91], v[112:113], v[100:101]
	s_waitcnt vmcnt(2)
	v_fmac_f64_e32 v[90:91], v[114:115], v[102:103]
	s_waitcnt vmcnt(0)
	v_add_f64 v[90:91], v[116:117], -v[90:91]
	buffer_store_dword v90, off, s[0:3], 0 offset:296
	buffer_store_dword v91, off, s[0:3], 0 offset:300
	s_and_saveexec_b64 s[4:5], vcc
	s_cbranch_execz .LBB43_199
; %bb.198:
	buffer_load_dword v90, off, s[0:3], 0 offset:288
	buffer_load_dword v91, off, s[0:3], 0 offset:292
	v_mov_b32_e32 v92, 0
	buffer_store_dword v92, off, s[0:3], 0 offset:288
	buffer_store_dword v92, off, s[0:3], 0 offset:292
	s_waitcnt vmcnt(2)
	ds_write_b64 v1, v[90:91]
.LBB43_199:
	s_or_b64 exec, exec, s[4:5]
	s_waitcnt lgkmcnt(0)
	; wave barrier
	s_waitcnt lgkmcnt(0)
	buffer_load_dword v104, off, s[0:3], 0 offset:296
	buffer_load_dword v105, off, s[0:3], 0 offset:300
	;; [unrolled: 1-line block ×16, first 2 shown]
	v_mov_b32_e32 v90, 0
	ds_read2_b64 v[92:95], v90 offset0:81 offset1:82
	ds_read2_b64 v[96:99], v90 offset0:83 offset1:84
	;; [unrolled: 1-line block ×3, first 2 shown]
	ds_read_b64 v[120:121], v90 offset:696
	v_cmp_lt_u32_e32 vcc, 35, v0
	s_waitcnt vmcnt(14) lgkmcnt(3)
	v_fma_f64 v[92:93], v[104:105], v[92:93], 0
	s_waitcnt vmcnt(12)
	v_fmac_f64_e32 v[92:93], v[106:107], v[94:95]
	s_waitcnt vmcnt(10) lgkmcnt(2)
	v_fmac_f64_e32 v[92:93], v[108:109], v[96:97]
	s_waitcnt vmcnt(8)
	v_fmac_f64_e32 v[92:93], v[110:111], v[98:99]
	s_waitcnt vmcnt(6) lgkmcnt(1)
	v_fmac_f64_e32 v[92:93], v[112:113], v[100:101]
	;; [unrolled: 4-line block ×3, first 2 shown]
	s_waitcnt vmcnt(0)
	v_add_f64 v[92:93], v[118:119], -v[92:93]
	buffer_store_dword v92, off, s[0:3], 0 offset:288
	buffer_store_dword v93, off, s[0:3], 0 offset:292
	s_and_saveexec_b64 s[4:5], vcc
	s_cbranch_execz .LBB43_201
; %bb.200:
	buffer_load_dword v92, off, s[0:3], 0 offset:280
	buffer_load_dword v93, off, s[0:3], 0 offset:284
	s_waitcnt vmcnt(0)
	ds_write_b64 v1, v[92:93]
	buffer_store_dword v90, off, s[0:3], 0 offset:280
	buffer_store_dword v90, off, s[0:3], 0 offset:284
.LBB43_201:
	s_or_b64 exec, exec, s[4:5]
	s_waitcnt lgkmcnt(0)
	; wave barrier
	s_waitcnt lgkmcnt(0)
	buffer_load_dword v108, off, s[0:3], 0 offset:288
	buffer_load_dword v109, off, s[0:3], 0 offset:292
	;; [unrolled: 1-line block ×18, first 2 shown]
	ds_read_b128 v[92:95], v90 offset:640
	ds_read_b128 v[96:99], v90 offset:656
	;; [unrolled: 1-line block ×4, first 2 shown]
	v_cmp_lt_u32_e32 vcc, 34, v0
	s_waitcnt vmcnt(16) lgkmcnt(3)
	v_fma_f64 v[90:91], v[108:109], v[92:93], 0
	s_waitcnt vmcnt(14)
	v_fmac_f64_e32 v[90:91], v[110:111], v[94:95]
	s_waitcnt vmcnt(12) lgkmcnt(2)
	v_fmac_f64_e32 v[90:91], v[112:113], v[96:97]
	s_waitcnt vmcnt(10)
	v_fmac_f64_e32 v[90:91], v[114:115], v[98:99]
	s_waitcnt vmcnt(8) lgkmcnt(1)
	v_fmac_f64_e32 v[90:91], v[116:117], v[100:101]
	;; [unrolled: 4-line block ×3, first 2 shown]
	s_waitcnt vmcnt(2)
	v_fmac_f64_e32 v[90:91], v[122:123], v[106:107]
	s_waitcnt vmcnt(0)
	v_add_f64 v[90:91], v[124:125], -v[90:91]
	buffer_store_dword v90, off, s[0:3], 0 offset:280
	buffer_store_dword v91, off, s[0:3], 0 offset:284
	s_and_saveexec_b64 s[4:5], vcc
	s_cbranch_execz .LBB43_203
; %bb.202:
	buffer_load_dword v90, off, s[0:3], 0 offset:272
	buffer_load_dword v91, off, s[0:3], 0 offset:276
	v_mov_b32_e32 v92, 0
	buffer_store_dword v92, off, s[0:3], 0 offset:272
	buffer_store_dword v92, off, s[0:3], 0 offset:276
	s_waitcnt vmcnt(2)
	ds_write_b64 v1, v[90:91]
.LBB43_203:
	s_or_b64 exec, exec, s[4:5]
	s_waitcnt lgkmcnt(0)
	; wave barrier
	s_waitcnt lgkmcnt(0)
	buffer_load_dword v96, off, s[0:3], 0 offset:272
	buffer_load_dword v97, off, s[0:3], 0 offset:276
	;; [unrolled: 1-line block ×16, first 2 shown]
	v_mov_b32_e32 v90, 0
	ds_read2_b64 v[92:95], v90 offset0:79 offset1:80
	v_cmp_lt_u32_e32 vcc, 33, v0
	s_waitcnt vmcnt(12) lgkmcnt(0)
	v_fma_f64 v[98:99], v[98:99], v[92:93], 0
	s_waitcnt vmcnt(10)
	v_fmac_f64_e32 v[98:99], v[100:101], v[94:95]
	ds_read2_b64 v[92:95], v90 offset0:81 offset1:82
	s_waitcnt vmcnt(8) lgkmcnt(0)
	v_fmac_f64_e32 v[98:99], v[102:103], v[92:93]
	s_waitcnt vmcnt(6)
	v_fmac_f64_e32 v[98:99], v[104:105], v[94:95]
	ds_read2_b64 v[92:95], v90 offset0:83 offset1:84
	s_waitcnt vmcnt(4) lgkmcnt(0)
	v_fmac_f64_e32 v[98:99], v[106:107], v[92:93]
	;; [unrolled: 5-line block ×3, first 2 shown]
	buffer_load_dword v93, off, s[0:3], 0 offset:340
	buffer_load_dword v92, off, s[0:3], 0 offset:336
	s_waitcnt vmcnt(0)
	v_fmac_f64_e32 v[98:99], v[92:93], v[94:95]
	buffer_load_dword v93, off, s[0:3], 0 offset:348
	buffer_load_dword v92, off, s[0:3], 0 offset:344
	ds_read_b64 v[94:95], v90 offset:696
	s_waitcnt vmcnt(0) lgkmcnt(0)
	v_fmac_f64_e32 v[98:99], v[92:93], v[94:95]
	v_add_f64 v[92:93], v[96:97], -v[98:99]
	buffer_store_dword v92, off, s[0:3], 0 offset:272
	buffer_store_dword v93, off, s[0:3], 0 offset:276
	s_and_saveexec_b64 s[4:5], vcc
	s_cbranch_execz .LBB43_205
; %bb.204:
	buffer_load_dword v92, off, s[0:3], 0 offset:264
	buffer_load_dword v93, off, s[0:3], 0 offset:268
	s_waitcnt vmcnt(0)
	ds_write_b64 v1, v[92:93]
	buffer_store_dword v90, off, s[0:3], 0 offset:264
	buffer_store_dword v90, off, s[0:3], 0 offset:268
.LBB43_205:
	s_or_b64 exec, exec, s[4:5]
	s_waitcnt lgkmcnt(0)
	; wave barrier
	s_waitcnt lgkmcnt(0)
	buffer_load_dword v108, off, s[0:3], 0 offset:264
	buffer_load_dword v109, off, s[0:3], 0 offset:268
	buffer_load_dword v110, off, s[0:3], 0 offset:272
	buffer_load_dword v111, off, s[0:3], 0 offset:276
	buffer_load_dword v112, off, s[0:3], 0 offset:280
	buffer_load_dword v113, off, s[0:3], 0 offset:284
	buffer_load_dword v114, off, s[0:3], 0 offset:288
	buffer_load_dword v115, off, s[0:3], 0 offset:292
	buffer_load_dword v116, off, s[0:3], 0 offset:296
	buffer_load_dword v117, off, s[0:3], 0 offset:300
	buffer_load_dword v118, off, s[0:3], 0 offset:304
	buffer_load_dword v119, off, s[0:3], 0 offset:308
	buffer_load_dword v120, off, s[0:3], 0 offset:312
	buffer_load_dword v121, off, s[0:3], 0 offset:316
	buffer_load_dword v122, off, s[0:3], 0 offset:320
	buffer_load_dword v123, off, s[0:3], 0 offset:324
	ds_read_b128 v[92:95], v90 offset:624
	ds_read_b128 v[96:99], v90 offset:640
	ds_read_b128 v[100:103], v90 offset:656
	ds_read_b128 v[104:107], v90 offset:672
	v_cmp_lt_u32_e32 vcc, 32, v0
	s_waitcnt vmcnt(12) lgkmcnt(3)
	v_fma_f64 v[110:111], v[110:111], v[92:93], 0
	buffer_load_dword v93, off, s[0:3], 0 offset:332
	buffer_load_dword v92, off, s[0:3], 0 offset:328
	s_waitcnt vmcnt(12)
	v_fmac_f64_e32 v[110:111], v[112:113], v[94:95]
	buffer_load_dword v95, off, s[0:3], 0 offset:340
	buffer_load_dword v94, off, s[0:3], 0 offset:336
	s_waitcnt vmcnt(12) lgkmcnt(2)
	v_fmac_f64_e32 v[110:111], v[114:115], v[96:97]
	s_waitcnt vmcnt(10)
	v_fmac_f64_e32 v[110:111], v[116:117], v[98:99]
	s_waitcnt vmcnt(8) lgkmcnt(1)
	v_fmac_f64_e32 v[110:111], v[118:119], v[100:101]
	s_waitcnt vmcnt(6)
	v_fmac_f64_e32 v[110:111], v[120:121], v[102:103]
	;; [unrolled: 4-line block ×3, first 2 shown]
	ds_read_b128 v[90:93], v90 offset:688
	s_waitcnt vmcnt(0) lgkmcnt(0)
	v_fmac_f64_e32 v[110:111], v[94:95], v[90:91]
	buffer_load_dword v91, off, s[0:3], 0 offset:348
	buffer_load_dword v90, off, s[0:3], 0 offset:344
	s_waitcnt vmcnt(0)
	v_fmac_f64_e32 v[110:111], v[90:91], v[92:93]
	v_add_f64 v[90:91], v[108:109], -v[110:111]
	buffer_store_dword v90, off, s[0:3], 0 offset:264
	buffer_store_dword v91, off, s[0:3], 0 offset:268
	s_and_saveexec_b64 s[4:5], vcc
	s_cbranch_execz .LBB43_207
; %bb.206:
	buffer_load_dword v90, off, s[0:3], 0 offset:256
	buffer_load_dword v91, off, s[0:3], 0 offset:260
	v_mov_b32_e32 v92, 0
	buffer_store_dword v92, off, s[0:3], 0 offset:256
	buffer_store_dword v92, off, s[0:3], 0 offset:260
	s_waitcnt vmcnt(2)
	ds_write_b64 v1, v[90:91]
.LBB43_207:
	s_or_b64 exec, exec, s[4:5]
	s_waitcnt lgkmcnt(0)
	; wave barrier
	s_waitcnt lgkmcnt(0)
	buffer_load_dword v96, off, s[0:3], 0 offset:256
	buffer_load_dword v97, off, s[0:3], 0 offset:260
	;; [unrolled: 1-line block ×16, first 2 shown]
	v_mov_b32_e32 v90, 0
	ds_read2_b64 v[92:95], v90 offset0:77 offset1:78
	v_cmp_lt_u32_e32 vcc, 31, v0
	s_waitcnt vmcnt(12) lgkmcnt(0)
	v_fma_f64 v[98:99], v[98:99], v[92:93], 0
	s_waitcnt vmcnt(10)
	v_fmac_f64_e32 v[98:99], v[100:101], v[94:95]
	ds_read2_b64 v[92:95], v90 offset0:79 offset1:80
	s_waitcnt vmcnt(8) lgkmcnt(0)
	v_fmac_f64_e32 v[98:99], v[102:103], v[92:93]
	s_waitcnt vmcnt(6)
	v_fmac_f64_e32 v[98:99], v[104:105], v[94:95]
	ds_read2_b64 v[92:95], v90 offset0:81 offset1:82
	s_waitcnt vmcnt(4) lgkmcnt(0)
	v_fmac_f64_e32 v[98:99], v[106:107], v[92:93]
	;; [unrolled: 5-line block ×3, first 2 shown]
	buffer_load_dword v93, off, s[0:3], 0 offset:324
	buffer_load_dword v92, off, s[0:3], 0 offset:320
	;; [unrolled: 1-line block ×4, first 2 shown]
	s_waitcnt vmcnt(2)
	v_fmac_f64_e32 v[98:99], v[92:93], v[94:95]
	ds_read2_b64 v[92:95], v90 offset0:85 offset1:86
	s_waitcnt vmcnt(0) lgkmcnt(0)
	v_fmac_f64_e32 v[98:99], v[100:101], v[92:93]
	buffer_load_dword v93, off, s[0:3], 0 offset:340
	buffer_load_dword v92, off, s[0:3], 0 offset:336
	s_waitcnt vmcnt(0)
	v_fmac_f64_e32 v[98:99], v[92:93], v[94:95]
	buffer_load_dword v93, off, s[0:3], 0 offset:348
	buffer_load_dword v92, off, s[0:3], 0 offset:344
	ds_read_b64 v[94:95], v90 offset:696
	s_waitcnt vmcnt(0) lgkmcnt(0)
	v_fmac_f64_e32 v[98:99], v[92:93], v[94:95]
	v_add_f64 v[92:93], v[96:97], -v[98:99]
	buffer_store_dword v93, off, s[0:3], 0 offset:260
	buffer_store_dword v92, off, s[0:3], 0 offset:256
	s_and_saveexec_b64 s[4:5], vcc
	s_cbranch_execz .LBB43_209
; %bb.208:
	buffer_load_dword v92, off, s[0:3], 0 offset:248
	buffer_load_dword v93, off, s[0:3], 0 offset:252
	s_waitcnt vmcnt(0)
	ds_write_b64 v1, v[92:93]
	buffer_store_dword v90, off, s[0:3], 0 offset:248
	buffer_store_dword v90, off, s[0:3], 0 offset:252
.LBB43_209:
	s_or_b64 exec, exec, s[4:5]
	s_waitcnt lgkmcnt(0)
	; wave barrier
	s_waitcnt lgkmcnt(0)
	buffer_load_dword v108, off, s[0:3], 0 offset:248
	buffer_load_dword v109, off, s[0:3], 0 offset:252
	buffer_load_dword v110, off, s[0:3], 0 offset:256
	buffer_load_dword v111, off, s[0:3], 0 offset:260
	buffer_load_dword v112, off, s[0:3], 0 offset:264
	buffer_load_dword v113, off, s[0:3], 0 offset:268
	buffer_load_dword v114, off, s[0:3], 0 offset:272
	buffer_load_dword v115, off, s[0:3], 0 offset:276
	buffer_load_dword v116, off, s[0:3], 0 offset:280
	buffer_load_dword v117, off, s[0:3], 0 offset:284
	buffer_load_dword v118, off, s[0:3], 0 offset:288
	buffer_load_dword v119, off, s[0:3], 0 offset:292
	buffer_load_dword v120, off, s[0:3], 0 offset:296
	buffer_load_dword v121, off, s[0:3], 0 offset:300
	buffer_load_dword v122, off, s[0:3], 0 offset:304
	buffer_load_dword v123, off, s[0:3], 0 offset:308
	ds_read_b128 v[92:95], v90 offset:608
	ds_read_b128 v[96:99], v90 offset:624
	;; [unrolled: 1-line block ×4, first 2 shown]
	v_cmp_lt_u32_e32 vcc, 30, v0
	s_waitcnt vmcnt(12) lgkmcnt(3)
	v_fma_f64 v[110:111], v[110:111], v[92:93], 0
	buffer_load_dword v93, off, s[0:3], 0 offset:316
	buffer_load_dword v92, off, s[0:3], 0 offset:312
	s_waitcnt vmcnt(12)
	v_fmac_f64_e32 v[110:111], v[112:113], v[94:95]
	s_waitcnt vmcnt(10) lgkmcnt(2)
	v_fmac_f64_e32 v[110:111], v[114:115], v[96:97]
	buffer_load_dword v97, off, s[0:3], 0 offset:324
	buffer_load_dword v96, off, s[0:3], 0 offset:320
	s_waitcnt vmcnt(10)
	v_fmac_f64_e32 v[110:111], v[116:117], v[98:99]
	s_waitcnt vmcnt(8) lgkmcnt(1)
	v_fmac_f64_e32 v[110:111], v[118:119], v[100:101]
	s_waitcnt vmcnt(6)
	v_fmac_f64_e32 v[110:111], v[120:121], v[102:103]
	s_waitcnt vmcnt(4) lgkmcnt(0)
	v_fmac_f64_e32 v[110:111], v[122:123], v[104:105]
	s_waitcnt vmcnt(2)
	v_fmac_f64_e32 v[110:111], v[92:93], v[106:107]
	ds_read_b128 v[92:95], v90 offset:672
	s_waitcnt vmcnt(0) lgkmcnt(0)
	v_fmac_f64_e32 v[110:111], v[96:97], v[92:93]
	buffer_load_dword v93, off, s[0:3], 0 offset:332
	buffer_load_dword v92, off, s[0:3], 0 offset:328
	s_waitcnt vmcnt(0)
	v_fmac_f64_e32 v[110:111], v[92:93], v[94:95]
	buffer_load_dword v95, off, s[0:3], 0 offset:340
	buffer_load_dword v94, off, s[0:3], 0 offset:336
	ds_read_b128 v[90:93], v90 offset:688
	s_waitcnt vmcnt(0) lgkmcnt(0)
	v_fmac_f64_e32 v[110:111], v[94:95], v[90:91]
	buffer_load_dword v91, off, s[0:3], 0 offset:348
	buffer_load_dword v90, off, s[0:3], 0 offset:344
	s_waitcnt vmcnt(0)
	v_fmac_f64_e32 v[110:111], v[90:91], v[92:93]
	v_add_f64 v[90:91], v[108:109], -v[110:111]
	buffer_store_dword v91, off, s[0:3], 0 offset:252
	buffer_store_dword v90, off, s[0:3], 0 offset:248
	s_and_saveexec_b64 s[4:5], vcc
	s_cbranch_execz .LBB43_211
; %bb.210:
	buffer_load_dword v90, off, s[0:3], 0 offset:240
	buffer_load_dword v91, off, s[0:3], 0 offset:244
	v_mov_b32_e32 v92, 0
	buffer_store_dword v92, off, s[0:3], 0 offset:240
	buffer_store_dword v92, off, s[0:3], 0 offset:244
	s_waitcnt vmcnt(2)
	ds_write_b64 v1, v[90:91]
.LBB43_211:
	s_or_b64 exec, exec, s[4:5]
	s_waitcnt lgkmcnt(0)
	; wave barrier
	s_waitcnt lgkmcnt(0)
	buffer_load_dword v96, off, s[0:3], 0 offset:240
	buffer_load_dword v97, off, s[0:3], 0 offset:244
	buffer_load_dword v98, off, s[0:3], 0 offset:248
	buffer_load_dword v99, off, s[0:3], 0 offset:252
	buffer_load_dword v100, off, s[0:3], 0 offset:256
	buffer_load_dword v101, off, s[0:3], 0 offset:260
	buffer_load_dword v102, off, s[0:3], 0 offset:264
	buffer_load_dword v103, off, s[0:3], 0 offset:268
	buffer_load_dword v104, off, s[0:3], 0 offset:272
	buffer_load_dword v105, off, s[0:3], 0 offset:276
	buffer_load_dword v106, off, s[0:3], 0 offset:280
	buffer_load_dword v107, off, s[0:3], 0 offset:284
	buffer_load_dword v108, off, s[0:3], 0 offset:288
	buffer_load_dword v109, off, s[0:3], 0 offset:292
	buffer_load_dword v110, off, s[0:3], 0 offset:296
	buffer_load_dword v111, off, s[0:3], 0 offset:300
	v_mov_b32_e32 v90, 0
	ds_read2_b64 v[92:95], v90 offset0:75 offset1:76
	v_cmp_lt_u32_e32 vcc, 29, v0
	s_waitcnt vmcnt(12) lgkmcnt(0)
	v_fma_f64 v[98:99], v[98:99], v[92:93], 0
	s_waitcnt vmcnt(10)
	v_fmac_f64_e32 v[98:99], v[100:101], v[94:95]
	ds_read2_b64 v[92:95], v90 offset0:77 offset1:78
	s_waitcnt vmcnt(8) lgkmcnt(0)
	v_fmac_f64_e32 v[98:99], v[102:103], v[92:93]
	s_waitcnt vmcnt(6)
	v_fmac_f64_e32 v[98:99], v[104:105], v[94:95]
	ds_read2_b64 v[92:95], v90 offset0:79 offset1:80
	s_waitcnt vmcnt(4) lgkmcnt(0)
	v_fmac_f64_e32 v[98:99], v[106:107], v[92:93]
	;; [unrolled: 5-line block ×3, first 2 shown]
	buffer_load_dword v93, off, s[0:3], 0 offset:308
	buffer_load_dword v92, off, s[0:3], 0 offset:304
	;; [unrolled: 1-line block ×4, first 2 shown]
	s_waitcnt vmcnt(2)
	v_fmac_f64_e32 v[98:99], v[92:93], v[94:95]
	ds_read2_b64 v[92:95], v90 offset0:83 offset1:84
	s_waitcnt vmcnt(0) lgkmcnt(0)
	v_fmac_f64_e32 v[98:99], v[100:101], v[92:93]
	buffer_load_dword v93, off, s[0:3], 0 offset:324
	buffer_load_dword v92, off, s[0:3], 0 offset:320
	;; [unrolled: 1-line block ×4, first 2 shown]
	s_waitcnt vmcnt(2)
	v_fmac_f64_e32 v[98:99], v[92:93], v[94:95]
	ds_read2_b64 v[92:95], v90 offset0:85 offset1:86
	s_waitcnt vmcnt(0) lgkmcnt(0)
	v_fmac_f64_e32 v[98:99], v[100:101], v[92:93]
	buffer_load_dword v93, off, s[0:3], 0 offset:340
	buffer_load_dword v92, off, s[0:3], 0 offset:336
	s_waitcnt vmcnt(0)
	v_fmac_f64_e32 v[98:99], v[92:93], v[94:95]
	buffer_load_dword v93, off, s[0:3], 0 offset:348
	buffer_load_dword v92, off, s[0:3], 0 offset:344
	ds_read_b64 v[94:95], v90 offset:696
	s_waitcnt vmcnt(0) lgkmcnt(0)
	v_fmac_f64_e32 v[98:99], v[92:93], v[94:95]
	v_add_f64 v[92:93], v[96:97], -v[98:99]
	buffer_store_dword v93, off, s[0:3], 0 offset:244
	buffer_store_dword v92, off, s[0:3], 0 offset:240
	s_and_saveexec_b64 s[4:5], vcc
	s_cbranch_execz .LBB43_213
; %bb.212:
	buffer_load_dword v92, off, s[0:3], 0 offset:232
	buffer_load_dword v93, off, s[0:3], 0 offset:236
	s_waitcnt vmcnt(0)
	ds_write_b64 v1, v[92:93]
	buffer_store_dword v90, off, s[0:3], 0 offset:232
	buffer_store_dword v90, off, s[0:3], 0 offset:236
.LBB43_213:
	s_or_b64 exec, exec, s[4:5]
	s_waitcnt lgkmcnt(0)
	; wave barrier
	s_waitcnt lgkmcnt(0)
	buffer_load_dword v108, off, s[0:3], 0 offset:232
	buffer_load_dword v109, off, s[0:3], 0 offset:236
	buffer_load_dword v110, off, s[0:3], 0 offset:240
	buffer_load_dword v111, off, s[0:3], 0 offset:244
	buffer_load_dword v112, off, s[0:3], 0 offset:248
	buffer_load_dword v113, off, s[0:3], 0 offset:252
	buffer_load_dword v114, off, s[0:3], 0 offset:256
	buffer_load_dword v115, off, s[0:3], 0 offset:260
	buffer_load_dword v116, off, s[0:3], 0 offset:264
	buffer_load_dword v117, off, s[0:3], 0 offset:268
	buffer_load_dword v118, off, s[0:3], 0 offset:272
	buffer_load_dword v119, off, s[0:3], 0 offset:276
	buffer_load_dword v120, off, s[0:3], 0 offset:280
	buffer_load_dword v121, off, s[0:3], 0 offset:284
	buffer_load_dword v122, off, s[0:3], 0 offset:288
	buffer_load_dword v123, off, s[0:3], 0 offset:292
	ds_read_b128 v[92:95], v90 offset:592
	ds_read_b128 v[96:99], v90 offset:608
	;; [unrolled: 1-line block ×4, first 2 shown]
	v_cmp_lt_u32_e32 vcc, 28, v0
	s_waitcnt vmcnt(12) lgkmcnt(3)
	v_fma_f64 v[110:111], v[110:111], v[92:93], 0
	buffer_load_dword v93, off, s[0:3], 0 offset:300
	buffer_load_dword v92, off, s[0:3], 0 offset:296
	s_waitcnt vmcnt(12)
	v_fmac_f64_e32 v[110:111], v[112:113], v[94:95]
	s_waitcnt vmcnt(10) lgkmcnt(2)
	v_fmac_f64_e32 v[110:111], v[114:115], v[96:97]
	buffer_load_dword v97, off, s[0:3], 0 offset:308
	buffer_load_dword v96, off, s[0:3], 0 offset:304
	s_waitcnt vmcnt(10)
	v_fmac_f64_e32 v[110:111], v[116:117], v[98:99]
	s_waitcnt vmcnt(8) lgkmcnt(1)
	v_fmac_f64_e32 v[110:111], v[118:119], v[100:101]
	s_waitcnt vmcnt(6)
	v_fmac_f64_e32 v[110:111], v[120:121], v[102:103]
	s_waitcnt vmcnt(4) lgkmcnt(0)
	v_fmac_f64_e32 v[110:111], v[122:123], v[104:105]
	s_waitcnt vmcnt(2)
	v_fmac_f64_e32 v[110:111], v[92:93], v[106:107]
	ds_read_b128 v[92:95], v90 offset:656
	s_waitcnt vmcnt(0) lgkmcnt(0)
	v_fmac_f64_e32 v[110:111], v[96:97], v[92:93]
	buffer_load_dword v93, off, s[0:3], 0 offset:316
	buffer_load_dword v92, off, s[0:3], 0 offset:312
	;; [unrolled: 1-line block ×4, first 2 shown]
	s_waitcnt vmcnt(2)
	v_fmac_f64_e32 v[110:111], v[92:93], v[94:95]
	ds_read_b128 v[92:95], v90 offset:672
	s_waitcnt vmcnt(0) lgkmcnt(0)
	v_fmac_f64_e32 v[110:111], v[96:97], v[92:93]
	buffer_load_dword v93, off, s[0:3], 0 offset:332
	buffer_load_dword v92, off, s[0:3], 0 offset:328
	s_waitcnt vmcnt(0)
	v_fmac_f64_e32 v[110:111], v[92:93], v[94:95]
	buffer_load_dword v95, off, s[0:3], 0 offset:340
	buffer_load_dword v94, off, s[0:3], 0 offset:336
	ds_read_b128 v[90:93], v90 offset:688
	s_waitcnt vmcnt(0) lgkmcnt(0)
	v_fmac_f64_e32 v[110:111], v[94:95], v[90:91]
	buffer_load_dword v91, off, s[0:3], 0 offset:348
	buffer_load_dword v90, off, s[0:3], 0 offset:344
	s_waitcnt vmcnt(0)
	v_fmac_f64_e32 v[110:111], v[90:91], v[92:93]
	v_add_f64 v[90:91], v[108:109], -v[110:111]
	buffer_store_dword v91, off, s[0:3], 0 offset:236
	buffer_store_dword v90, off, s[0:3], 0 offset:232
	s_and_saveexec_b64 s[4:5], vcc
	s_cbranch_execz .LBB43_215
; %bb.214:
	buffer_load_dword v90, off, s[0:3], 0 offset:224
	buffer_load_dword v91, off, s[0:3], 0 offset:228
	v_mov_b32_e32 v92, 0
	buffer_store_dword v92, off, s[0:3], 0 offset:224
	buffer_store_dword v92, off, s[0:3], 0 offset:228
	s_waitcnt vmcnt(2)
	ds_write_b64 v1, v[90:91]
.LBB43_215:
	s_or_b64 exec, exec, s[4:5]
	s_waitcnt lgkmcnt(0)
	; wave barrier
	s_waitcnt lgkmcnt(0)
	buffer_load_dword v96, off, s[0:3], 0 offset:224
	buffer_load_dword v97, off, s[0:3], 0 offset:228
	;; [unrolled: 1-line block ×16, first 2 shown]
	v_mov_b32_e32 v90, 0
	ds_read2_b64 v[92:95], v90 offset0:73 offset1:74
	v_cmp_lt_u32_e32 vcc, 27, v0
	s_waitcnt vmcnt(12) lgkmcnt(0)
	v_fma_f64 v[98:99], v[98:99], v[92:93], 0
	s_waitcnt vmcnt(10)
	v_fmac_f64_e32 v[98:99], v[100:101], v[94:95]
	ds_read2_b64 v[92:95], v90 offset0:75 offset1:76
	s_waitcnt vmcnt(8) lgkmcnt(0)
	v_fmac_f64_e32 v[98:99], v[102:103], v[92:93]
	s_waitcnt vmcnt(6)
	v_fmac_f64_e32 v[98:99], v[104:105], v[94:95]
	ds_read2_b64 v[92:95], v90 offset0:77 offset1:78
	s_waitcnt vmcnt(4) lgkmcnt(0)
	v_fmac_f64_e32 v[98:99], v[106:107], v[92:93]
	;; [unrolled: 5-line block ×3, first 2 shown]
	buffer_load_dword v93, off, s[0:3], 0 offset:292
	buffer_load_dword v92, off, s[0:3], 0 offset:288
	buffer_load_dword v101, off, s[0:3], 0 offset:300
	buffer_load_dword v100, off, s[0:3], 0 offset:296
	s_waitcnt vmcnt(2)
	v_fmac_f64_e32 v[98:99], v[92:93], v[94:95]
	ds_read2_b64 v[92:95], v90 offset0:81 offset1:82
	s_waitcnt vmcnt(0) lgkmcnt(0)
	v_fmac_f64_e32 v[98:99], v[100:101], v[92:93]
	buffer_load_dword v93, off, s[0:3], 0 offset:308
	buffer_load_dword v92, off, s[0:3], 0 offset:304
	buffer_load_dword v101, off, s[0:3], 0 offset:316
	buffer_load_dword v100, off, s[0:3], 0 offset:312
	s_waitcnt vmcnt(2)
	v_fmac_f64_e32 v[98:99], v[92:93], v[94:95]
	ds_read2_b64 v[92:95], v90 offset0:83 offset1:84
	s_waitcnt vmcnt(0) lgkmcnt(0)
	v_fmac_f64_e32 v[98:99], v[100:101], v[92:93]
	;; [unrolled: 9-line block ×3, first 2 shown]
	buffer_load_dword v93, off, s[0:3], 0 offset:340
	buffer_load_dword v92, off, s[0:3], 0 offset:336
	s_waitcnt vmcnt(0)
	v_fmac_f64_e32 v[98:99], v[92:93], v[94:95]
	buffer_load_dword v93, off, s[0:3], 0 offset:348
	buffer_load_dword v92, off, s[0:3], 0 offset:344
	ds_read_b64 v[94:95], v90 offset:696
	s_waitcnt vmcnt(0) lgkmcnt(0)
	v_fmac_f64_e32 v[98:99], v[92:93], v[94:95]
	v_add_f64 v[92:93], v[96:97], -v[98:99]
	buffer_store_dword v93, off, s[0:3], 0 offset:228
	buffer_store_dword v92, off, s[0:3], 0 offset:224
	s_and_saveexec_b64 s[4:5], vcc
	s_cbranch_execz .LBB43_217
; %bb.216:
	buffer_load_dword v92, off, s[0:3], 0 offset:216
	buffer_load_dword v93, off, s[0:3], 0 offset:220
	s_waitcnt vmcnt(0)
	ds_write_b64 v1, v[92:93]
	buffer_store_dword v90, off, s[0:3], 0 offset:216
	buffer_store_dword v90, off, s[0:3], 0 offset:220
.LBB43_217:
	s_or_b64 exec, exec, s[4:5]
	s_waitcnt lgkmcnt(0)
	; wave barrier
	s_waitcnt lgkmcnt(0)
	buffer_load_dword v108, off, s[0:3], 0 offset:216
	buffer_load_dword v109, off, s[0:3], 0 offset:220
	;; [unrolled: 1-line block ×16, first 2 shown]
	ds_read_b128 v[92:95], v90 offset:576
	ds_read_b128 v[96:99], v90 offset:592
	;; [unrolled: 1-line block ×4, first 2 shown]
	v_cmp_lt_u32_e32 vcc, 26, v0
	s_waitcnt vmcnt(12) lgkmcnt(3)
	v_fma_f64 v[110:111], v[110:111], v[92:93], 0
	buffer_load_dword v93, off, s[0:3], 0 offset:284
	buffer_load_dword v92, off, s[0:3], 0 offset:280
	s_waitcnt vmcnt(12)
	v_fmac_f64_e32 v[110:111], v[112:113], v[94:95]
	s_waitcnt vmcnt(10) lgkmcnt(2)
	v_fmac_f64_e32 v[110:111], v[114:115], v[96:97]
	buffer_load_dword v97, off, s[0:3], 0 offset:292
	buffer_load_dword v96, off, s[0:3], 0 offset:288
	s_waitcnt vmcnt(10)
	v_fmac_f64_e32 v[110:111], v[116:117], v[98:99]
	s_waitcnt vmcnt(8) lgkmcnt(1)
	v_fmac_f64_e32 v[110:111], v[118:119], v[100:101]
	s_waitcnt vmcnt(6)
	v_fmac_f64_e32 v[110:111], v[120:121], v[102:103]
	s_waitcnt vmcnt(4) lgkmcnt(0)
	v_fmac_f64_e32 v[110:111], v[122:123], v[104:105]
	s_waitcnt vmcnt(2)
	v_fmac_f64_e32 v[110:111], v[92:93], v[106:107]
	ds_read_b128 v[92:95], v90 offset:640
	s_waitcnt vmcnt(0) lgkmcnt(0)
	v_fmac_f64_e32 v[110:111], v[96:97], v[92:93]
	buffer_load_dword v93, off, s[0:3], 0 offset:300
	buffer_load_dword v92, off, s[0:3], 0 offset:296
	;; [unrolled: 1-line block ×4, first 2 shown]
	s_waitcnt vmcnt(2)
	v_fmac_f64_e32 v[110:111], v[92:93], v[94:95]
	ds_read_b128 v[92:95], v90 offset:656
	s_waitcnt vmcnt(0) lgkmcnt(0)
	v_fmac_f64_e32 v[110:111], v[96:97], v[92:93]
	buffer_load_dword v93, off, s[0:3], 0 offset:316
	buffer_load_dword v92, off, s[0:3], 0 offset:312
	;; [unrolled: 1-line block ×4, first 2 shown]
	s_waitcnt vmcnt(2)
	v_fmac_f64_e32 v[110:111], v[92:93], v[94:95]
	ds_read_b128 v[92:95], v90 offset:672
	s_waitcnt vmcnt(0) lgkmcnt(0)
	v_fmac_f64_e32 v[110:111], v[96:97], v[92:93]
	buffer_load_dword v93, off, s[0:3], 0 offset:332
	buffer_load_dword v92, off, s[0:3], 0 offset:328
	s_waitcnt vmcnt(0)
	v_fmac_f64_e32 v[110:111], v[92:93], v[94:95]
	buffer_load_dword v95, off, s[0:3], 0 offset:340
	buffer_load_dword v94, off, s[0:3], 0 offset:336
	ds_read_b128 v[90:93], v90 offset:688
	s_waitcnt vmcnt(0) lgkmcnt(0)
	v_fmac_f64_e32 v[110:111], v[94:95], v[90:91]
	buffer_load_dword v91, off, s[0:3], 0 offset:348
	buffer_load_dword v90, off, s[0:3], 0 offset:344
	s_waitcnt vmcnt(0)
	v_fmac_f64_e32 v[110:111], v[90:91], v[92:93]
	v_add_f64 v[90:91], v[108:109], -v[110:111]
	buffer_store_dword v91, off, s[0:3], 0 offset:220
	buffer_store_dword v90, off, s[0:3], 0 offset:216
	s_and_saveexec_b64 s[4:5], vcc
	s_cbranch_execz .LBB43_219
; %bb.218:
	buffer_load_dword v90, off, s[0:3], 0 offset:208
	buffer_load_dword v91, off, s[0:3], 0 offset:212
	v_mov_b32_e32 v92, 0
	buffer_store_dword v92, off, s[0:3], 0 offset:208
	buffer_store_dword v92, off, s[0:3], 0 offset:212
	s_waitcnt vmcnt(2)
	ds_write_b64 v1, v[90:91]
.LBB43_219:
	s_or_b64 exec, exec, s[4:5]
	s_waitcnt lgkmcnt(0)
	; wave barrier
	s_waitcnt lgkmcnt(0)
	buffer_load_dword v90, off, s[0:3], 0 offset:208
	buffer_load_dword v91, off, s[0:3], 0 offset:212
	;; [unrolled: 1-line block ×16, first 2 shown]
	v_mov_b32_e32 v94, 0
	ds_read2_b64 v[96:99], v94 offset0:71 offset1:72
	v_cmp_lt_u32_e32 vcc, 25, v0
	s_waitcnt vmcnt(12) lgkmcnt(0)
	v_fma_f64 v[92:93], v[92:93], v[96:97], 0
	s_waitcnt vmcnt(10)
	v_fmac_f64_e32 v[92:93], v[100:101], v[98:99]
	ds_read2_b64 v[96:99], v94 offset0:73 offset1:74
	s_waitcnt vmcnt(8) lgkmcnt(0)
	v_fmac_f64_e32 v[92:93], v[102:103], v[96:97]
	s_waitcnt vmcnt(6)
	v_fmac_f64_e32 v[92:93], v[104:105], v[98:99]
	ds_read2_b64 v[96:99], v94 offset0:75 offset1:76
	s_waitcnt vmcnt(4) lgkmcnt(0)
	v_fmac_f64_e32 v[92:93], v[106:107], v[96:97]
	;; [unrolled: 5-line block ×3, first 2 shown]
	buffer_load_dword v97, off, s[0:3], 0 offset:276
	buffer_load_dword v96, off, s[0:3], 0 offset:272
	buffer_load_dword v101, off, s[0:3], 0 offset:284
	buffer_load_dword v100, off, s[0:3], 0 offset:280
	s_waitcnt vmcnt(2)
	v_fmac_f64_e32 v[92:93], v[96:97], v[98:99]
	ds_read2_b64 v[96:99], v94 offset0:79 offset1:80
	s_waitcnt vmcnt(0) lgkmcnt(0)
	v_fmac_f64_e32 v[92:93], v[100:101], v[96:97]
	buffer_load_dword v97, off, s[0:3], 0 offset:292
	buffer_load_dword v96, off, s[0:3], 0 offset:288
	buffer_load_dword v101, off, s[0:3], 0 offset:300
	buffer_load_dword v100, off, s[0:3], 0 offset:296
	s_waitcnt vmcnt(2)
	v_fmac_f64_e32 v[92:93], v[96:97], v[98:99]
	ds_read2_b64 v[96:99], v94 offset0:81 offset1:82
	s_waitcnt vmcnt(0) lgkmcnt(0)
	v_fmac_f64_e32 v[92:93], v[100:101], v[96:97]
	;; [unrolled: 9-line block ×4, first 2 shown]
	buffer_load_dword v97, off, s[0:3], 0 offset:340
	buffer_load_dword v96, off, s[0:3], 0 offset:336
	s_waitcnt vmcnt(0)
	v_fmac_f64_e32 v[92:93], v[96:97], v[98:99]
	buffer_load_dword v97, off, s[0:3], 0 offset:348
	buffer_load_dword v96, off, s[0:3], 0 offset:344
	ds_read_b64 v[98:99], v94 offset:696
	s_waitcnt vmcnt(0) lgkmcnt(0)
	v_fmac_f64_e32 v[92:93], v[96:97], v[98:99]
	v_add_f64 v[90:91], v[90:91], -v[92:93]
	buffer_store_dword v91, off, s[0:3], 0 offset:212
	buffer_store_dword v90, off, s[0:3], 0 offset:208
	s_and_saveexec_b64 s[4:5], vcc
	s_cbranch_execz .LBB43_221
; %bb.220:
	buffer_load_dword v90, off, s[0:3], 0 offset:200
	buffer_load_dword v91, off, s[0:3], 0 offset:204
	s_waitcnt vmcnt(0)
	ds_write_b64 v1, v[90:91]
	buffer_store_dword v94, off, s[0:3], 0 offset:200
	buffer_store_dword v94, off, s[0:3], 0 offset:204
.LBB43_221:
	s_or_b64 exec, exec, s[4:5]
	s_waitcnt lgkmcnt(0)
	; wave barrier
	s_waitcnt lgkmcnt(0)
	buffer_load_dword v90, off, s[0:3], 0 offset:200
	buffer_load_dword v91, off, s[0:3], 0 offset:204
	;; [unrolled: 1-line block ×16, first 2 shown]
	ds_read_b128 v[96:99], v94 offset:560
	ds_read_b128 v[100:103], v94 offset:576
	;; [unrolled: 1-line block ×4, first 2 shown]
	v_cmp_lt_u32_e32 vcc, 24, v0
	s_waitcnt vmcnt(12) lgkmcnt(3)
	v_fma_f64 v[92:93], v[92:93], v[96:97], 0
	buffer_load_dword v97, off, s[0:3], 0 offset:268
	buffer_load_dword v96, off, s[0:3], 0 offset:264
	s_waitcnt vmcnt(12)
	v_fmac_f64_e32 v[92:93], v[112:113], v[98:99]
	s_waitcnt vmcnt(10) lgkmcnt(2)
	v_fmac_f64_e32 v[92:93], v[114:115], v[100:101]
	buffer_load_dword v101, off, s[0:3], 0 offset:276
	buffer_load_dword v100, off, s[0:3], 0 offset:272
	s_waitcnt vmcnt(10)
	v_fmac_f64_e32 v[92:93], v[116:117], v[102:103]
	s_waitcnt vmcnt(8) lgkmcnt(1)
	v_fmac_f64_e32 v[92:93], v[118:119], v[104:105]
	s_waitcnt vmcnt(6)
	v_fmac_f64_e32 v[92:93], v[120:121], v[106:107]
	s_waitcnt vmcnt(4) lgkmcnt(0)
	v_fmac_f64_e32 v[92:93], v[122:123], v[108:109]
	s_waitcnt vmcnt(2)
	v_fmac_f64_e32 v[92:93], v[96:97], v[110:111]
	ds_read_b128 v[96:99], v94 offset:624
	s_waitcnt vmcnt(0) lgkmcnt(0)
	v_fmac_f64_e32 v[92:93], v[100:101], v[96:97]
	buffer_load_dword v97, off, s[0:3], 0 offset:284
	buffer_load_dword v96, off, s[0:3], 0 offset:280
	buffer_load_dword v101, off, s[0:3], 0 offset:292
	buffer_load_dword v100, off, s[0:3], 0 offset:288
	s_waitcnt vmcnt(2)
	v_fmac_f64_e32 v[92:93], v[96:97], v[98:99]
	ds_read_b128 v[96:99], v94 offset:640
	s_waitcnt vmcnt(0) lgkmcnt(0)
	v_fmac_f64_e32 v[92:93], v[100:101], v[96:97]
	buffer_load_dword v97, off, s[0:3], 0 offset:300
	buffer_load_dword v96, off, s[0:3], 0 offset:296
	buffer_load_dword v101, off, s[0:3], 0 offset:308
	buffer_load_dword v100, off, s[0:3], 0 offset:304
	;; [unrolled: 9-line block ×3, first 2 shown]
	s_waitcnt vmcnt(2)
	v_fmac_f64_e32 v[92:93], v[96:97], v[98:99]
	ds_read_b128 v[96:99], v94 offset:672
	s_waitcnt vmcnt(0) lgkmcnt(0)
	v_fmac_f64_e32 v[92:93], v[100:101], v[96:97]
	buffer_load_dword v97, off, s[0:3], 0 offset:332
	buffer_load_dword v96, off, s[0:3], 0 offset:328
	s_waitcnt vmcnt(0)
	v_fmac_f64_e32 v[92:93], v[96:97], v[98:99]
	buffer_load_dword v99, off, s[0:3], 0 offset:340
	buffer_load_dword v98, off, s[0:3], 0 offset:336
	ds_read_b128 v[94:97], v94 offset:688
	s_waitcnt vmcnt(0) lgkmcnt(0)
	v_fmac_f64_e32 v[92:93], v[98:99], v[94:95]
	buffer_load_dword v95, off, s[0:3], 0 offset:348
	buffer_load_dword v94, off, s[0:3], 0 offset:344
	s_waitcnt vmcnt(0)
	v_fmac_f64_e32 v[92:93], v[94:95], v[96:97]
	v_add_f64 v[90:91], v[90:91], -v[92:93]
	buffer_store_dword v91, off, s[0:3], 0 offset:204
	buffer_store_dword v90, off, s[0:3], 0 offset:200
	s_and_saveexec_b64 s[4:5], vcc
	s_cbranch_execz .LBB43_223
; %bb.222:
	buffer_load_dword v90, off, s[0:3], 0 offset:192
	buffer_load_dword v91, off, s[0:3], 0 offset:196
	v_mov_b32_e32 v92, 0
	buffer_store_dword v92, off, s[0:3], 0 offset:192
	buffer_store_dword v92, off, s[0:3], 0 offset:196
	s_waitcnt vmcnt(2)
	ds_write_b64 v1, v[90:91]
.LBB43_223:
	s_or_b64 exec, exec, s[4:5]
	s_waitcnt lgkmcnt(0)
	; wave barrier
	s_waitcnt lgkmcnt(0)
	buffer_load_dword v90, off, s[0:3], 0 offset:192
	buffer_load_dword v91, off, s[0:3], 0 offset:196
	;; [unrolled: 1-line block ×16, first 2 shown]
	v_mov_b32_e32 v94, 0
	ds_read2_b64 v[96:99], v94 offset0:69 offset1:70
	v_cmp_lt_u32_e32 vcc, 23, v0
	s_waitcnt vmcnt(12) lgkmcnt(0)
	v_fma_f64 v[92:93], v[92:93], v[96:97], 0
	s_waitcnt vmcnt(10)
	v_fmac_f64_e32 v[92:93], v[100:101], v[98:99]
	ds_read2_b64 v[96:99], v94 offset0:71 offset1:72
	s_waitcnt vmcnt(8) lgkmcnt(0)
	v_fmac_f64_e32 v[92:93], v[102:103], v[96:97]
	s_waitcnt vmcnt(6)
	v_fmac_f64_e32 v[92:93], v[104:105], v[98:99]
	ds_read2_b64 v[96:99], v94 offset0:73 offset1:74
	s_waitcnt vmcnt(4) lgkmcnt(0)
	v_fmac_f64_e32 v[92:93], v[106:107], v[96:97]
	;; [unrolled: 5-line block ×3, first 2 shown]
	buffer_load_dword v97, off, s[0:3], 0 offset:260
	buffer_load_dword v96, off, s[0:3], 0 offset:256
	buffer_load_dword v101, off, s[0:3], 0 offset:268
	buffer_load_dword v100, off, s[0:3], 0 offset:264
	s_waitcnt vmcnt(2)
	v_fmac_f64_e32 v[92:93], v[96:97], v[98:99]
	ds_read2_b64 v[96:99], v94 offset0:77 offset1:78
	s_waitcnt vmcnt(0) lgkmcnt(0)
	v_fmac_f64_e32 v[92:93], v[100:101], v[96:97]
	buffer_load_dword v97, off, s[0:3], 0 offset:276
	buffer_load_dword v96, off, s[0:3], 0 offset:272
	buffer_load_dword v101, off, s[0:3], 0 offset:284
	buffer_load_dword v100, off, s[0:3], 0 offset:280
	s_waitcnt vmcnt(2)
	v_fmac_f64_e32 v[92:93], v[96:97], v[98:99]
	ds_read2_b64 v[96:99], v94 offset0:79 offset1:80
	s_waitcnt vmcnt(0) lgkmcnt(0)
	v_fmac_f64_e32 v[92:93], v[100:101], v[96:97]
	;; [unrolled: 9-line block ×5, first 2 shown]
	buffer_load_dword v97, off, s[0:3], 0 offset:340
	buffer_load_dword v96, off, s[0:3], 0 offset:336
	s_waitcnt vmcnt(0)
	v_fmac_f64_e32 v[92:93], v[96:97], v[98:99]
	buffer_load_dword v97, off, s[0:3], 0 offset:348
	buffer_load_dword v96, off, s[0:3], 0 offset:344
	ds_read_b64 v[98:99], v94 offset:696
	s_waitcnt vmcnt(0) lgkmcnt(0)
	v_fmac_f64_e32 v[92:93], v[96:97], v[98:99]
	v_add_f64 v[90:91], v[90:91], -v[92:93]
	buffer_store_dword v91, off, s[0:3], 0 offset:196
	buffer_store_dword v90, off, s[0:3], 0 offset:192
	s_and_saveexec_b64 s[4:5], vcc
	s_cbranch_execz .LBB43_225
; %bb.224:
	buffer_load_dword v90, off, s[0:3], 0 offset:184
	buffer_load_dword v91, off, s[0:3], 0 offset:188
	s_waitcnt vmcnt(0)
	ds_write_b64 v1, v[90:91]
	buffer_store_dword v94, off, s[0:3], 0 offset:184
	buffer_store_dword v94, off, s[0:3], 0 offset:188
.LBB43_225:
	s_or_b64 exec, exec, s[4:5]
	s_waitcnt lgkmcnt(0)
	; wave barrier
	s_waitcnt lgkmcnt(0)
	buffer_load_dword v90, off, s[0:3], 0 offset:184
	buffer_load_dword v91, off, s[0:3], 0 offset:188
	;; [unrolled: 1-line block ×16, first 2 shown]
	ds_read_b128 v[96:99], v94 offset:544
	ds_read_b128 v[100:103], v94 offset:560
	;; [unrolled: 1-line block ×4, first 2 shown]
	v_cmp_lt_u32_e32 vcc, 22, v0
	s_waitcnt vmcnt(12) lgkmcnt(3)
	v_fma_f64 v[92:93], v[92:93], v[96:97], 0
	buffer_load_dword v97, off, s[0:3], 0 offset:252
	buffer_load_dword v96, off, s[0:3], 0 offset:248
	s_waitcnt vmcnt(12)
	v_fmac_f64_e32 v[92:93], v[112:113], v[98:99]
	s_waitcnt vmcnt(10) lgkmcnt(2)
	v_fmac_f64_e32 v[92:93], v[114:115], v[100:101]
	buffer_load_dword v101, off, s[0:3], 0 offset:260
	buffer_load_dword v100, off, s[0:3], 0 offset:256
	s_waitcnt vmcnt(10)
	v_fmac_f64_e32 v[92:93], v[116:117], v[102:103]
	s_waitcnt vmcnt(8) lgkmcnt(1)
	v_fmac_f64_e32 v[92:93], v[118:119], v[104:105]
	s_waitcnt vmcnt(6)
	v_fmac_f64_e32 v[92:93], v[120:121], v[106:107]
	s_waitcnt vmcnt(4) lgkmcnt(0)
	v_fmac_f64_e32 v[92:93], v[122:123], v[108:109]
	s_waitcnt vmcnt(2)
	v_fmac_f64_e32 v[92:93], v[96:97], v[110:111]
	ds_read_b128 v[96:99], v94 offset:608
	s_waitcnt vmcnt(0) lgkmcnt(0)
	v_fmac_f64_e32 v[92:93], v[100:101], v[96:97]
	buffer_load_dword v97, off, s[0:3], 0 offset:268
	buffer_load_dword v96, off, s[0:3], 0 offset:264
	buffer_load_dword v101, off, s[0:3], 0 offset:276
	buffer_load_dword v100, off, s[0:3], 0 offset:272
	s_waitcnt vmcnt(2)
	v_fmac_f64_e32 v[92:93], v[96:97], v[98:99]
	ds_read_b128 v[96:99], v94 offset:624
	s_waitcnt vmcnt(0) lgkmcnt(0)
	v_fmac_f64_e32 v[92:93], v[100:101], v[96:97]
	buffer_load_dword v97, off, s[0:3], 0 offset:284
	buffer_load_dword v96, off, s[0:3], 0 offset:280
	buffer_load_dword v101, off, s[0:3], 0 offset:292
	buffer_load_dword v100, off, s[0:3], 0 offset:288
	;; [unrolled: 9-line block ×4, first 2 shown]
	s_waitcnt vmcnt(2)
	v_fmac_f64_e32 v[92:93], v[96:97], v[98:99]
	ds_read_b128 v[96:99], v94 offset:672
	s_waitcnt vmcnt(0) lgkmcnt(0)
	v_fmac_f64_e32 v[92:93], v[100:101], v[96:97]
	buffer_load_dword v97, off, s[0:3], 0 offset:332
	buffer_load_dword v96, off, s[0:3], 0 offset:328
	s_waitcnt vmcnt(0)
	v_fmac_f64_e32 v[92:93], v[96:97], v[98:99]
	buffer_load_dword v99, off, s[0:3], 0 offset:340
	buffer_load_dword v98, off, s[0:3], 0 offset:336
	ds_read_b128 v[94:97], v94 offset:688
	s_waitcnt vmcnt(0) lgkmcnt(0)
	v_fmac_f64_e32 v[92:93], v[98:99], v[94:95]
	buffer_load_dword v95, off, s[0:3], 0 offset:348
	buffer_load_dword v94, off, s[0:3], 0 offset:344
	s_waitcnt vmcnt(0)
	v_fmac_f64_e32 v[92:93], v[94:95], v[96:97]
	v_add_f64 v[90:91], v[90:91], -v[92:93]
	buffer_store_dword v91, off, s[0:3], 0 offset:188
	buffer_store_dword v90, off, s[0:3], 0 offset:184
	s_and_saveexec_b64 s[4:5], vcc
	s_cbranch_execz .LBB43_227
; %bb.226:
	buffer_load_dword v90, off, s[0:3], 0 offset:176
	buffer_load_dword v91, off, s[0:3], 0 offset:180
	v_mov_b32_e32 v92, 0
	buffer_store_dword v92, off, s[0:3], 0 offset:176
	buffer_store_dword v92, off, s[0:3], 0 offset:180
	s_waitcnt vmcnt(2)
	ds_write_b64 v1, v[90:91]
.LBB43_227:
	s_or_b64 exec, exec, s[4:5]
	s_waitcnt lgkmcnt(0)
	; wave barrier
	s_waitcnt lgkmcnt(0)
	buffer_load_dword v90, off, s[0:3], 0 offset:176
	buffer_load_dword v91, off, s[0:3], 0 offset:180
	;; [unrolled: 1-line block ×16, first 2 shown]
	v_mov_b32_e32 v94, 0
	ds_read2_b64 v[96:99], v94 offset0:67 offset1:68
	v_cmp_lt_u32_e32 vcc, 21, v0
	s_waitcnt vmcnt(12) lgkmcnt(0)
	v_fma_f64 v[92:93], v[92:93], v[96:97], 0
	s_waitcnt vmcnt(10)
	v_fmac_f64_e32 v[92:93], v[100:101], v[98:99]
	ds_read2_b64 v[96:99], v94 offset0:69 offset1:70
	s_waitcnt vmcnt(8) lgkmcnt(0)
	v_fmac_f64_e32 v[92:93], v[102:103], v[96:97]
	s_waitcnt vmcnt(6)
	v_fmac_f64_e32 v[92:93], v[104:105], v[98:99]
	ds_read2_b64 v[96:99], v94 offset0:71 offset1:72
	s_waitcnt vmcnt(4) lgkmcnt(0)
	v_fmac_f64_e32 v[92:93], v[106:107], v[96:97]
	;; [unrolled: 5-line block ×3, first 2 shown]
	buffer_load_dword v97, off, s[0:3], 0 offset:244
	buffer_load_dword v96, off, s[0:3], 0 offset:240
	buffer_load_dword v101, off, s[0:3], 0 offset:252
	buffer_load_dword v100, off, s[0:3], 0 offset:248
	s_waitcnt vmcnt(2)
	v_fmac_f64_e32 v[92:93], v[96:97], v[98:99]
	ds_read2_b64 v[96:99], v94 offset0:75 offset1:76
	s_waitcnt vmcnt(0) lgkmcnt(0)
	v_fmac_f64_e32 v[92:93], v[100:101], v[96:97]
	buffer_load_dword v97, off, s[0:3], 0 offset:260
	buffer_load_dword v96, off, s[0:3], 0 offset:256
	buffer_load_dword v101, off, s[0:3], 0 offset:268
	buffer_load_dword v100, off, s[0:3], 0 offset:264
	s_waitcnt vmcnt(2)
	v_fmac_f64_e32 v[92:93], v[96:97], v[98:99]
	ds_read2_b64 v[96:99], v94 offset0:77 offset1:78
	s_waitcnt vmcnt(0) lgkmcnt(0)
	v_fmac_f64_e32 v[92:93], v[100:101], v[96:97]
	;; [unrolled: 9-line block ×6, first 2 shown]
	buffer_load_dword v97, off, s[0:3], 0 offset:340
	buffer_load_dword v96, off, s[0:3], 0 offset:336
	s_waitcnt vmcnt(0)
	v_fmac_f64_e32 v[92:93], v[96:97], v[98:99]
	buffer_load_dword v97, off, s[0:3], 0 offset:348
	buffer_load_dword v96, off, s[0:3], 0 offset:344
	ds_read_b64 v[98:99], v94 offset:696
	s_waitcnt vmcnt(0) lgkmcnt(0)
	v_fmac_f64_e32 v[92:93], v[96:97], v[98:99]
	v_add_f64 v[90:91], v[90:91], -v[92:93]
	buffer_store_dword v91, off, s[0:3], 0 offset:180
	buffer_store_dword v90, off, s[0:3], 0 offset:176
	s_and_saveexec_b64 s[4:5], vcc
	s_cbranch_execz .LBB43_229
; %bb.228:
	buffer_load_dword v90, off, s[0:3], 0 offset:168
	buffer_load_dword v91, off, s[0:3], 0 offset:172
	s_waitcnt vmcnt(0)
	ds_write_b64 v1, v[90:91]
	buffer_store_dword v94, off, s[0:3], 0 offset:168
	buffer_store_dword v94, off, s[0:3], 0 offset:172
.LBB43_229:
	s_or_b64 exec, exec, s[4:5]
	s_waitcnt lgkmcnt(0)
	; wave barrier
	s_waitcnt lgkmcnt(0)
	buffer_load_dword v90, off, s[0:3], 0 offset:168
	buffer_load_dword v91, off, s[0:3], 0 offset:172
	;; [unrolled: 1-line block ×16, first 2 shown]
	ds_read_b128 v[96:99], v94 offset:528
	ds_read_b128 v[100:103], v94 offset:544
	;; [unrolled: 1-line block ×4, first 2 shown]
	v_cmp_lt_u32_e32 vcc, 20, v0
	s_waitcnt vmcnt(12) lgkmcnt(3)
	v_fma_f64 v[92:93], v[92:93], v[96:97], 0
	buffer_load_dword v97, off, s[0:3], 0 offset:236
	buffer_load_dword v96, off, s[0:3], 0 offset:232
	s_waitcnt vmcnt(12)
	v_fmac_f64_e32 v[92:93], v[112:113], v[98:99]
	s_waitcnt vmcnt(10) lgkmcnt(2)
	v_fmac_f64_e32 v[92:93], v[114:115], v[100:101]
	buffer_load_dword v101, off, s[0:3], 0 offset:244
	buffer_load_dword v100, off, s[0:3], 0 offset:240
	s_waitcnt vmcnt(10)
	v_fmac_f64_e32 v[92:93], v[116:117], v[102:103]
	s_waitcnt vmcnt(8) lgkmcnt(1)
	v_fmac_f64_e32 v[92:93], v[118:119], v[104:105]
	s_waitcnt vmcnt(6)
	v_fmac_f64_e32 v[92:93], v[120:121], v[106:107]
	s_waitcnt vmcnt(4) lgkmcnt(0)
	v_fmac_f64_e32 v[92:93], v[122:123], v[108:109]
	s_waitcnt vmcnt(2)
	v_fmac_f64_e32 v[92:93], v[96:97], v[110:111]
	ds_read_b128 v[96:99], v94 offset:592
	s_waitcnt vmcnt(0) lgkmcnt(0)
	v_fmac_f64_e32 v[92:93], v[100:101], v[96:97]
	buffer_load_dword v97, off, s[0:3], 0 offset:252
	buffer_load_dword v96, off, s[0:3], 0 offset:248
	buffer_load_dword v101, off, s[0:3], 0 offset:260
	buffer_load_dword v100, off, s[0:3], 0 offset:256
	s_waitcnt vmcnt(2)
	v_fmac_f64_e32 v[92:93], v[96:97], v[98:99]
	ds_read_b128 v[96:99], v94 offset:608
	s_waitcnt vmcnt(0) lgkmcnt(0)
	v_fmac_f64_e32 v[92:93], v[100:101], v[96:97]
	buffer_load_dword v97, off, s[0:3], 0 offset:268
	buffer_load_dword v96, off, s[0:3], 0 offset:264
	buffer_load_dword v101, off, s[0:3], 0 offset:276
	buffer_load_dword v100, off, s[0:3], 0 offset:272
	;; [unrolled: 9-line block ×5, first 2 shown]
	s_waitcnt vmcnt(2)
	v_fmac_f64_e32 v[92:93], v[96:97], v[98:99]
	ds_read_b128 v[96:99], v94 offset:672
	s_waitcnt vmcnt(0) lgkmcnt(0)
	v_fmac_f64_e32 v[92:93], v[100:101], v[96:97]
	buffer_load_dword v97, off, s[0:3], 0 offset:332
	buffer_load_dword v96, off, s[0:3], 0 offset:328
	s_waitcnt vmcnt(0)
	v_fmac_f64_e32 v[92:93], v[96:97], v[98:99]
	buffer_load_dword v99, off, s[0:3], 0 offset:340
	buffer_load_dword v98, off, s[0:3], 0 offset:336
	ds_read_b128 v[94:97], v94 offset:688
	s_waitcnt vmcnt(0) lgkmcnt(0)
	v_fmac_f64_e32 v[92:93], v[98:99], v[94:95]
	buffer_load_dword v95, off, s[0:3], 0 offset:348
	buffer_load_dword v94, off, s[0:3], 0 offset:344
	s_waitcnt vmcnt(0)
	v_fmac_f64_e32 v[92:93], v[94:95], v[96:97]
	v_add_f64 v[90:91], v[90:91], -v[92:93]
	buffer_store_dword v91, off, s[0:3], 0 offset:172
	buffer_store_dword v90, off, s[0:3], 0 offset:168
	s_and_saveexec_b64 s[4:5], vcc
	s_cbranch_execz .LBB43_231
; %bb.230:
	buffer_load_dword v90, off, s[0:3], 0 offset:160
	buffer_load_dword v91, off, s[0:3], 0 offset:164
	v_mov_b32_e32 v92, 0
	buffer_store_dword v92, off, s[0:3], 0 offset:160
	buffer_store_dword v92, off, s[0:3], 0 offset:164
	s_waitcnt vmcnt(2)
	ds_write_b64 v1, v[90:91]
.LBB43_231:
	s_or_b64 exec, exec, s[4:5]
	s_waitcnt lgkmcnt(0)
	; wave barrier
	s_waitcnt lgkmcnt(0)
	buffer_load_dword v90, off, s[0:3], 0 offset:160
	buffer_load_dword v91, off, s[0:3], 0 offset:164
	;; [unrolled: 1-line block ×16, first 2 shown]
	v_mov_b32_e32 v94, 0
	ds_read2_b64 v[96:99], v94 offset0:65 offset1:66
	v_cmp_lt_u32_e32 vcc, 19, v0
	s_waitcnt vmcnt(12) lgkmcnt(0)
	v_fma_f64 v[92:93], v[92:93], v[96:97], 0
	s_waitcnt vmcnt(10)
	v_fmac_f64_e32 v[92:93], v[100:101], v[98:99]
	ds_read2_b64 v[96:99], v94 offset0:67 offset1:68
	s_waitcnt vmcnt(8) lgkmcnt(0)
	v_fmac_f64_e32 v[92:93], v[102:103], v[96:97]
	s_waitcnt vmcnt(6)
	v_fmac_f64_e32 v[92:93], v[104:105], v[98:99]
	ds_read2_b64 v[96:99], v94 offset0:69 offset1:70
	s_waitcnt vmcnt(4) lgkmcnt(0)
	v_fmac_f64_e32 v[92:93], v[106:107], v[96:97]
	;; [unrolled: 5-line block ×3, first 2 shown]
	buffer_load_dword v97, off, s[0:3], 0 offset:228
	buffer_load_dword v96, off, s[0:3], 0 offset:224
	buffer_load_dword v101, off, s[0:3], 0 offset:236
	buffer_load_dword v100, off, s[0:3], 0 offset:232
	s_waitcnt vmcnt(2)
	v_fmac_f64_e32 v[92:93], v[96:97], v[98:99]
	ds_read2_b64 v[96:99], v94 offset0:73 offset1:74
	s_waitcnt vmcnt(0) lgkmcnt(0)
	v_fmac_f64_e32 v[92:93], v[100:101], v[96:97]
	buffer_load_dword v97, off, s[0:3], 0 offset:244
	buffer_load_dword v96, off, s[0:3], 0 offset:240
	buffer_load_dword v101, off, s[0:3], 0 offset:252
	buffer_load_dword v100, off, s[0:3], 0 offset:248
	s_waitcnt vmcnt(2)
	v_fmac_f64_e32 v[92:93], v[96:97], v[98:99]
	ds_read2_b64 v[96:99], v94 offset0:75 offset1:76
	s_waitcnt vmcnt(0) lgkmcnt(0)
	v_fmac_f64_e32 v[92:93], v[100:101], v[96:97]
	;; [unrolled: 9-line block ×7, first 2 shown]
	buffer_load_dword v97, off, s[0:3], 0 offset:340
	buffer_load_dword v96, off, s[0:3], 0 offset:336
	s_waitcnt vmcnt(0)
	v_fmac_f64_e32 v[92:93], v[96:97], v[98:99]
	buffer_load_dword v97, off, s[0:3], 0 offset:348
	buffer_load_dword v96, off, s[0:3], 0 offset:344
	ds_read_b64 v[98:99], v94 offset:696
	s_waitcnt vmcnt(0) lgkmcnt(0)
	v_fmac_f64_e32 v[92:93], v[96:97], v[98:99]
	v_add_f64 v[90:91], v[90:91], -v[92:93]
	buffer_store_dword v91, off, s[0:3], 0 offset:164
	buffer_store_dword v90, off, s[0:3], 0 offset:160
	s_and_saveexec_b64 s[4:5], vcc
	s_cbranch_execz .LBB43_233
; %bb.232:
	buffer_load_dword v90, off, s[0:3], 0 offset:152
	buffer_load_dword v91, off, s[0:3], 0 offset:156
	s_waitcnt vmcnt(0)
	ds_write_b64 v1, v[90:91]
	buffer_store_dword v94, off, s[0:3], 0 offset:152
	buffer_store_dword v94, off, s[0:3], 0 offset:156
.LBB43_233:
	s_or_b64 exec, exec, s[4:5]
	s_waitcnt lgkmcnt(0)
	; wave barrier
	s_waitcnt lgkmcnt(0)
	buffer_load_dword v90, off, s[0:3], 0 offset:152
	buffer_load_dword v91, off, s[0:3], 0 offset:156
	;; [unrolled: 1-line block ×16, first 2 shown]
	ds_read_b128 v[96:99], v94 offset:512
	ds_read_b128 v[100:103], v94 offset:528
	ds_read_b128 v[104:107], v94 offset:544
	ds_read_b128 v[108:111], v94 offset:560
	v_cmp_lt_u32_e32 vcc, 18, v0
	s_waitcnt vmcnt(12) lgkmcnt(3)
	v_fma_f64 v[92:93], v[92:93], v[96:97], 0
	buffer_load_dword v97, off, s[0:3], 0 offset:220
	buffer_load_dword v96, off, s[0:3], 0 offset:216
	s_waitcnt vmcnt(12)
	v_fmac_f64_e32 v[92:93], v[112:113], v[98:99]
	s_waitcnt vmcnt(10) lgkmcnt(2)
	v_fmac_f64_e32 v[92:93], v[114:115], v[100:101]
	buffer_load_dword v101, off, s[0:3], 0 offset:228
	buffer_load_dword v100, off, s[0:3], 0 offset:224
	s_waitcnt vmcnt(10)
	v_fmac_f64_e32 v[92:93], v[116:117], v[102:103]
	s_waitcnt vmcnt(8) lgkmcnt(1)
	v_fmac_f64_e32 v[92:93], v[118:119], v[104:105]
	s_waitcnt vmcnt(6)
	v_fmac_f64_e32 v[92:93], v[120:121], v[106:107]
	s_waitcnt vmcnt(4) lgkmcnt(0)
	v_fmac_f64_e32 v[92:93], v[122:123], v[108:109]
	s_waitcnt vmcnt(2)
	v_fmac_f64_e32 v[92:93], v[96:97], v[110:111]
	ds_read_b128 v[96:99], v94 offset:576
	s_waitcnt vmcnt(0) lgkmcnt(0)
	v_fmac_f64_e32 v[92:93], v[100:101], v[96:97]
	buffer_load_dword v97, off, s[0:3], 0 offset:236
	buffer_load_dword v96, off, s[0:3], 0 offset:232
	buffer_load_dword v101, off, s[0:3], 0 offset:244
	buffer_load_dword v100, off, s[0:3], 0 offset:240
	s_waitcnt vmcnt(2)
	v_fmac_f64_e32 v[92:93], v[96:97], v[98:99]
	ds_read_b128 v[96:99], v94 offset:592
	s_waitcnt vmcnt(0) lgkmcnt(0)
	v_fmac_f64_e32 v[92:93], v[100:101], v[96:97]
	buffer_load_dword v97, off, s[0:3], 0 offset:252
	buffer_load_dword v96, off, s[0:3], 0 offset:248
	buffer_load_dword v101, off, s[0:3], 0 offset:260
	buffer_load_dword v100, off, s[0:3], 0 offset:256
	;; [unrolled: 9-line block ×6, first 2 shown]
	s_waitcnt vmcnt(2)
	v_fmac_f64_e32 v[92:93], v[96:97], v[98:99]
	ds_read_b128 v[96:99], v94 offset:672
	s_waitcnt vmcnt(0) lgkmcnt(0)
	v_fmac_f64_e32 v[92:93], v[100:101], v[96:97]
	buffer_load_dword v97, off, s[0:3], 0 offset:332
	buffer_load_dword v96, off, s[0:3], 0 offset:328
	s_waitcnt vmcnt(0)
	v_fmac_f64_e32 v[92:93], v[96:97], v[98:99]
	buffer_load_dword v99, off, s[0:3], 0 offset:340
	buffer_load_dword v98, off, s[0:3], 0 offset:336
	ds_read_b128 v[94:97], v94 offset:688
	s_waitcnt vmcnt(0) lgkmcnt(0)
	v_fmac_f64_e32 v[92:93], v[98:99], v[94:95]
	buffer_load_dword v95, off, s[0:3], 0 offset:348
	buffer_load_dword v94, off, s[0:3], 0 offset:344
	s_waitcnt vmcnt(0)
	v_fmac_f64_e32 v[92:93], v[94:95], v[96:97]
	v_add_f64 v[90:91], v[90:91], -v[92:93]
	buffer_store_dword v91, off, s[0:3], 0 offset:156
	buffer_store_dword v90, off, s[0:3], 0 offset:152
	s_and_saveexec_b64 s[4:5], vcc
	s_cbranch_execz .LBB43_235
; %bb.234:
	buffer_load_dword v90, off, s[0:3], 0 offset:144
	buffer_load_dword v91, off, s[0:3], 0 offset:148
	v_mov_b32_e32 v92, 0
	buffer_store_dword v92, off, s[0:3], 0 offset:144
	buffer_store_dword v92, off, s[0:3], 0 offset:148
	s_waitcnt vmcnt(2)
	ds_write_b64 v1, v[90:91]
.LBB43_235:
	s_or_b64 exec, exec, s[4:5]
	s_waitcnt lgkmcnt(0)
	; wave barrier
	s_waitcnt lgkmcnt(0)
	buffer_load_dword v90, off, s[0:3], 0 offset:144
	buffer_load_dword v91, off, s[0:3], 0 offset:148
	;; [unrolled: 1-line block ×16, first 2 shown]
	v_mov_b32_e32 v94, 0
	ds_read2_b64 v[96:99], v94 offset0:63 offset1:64
	v_cmp_lt_u32_e32 vcc, 17, v0
	s_waitcnt vmcnt(12) lgkmcnt(0)
	v_fma_f64 v[92:93], v[92:93], v[96:97], 0
	s_waitcnt vmcnt(10)
	v_fmac_f64_e32 v[92:93], v[100:101], v[98:99]
	ds_read2_b64 v[96:99], v94 offset0:65 offset1:66
	s_waitcnt vmcnt(8) lgkmcnt(0)
	v_fmac_f64_e32 v[92:93], v[102:103], v[96:97]
	s_waitcnt vmcnt(6)
	v_fmac_f64_e32 v[92:93], v[104:105], v[98:99]
	ds_read2_b64 v[96:99], v94 offset0:67 offset1:68
	s_waitcnt vmcnt(4) lgkmcnt(0)
	v_fmac_f64_e32 v[92:93], v[106:107], v[96:97]
	;; [unrolled: 5-line block ×3, first 2 shown]
	buffer_load_dword v97, off, s[0:3], 0 offset:212
	buffer_load_dword v96, off, s[0:3], 0 offset:208
	buffer_load_dword v101, off, s[0:3], 0 offset:220
	buffer_load_dword v100, off, s[0:3], 0 offset:216
	s_waitcnt vmcnt(2)
	v_fmac_f64_e32 v[92:93], v[96:97], v[98:99]
	ds_read2_b64 v[96:99], v94 offset0:71 offset1:72
	s_waitcnt vmcnt(0) lgkmcnt(0)
	v_fmac_f64_e32 v[92:93], v[100:101], v[96:97]
	buffer_load_dword v97, off, s[0:3], 0 offset:228
	buffer_load_dword v96, off, s[0:3], 0 offset:224
	buffer_load_dword v101, off, s[0:3], 0 offset:236
	buffer_load_dword v100, off, s[0:3], 0 offset:232
	s_waitcnt vmcnt(2)
	v_fmac_f64_e32 v[92:93], v[96:97], v[98:99]
	ds_read2_b64 v[96:99], v94 offset0:73 offset1:74
	s_waitcnt vmcnt(0) lgkmcnt(0)
	v_fmac_f64_e32 v[92:93], v[100:101], v[96:97]
	;; [unrolled: 9-line block ×8, first 2 shown]
	buffer_load_dword v97, off, s[0:3], 0 offset:340
	buffer_load_dword v96, off, s[0:3], 0 offset:336
	s_waitcnt vmcnt(0)
	v_fmac_f64_e32 v[92:93], v[96:97], v[98:99]
	buffer_load_dword v97, off, s[0:3], 0 offset:348
	buffer_load_dword v96, off, s[0:3], 0 offset:344
	ds_read_b64 v[98:99], v94 offset:696
	s_waitcnt vmcnt(0) lgkmcnt(0)
	v_fmac_f64_e32 v[92:93], v[96:97], v[98:99]
	v_add_f64 v[90:91], v[90:91], -v[92:93]
	buffer_store_dword v91, off, s[0:3], 0 offset:148
	buffer_store_dword v90, off, s[0:3], 0 offset:144
	s_and_saveexec_b64 s[4:5], vcc
	s_cbranch_execz .LBB43_237
; %bb.236:
	buffer_load_dword v90, off, s[0:3], 0 offset:136
	buffer_load_dword v91, off, s[0:3], 0 offset:140
	s_waitcnt vmcnt(0)
	ds_write_b64 v1, v[90:91]
	buffer_store_dword v94, off, s[0:3], 0 offset:136
	buffer_store_dword v94, off, s[0:3], 0 offset:140
.LBB43_237:
	s_or_b64 exec, exec, s[4:5]
	s_waitcnt lgkmcnt(0)
	; wave barrier
	s_waitcnt lgkmcnt(0)
	buffer_load_dword v90, off, s[0:3], 0 offset:136
	buffer_load_dword v91, off, s[0:3], 0 offset:140
	;; [unrolled: 1-line block ×16, first 2 shown]
	ds_read_b128 v[96:99], v94 offset:496
	ds_read_b128 v[100:103], v94 offset:512
	;; [unrolled: 1-line block ×4, first 2 shown]
	v_cmp_lt_u32_e32 vcc, 16, v0
	s_waitcnt vmcnt(12) lgkmcnt(3)
	v_fma_f64 v[92:93], v[92:93], v[96:97], 0
	buffer_load_dword v97, off, s[0:3], 0 offset:204
	buffer_load_dword v96, off, s[0:3], 0 offset:200
	s_waitcnt vmcnt(12)
	v_fmac_f64_e32 v[92:93], v[112:113], v[98:99]
	s_waitcnt vmcnt(10) lgkmcnt(2)
	v_fmac_f64_e32 v[92:93], v[114:115], v[100:101]
	buffer_load_dword v101, off, s[0:3], 0 offset:212
	buffer_load_dword v100, off, s[0:3], 0 offset:208
	s_waitcnt vmcnt(10)
	v_fmac_f64_e32 v[92:93], v[116:117], v[102:103]
	s_waitcnt vmcnt(8) lgkmcnt(1)
	v_fmac_f64_e32 v[92:93], v[118:119], v[104:105]
	s_waitcnt vmcnt(6)
	v_fmac_f64_e32 v[92:93], v[120:121], v[106:107]
	s_waitcnt vmcnt(4) lgkmcnt(0)
	v_fmac_f64_e32 v[92:93], v[122:123], v[108:109]
	s_waitcnt vmcnt(2)
	v_fmac_f64_e32 v[92:93], v[96:97], v[110:111]
	ds_read_b128 v[96:99], v94 offset:560
	s_waitcnt vmcnt(0) lgkmcnt(0)
	v_fmac_f64_e32 v[92:93], v[100:101], v[96:97]
	buffer_load_dword v97, off, s[0:3], 0 offset:220
	buffer_load_dword v96, off, s[0:3], 0 offset:216
	buffer_load_dword v101, off, s[0:3], 0 offset:228
	buffer_load_dword v100, off, s[0:3], 0 offset:224
	s_waitcnt vmcnt(2)
	v_fmac_f64_e32 v[92:93], v[96:97], v[98:99]
	ds_read_b128 v[96:99], v94 offset:576
	s_waitcnt vmcnt(0) lgkmcnt(0)
	v_fmac_f64_e32 v[92:93], v[100:101], v[96:97]
	buffer_load_dword v97, off, s[0:3], 0 offset:236
	buffer_load_dword v96, off, s[0:3], 0 offset:232
	buffer_load_dword v101, off, s[0:3], 0 offset:244
	buffer_load_dword v100, off, s[0:3], 0 offset:240
	;; [unrolled: 9-line block ×7, first 2 shown]
	s_waitcnt vmcnt(2)
	v_fmac_f64_e32 v[92:93], v[96:97], v[98:99]
	ds_read_b128 v[96:99], v94 offset:672
	s_waitcnt vmcnt(0) lgkmcnt(0)
	v_fmac_f64_e32 v[92:93], v[100:101], v[96:97]
	buffer_load_dword v97, off, s[0:3], 0 offset:332
	buffer_load_dword v96, off, s[0:3], 0 offset:328
	s_waitcnt vmcnt(0)
	v_fmac_f64_e32 v[92:93], v[96:97], v[98:99]
	buffer_load_dword v99, off, s[0:3], 0 offset:340
	buffer_load_dword v98, off, s[0:3], 0 offset:336
	ds_read_b128 v[94:97], v94 offset:688
	s_waitcnt vmcnt(0) lgkmcnt(0)
	v_fmac_f64_e32 v[92:93], v[98:99], v[94:95]
	buffer_load_dword v95, off, s[0:3], 0 offset:348
	buffer_load_dword v94, off, s[0:3], 0 offset:344
	s_waitcnt vmcnt(0)
	v_fmac_f64_e32 v[92:93], v[94:95], v[96:97]
	v_add_f64 v[90:91], v[90:91], -v[92:93]
	buffer_store_dword v91, off, s[0:3], 0 offset:140
	buffer_store_dword v90, off, s[0:3], 0 offset:136
	s_and_saveexec_b64 s[4:5], vcc
	s_cbranch_execz .LBB43_239
; %bb.238:
	buffer_load_dword v90, off, s[0:3], 0 offset:128
	buffer_load_dword v91, off, s[0:3], 0 offset:132
	v_mov_b32_e32 v92, 0
	buffer_store_dword v92, off, s[0:3], 0 offset:128
	buffer_store_dword v92, off, s[0:3], 0 offset:132
	s_waitcnt vmcnt(2)
	ds_write_b64 v1, v[90:91]
.LBB43_239:
	s_or_b64 exec, exec, s[4:5]
	s_waitcnt lgkmcnt(0)
	; wave barrier
	s_waitcnt lgkmcnt(0)
	buffer_load_dword v90, off, s[0:3], 0 offset:128
	buffer_load_dword v91, off, s[0:3], 0 offset:132
	;; [unrolled: 1-line block ×16, first 2 shown]
	v_mov_b32_e32 v94, 0
	ds_read2_b64 v[96:99], v94 offset0:61 offset1:62
	v_cmp_lt_u32_e32 vcc, 15, v0
	s_waitcnt vmcnt(12) lgkmcnt(0)
	v_fma_f64 v[92:93], v[92:93], v[96:97], 0
	s_waitcnt vmcnt(10)
	v_fmac_f64_e32 v[92:93], v[100:101], v[98:99]
	ds_read2_b64 v[96:99], v94 offset0:63 offset1:64
	s_waitcnt vmcnt(8) lgkmcnt(0)
	v_fmac_f64_e32 v[92:93], v[102:103], v[96:97]
	s_waitcnt vmcnt(6)
	v_fmac_f64_e32 v[92:93], v[104:105], v[98:99]
	ds_read2_b64 v[96:99], v94 offset0:65 offset1:66
	s_waitcnt vmcnt(4) lgkmcnt(0)
	v_fmac_f64_e32 v[92:93], v[106:107], v[96:97]
	;; [unrolled: 5-line block ×3, first 2 shown]
	buffer_load_dword v97, off, s[0:3], 0 offset:196
	buffer_load_dword v96, off, s[0:3], 0 offset:192
	buffer_load_dword v101, off, s[0:3], 0 offset:204
	buffer_load_dword v100, off, s[0:3], 0 offset:200
	s_waitcnt vmcnt(2)
	v_fmac_f64_e32 v[92:93], v[96:97], v[98:99]
	ds_read2_b64 v[96:99], v94 offset0:69 offset1:70
	s_waitcnt vmcnt(0) lgkmcnt(0)
	v_fmac_f64_e32 v[92:93], v[100:101], v[96:97]
	buffer_load_dword v97, off, s[0:3], 0 offset:212
	buffer_load_dword v96, off, s[0:3], 0 offset:208
	buffer_load_dword v101, off, s[0:3], 0 offset:220
	buffer_load_dword v100, off, s[0:3], 0 offset:216
	s_waitcnt vmcnt(2)
	v_fmac_f64_e32 v[92:93], v[96:97], v[98:99]
	ds_read2_b64 v[96:99], v94 offset0:71 offset1:72
	s_waitcnt vmcnt(0) lgkmcnt(0)
	v_fmac_f64_e32 v[92:93], v[100:101], v[96:97]
	;; [unrolled: 9-line block ×9, first 2 shown]
	buffer_load_dword v97, off, s[0:3], 0 offset:340
	buffer_load_dword v96, off, s[0:3], 0 offset:336
	s_waitcnt vmcnt(0)
	v_fmac_f64_e32 v[92:93], v[96:97], v[98:99]
	buffer_load_dword v97, off, s[0:3], 0 offset:348
	buffer_load_dword v96, off, s[0:3], 0 offset:344
	ds_read_b64 v[98:99], v94 offset:696
	s_waitcnt vmcnt(0) lgkmcnt(0)
	v_fmac_f64_e32 v[92:93], v[96:97], v[98:99]
	v_add_f64 v[90:91], v[90:91], -v[92:93]
	buffer_store_dword v91, off, s[0:3], 0 offset:132
	buffer_store_dword v90, off, s[0:3], 0 offset:128
	s_and_saveexec_b64 s[4:5], vcc
	s_cbranch_execz .LBB43_241
; %bb.240:
	buffer_load_dword v90, off, s[0:3], 0 offset:120
	buffer_load_dword v91, off, s[0:3], 0 offset:124
	s_waitcnt vmcnt(0)
	ds_write_b64 v1, v[90:91]
	buffer_store_dword v94, off, s[0:3], 0 offset:120
	buffer_store_dword v94, off, s[0:3], 0 offset:124
.LBB43_241:
	s_or_b64 exec, exec, s[4:5]
	s_waitcnt lgkmcnt(0)
	; wave barrier
	s_waitcnt lgkmcnt(0)
	buffer_load_dword v90, off, s[0:3], 0 offset:120
	buffer_load_dword v91, off, s[0:3], 0 offset:124
	;; [unrolled: 1-line block ×16, first 2 shown]
	ds_read_b128 v[96:99], v94 offset:480
	ds_read_b128 v[100:103], v94 offset:496
	;; [unrolled: 1-line block ×4, first 2 shown]
	v_cmp_lt_u32_e32 vcc, 14, v0
	s_waitcnt vmcnt(12) lgkmcnt(3)
	v_fma_f64 v[92:93], v[92:93], v[96:97], 0
	buffer_load_dword v97, off, s[0:3], 0 offset:188
	buffer_load_dword v96, off, s[0:3], 0 offset:184
	s_waitcnt vmcnt(12)
	v_fmac_f64_e32 v[92:93], v[112:113], v[98:99]
	s_waitcnt vmcnt(10) lgkmcnt(2)
	v_fmac_f64_e32 v[92:93], v[114:115], v[100:101]
	buffer_load_dword v101, off, s[0:3], 0 offset:196
	buffer_load_dword v100, off, s[0:3], 0 offset:192
	s_waitcnt vmcnt(10)
	v_fmac_f64_e32 v[92:93], v[116:117], v[102:103]
	s_waitcnt vmcnt(8) lgkmcnt(1)
	v_fmac_f64_e32 v[92:93], v[118:119], v[104:105]
	s_waitcnt vmcnt(6)
	v_fmac_f64_e32 v[92:93], v[120:121], v[106:107]
	s_waitcnt vmcnt(4) lgkmcnt(0)
	v_fmac_f64_e32 v[92:93], v[122:123], v[108:109]
	s_waitcnt vmcnt(2)
	v_fmac_f64_e32 v[92:93], v[96:97], v[110:111]
	ds_read_b128 v[96:99], v94 offset:544
	s_waitcnt vmcnt(0) lgkmcnt(0)
	v_fmac_f64_e32 v[92:93], v[100:101], v[96:97]
	buffer_load_dword v97, off, s[0:3], 0 offset:204
	buffer_load_dword v96, off, s[0:3], 0 offset:200
	buffer_load_dword v101, off, s[0:3], 0 offset:212
	buffer_load_dword v100, off, s[0:3], 0 offset:208
	s_waitcnt vmcnt(2)
	v_fmac_f64_e32 v[92:93], v[96:97], v[98:99]
	ds_read_b128 v[96:99], v94 offset:560
	s_waitcnt vmcnt(0) lgkmcnt(0)
	v_fmac_f64_e32 v[92:93], v[100:101], v[96:97]
	buffer_load_dword v97, off, s[0:3], 0 offset:220
	buffer_load_dword v96, off, s[0:3], 0 offset:216
	buffer_load_dword v101, off, s[0:3], 0 offset:228
	buffer_load_dword v100, off, s[0:3], 0 offset:224
	;; [unrolled: 9-line block ×8, first 2 shown]
	s_waitcnt vmcnt(2)
	v_fmac_f64_e32 v[92:93], v[96:97], v[98:99]
	ds_read_b128 v[96:99], v94 offset:672
	s_waitcnt vmcnt(0) lgkmcnt(0)
	v_fmac_f64_e32 v[92:93], v[100:101], v[96:97]
	buffer_load_dword v97, off, s[0:3], 0 offset:332
	buffer_load_dword v96, off, s[0:3], 0 offset:328
	s_waitcnt vmcnt(0)
	v_fmac_f64_e32 v[92:93], v[96:97], v[98:99]
	buffer_load_dword v99, off, s[0:3], 0 offset:340
	buffer_load_dword v98, off, s[0:3], 0 offset:336
	ds_read_b128 v[94:97], v94 offset:688
	s_waitcnt vmcnt(0) lgkmcnt(0)
	v_fmac_f64_e32 v[92:93], v[98:99], v[94:95]
	buffer_load_dword v95, off, s[0:3], 0 offset:348
	buffer_load_dword v94, off, s[0:3], 0 offset:344
	s_waitcnt vmcnt(0)
	v_fmac_f64_e32 v[92:93], v[94:95], v[96:97]
	v_add_f64 v[90:91], v[90:91], -v[92:93]
	buffer_store_dword v91, off, s[0:3], 0 offset:124
	buffer_store_dword v90, off, s[0:3], 0 offset:120
	s_and_saveexec_b64 s[4:5], vcc
	s_cbranch_execz .LBB43_243
; %bb.242:
	buffer_load_dword v90, off, s[0:3], 0 offset:112
	buffer_load_dword v91, off, s[0:3], 0 offset:116
	v_mov_b32_e32 v92, 0
	buffer_store_dword v92, off, s[0:3], 0 offset:112
	buffer_store_dword v92, off, s[0:3], 0 offset:116
	s_waitcnt vmcnt(2)
	ds_write_b64 v1, v[90:91]
.LBB43_243:
	s_or_b64 exec, exec, s[4:5]
	s_waitcnt lgkmcnt(0)
	; wave barrier
	s_waitcnt lgkmcnt(0)
	buffer_load_dword v90, off, s[0:3], 0 offset:112
	buffer_load_dword v91, off, s[0:3], 0 offset:116
	;; [unrolled: 1-line block ×16, first 2 shown]
	v_mov_b32_e32 v94, 0
	ds_read2_b64 v[96:99], v94 offset0:59 offset1:60
	v_cmp_lt_u32_e32 vcc, 13, v0
	s_waitcnt vmcnt(12) lgkmcnt(0)
	v_fma_f64 v[92:93], v[92:93], v[96:97], 0
	s_waitcnt vmcnt(10)
	v_fmac_f64_e32 v[92:93], v[100:101], v[98:99]
	ds_read2_b64 v[96:99], v94 offset0:61 offset1:62
	s_waitcnt vmcnt(8) lgkmcnt(0)
	v_fmac_f64_e32 v[92:93], v[102:103], v[96:97]
	s_waitcnt vmcnt(6)
	v_fmac_f64_e32 v[92:93], v[104:105], v[98:99]
	ds_read2_b64 v[96:99], v94 offset0:63 offset1:64
	s_waitcnt vmcnt(4) lgkmcnt(0)
	v_fmac_f64_e32 v[92:93], v[106:107], v[96:97]
	;; [unrolled: 5-line block ×3, first 2 shown]
	buffer_load_dword v97, off, s[0:3], 0 offset:180
	buffer_load_dword v96, off, s[0:3], 0 offset:176
	buffer_load_dword v101, off, s[0:3], 0 offset:188
	buffer_load_dword v100, off, s[0:3], 0 offset:184
	s_waitcnt vmcnt(2)
	v_fmac_f64_e32 v[92:93], v[96:97], v[98:99]
	ds_read2_b64 v[96:99], v94 offset0:67 offset1:68
	s_waitcnt vmcnt(0) lgkmcnt(0)
	v_fmac_f64_e32 v[92:93], v[100:101], v[96:97]
	buffer_load_dword v97, off, s[0:3], 0 offset:196
	buffer_load_dword v96, off, s[0:3], 0 offset:192
	buffer_load_dword v101, off, s[0:3], 0 offset:204
	buffer_load_dword v100, off, s[0:3], 0 offset:200
	s_waitcnt vmcnt(2)
	v_fmac_f64_e32 v[92:93], v[96:97], v[98:99]
	ds_read2_b64 v[96:99], v94 offset0:69 offset1:70
	s_waitcnt vmcnt(0) lgkmcnt(0)
	v_fmac_f64_e32 v[92:93], v[100:101], v[96:97]
	buffer_load_dword v97, off, s[0:3], 0 offset:212
	buffer_load_dword v96, off, s[0:3], 0 offset:208
	buffer_load_dword v101, off, s[0:3], 0 offset:220
	buffer_load_dword v100, off, s[0:3], 0 offset:216
	s_waitcnt vmcnt(2)
	v_fmac_f64_e32 v[92:93], v[96:97], v[98:99]
	ds_read2_b64 v[96:99], v94 offset0:71 offset1:72
	s_waitcnt vmcnt(0) lgkmcnt(0)
	v_fmac_f64_e32 v[92:93], v[100:101], v[96:97]
	buffer_load_dword v97, off, s[0:3], 0 offset:228
	buffer_load_dword v96, off, s[0:3], 0 offset:224
	buffer_load_dword v101, off, s[0:3], 0 offset:236
	buffer_load_dword v100, off, s[0:3], 0 offset:232
	s_waitcnt vmcnt(2)
	v_fmac_f64_e32 v[92:93], v[96:97], v[98:99]
	ds_read2_b64 v[96:99], v94 offset0:73 offset1:74
	s_waitcnt vmcnt(0) lgkmcnt(0)
	v_fmac_f64_e32 v[92:93], v[100:101], v[96:97]
	buffer_load_dword v97, off, s[0:3], 0 offset:244
	buffer_load_dword v96, off, s[0:3], 0 offset:240
	buffer_load_dword v101, off, s[0:3], 0 offset:252
	buffer_load_dword v100, off, s[0:3], 0 offset:248
	s_waitcnt vmcnt(2)
	v_fmac_f64_e32 v[92:93], v[96:97], v[98:99]
	ds_read2_b64 v[96:99], v94 offset0:75 offset1:76
	s_waitcnt vmcnt(0) lgkmcnt(0)
	v_fmac_f64_e32 v[92:93], v[100:101], v[96:97]
	buffer_load_dword v97, off, s[0:3], 0 offset:260
	buffer_load_dword v96, off, s[0:3], 0 offset:256
	buffer_load_dword v101, off, s[0:3], 0 offset:268
	buffer_load_dword v100, off, s[0:3], 0 offset:264
	s_waitcnt vmcnt(2)
	v_fmac_f64_e32 v[92:93], v[96:97], v[98:99]
	ds_read2_b64 v[96:99], v94 offset0:77 offset1:78
	s_waitcnt vmcnt(0) lgkmcnt(0)
	v_fmac_f64_e32 v[92:93], v[100:101], v[96:97]
	buffer_load_dword v97, off, s[0:3], 0 offset:276
	buffer_load_dword v96, off, s[0:3], 0 offset:272
	buffer_load_dword v101, off, s[0:3], 0 offset:284
	buffer_load_dword v100, off, s[0:3], 0 offset:280
	s_waitcnt vmcnt(2)
	v_fmac_f64_e32 v[92:93], v[96:97], v[98:99]
	ds_read2_b64 v[96:99], v94 offset0:79 offset1:80
	s_waitcnt vmcnt(0) lgkmcnt(0)
	v_fmac_f64_e32 v[92:93], v[100:101], v[96:97]
	buffer_load_dword v97, off, s[0:3], 0 offset:292
	buffer_load_dword v96, off, s[0:3], 0 offset:288
	buffer_load_dword v101, off, s[0:3], 0 offset:300
	buffer_load_dword v100, off, s[0:3], 0 offset:296
	s_waitcnt vmcnt(2)
	v_fmac_f64_e32 v[92:93], v[96:97], v[98:99]
	ds_read2_b64 v[96:99], v94 offset0:81 offset1:82
	s_waitcnt vmcnt(0) lgkmcnt(0)
	v_fmac_f64_e32 v[92:93], v[100:101], v[96:97]
	buffer_load_dword v97, off, s[0:3], 0 offset:308
	buffer_load_dword v96, off, s[0:3], 0 offset:304
	buffer_load_dword v101, off, s[0:3], 0 offset:316
	buffer_load_dword v100, off, s[0:3], 0 offset:312
	s_waitcnt vmcnt(2)
	v_fmac_f64_e32 v[92:93], v[96:97], v[98:99]
	ds_read2_b64 v[96:99], v94 offset0:83 offset1:84
	s_waitcnt vmcnt(0) lgkmcnt(0)
	v_fmac_f64_e32 v[92:93], v[100:101], v[96:97]
	buffer_load_dword v97, off, s[0:3], 0 offset:324
	buffer_load_dword v96, off, s[0:3], 0 offset:320
	buffer_load_dword v101, off, s[0:3], 0 offset:332
	buffer_load_dword v100, off, s[0:3], 0 offset:328
	s_waitcnt vmcnt(2)
	v_fmac_f64_e32 v[92:93], v[96:97], v[98:99]
	ds_read2_b64 v[96:99], v94 offset0:85 offset1:86
	s_waitcnt vmcnt(0) lgkmcnt(0)
	v_fmac_f64_e32 v[92:93], v[100:101], v[96:97]
	buffer_load_dword v97, off, s[0:3], 0 offset:340
	buffer_load_dword v96, off, s[0:3], 0 offset:336
	s_waitcnt vmcnt(0)
	v_fmac_f64_e32 v[92:93], v[96:97], v[98:99]
	buffer_load_dword v97, off, s[0:3], 0 offset:348
	buffer_load_dword v96, off, s[0:3], 0 offset:344
	ds_read_b64 v[98:99], v94 offset:696
	s_waitcnt vmcnt(0) lgkmcnt(0)
	v_fmac_f64_e32 v[92:93], v[96:97], v[98:99]
	v_add_f64 v[90:91], v[90:91], -v[92:93]
	buffer_store_dword v91, off, s[0:3], 0 offset:116
	buffer_store_dword v90, off, s[0:3], 0 offset:112
	s_and_saveexec_b64 s[4:5], vcc
	s_cbranch_execz .LBB43_245
; %bb.244:
	buffer_load_dword v90, off, s[0:3], 0 offset:104
	buffer_load_dword v91, off, s[0:3], 0 offset:108
	s_waitcnt vmcnt(0)
	ds_write_b64 v1, v[90:91]
	buffer_store_dword v94, off, s[0:3], 0 offset:104
	buffer_store_dword v94, off, s[0:3], 0 offset:108
.LBB43_245:
	s_or_b64 exec, exec, s[4:5]
	s_waitcnt lgkmcnt(0)
	; wave barrier
	s_waitcnt lgkmcnt(0)
	buffer_load_dword v90, off, s[0:3], 0 offset:104
	buffer_load_dword v91, off, s[0:3], 0 offset:108
	;; [unrolled: 1-line block ×16, first 2 shown]
	ds_read_b128 v[96:99], v94 offset:464
	ds_read_b128 v[100:103], v94 offset:480
	;; [unrolled: 1-line block ×4, first 2 shown]
	v_cmp_lt_u32_e32 vcc, 12, v0
	s_waitcnt vmcnt(12) lgkmcnt(3)
	v_fma_f64 v[92:93], v[92:93], v[96:97], 0
	buffer_load_dword v97, off, s[0:3], 0 offset:172
	buffer_load_dword v96, off, s[0:3], 0 offset:168
	s_waitcnt vmcnt(12)
	v_fmac_f64_e32 v[92:93], v[112:113], v[98:99]
	s_waitcnt vmcnt(10) lgkmcnt(2)
	v_fmac_f64_e32 v[92:93], v[114:115], v[100:101]
	buffer_load_dword v101, off, s[0:3], 0 offset:180
	buffer_load_dword v100, off, s[0:3], 0 offset:176
	s_waitcnt vmcnt(10)
	v_fmac_f64_e32 v[92:93], v[116:117], v[102:103]
	s_waitcnt vmcnt(8) lgkmcnt(1)
	v_fmac_f64_e32 v[92:93], v[118:119], v[104:105]
	s_waitcnt vmcnt(6)
	v_fmac_f64_e32 v[92:93], v[120:121], v[106:107]
	s_waitcnt vmcnt(4) lgkmcnt(0)
	v_fmac_f64_e32 v[92:93], v[122:123], v[108:109]
	s_waitcnt vmcnt(2)
	v_fmac_f64_e32 v[92:93], v[96:97], v[110:111]
	ds_read_b128 v[96:99], v94 offset:528
	s_waitcnt vmcnt(0) lgkmcnt(0)
	v_fmac_f64_e32 v[92:93], v[100:101], v[96:97]
	buffer_load_dword v97, off, s[0:3], 0 offset:188
	buffer_load_dword v96, off, s[0:3], 0 offset:184
	buffer_load_dword v101, off, s[0:3], 0 offset:196
	buffer_load_dword v100, off, s[0:3], 0 offset:192
	s_waitcnt vmcnt(2)
	v_fmac_f64_e32 v[92:93], v[96:97], v[98:99]
	ds_read_b128 v[96:99], v94 offset:544
	s_waitcnt vmcnt(0) lgkmcnt(0)
	v_fmac_f64_e32 v[92:93], v[100:101], v[96:97]
	buffer_load_dword v97, off, s[0:3], 0 offset:204
	buffer_load_dword v96, off, s[0:3], 0 offset:200
	buffer_load_dword v101, off, s[0:3], 0 offset:212
	buffer_load_dword v100, off, s[0:3], 0 offset:208
	s_waitcnt vmcnt(2)
	v_fmac_f64_e32 v[92:93], v[96:97], v[98:99]
	ds_read_b128 v[96:99], v94 offset:560
	s_waitcnt vmcnt(0) lgkmcnt(0)
	v_fmac_f64_e32 v[92:93], v[100:101], v[96:97]
	buffer_load_dword v97, off, s[0:3], 0 offset:220
	buffer_load_dword v96, off, s[0:3], 0 offset:216
	buffer_load_dword v101, off, s[0:3], 0 offset:228
	buffer_load_dword v100, off, s[0:3], 0 offset:224
	s_waitcnt vmcnt(2)
	v_fmac_f64_e32 v[92:93], v[96:97], v[98:99]
	ds_read_b128 v[96:99], v94 offset:576
	s_waitcnt vmcnt(0) lgkmcnt(0)
	v_fmac_f64_e32 v[92:93], v[100:101], v[96:97]
	buffer_load_dword v97, off, s[0:3], 0 offset:236
	buffer_load_dword v96, off, s[0:3], 0 offset:232
	buffer_load_dword v101, off, s[0:3], 0 offset:244
	buffer_load_dword v100, off, s[0:3], 0 offset:240
	s_waitcnt vmcnt(2)
	v_fmac_f64_e32 v[92:93], v[96:97], v[98:99]
	ds_read_b128 v[96:99], v94 offset:592
	s_waitcnt vmcnt(0) lgkmcnt(0)
	v_fmac_f64_e32 v[92:93], v[100:101], v[96:97]
	buffer_load_dword v97, off, s[0:3], 0 offset:252
	buffer_load_dword v96, off, s[0:3], 0 offset:248
	buffer_load_dword v101, off, s[0:3], 0 offset:260
	buffer_load_dword v100, off, s[0:3], 0 offset:256
	s_waitcnt vmcnt(2)
	v_fmac_f64_e32 v[92:93], v[96:97], v[98:99]
	ds_read_b128 v[96:99], v94 offset:608
	s_waitcnt vmcnt(0) lgkmcnt(0)
	v_fmac_f64_e32 v[92:93], v[100:101], v[96:97]
	buffer_load_dword v97, off, s[0:3], 0 offset:268
	buffer_load_dword v96, off, s[0:3], 0 offset:264
	buffer_load_dword v101, off, s[0:3], 0 offset:276
	buffer_load_dword v100, off, s[0:3], 0 offset:272
	s_waitcnt vmcnt(2)
	v_fmac_f64_e32 v[92:93], v[96:97], v[98:99]
	ds_read_b128 v[96:99], v94 offset:624
	s_waitcnt vmcnt(0) lgkmcnt(0)
	v_fmac_f64_e32 v[92:93], v[100:101], v[96:97]
	buffer_load_dword v97, off, s[0:3], 0 offset:284
	buffer_load_dword v96, off, s[0:3], 0 offset:280
	buffer_load_dword v101, off, s[0:3], 0 offset:292
	buffer_load_dword v100, off, s[0:3], 0 offset:288
	s_waitcnt vmcnt(2)
	v_fmac_f64_e32 v[92:93], v[96:97], v[98:99]
	ds_read_b128 v[96:99], v94 offset:640
	s_waitcnt vmcnt(0) lgkmcnt(0)
	v_fmac_f64_e32 v[92:93], v[100:101], v[96:97]
	buffer_load_dword v97, off, s[0:3], 0 offset:300
	buffer_load_dword v96, off, s[0:3], 0 offset:296
	buffer_load_dword v101, off, s[0:3], 0 offset:308
	buffer_load_dword v100, off, s[0:3], 0 offset:304
	s_waitcnt vmcnt(2)
	v_fmac_f64_e32 v[92:93], v[96:97], v[98:99]
	ds_read_b128 v[96:99], v94 offset:656
	s_waitcnt vmcnt(0) lgkmcnt(0)
	v_fmac_f64_e32 v[92:93], v[100:101], v[96:97]
	buffer_load_dword v97, off, s[0:3], 0 offset:316
	buffer_load_dword v96, off, s[0:3], 0 offset:312
	buffer_load_dword v101, off, s[0:3], 0 offset:324
	buffer_load_dword v100, off, s[0:3], 0 offset:320
	s_waitcnt vmcnt(2)
	v_fmac_f64_e32 v[92:93], v[96:97], v[98:99]
	ds_read_b128 v[96:99], v94 offset:672
	s_waitcnt vmcnt(0) lgkmcnt(0)
	v_fmac_f64_e32 v[92:93], v[100:101], v[96:97]
	buffer_load_dword v97, off, s[0:3], 0 offset:332
	buffer_load_dword v96, off, s[0:3], 0 offset:328
	s_waitcnt vmcnt(0)
	v_fmac_f64_e32 v[92:93], v[96:97], v[98:99]
	buffer_load_dword v99, off, s[0:3], 0 offset:340
	buffer_load_dword v98, off, s[0:3], 0 offset:336
	ds_read_b128 v[94:97], v94 offset:688
	s_waitcnt vmcnt(0) lgkmcnt(0)
	v_fmac_f64_e32 v[92:93], v[98:99], v[94:95]
	buffer_load_dword v95, off, s[0:3], 0 offset:348
	buffer_load_dword v94, off, s[0:3], 0 offset:344
	s_waitcnt vmcnt(0)
	v_fmac_f64_e32 v[92:93], v[94:95], v[96:97]
	v_add_f64 v[90:91], v[90:91], -v[92:93]
	buffer_store_dword v91, off, s[0:3], 0 offset:108
	buffer_store_dword v90, off, s[0:3], 0 offset:104
	s_and_saveexec_b64 s[4:5], vcc
	s_cbranch_execz .LBB43_247
; %bb.246:
	buffer_load_dword v90, off, s[0:3], 0 offset:96
	buffer_load_dword v91, off, s[0:3], 0 offset:100
	v_mov_b32_e32 v92, 0
	buffer_store_dword v92, off, s[0:3], 0 offset:96
	buffer_store_dword v92, off, s[0:3], 0 offset:100
	s_waitcnt vmcnt(2)
	ds_write_b64 v1, v[90:91]
.LBB43_247:
	s_or_b64 exec, exec, s[4:5]
	s_waitcnt lgkmcnt(0)
	; wave barrier
	s_waitcnt lgkmcnt(0)
	buffer_load_dword v90, off, s[0:3], 0 offset:96
	buffer_load_dword v91, off, s[0:3], 0 offset:100
	;; [unrolled: 1-line block ×16, first 2 shown]
	v_mov_b32_e32 v94, 0
	ds_read2_b64 v[96:99], v94 offset0:57 offset1:58
	v_cmp_lt_u32_e32 vcc, 11, v0
	s_waitcnt vmcnt(12) lgkmcnt(0)
	v_fma_f64 v[92:93], v[92:93], v[96:97], 0
	s_waitcnt vmcnt(10)
	v_fmac_f64_e32 v[92:93], v[100:101], v[98:99]
	ds_read2_b64 v[96:99], v94 offset0:59 offset1:60
	s_waitcnt vmcnt(8) lgkmcnt(0)
	v_fmac_f64_e32 v[92:93], v[102:103], v[96:97]
	s_waitcnt vmcnt(6)
	v_fmac_f64_e32 v[92:93], v[104:105], v[98:99]
	ds_read2_b64 v[96:99], v94 offset0:61 offset1:62
	s_waitcnt vmcnt(4) lgkmcnt(0)
	v_fmac_f64_e32 v[92:93], v[106:107], v[96:97]
	;; [unrolled: 5-line block ×3, first 2 shown]
	buffer_load_dword v97, off, s[0:3], 0 offset:164
	buffer_load_dword v96, off, s[0:3], 0 offset:160
	buffer_load_dword v101, off, s[0:3], 0 offset:172
	buffer_load_dword v100, off, s[0:3], 0 offset:168
	s_waitcnt vmcnt(2)
	v_fmac_f64_e32 v[92:93], v[96:97], v[98:99]
	ds_read2_b64 v[96:99], v94 offset0:65 offset1:66
	s_waitcnt vmcnt(0) lgkmcnt(0)
	v_fmac_f64_e32 v[92:93], v[100:101], v[96:97]
	buffer_load_dword v97, off, s[0:3], 0 offset:180
	buffer_load_dword v96, off, s[0:3], 0 offset:176
	buffer_load_dword v101, off, s[0:3], 0 offset:188
	buffer_load_dword v100, off, s[0:3], 0 offset:184
	s_waitcnt vmcnt(2)
	v_fmac_f64_e32 v[92:93], v[96:97], v[98:99]
	ds_read2_b64 v[96:99], v94 offset0:67 offset1:68
	s_waitcnt vmcnt(0) lgkmcnt(0)
	v_fmac_f64_e32 v[92:93], v[100:101], v[96:97]
	;; [unrolled: 9-line block ×11, first 2 shown]
	buffer_load_dword v97, off, s[0:3], 0 offset:340
	buffer_load_dword v96, off, s[0:3], 0 offset:336
	s_waitcnt vmcnt(0)
	v_fmac_f64_e32 v[92:93], v[96:97], v[98:99]
	buffer_load_dword v97, off, s[0:3], 0 offset:348
	buffer_load_dword v96, off, s[0:3], 0 offset:344
	ds_read_b64 v[98:99], v94 offset:696
	s_waitcnt vmcnt(0) lgkmcnt(0)
	v_fmac_f64_e32 v[92:93], v[96:97], v[98:99]
	v_add_f64 v[90:91], v[90:91], -v[92:93]
	buffer_store_dword v91, off, s[0:3], 0 offset:100
	buffer_store_dword v90, off, s[0:3], 0 offset:96
	s_and_saveexec_b64 s[4:5], vcc
	s_cbranch_execz .LBB43_249
; %bb.248:
	buffer_load_dword v90, off, s[0:3], 0 offset:88
	buffer_load_dword v91, off, s[0:3], 0 offset:92
	s_waitcnt vmcnt(0)
	ds_write_b64 v1, v[90:91]
	buffer_store_dword v94, off, s[0:3], 0 offset:88
	buffer_store_dword v94, off, s[0:3], 0 offset:92
.LBB43_249:
	s_or_b64 exec, exec, s[4:5]
	s_waitcnt lgkmcnt(0)
	; wave barrier
	s_waitcnt lgkmcnt(0)
	buffer_load_dword v90, off, s[0:3], 0 offset:88
	buffer_load_dword v91, off, s[0:3], 0 offset:92
	;; [unrolled: 1-line block ×16, first 2 shown]
	ds_read_b128 v[96:99], v94 offset:448
	ds_read_b128 v[100:103], v94 offset:464
	;; [unrolled: 1-line block ×4, first 2 shown]
	v_cmp_lt_u32_e32 vcc, 10, v0
	s_waitcnt vmcnt(12) lgkmcnt(3)
	v_fma_f64 v[92:93], v[92:93], v[96:97], 0
	buffer_load_dword v97, off, s[0:3], 0 offset:156
	buffer_load_dword v96, off, s[0:3], 0 offset:152
	s_waitcnt vmcnt(12)
	v_fmac_f64_e32 v[92:93], v[112:113], v[98:99]
	s_waitcnt vmcnt(10) lgkmcnt(2)
	v_fmac_f64_e32 v[92:93], v[114:115], v[100:101]
	buffer_load_dword v101, off, s[0:3], 0 offset:164
	buffer_load_dword v100, off, s[0:3], 0 offset:160
	s_waitcnt vmcnt(10)
	v_fmac_f64_e32 v[92:93], v[116:117], v[102:103]
	s_waitcnt vmcnt(8) lgkmcnt(1)
	v_fmac_f64_e32 v[92:93], v[118:119], v[104:105]
	s_waitcnt vmcnt(6)
	v_fmac_f64_e32 v[92:93], v[120:121], v[106:107]
	s_waitcnt vmcnt(4) lgkmcnt(0)
	v_fmac_f64_e32 v[92:93], v[122:123], v[108:109]
	s_waitcnt vmcnt(2)
	v_fmac_f64_e32 v[92:93], v[96:97], v[110:111]
	ds_read_b128 v[96:99], v94 offset:512
	s_waitcnt vmcnt(0) lgkmcnt(0)
	v_fmac_f64_e32 v[92:93], v[100:101], v[96:97]
	buffer_load_dword v97, off, s[0:3], 0 offset:172
	buffer_load_dword v96, off, s[0:3], 0 offset:168
	buffer_load_dword v101, off, s[0:3], 0 offset:180
	buffer_load_dword v100, off, s[0:3], 0 offset:176
	s_waitcnt vmcnt(2)
	v_fmac_f64_e32 v[92:93], v[96:97], v[98:99]
	ds_read_b128 v[96:99], v94 offset:528
	s_waitcnt vmcnt(0) lgkmcnt(0)
	v_fmac_f64_e32 v[92:93], v[100:101], v[96:97]
	buffer_load_dword v97, off, s[0:3], 0 offset:188
	buffer_load_dword v96, off, s[0:3], 0 offset:184
	buffer_load_dword v101, off, s[0:3], 0 offset:196
	buffer_load_dword v100, off, s[0:3], 0 offset:192
	;; [unrolled: 9-line block ×10, first 2 shown]
	s_waitcnt vmcnt(2)
	v_fmac_f64_e32 v[92:93], v[96:97], v[98:99]
	ds_read_b128 v[96:99], v94 offset:672
	s_waitcnt vmcnt(0) lgkmcnt(0)
	v_fmac_f64_e32 v[92:93], v[100:101], v[96:97]
	buffer_load_dword v97, off, s[0:3], 0 offset:332
	buffer_load_dword v96, off, s[0:3], 0 offset:328
	s_waitcnt vmcnt(0)
	v_fmac_f64_e32 v[92:93], v[96:97], v[98:99]
	buffer_load_dword v99, off, s[0:3], 0 offset:340
	buffer_load_dword v98, off, s[0:3], 0 offset:336
	ds_read_b128 v[94:97], v94 offset:688
	s_waitcnt vmcnt(0) lgkmcnt(0)
	v_fmac_f64_e32 v[92:93], v[98:99], v[94:95]
	buffer_load_dword v95, off, s[0:3], 0 offset:348
	buffer_load_dword v94, off, s[0:3], 0 offset:344
	s_waitcnt vmcnt(0)
	v_fmac_f64_e32 v[92:93], v[94:95], v[96:97]
	v_add_f64 v[90:91], v[90:91], -v[92:93]
	buffer_store_dword v91, off, s[0:3], 0 offset:92
	buffer_store_dword v90, off, s[0:3], 0 offset:88
	s_and_saveexec_b64 s[4:5], vcc
	s_cbranch_execz .LBB43_251
; %bb.250:
	buffer_load_dword v90, off, s[0:3], 0 offset:80
	buffer_load_dword v91, off, s[0:3], 0 offset:84
	v_mov_b32_e32 v92, 0
	buffer_store_dword v92, off, s[0:3], 0 offset:80
	buffer_store_dword v92, off, s[0:3], 0 offset:84
	s_waitcnt vmcnt(2)
	ds_write_b64 v1, v[90:91]
.LBB43_251:
	s_or_b64 exec, exec, s[4:5]
	s_waitcnt lgkmcnt(0)
	; wave barrier
	s_waitcnt lgkmcnt(0)
	buffer_load_dword v90, off, s[0:3], 0 offset:80
	buffer_load_dword v91, off, s[0:3], 0 offset:84
	;; [unrolled: 1-line block ×16, first 2 shown]
	v_mov_b32_e32 v94, 0
	ds_read2_b64 v[96:99], v94 offset0:55 offset1:56
	v_cmp_lt_u32_e32 vcc, 9, v0
	s_waitcnt vmcnt(12) lgkmcnt(0)
	v_fma_f64 v[92:93], v[92:93], v[96:97], 0
	s_waitcnt vmcnt(10)
	v_fmac_f64_e32 v[92:93], v[100:101], v[98:99]
	ds_read2_b64 v[96:99], v94 offset0:57 offset1:58
	s_waitcnt vmcnt(8) lgkmcnt(0)
	v_fmac_f64_e32 v[92:93], v[102:103], v[96:97]
	s_waitcnt vmcnt(6)
	v_fmac_f64_e32 v[92:93], v[104:105], v[98:99]
	ds_read2_b64 v[96:99], v94 offset0:59 offset1:60
	s_waitcnt vmcnt(4) lgkmcnt(0)
	v_fmac_f64_e32 v[92:93], v[106:107], v[96:97]
	;; [unrolled: 5-line block ×3, first 2 shown]
	buffer_load_dword v97, off, s[0:3], 0 offset:148
	buffer_load_dword v96, off, s[0:3], 0 offset:144
	buffer_load_dword v101, off, s[0:3], 0 offset:156
	buffer_load_dword v100, off, s[0:3], 0 offset:152
	s_waitcnt vmcnt(2)
	v_fmac_f64_e32 v[92:93], v[96:97], v[98:99]
	ds_read2_b64 v[96:99], v94 offset0:63 offset1:64
	s_waitcnt vmcnt(0) lgkmcnt(0)
	v_fmac_f64_e32 v[92:93], v[100:101], v[96:97]
	buffer_load_dword v97, off, s[0:3], 0 offset:164
	buffer_load_dword v96, off, s[0:3], 0 offset:160
	buffer_load_dword v101, off, s[0:3], 0 offset:172
	buffer_load_dword v100, off, s[0:3], 0 offset:168
	s_waitcnt vmcnt(2)
	v_fmac_f64_e32 v[92:93], v[96:97], v[98:99]
	ds_read2_b64 v[96:99], v94 offset0:65 offset1:66
	s_waitcnt vmcnt(0) lgkmcnt(0)
	v_fmac_f64_e32 v[92:93], v[100:101], v[96:97]
	;; [unrolled: 9-line block ×12, first 2 shown]
	buffer_load_dword v97, off, s[0:3], 0 offset:340
	buffer_load_dword v96, off, s[0:3], 0 offset:336
	s_waitcnt vmcnt(0)
	v_fmac_f64_e32 v[92:93], v[96:97], v[98:99]
	buffer_load_dword v97, off, s[0:3], 0 offset:348
	buffer_load_dword v96, off, s[0:3], 0 offset:344
	ds_read_b64 v[98:99], v94 offset:696
	s_waitcnt vmcnt(0) lgkmcnt(0)
	v_fmac_f64_e32 v[92:93], v[96:97], v[98:99]
	v_add_f64 v[90:91], v[90:91], -v[92:93]
	buffer_store_dword v91, off, s[0:3], 0 offset:84
	buffer_store_dword v90, off, s[0:3], 0 offset:80
	s_and_saveexec_b64 s[4:5], vcc
	s_cbranch_execz .LBB43_253
; %bb.252:
	buffer_load_dword v90, off, s[0:3], 0 offset:72
	buffer_load_dword v91, off, s[0:3], 0 offset:76
	s_waitcnt vmcnt(0)
	ds_write_b64 v1, v[90:91]
	buffer_store_dword v94, off, s[0:3], 0 offset:72
	buffer_store_dword v94, off, s[0:3], 0 offset:76
.LBB43_253:
	s_or_b64 exec, exec, s[4:5]
	s_waitcnt lgkmcnt(0)
	; wave barrier
	s_waitcnt lgkmcnt(0)
	buffer_load_dword v90, off, s[0:3], 0 offset:72
	buffer_load_dword v91, off, s[0:3], 0 offset:76
	;; [unrolled: 1-line block ×16, first 2 shown]
	ds_read_b128 v[96:99], v94 offset:432
	ds_read_b128 v[100:103], v94 offset:448
	;; [unrolled: 1-line block ×4, first 2 shown]
	v_cmp_lt_u32_e32 vcc, 8, v0
	s_waitcnt vmcnt(12) lgkmcnt(3)
	v_fma_f64 v[92:93], v[92:93], v[96:97], 0
	buffer_load_dword v97, off, s[0:3], 0 offset:140
	buffer_load_dword v96, off, s[0:3], 0 offset:136
	s_waitcnt vmcnt(12)
	v_fmac_f64_e32 v[92:93], v[112:113], v[98:99]
	s_waitcnt vmcnt(10) lgkmcnt(2)
	v_fmac_f64_e32 v[92:93], v[114:115], v[100:101]
	buffer_load_dword v101, off, s[0:3], 0 offset:148
	buffer_load_dword v100, off, s[0:3], 0 offset:144
	s_waitcnt vmcnt(10)
	v_fmac_f64_e32 v[92:93], v[116:117], v[102:103]
	s_waitcnt vmcnt(8) lgkmcnt(1)
	v_fmac_f64_e32 v[92:93], v[118:119], v[104:105]
	s_waitcnt vmcnt(6)
	v_fmac_f64_e32 v[92:93], v[120:121], v[106:107]
	s_waitcnt vmcnt(4) lgkmcnt(0)
	v_fmac_f64_e32 v[92:93], v[122:123], v[108:109]
	s_waitcnt vmcnt(2)
	v_fmac_f64_e32 v[92:93], v[96:97], v[110:111]
	ds_read_b128 v[96:99], v94 offset:496
	s_waitcnt vmcnt(0) lgkmcnt(0)
	v_fmac_f64_e32 v[92:93], v[100:101], v[96:97]
	buffer_load_dword v97, off, s[0:3], 0 offset:156
	buffer_load_dword v96, off, s[0:3], 0 offset:152
	buffer_load_dword v101, off, s[0:3], 0 offset:164
	buffer_load_dword v100, off, s[0:3], 0 offset:160
	s_waitcnt vmcnt(2)
	v_fmac_f64_e32 v[92:93], v[96:97], v[98:99]
	ds_read_b128 v[96:99], v94 offset:512
	s_waitcnt vmcnt(0) lgkmcnt(0)
	v_fmac_f64_e32 v[92:93], v[100:101], v[96:97]
	buffer_load_dword v97, off, s[0:3], 0 offset:172
	buffer_load_dword v96, off, s[0:3], 0 offset:168
	buffer_load_dword v101, off, s[0:3], 0 offset:180
	buffer_load_dword v100, off, s[0:3], 0 offset:176
	;; [unrolled: 9-line block ×11, first 2 shown]
	s_waitcnt vmcnt(2)
	v_fmac_f64_e32 v[92:93], v[96:97], v[98:99]
	ds_read_b128 v[96:99], v94 offset:672
	s_waitcnt vmcnt(0) lgkmcnt(0)
	v_fmac_f64_e32 v[92:93], v[100:101], v[96:97]
	buffer_load_dword v97, off, s[0:3], 0 offset:332
	buffer_load_dword v96, off, s[0:3], 0 offset:328
	s_waitcnt vmcnt(0)
	v_fmac_f64_e32 v[92:93], v[96:97], v[98:99]
	buffer_load_dword v99, off, s[0:3], 0 offset:340
	buffer_load_dword v98, off, s[0:3], 0 offset:336
	ds_read_b128 v[94:97], v94 offset:688
	s_waitcnt vmcnt(0) lgkmcnt(0)
	v_fmac_f64_e32 v[92:93], v[98:99], v[94:95]
	buffer_load_dword v95, off, s[0:3], 0 offset:348
	buffer_load_dword v94, off, s[0:3], 0 offset:344
	s_waitcnt vmcnt(0)
	v_fmac_f64_e32 v[92:93], v[94:95], v[96:97]
	v_add_f64 v[90:91], v[90:91], -v[92:93]
	buffer_store_dword v91, off, s[0:3], 0 offset:76
	buffer_store_dword v90, off, s[0:3], 0 offset:72
	s_and_saveexec_b64 s[4:5], vcc
	s_cbranch_execz .LBB43_255
; %bb.254:
	buffer_load_dword v90, off, s[0:3], 0 offset:64
	buffer_load_dword v91, off, s[0:3], 0 offset:68
	v_mov_b32_e32 v92, 0
	buffer_store_dword v92, off, s[0:3], 0 offset:64
	buffer_store_dword v92, off, s[0:3], 0 offset:68
	s_waitcnt vmcnt(2)
	ds_write_b64 v1, v[90:91]
.LBB43_255:
	s_or_b64 exec, exec, s[4:5]
	s_waitcnt lgkmcnt(0)
	; wave barrier
	s_waitcnt lgkmcnt(0)
	buffer_load_dword v90, off, s[0:3], 0 offset:64
	buffer_load_dword v91, off, s[0:3], 0 offset:68
	;; [unrolled: 1-line block ×16, first 2 shown]
	v_mov_b32_e32 v94, 0
	ds_read2_b64 v[96:99], v94 offset0:53 offset1:54
	v_cmp_lt_u32_e32 vcc, 7, v0
	s_waitcnt vmcnt(12) lgkmcnt(0)
	v_fma_f64 v[92:93], v[92:93], v[96:97], 0
	s_waitcnt vmcnt(10)
	v_fmac_f64_e32 v[92:93], v[100:101], v[98:99]
	ds_read2_b64 v[96:99], v94 offset0:55 offset1:56
	s_waitcnt vmcnt(8) lgkmcnt(0)
	v_fmac_f64_e32 v[92:93], v[102:103], v[96:97]
	s_waitcnt vmcnt(6)
	v_fmac_f64_e32 v[92:93], v[104:105], v[98:99]
	ds_read2_b64 v[96:99], v94 offset0:57 offset1:58
	s_waitcnt vmcnt(4) lgkmcnt(0)
	v_fmac_f64_e32 v[92:93], v[106:107], v[96:97]
	;; [unrolled: 5-line block ×3, first 2 shown]
	buffer_load_dword v97, off, s[0:3], 0 offset:132
	buffer_load_dword v96, off, s[0:3], 0 offset:128
	buffer_load_dword v101, off, s[0:3], 0 offset:140
	buffer_load_dword v100, off, s[0:3], 0 offset:136
	s_waitcnt vmcnt(2)
	v_fmac_f64_e32 v[92:93], v[96:97], v[98:99]
	ds_read2_b64 v[96:99], v94 offset0:61 offset1:62
	s_waitcnt vmcnt(0) lgkmcnt(0)
	v_fmac_f64_e32 v[92:93], v[100:101], v[96:97]
	buffer_load_dword v97, off, s[0:3], 0 offset:148
	buffer_load_dword v96, off, s[0:3], 0 offset:144
	buffer_load_dword v101, off, s[0:3], 0 offset:156
	buffer_load_dword v100, off, s[0:3], 0 offset:152
	s_waitcnt vmcnt(2)
	v_fmac_f64_e32 v[92:93], v[96:97], v[98:99]
	ds_read2_b64 v[96:99], v94 offset0:63 offset1:64
	s_waitcnt vmcnt(0) lgkmcnt(0)
	v_fmac_f64_e32 v[92:93], v[100:101], v[96:97]
	;; [unrolled: 9-line block ×13, first 2 shown]
	buffer_load_dword v97, off, s[0:3], 0 offset:340
	buffer_load_dword v96, off, s[0:3], 0 offset:336
	s_waitcnt vmcnt(0)
	v_fmac_f64_e32 v[92:93], v[96:97], v[98:99]
	buffer_load_dword v97, off, s[0:3], 0 offset:348
	buffer_load_dword v96, off, s[0:3], 0 offset:344
	ds_read_b64 v[98:99], v94 offset:696
	s_waitcnt vmcnt(0) lgkmcnt(0)
	v_fmac_f64_e32 v[92:93], v[96:97], v[98:99]
	v_add_f64 v[90:91], v[90:91], -v[92:93]
	buffer_store_dword v91, off, s[0:3], 0 offset:68
	buffer_store_dword v90, off, s[0:3], 0 offset:64
	s_and_saveexec_b64 s[4:5], vcc
	s_cbranch_execz .LBB43_257
; %bb.256:
	buffer_load_dword v90, off, s[0:3], 0 offset:56
	buffer_load_dword v91, off, s[0:3], 0 offset:60
	s_waitcnt vmcnt(0)
	ds_write_b64 v1, v[90:91]
	buffer_store_dword v94, off, s[0:3], 0 offset:56
	buffer_store_dword v94, off, s[0:3], 0 offset:60
.LBB43_257:
	s_or_b64 exec, exec, s[4:5]
	s_waitcnt lgkmcnt(0)
	; wave barrier
	s_waitcnt lgkmcnt(0)
	buffer_load_dword v90, off, s[0:3], 0 offset:56
	buffer_load_dword v91, off, s[0:3], 0 offset:60
	buffer_load_dword v92, off, s[0:3], 0 offset:64
	buffer_load_dword v93, off, s[0:3], 0 offset:68
	buffer_load_dword v112, off, s[0:3], 0 offset:72
	buffer_load_dword v113, off, s[0:3], 0 offset:76
	buffer_load_dword v114, off, s[0:3], 0 offset:80
	buffer_load_dword v115, off, s[0:3], 0 offset:84
	buffer_load_dword v116, off, s[0:3], 0 offset:88
	buffer_load_dword v117, off, s[0:3], 0 offset:92
	buffer_load_dword v118, off, s[0:3], 0 offset:96
	buffer_load_dword v119, off, s[0:3], 0 offset:100
	buffer_load_dword v120, off, s[0:3], 0 offset:104
	buffer_load_dword v121, off, s[0:3], 0 offset:108
	buffer_load_dword v122, off, s[0:3], 0 offset:112
	buffer_load_dword v123, off, s[0:3], 0 offset:116
	ds_read_b128 v[96:99], v94 offset:416
	ds_read_b128 v[100:103], v94 offset:432
	;; [unrolled: 1-line block ×4, first 2 shown]
	v_cmp_lt_u32_e32 vcc, 6, v0
	s_waitcnt vmcnt(12) lgkmcnt(3)
	v_fma_f64 v[92:93], v[92:93], v[96:97], 0
	buffer_load_dword v97, off, s[0:3], 0 offset:124
	buffer_load_dword v96, off, s[0:3], 0 offset:120
	s_waitcnt vmcnt(12)
	v_fmac_f64_e32 v[92:93], v[112:113], v[98:99]
	s_waitcnt vmcnt(10) lgkmcnt(2)
	v_fmac_f64_e32 v[92:93], v[114:115], v[100:101]
	buffer_load_dword v101, off, s[0:3], 0 offset:132
	buffer_load_dword v100, off, s[0:3], 0 offset:128
	s_waitcnt vmcnt(10)
	v_fmac_f64_e32 v[92:93], v[116:117], v[102:103]
	s_waitcnt vmcnt(8) lgkmcnt(1)
	v_fmac_f64_e32 v[92:93], v[118:119], v[104:105]
	s_waitcnt vmcnt(6)
	v_fmac_f64_e32 v[92:93], v[120:121], v[106:107]
	s_waitcnt vmcnt(4) lgkmcnt(0)
	v_fmac_f64_e32 v[92:93], v[122:123], v[108:109]
	s_waitcnt vmcnt(2)
	v_fmac_f64_e32 v[92:93], v[96:97], v[110:111]
	ds_read_b128 v[96:99], v94 offset:480
	s_waitcnt vmcnt(0) lgkmcnt(0)
	v_fmac_f64_e32 v[92:93], v[100:101], v[96:97]
	buffer_load_dword v97, off, s[0:3], 0 offset:140
	buffer_load_dword v96, off, s[0:3], 0 offset:136
	buffer_load_dword v101, off, s[0:3], 0 offset:148
	buffer_load_dword v100, off, s[0:3], 0 offset:144
	s_waitcnt vmcnt(2)
	v_fmac_f64_e32 v[92:93], v[96:97], v[98:99]
	ds_read_b128 v[96:99], v94 offset:496
	s_waitcnt vmcnt(0) lgkmcnt(0)
	v_fmac_f64_e32 v[92:93], v[100:101], v[96:97]
	buffer_load_dword v97, off, s[0:3], 0 offset:156
	buffer_load_dword v96, off, s[0:3], 0 offset:152
	buffer_load_dword v101, off, s[0:3], 0 offset:164
	buffer_load_dword v100, off, s[0:3], 0 offset:160
	;; [unrolled: 9-line block ×12, first 2 shown]
	s_waitcnt vmcnt(2)
	v_fmac_f64_e32 v[92:93], v[96:97], v[98:99]
	ds_read_b128 v[96:99], v94 offset:672
	s_waitcnt vmcnt(0) lgkmcnt(0)
	v_fmac_f64_e32 v[92:93], v[100:101], v[96:97]
	buffer_load_dword v97, off, s[0:3], 0 offset:332
	buffer_load_dword v96, off, s[0:3], 0 offset:328
	s_waitcnt vmcnt(0)
	v_fmac_f64_e32 v[92:93], v[96:97], v[98:99]
	buffer_load_dword v99, off, s[0:3], 0 offset:340
	buffer_load_dword v98, off, s[0:3], 0 offset:336
	ds_read_b128 v[94:97], v94 offset:688
	s_waitcnt vmcnt(0) lgkmcnt(0)
	v_fmac_f64_e32 v[92:93], v[98:99], v[94:95]
	buffer_load_dword v95, off, s[0:3], 0 offset:348
	buffer_load_dword v94, off, s[0:3], 0 offset:344
	s_waitcnt vmcnt(0)
	v_fmac_f64_e32 v[92:93], v[94:95], v[96:97]
	v_add_f64 v[90:91], v[90:91], -v[92:93]
	buffer_store_dword v91, off, s[0:3], 0 offset:60
	buffer_store_dword v90, off, s[0:3], 0 offset:56
	s_and_saveexec_b64 s[4:5], vcc
	s_cbranch_execz .LBB43_259
; %bb.258:
	buffer_load_dword v90, off, s[0:3], 0 offset:48
	buffer_load_dword v91, off, s[0:3], 0 offset:52
	v_mov_b32_e32 v92, 0
	buffer_store_dword v92, off, s[0:3], 0 offset:48
	buffer_store_dword v92, off, s[0:3], 0 offset:52
	s_waitcnt vmcnt(2)
	ds_write_b64 v1, v[90:91]
.LBB43_259:
	s_or_b64 exec, exec, s[4:5]
	s_waitcnt lgkmcnt(0)
	; wave barrier
	s_waitcnt lgkmcnt(0)
	buffer_load_dword v90, off, s[0:3], 0 offset:48
	buffer_load_dword v91, off, s[0:3], 0 offset:52
	;; [unrolled: 1-line block ×16, first 2 shown]
	v_mov_b32_e32 v94, 0
	ds_read2_b64 v[96:99], v94 offset0:51 offset1:52
	v_cmp_lt_u32_e32 vcc, 5, v0
	s_waitcnt vmcnt(12) lgkmcnt(0)
	v_fma_f64 v[92:93], v[92:93], v[96:97], 0
	s_waitcnt vmcnt(10)
	v_fmac_f64_e32 v[92:93], v[100:101], v[98:99]
	ds_read2_b64 v[96:99], v94 offset0:53 offset1:54
	s_waitcnt vmcnt(8) lgkmcnt(0)
	v_fmac_f64_e32 v[92:93], v[102:103], v[96:97]
	s_waitcnt vmcnt(6)
	v_fmac_f64_e32 v[92:93], v[104:105], v[98:99]
	ds_read2_b64 v[96:99], v94 offset0:55 offset1:56
	s_waitcnt vmcnt(4) lgkmcnt(0)
	v_fmac_f64_e32 v[92:93], v[106:107], v[96:97]
	;; [unrolled: 5-line block ×3, first 2 shown]
	buffer_load_dword v97, off, s[0:3], 0 offset:116
	buffer_load_dword v96, off, s[0:3], 0 offset:112
	buffer_load_dword v101, off, s[0:3], 0 offset:124
	buffer_load_dword v100, off, s[0:3], 0 offset:120
	s_waitcnt vmcnt(2)
	v_fmac_f64_e32 v[92:93], v[96:97], v[98:99]
	ds_read2_b64 v[96:99], v94 offset0:59 offset1:60
	s_waitcnt vmcnt(0) lgkmcnt(0)
	v_fmac_f64_e32 v[92:93], v[100:101], v[96:97]
	buffer_load_dword v97, off, s[0:3], 0 offset:132
	buffer_load_dword v96, off, s[0:3], 0 offset:128
	buffer_load_dword v101, off, s[0:3], 0 offset:140
	buffer_load_dword v100, off, s[0:3], 0 offset:136
	s_waitcnt vmcnt(2)
	v_fmac_f64_e32 v[92:93], v[96:97], v[98:99]
	ds_read2_b64 v[96:99], v94 offset0:61 offset1:62
	s_waitcnt vmcnt(0) lgkmcnt(0)
	v_fmac_f64_e32 v[92:93], v[100:101], v[96:97]
	buffer_load_dword v97, off, s[0:3], 0 offset:148
	buffer_load_dword v96, off, s[0:3], 0 offset:144
	buffer_load_dword v101, off, s[0:3], 0 offset:156
	buffer_load_dword v100, off, s[0:3], 0 offset:152
	s_waitcnt vmcnt(2)
	v_fmac_f64_e32 v[92:93], v[96:97], v[98:99]
	ds_read2_b64 v[96:99], v94 offset0:63 offset1:64
	s_waitcnt vmcnt(0) lgkmcnt(0)
	v_fmac_f64_e32 v[92:93], v[100:101], v[96:97]
	buffer_load_dword v97, off, s[0:3], 0 offset:164
	buffer_load_dword v96, off, s[0:3], 0 offset:160
	buffer_load_dword v101, off, s[0:3], 0 offset:172
	buffer_load_dword v100, off, s[0:3], 0 offset:168
	s_waitcnt vmcnt(2)
	v_fmac_f64_e32 v[92:93], v[96:97], v[98:99]
	ds_read2_b64 v[96:99], v94 offset0:65 offset1:66
	s_waitcnt vmcnt(0) lgkmcnt(0)
	v_fmac_f64_e32 v[92:93], v[100:101], v[96:97]
	buffer_load_dword v97, off, s[0:3], 0 offset:180
	buffer_load_dword v96, off, s[0:3], 0 offset:176
	buffer_load_dword v101, off, s[0:3], 0 offset:188
	buffer_load_dword v100, off, s[0:3], 0 offset:184
	s_waitcnt vmcnt(2)
	v_fmac_f64_e32 v[92:93], v[96:97], v[98:99]
	ds_read2_b64 v[96:99], v94 offset0:67 offset1:68
	s_waitcnt vmcnt(0) lgkmcnt(0)
	v_fmac_f64_e32 v[92:93], v[100:101], v[96:97]
	buffer_load_dword v97, off, s[0:3], 0 offset:196
	buffer_load_dword v96, off, s[0:3], 0 offset:192
	buffer_load_dword v101, off, s[0:3], 0 offset:204
	buffer_load_dword v100, off, s[0:3], 0 offset:200
	s_waitcnt vmcnt(2)
	v_fmac_f64_e32 v[92:93], v[96:97], v[98:99]
	ds_read2_b64 v[96:99], v94 offset0:69 offset1:70
	s_waitcnt vmcnt(0) lgkmcnt(0)
	v_fmac_f64_e32 v[92:93], v[100:101], v[96:97]
	buffer_load_dword v97, off, s[0:3], 0 offset:212
	buffer_load_dword v96, off, s[0:3], 0 offset:208
	buffer_load_dword v101, off, s[0:3], 0 offset:220
	buffer_load_dword v100, off, s[0:3], 0 offset:216
	s_waitcnt vmcnt(2)
	v_fmac_f64_e32 v[92:93], v[96:97], v[98:99]
	ds_read2_b64 v[96:99], v94 offset0:71 offset1:72
	s_waitcnt vmcnt(0) lgkmcnt(0)
	v_fmac_f64_e32 v[92:93], v[100:101], v[96:97]
	buffer_load_dword v97, off, s[0:3], 0 offset:228
	buffer_load_dword v96, off, s[0:3], 0 offset:224
	buffer_load_dword v101, off, s[0:3], 0 offset:236
	buffer_load_dword v100, off, s[0:3], 0 offset:232
	s_waitcnt vmcnt(2)
	v_fmac_f64_e32 v[92:93], v[96:97], v[98:99]
	ds_read2_b64 v[96:99], v94 offset0:73 offset1:74
	s_waitcnt vmcnt(0) lgkmcnt(0)
	v_fmac_f64_e32 v[92:93], v[100:101], v[96:97]
	buffer_load_dword v97, off, s[0:3], 0 offset:244
	buffer_load_dword v96, off, s[0:3], 0 offset:240
	buffer_load_dword v101, off, s[0:3], 0 offset:252
	buffer_load_dword v100, off, s[0:3], 0 offset:248
	s_waitcnt vmcnt(2)
	v_fmac_f64_e32 v[92:93], v[96:97], v[98:99]
	ds_read2_b64 v[96:99], v94 offset0:75 offset1:76
	s_waitcnt vmcnt(0) lgkmcnt(0)
	v_fmac_f64_e32 v[92:93], v[100:101], v[96:97]
	buffer_load_dword v97, off, s[0:3], 0 offset:260
	buffer_load_dword v96, off, s[0:3], 0 offset:256
	buffer_load_dword v101, off, s[0:3], 0 offset:268
	buffer_load_dword v100, off, s[0:3], 0 offset:264
	s_waitcnt vmcnt(2)
	v_fmac_f64_e32 v[92:93], v[96:97], v[98:99]
	ds_read2_b64 v[96:99], v94 offset0:77 offset1:78
	s_waitcnt vmcnt(0) lgkmcnt(0)
	v_fmac_f64_e32 v[92:93], v[100:101], v[96:97]
	buffer_load_dword v97, off, s[0:3], 0 offset:276
	buffer_load_dword v96, off, s[0:3], 0 offset:272
	buffer_load_dword v101, off, s[0:3], 0 offset:284
	buffer_load_dword v100, off, s[0:3], 0 offset:280
	s_waitcnt vmcnt(2)
	v_fmac_f64_e32 v[92:93], v[96:97], v[98:99]
	ds_read2_b64 v[96:99], v94 offset0:79 offset1:80
	s_waitcnt vmcnt(0) lgkmcnt(0)
	v_fmac_f64_e32 v[92:93], v[100:101], v[96:97]
	buffer_load_dword v97, off, s[0:3], 0 offset:292
	buffer_load_dword v96, off, s[0:3], 0 offset:288
	buffer_load_dword v101, off, s[0:3], 0 offset:300
	buffer_load_dword v100, off, s[0:3], 0 offset:296
	s_waitcnt vmcnt(2)
	v_fmac_f64_e32 v[92:93], v[96:97], v[98:99]
	ds_read2_b64 v[96:99], v94 offset0:81 offset1:82
	s_waitcnt vmcnt(0) lgkmcnt(0)
	v_fmac_f64_e32 v[92:93], v[100:101], v[96:97]
	buffer_load_dword v97, off, s[0:3], 0 offset:308
	buffer_load_dword v96, off, s[0:3], 0 offset:304
	buffer_load_dword v101, off, s[0:3], 0 offset:316
	buffer_load_dword v100, off, s[0:3], 0 offset:312
	s_waitcnt vmcnt(2)
	v_fmac_f64_e32 v[92:93], v[96:97], v[98:99]
	ds_read2_b64 v[96:99], v94 offset0:83 offset1:84
	s_waitcnt vmcnt(0) lgkmcnt(0)
	v_fmac_f64_e32 v[92:93], v[100:101], v[96:97]
	buffer_load_dword v97, off, s[0:3], 0 offset:324
	buffer_load_dword v96, off, s[0:3], 0 offset:320
	buffer_load_dword v101, off, s[0:3], 0 offset:332
	buffer_load_dword v100, off, s[0:3], 0 offset:328
	s_waitcnt vmcnt(2)
	v_fmac_f64_e32 v[92:93], v[96:97], v[98:99]
	ds_read2_b64 v[96:99], v94 offset0:85 offset1:86
	s_waitcnt vmcnt(0) lgkmcnt(0)
	v_fmac_f64_e32 v[92:93], v[100:101], v[96:97]
	buffer_load_dword v97, off, s[0:3], 0 offset:340
	buffer_load_dword v96, off, s[0:3], 0 offset:336
	s_waitcnt vmcnt(0)
	v_fmac_f64_e32 v[92:93], v[96:97], v[98:99]
	buffer_load_dword v97, off, s[0:3], 0 offset:348
	buffer_load_dword v96, off, s[0:3], 0 offset:344
	ds_read_b64 v[98:99], v94 offset:696
	s_waitcnt vmcnt(0) lgkmcnt(0)
	v_fmac_f64_e32 v[92:93], v[96:97], v[98:99]
	v_add_f64 v[90:91], v[90:91], -v[92:93]
	buffer_store_dword v91, off, s[0:3], 0 offset:52
	buffer_store_dword v90, off, s[0:3], 0 offset:48
	s_and_saveexec_b64 s[4:5], vcc
	s_cbranch_execz .LBB43_261
; %bb.260:
	buffer_load_dword v90, off, s[0:3], 0 offset:40
	buffer_load_dword v91, off, s[0:3], 0 offset:44
	s_waitcnt vmcnt(0)
	ds_write_b64 v1, v[90:91]
	buffer_store_dword v94, off, s[0:3], 0 offset:40
	buffer_store_dword v94, off, s[0:3], 0 offset:44
.LBB43_261:
	s_or_b64 exec, exec, s[4:5]
	s_waitcnt lgkmcnt(0)
	; wave barrier
	s_waitcnt lgkmcnt(0)
	buffer_load_dword v90, off, s[0:3], 0 offset:40
	buffer_load_dword v91, off, s[0:3], 0 offset:44
	;; [unrolled: 1-line block ×16, first 2 shown]
	ds_read_b128 v[96:99], v94 offset:400
	ds_read_b128 v[100:103], v94 offset:416
	;; [unrolled: 1-line block ×4, first 2 shown]
	v_cmp_lt_u32_e32 vcc, 4, v0
	s_waitcnt vmcnt(12) lgkmcnt(3)
	v_fma_f64 v[92:93], v[92:93], v[96:97], 0
	buffer_load_dword v97, off, s[0:3], 0 offset:108
	buffer_load_dword v96, off, s[0:3], 0 offset:104
	s_waitcnt vmcnt(12)
	v_fmac_f64_e32 v[92:93], v[112:113], v[98:99]
	s_waitcnt vmcnt(10) lgkmcnt(2)
	v_fmac_f64_e32 v[92:93], v[114:115], v[100:101]
	buffer_load_dword v101, off, s[0:3], 0 offset:116
	buffer_load_dword v100, off, s[0:3], 0 offset:112
	s_waitcnt vmcnt(10)
	v_fmac_f64_e32 v[92:93], v[116:117], v[102:103]
	s_waitcnt vmcnt(8) lgkmcnt(1)
	v_fmac_f64_e32 v[92:93], v[118:119], v[104:105]
	s_waitcnt vmcnt(6)
	v_fmac_f64_e32 v[92:93], v[120:121], v[106:107]
	s_waitcnt vmcnt(4) lgkmcnt(0)
	v_fmac_f64_e32 v[92:93], v[122:123], v[108:109]
	s_waitcnt vmcnt(2)
	v_fmac_f64_e32 v[92:93], v[96:97], v[110:111]
	ds_read_b128 v[96:99], v94 offset:464
	s_waitcnt vmcnt(0) lgkmcnt(0)
	v_fmac_f64_e32 v[92:93], v[100:101], v[96:97]
	buffer_load_dword v97, off, s[0:3], 0 offset:124
	buffer_load_dword v96, off, s[0:3], 0 offset:120
	buffer_load_dword v101, off, s[0:3], 0 offset:132
	buffer_load_dword v100, off, s[0:3], 0 offset:128
	s_waitcnt vmcnt(2)
	v_fmac_f64_e32 v[92:93], v[96:97], v[98:99]
	ds_read_b128 v[96:99], v94 offset:480
	s_waitcnt vmcnt(0) lgkmcnt(0)
	v_fmac_f64_e32 v[92:93], v[100:101], v[96:97]
	buffer_load_dword v97, off, s[0:3], 0 offset:140
	buffer_load_dword v96, off, s[0:3], 0 offset:136
	buffer_load_dword v101, off, s[0:3], 0 offset:148
	buffer_load_dword v100, off, s[0:3], 0 offset:144
	;; [unrolled: 9-line block ×13, first 2 shown]
	s_waitcnt vmcnt(2)
	v_fmac_f64_e32 v[92:93], v[96:97], v[98:99]
	ds_read_b128 v[96:99], v94 offset:672
	s_waitcnt vmcnt(0) lgkmcnt(0)
	v_fmac_f64_e32 v[92:93], v[100:101], v[96:97]
	buffer_load_dword v97, off, s[0:3], 0 offset:332
	buffer_load_dword v96, off, s[0:3], 0 offset:328
	s_waitcnt vmcnt(0)
	v_fmac_f64_e32 v[92:93], v[96:97], v[98:99]
	buffer_load_dword v99, off, s[0:3], 0 offset:340
	buffer_load_dword v98, off, s[0:3], 0 offset:336
	ds_read_b128 v[94:97], v94 offset:688
	s_waitcnt vmcnt(0) lgkmcnt(0)
	v_fmac_f64_e32 v[92:93], v[98:99], v[94:95]
	buffer_load_dword v95, off, s[0:3], 0 offset:348
	buffer_load_dword v94, off, s[0:3], 0 offset:344
	s_waitcnt vmcnt(0)
	v_fmac_f64_e32 v[92:93], v[94:95], v[96:97]
	v_add_f64 v[90:91], v[90:91], -v[92:93]
	buffer_store_dword v91, off, s[0:3], 0 offset:44
	buffer_store_dword v90, off, s[0:3], 0 offset:40
	s_and_saveexec_b64 s[4:5], vcc
	s_cbranch_execz .LBB43_263
; %bb.262:
	buffer_load_dword v90, off, s[0:3], 0 offset:32
	buffer_load_dword v91, off, s[0:3], 0 offset:36
	v_mov_b32_e32 v92, 0
	buffer_store_dword v92, off, s[0:3], 0 offset:32
	buffer_store_dword v92, off, s[0:3], 0 offset:36
	s_waitcnt vmcnt(2)
	ds_write_b64 v1, v[90:91]
.LBB43_263:
	s_or_b64 exec, exec, s[4:5]
	s_waitcnt lgkmcnt(0)
	; wave barrier
	s_waitcnt lgkmcnt(0)
	buffer_load_dword v90, off, s[0:3], 0 offset:32
	buffer_load_dword v91, off, s[0:3], 0 offset:36
	;; [unrolled: 1-line block ×16, first 2 shown]
	v_mov_b32_e32 v94, 0
	ds_read2_b64 v[96:99], v94 offset0:49 offset1:50
	v_cmp_lt_u32_e32 vcc, 3, v0
	s_waitcnt vmcnt(12) lgkmcnt(0)
	v_fma_f64 v[92:93], v[92:93], v[96:97], 0
	s_waitcnt vmcnt(10)
	v_fmac_f64_e32 v[92:93], v[100:101], v[98:99]
	ds_read2_b64 v[96:99], v94 offset0:51 offset1:52
	s_waitcnt vmcnt(8) lgkmcnt(0)
	v_fmac_f64_e32 v[92:93], v[102:103], v[96:97]
	s_waitcnt vmcnt(6)
	v_fmac_f64_e32 v[92:93], v[104:105], v[98:99]
	ds_read2_b64 v[96:99], v94 offset0:53 offset1:54
	s_waitcnt vmcnt(4) lgkmcnt(0)
	v_fmac_f64_e32 v[92:93], v[106:107], v[96:97]
	;; [unrolled: 5-line block ×3, first 2 shown]
	buffer_load_dword v97, off, s[0:3], 0 offset:100
	buffer_load_dword v96, off, s[0:3], 0 offset:96
	buffer_load_dword v101, off, s[0:3], 0 offset:108
	buffer_load_dword v100, off, s[0:3], 0 offset:104
	s_waitcnt vmcnt(2)
	v_fmac_f64_e32 v[92:93], v[96:97], v[98:99]
	ds_read2_b64 v[96:99], v94 offset0:57 offset1:58
	s_waitcnt vmcnt(0) lgkmcnt(0)
	v_fmac_f64_e32 v[92:93], v[100:101], v[96:97]
	buffer_load_dword v97, off, s[0:3], 0 offset:116
	buffer_load_dword v96, off, s[0:3], 0 offset:112
	buffer_load_dword v101, off, s[0:3], 0 offset:124
	buffer_load_dword v100, off, s[0:3], 0 offset:120
	s_waitcnt vmcnt(2)
	v_fmac_f64_e32 v[92:93], v[96:97], v[98:99]
	ds_read2_b64 v[96:99], v94 offset0:59 offset1:60
	s_waitcnt vmcnt(0) lgkmcnt(0)
	v_fmac_f64_e32 v[92:93], v[100:101], v[96:97]
	;; [unrolled: 9-line block ×15, first 2 shown]
	buffer_load_dword v97, off, s[0:3], 0 offset:340
	buffer_load_dword v96, off, s[0:3], 0 offset:336
	s_waitcnt vmcnt(0)
	v_fmac_f64_e32 v[92:93], v[96:97], v[98:99]
	buffer_load_dword v97, off, s[0:3], 0 offset:348
	buffer_load_dword v96, off, s[0:3], 0 offset:344
	ds_read_b64 v[98:99], v94 offset:696
	s_waitcnt vmcnt(0) lgkmcnt(0)
	v_fmac_f64_e32 v[92:93], v[96:97], v[98:99]
	v_add_f64 v[90:91], v[90:91], -v[92:93]
	buffer_store_dword v91, off, s[0:3], 0 offset:36
	buffer_store_dword v90, off, s[0:3], 0 offset:32
	s_and_saveexec_b64 s[4:5], vcc
	s_cbranch_execz .LBB43_265
; %bb.264:
	buffer_load_dword v90, off, s[0:3], 0 offset:24
	buffer_load_dword v91, off, s[0:3], 0 offset:28
	s_waitcnt vmcnt(0)
	ds_write_b64 v1, v[90:91]
	buffer_store_dword v94, off, s[0:3], 0 offset:24
	buffer_store_dword v94, off, s[0:3], 0 offset:28
.LBB43_265:
	s_or_b64 exec, exec, s[4:5]
	s_waitcnt lgkmcnt(0)
	; wave barrier
	s_waitcnt lgkmcnt(0)
	buffer_load_dword v90, off, s[0:3], 0 offset:24
	buffer_load_dword v91, off, s[0:3], 0 offset:28
	;; [unrolled: 1-line block ×16, first 2 shown]
	ds_read_b128 v[96:99], v94 offset:384
	ds_read_b128 v[100:103], v94 offset:400
	;; [unrolled: 1-line block ×4, first 2 shown]
	v_cmp_lt_u32_e32 vcc, 2, v0
	s_waitcnt vmcnt(12) lgkmcnt(3)
	v_fma_f64 v[92:93], v[92:93], v[96:97], 0
	buffer_load_dword v97, off, s[0:3], 0 offset:92
	buffer_load_dword v96, off, s[0:3], 0 offset:88
	s_waitcnt vmcnt(12)
	v_fmac_f64_e32 v[92:93], v[112:113], v[98:99]
	s_waitcnt vmcnt(10) lgkmcnt(2)
	v_fmac_f64_e32 v[92:93], v[114:115], v[100:101]
	buffer_load_dword v101, off, s[0:3], 0 offset:100
	buffer_load_dword v100, off, s[0:3], 0 offset:96
	s_waitcnt vmcnt(10)
	v_fmac_f64_e32 v[92:93], v[116:117], v[102:103]
	s_waitcnt vmcnt(8) lgkmcnt(1)
	v_fmac_f64_e32 v[92:93], v[118:119], v[104:105]
	s_waitcnt vmcnt(6)
	v_fmac_f64_e32 v[92:93], v[120:121], v[106:107]
	s_waitcnt vmcnt(4) lgkmcnt(0)
	v_fmac_f64_e32 v[92:93], v[122:123], v[108:109]
	s_waitcnt vmcnt(2)
	v_fmac_f64_e32 v[92:93], v[96:97], v[110:111]
	ds_read_b128 v[96:99], v94 offset:448
	s_waitcnt vmcnt(0) lgkmcnt(0)
	v_fmac_f64_e32 v[92:93], v[100:101], v[96:97]
	buffer_load_dword v97, off, s[0:3], 0 offset:108
	buffer_load_dword v96, off, s[0:3], 0 offset:104
	buffer_load_dword v101, off, s[0:3], 0 offset:116
	buffer_load_dword v100, off, s[0:3], 0 offset:112
	s_waitcnt vmcnt(2)
	v_fmac_f64_e32 v[92:93], v[96:97], v[98:99]
	ds_read_b128 v[96:99], v94 offset:464
	s_waitcnt vmcnt(0) lgkmcnt(0)
	v_fmac_f64_e32 v[92:93], v[100:101], v[96:97]
	buffer_load_dword v97, off, s[0:3], 0 offset:124
	buffer_load_dword v96, off, s[0:3], 0 offset:120
	buffer_load_dword v101, off, s[0:3], 0 offset:132
	buffer_load_dword v100, off, s[0:3], 0 offset:128
	;; [unrolled: 9-line block ×14, first 2 shown]
	s_waitcnt vmcnt(2)
	v_fmac_f64_e32 v[92:93], v[96:97], v[98:99]
	ds_read_b128 v[96:99], v94 offset:672
	s_waitcnt vmcnt(0) lgkmcnt(0)
	v_fmac_f64_e32 v[92:93], v[100:101], v[96:97]
	buffer_load_dword v97, off, s[0:3], 0 offset:332
	buffer_load_dword v96, off, s[0:3], 0 offset:328
	s_waitcnt vmcnt(0)
	v_fmac_f64_e32 v[92:93], v[96:97], v[98:99]
	buffer_load_dword v99, off, s[0:3], 0 offset:340
	buffer_load_dword v98, off, s[0:3], 0 offset:336
	ds_read_b128 v[94:97], v94 offset:688
	s_waitcnt vmcnt(0) lgkmcnt(0)
	v_fmac_f64_e32 v[92:93], v[98:99], v[94:95]
	buffer_load_dword v95, off, s[0:3], 0 offset:348
	buffer_load_dword v94, off, s[0:3], 0 offset:344
	s_waitcnt vmcnt(0)
	v_fmac_f64_e32 v[92:93], v[94:95], v[96:97]
	v_add_f64 v[90:91], v[90:91], -v[92:93]
	buffer_store_dword v91, off, s[0:3], 0 offset:28
	buffer_store_dword v90, off, s[0:3], 0 offset:24
	s_and_saveexec_b64 s[4:5], vcc
	s_cbranch_execz .LBB43_267
; %bb.266:
	buffer_load_dword v90, off, s[0:3], 0 offset:16
	buffer_load_dword v91, off, s[0:3], 0 offset:20
	v_mov_b32_e32 v92, 0
	buffer_store_dword v92, off, s[0:3], 0 offset:16
	buffer_store_dword v92, off, s[0:3], 0 offset:20
	s_waitcnt vmcnt(2)
	ds_write_b64 v1, v[90:91]
.LBB43_267:
	s_or_b64 exec, exec, s[4:5]
	s_waitcnt lgkmcnt(0)
	; wave barrier
	s_waitcnt lgkmcnt(0)
	buffer_load_dword v90, off, s[0:3], 0 offset:16
	buffer_load_dword v91, off, s[0:3], 0 offset:20
	buffer_load_dword v92, off, s[0:3], 0 offset:24
	buffer_load_dword v93, off, s[0:3], 0 offset:28
	buffer_load_dword v100, off, s[0:3], 0 offset:32
	buffer_load_dword v101, off, s[0:3], 0 offset:36
	buffer_load_dword v102, off, s[0:3], 0 offset:40
	buffer_load_dword v103, off, s[0:3], 0 offset:44
	buffer_load_dword v104, off, s[0:3], 0 offset:48
	buffer_load_dword v105, off, s[0:3], 0 offset:52
	buffer_load_dword v106, off, s[0:3], 0 offset:56
	buffer_load_dword v107, off, s[0:3], 0 offset:60
	buffer_load_dword v108, off, s[0:3], 0 offset:64
	buffer_load_dword v109, off, s[0:3], 0 offset:68
	buffer_load_dword v110, off, s[0:3], 0 offset:72
	buffer_load_dword v111, off, s[0:3], 0 offset:76
	v_mov_b32_e32 v94, 0
	ds_read2_b64 v[96:99], v94 offset0:47 offset1:48
	v_cmp_lt_u32_e32 vcc, 1, v0
	s_waitcnt vmcnt(12) lgkmcnt(0)
	v_fma_f64 v[92:93], v[92:93], v[96:97], 0
	s_waitcnt vmcnt(10)
	v_fmac_f64_e32 v[92:93], v[100:101], v[98:99]
	ds_read2_b64 v[96:99], v94 offset0:49 offset1:50
	s_waitcnt vmcnt(8) lgkmcnt(0)
	v_fmac_f64_e32 v[92:93], v[102:103], v[96:97]
	s_waitcnt vmcnt(6)
	v_fmac_f64_e32 v[92:93], v[104:105], v[98:99]
	ds_read2_b64 v[96:99], v94 offset0:51 offset1:52
	s_waitcnt vmcnt(4) lgkmcnt(0)
	v_fmac_f64_e32 v[92:93], v[106:107], v[96:97]
	s_waitcnt vmcnt(2)
	v_fmac_f64_e32 v[92:93], v[108:109], v[98:99]
	ds_read2_b64 v[96:99], v94 offset0:53 offset1:54
	s_waitcnt vmcnt(0) lgkmcnt(0)
	v_fmac_f64_e32 v[92:93], v[110:111], v[96:97]
	buffer_load_dword v97, off, s[0:3], 0 offset:84
	buffer_load_dword v96, off, s[0:3], 0 offset:80
	buffer_load_dword v101, off, s[0:3], 0 offset:92
	buffer_load_dword v100, off, s[0:3], 0 offset:88
	s_waitcnt vmcnt(2)
	v_fmac_f64_e32 v[92:93], v[96:97], v[98:99]
	ds_read2_b64 v[96:99], v94 offset0:55 offset1:56
	s_waitcnt vmcnt(0) lgkmcnt(0)
	v_fmac_f64_e32 v[92:93], v[100:101], v[96:97]
	buffer_load_dword v97, off, s[0:3], 0 offset:100
	buffer_load_dword v96, off, s[0:3], 0 offset:96
	buffer_load_dword v101, off, s[0:3], 0 offset:108
	buffer_load_dword v100, off, s[0:3], 0 offset:104
	s_waitcnt vmcnt(2)
	v_fmac_f64_e32 v[92:93], v[96:97], v[98:99]
	ds_read2_b64 v[96:99], v94 offset0:57 offset1:58
	s_waitcnt vmcnt(0) lgkmcnt(0)
	v_fmac_f64_e32 v[92:93], v[100:101], v[96:97]
	;; [unrolled: 9-line block ×16, first 2 shown]
	buffer_load_dword v97, off, s[0:3], 0 offset:340
	buffer_load_dword v96, off, s[0:3], 0 offset:336
	s_waitcnt vmcnt(0)
	v_fmac_f64_e32 v[92:93], v[96:97], v[98:99]
	buffer_load_dword v97, off, s[0:3], 0 offset:348
	buffer_load_dword v96, off, s[0:3], 0 offset:344
	ds_read_b64 v[98:99], v94 offset:696
	s_waitcnt vmcnt(0) lgkmcnt(0)
	v_fmac_f64_e32 v[92:93], v[96:97], v[98:99]
	v_add_f64 v[90:91], v[90:91], -v[92:93]
	buffer_store_dword v91, off, s[0:3], 0 offset:20
	buffer_store_dword v90, off, s[0:3], 0 offset:16
	s_and_saveexec_b64 s[4:5], vcc
	s_cbranch_execz .LBB43_269
; %bb.268:
	buffer_load_dword v90, off, s[0:3], 0 offset:8
	buffer_load_dword v91, off, s[0:3], 0 offset:12
	s_waitcnt vmcnt(0)
	ds_write_b64 v1, v[90:91]
	buffer_store_dword v94, off, s[0:3], 0 offset:8
	buffer_store_dword v94, off, s[0:3], 0 offset:12
.LBB43_269:
	s_or_b64 exec, exec, s[4:5]
	s_waitcnt lgkmcnt(0)
	; wave barrier
	s_waitcnt lgkmcnt(0)
	buffer_load_dword v90, off, s[0:3], 0 offset:8
	buffer_load_dword v91, off, s[0:3], 0 offset:12
	;; [unrolled: 1-line block ×16, first 2 shown]
	ds_read_b128 v[96:99], v94 offset:368
	ds_read_b128 v[100:103], v94 offset:384
	;; [unrolled: 1-line block ×4, first 2 shown]
	v_cmp_ne_u32_e32 vcc, 0, v0
	s_waitcnt vmcnt(12) lgkmcnt(3)
	v_fma_f64 v[92:93], v[92:93], v[96:97], 0
	buffer_load_dword v97, off, s[0:3], 0 offset:76
	buffer_load_dword v96, off, s[0:3], 0 offset:72
	s_waitcnt vmcnt(12)
	v_fmac_f64_e32 v[92:93], v[112:113], v[98:99]
	s_waitcnt vmcnt(10) lgkmcnt(2)
	v_fmac_f64_e32 v[92:93], v[114:115], v[100:101]
	buffer_load_dword v101, off, s[0:3], 0 offset:84
	buffer_load_dword v100, off, s[0:3], 0 offset:80
	s_waitcnt vmcnt(10)
	v_fmac_f64_e32 v[92:93], v[116:117], v[102:103]
	s_waitcnt vmcnt(8) lgkmcnt(1)
	v_fmac_f64_e32 v[92:93], v[118:119], v[104:105]
	s_waitcnt vmcnt(6)
	v_fmac_f64_e32 v[92:93], v[120:121], v[106:107]
	s_waitcnt vmcnt(4) lgkmcnt(0)
	v_fmac_f64_e32 v[92:93], v[122:123], v[108:109]
	s_waitcnt vmcnt(2)
	v_fmac_f64_e32 v[92:93], v[96:97], v[110:111]
	ds_read_b128 v[96:99], v94 offset:432
	s_waitcnt vmcnt(0) lgkmcnt(0)
	v_fmac_f64_e32 v[92:93], v[100:101], v[96:97]
	buffer_load_dword v97, off, s[0:3], 0 offset:92
	buffer_load_dword v96, off, s[0:3], 0 offset:88
	buffer_load_dword v101, off, s[0:3], 0 offset:100
	buffer_load_dword v100, off, s[0:3], 0 offset:96
	s_waitcnt vmcnt(2)
	v_fmac_f64_e32 v[92:93], v[96:97], v[98:99]
	ds_read_b128 v[96:99], v94 offset:448
	s_waitcnt vmcnt(0) lgkmcnt(0)
	v_fmac_f64_e32 v[92:93], v[100:101], v[96:97]
	buffer_load_dword v97, off, s[0:3], 0 offset:108
	buffer_load_dword v96, off, s[0:3], 0 offset:104
	buffer_load_dword v101, off, s[0:3], 0 offset:116
	buffer_load_dword v100, off, s[0:3], 0 offset:112
	;; [unrolled: 9-line block ×15, first 2 shown]
	s_waitcnt vmcnt(2)
	v_fmac_f64_e32 v[92:93], v[96:97], v[98:99]
	ds_read_b128 v[96:99], v94 offset:672
	s_waitcnt vmcnt(0) lgkmcnt(0)
	v_fmac_f64_e32 v[92:93], v[100:101], v[96:97]
	buffer_load_dword v97, off, s[0:3], 0 offset:332
	buffer_load_dword v96, off, s[0:3], 0 offset:328
	s_waitcnt vmcnt(0)
	v_fmac_f64_e32 v[92:93], v[96:97], v[98:99]
	buffer_load_dword v99, off, s[0:3], 0 offset:340
	buffer_load_dword v98, off, s[0:3], 0 offset:336
	ds_read_b128 v[94:97], v94 offset:688
	s_waitcnt vmcnt(0) lgkmcnt(0)
	v_fmac_f64_e32 v[92:93], v[98:99], v[94:95]
	buffer_load_dword v95, off, s[0:3], 0 offset:348
	buffer_load_dword v94, off, s[0:3], 0 offset:344
	s_waitcnt vmcnt(0)
	v_fmac_f64_e32 v[92:93], v[94:95], v[96:97]
	v_add_f64 v[90:91], v[90:91], -v[92:93]
	buffer_store_dword v91, off, s[0:3], 0 offset:12
	buffer_store_dword v90, off, s[0:3], 0 offset:8
	s_and_saveexec_b64 s[4:5], vcc
	s_cbranch_execz .LBB43_271
; %bb.270:
	buffer_load_dword v90, off, s[0:3], 0
	buffer_load_dword v91, off, s[0:3], 0 offset:4
	v_mov_b32_e32 v0, 0
	buffer_store_dword v0, off, s[0:3], 0
	buffer_store_dword v0, off, s[0:3], 0 offset:4
	s_waitcnt vmcnt(2)
	ds_write_b64 v1, v[90:91]
.LBB43_271:
	s_or_b64 exec, exec, s[4:5]
	s_waitcnt lgkmcnt(0)
	; wave barrier
	s_waitcnt lgkmcnt(0)
	buffer_load_dword v0, off, s[0:3], 0
	buffer_load_dword v1, off, s[0:3], 0 offset:4
	buffer_load_dword v96, off, s[0:3], 0 offset:8
	;; [unrolled: 1-line block ×15, first 2 shown]
	v_mov_b32_e32 v94, 0
	ds_read2_b64 v[90:93], v94 offset0:45 offset1:46
	s_and_b64 vcc, exec, s[20:21]
	s_waitcnt vmcnt(12) lgkmcnt(0)
	v_fma_f64 v[90:91], v[96:97], v[90:91], 0
	s_waitcnt vmcnt(10)
	v_fmac_f64_e32 v[90:91], v[98:99], v[92:93]
	ds_read2_b64 v[96:99], v94 offset0:47 offset1:48
	s_waitcnt vmcnt(8) lgkmcnt(0)
	v_fmac_f64_e32 v[90:91], v[100:101], v[96:97]
	s_waitcnt vmcnt(6)
	v_fmac_f64_e32 v[90:91], v[102:103], v[98:99]
	ds_read2_b64 v[96:99], v94 offset0:49 offset1:50
	s_waitcnt vmcnt(4) lgkmcnt(0)
	v_fmac_f64_e32 v[90:91], v[104:105], v[96:97]
	s_waitcnt vmcnt(2)
	v_fmac_f64_e32 v[90:91], v[106:107], v[98:99]
	ds_read2_b64 v[96:99], v94 offset0:51 offset1:52
	buffer_load_dword v93, off, s[0:3], 0 offset:68
	buffer_load_dword v92, off, s[0:3], 0 offset:64
	s_waitcnt vmcnt(2) lgkmcnt(0)
	v_fmac_f64_e32 v[90:91], v[108:109], v[96:97]
	s_waitcnt vmcnt(0)
	v_fmac_f64_e32 v[90:91], v[92:93], v[98:99]
	buffer_load_dword v93, off, s[0:3], 0 offset:76
	buffer_load_dword v92, off, s[0:3], 0 offset:72
	ds_read2_b64 v[96:99], v94 offset0:53 offset1:54
	s_waitcnt vmcnt(0) lgkmcnt(0)
	v_fmac_f64_e32 v[90:91], v[92:93], v[96:97]
	buffer_load_dword v93, off, s[0:3], 0 offset:84
	buffer_load_dword v92, off, s[0:3], 0 offset:80
	s_waitcnt vmcnt(0)
	v_fmac_f64_e32 v[90:91], v[92:93], v[98:99]
	buffer_load_dword v93, off, s[0:3], 0 offset:92
	buffer_load_dword v92, off, s[0:3], 0 offset:88
	ds_read2_b64 v[96:99], v94 offset0:55 offset1:56
	s_waitcnt vmcnt(0) lgkmcnt(0)
	v_fmac_f64_e32 v[90:91], v[92:93], v[96:97]
	buffer_load_dword v93, off, s[0:3], 0 offset:100
	buffer_load_dword v92, off, s[0:3], 0 offset:96
	;; [unrolled: 9-line block ×17, first 2 shown]
	buffer_load_dword v97, off, s[0:3], 0 offset:348
	buffer_load_dword v96, off, s[0:3], 0 offset:344
	ds_read_b64 v[94:95], v94 offset:696
	s_waitcnt vmcnt(2)
	v_fmac_f64_e32 v[90:91], v[92:93], v[98:99]
	s_waitcnt vmcnt(0) lgkmcnt(0)
	v_fmac_f64_e32 v[90:91], v[96:97], v[94:95]
	v_add_f64 v[0:1], v[0:1], -v[90:91]
	buffer_store_dword v1, off, s[0:3], 0 offset:4
	buffer_store_dword v0, off, s[0:3], 0
	s_cbranch_vccz .LBB43_359
; %bb.272:
	v_pk_mov_b32 v[0:1], s[10:11], s[10:11] op_sel:[0,1]
	flat_load_dword v0, v[0:1] offset:168
	s_waitcnt vmcnt(0) lgkmcnt(0)
	v_add_u32_e32 v0, -1, v0
	v_cmp_ne_u32_e32 vcc, 42, v0
	s_and_saveexec_b64 s[4:5], vcc
	s_cbranch_execz .LBB43_274
; %bb.273:
	v_mov_b32_e32 v1, 0
	v_lshl_add_u32 v0, v0, 3, v1
	buffer_load_dword v1, v0, s[0:3], 0 offen offset:4
	buffer_load_dword v90, v0, s[0:3], 0 offen
	s_waitcnt vmcnt(1)
	buffer_store_dword v1, off, s[0:3], 0 offset:340
	s_waitcnt vmcnt(1)
	buffer_store_dword v90, off, s[0:3], 0 offset:336
	buffer_store_dword v93, v0, s[0:3], 0 offen offset:4
	buffer_store_dword v92, v0, s[0:3], 0 offen
.LBB43_274:
	s_or_b64 exec, exec, s[4:5]
	v_pk_mov_b32 v[0:1], s[10:11], s[10:11] op_sel:[0,1]
	flat_load_dword v0, v[0:1] offset:164
	s_waitcnt vmcnt(0) lgkmcnt(0)
	v_add_u32_e32 v0, -1, v0
	v_cmp_ne_u32_e32 vcc, 41, v0
	s_and_saveexec_b64 s[4:5], vcc
	s_cbranch_execz .LBB43_276
; %bb.275:
	v_mov_b32_e32 v1, 0
	v_lshl_add_u32 v0, v0, 3, v1
	buffer_load_dword v1, v0, s[0:3], 0 offen
	buffer_load_dword v90, v0, s[0:3], 0 offen offset:4
	buffer_load_dword v91, off, s[0:3], 0 offset:328
	buffer_load_dword v92, off, s[0:3], 0 offset:332
	s_waitcnt vmcnt(3)
	buffer_store_dword v1, off, s[0:3], 0 offset:328
	s_waitcnt vmcnt(3)
	buffer_store_dword v90, off, s[0:3], 0 offset:332
	s_waitcnt vmcnt(3)
	buffer_store_dword v91, v0, s[0:3], 0 offen
	s_waitcnt vmcnt(3)
	buffer_store_dword v92, v0, s[0:3], 0 offen offset:4
.LBB43_276:
	s_or_b64 exec, exec, s[4:5]
	v_pk_mov_b32 v[0:1], s[10:11], s[10:11] op_sel:[0,1]
	flat_load_dword v0, v[0:1] offset:160
	s_waitcnt vmcnt(0) lgkmcnt(0)
	v_add_u32_e32 v0, -1, v0
	v_cmp_ne_u32_e32 vcc, 40, v0
	s_and_saveexec_b64 s[4:5], vcc
	s_cbranch_execz .LBB43_278
; %bb.277:
	v_mov_b32_e32 v1, 0
	v_lshl_add_u32 v0, v0, 3, v1
	buffer_load_dword v1, v0, s[0:3], 0 offen
	buffer_load_dword v90, v0, s[0:3], 0 offen offset:4
	buffer_load_dword v91, off, s[0:3], 0 offset:324
	buffer_load_dword v92, off, s[0:3], 0 offset:320
	s_waitcnt vmcnt(3)
	buffer_store_dword v1, off, s[0:3], 0 offset:320
	s_waitcnt vmcnt(3)
	buffer_store_dword v90, off, s[0:3], 0 offset:324
	s_waitcnt vmcnt(3)
	buffer_store_dword v91, v0, s[0:3], 0 offen offset:4
	s_waitcnt vmcnt(3)
	buffer_store_dword v92, v0, s[0:3], 0 offen
.LBB43_278:
	s_or_b64 exec, exec, s[4:5]
	v_pk_mov_b32 v[0:1], s[10:11], s[10:11] op_sel:[0,1]
	flat_load_dword v0, v[0:1] offset:156
	s_waitcnt vmcnt(0) lgkmcnt(0)
	v_add_u32_e32 v0, -1, v0
	v_cmp_ne_u32_e32 vcc, 39, v0
	s_and_saveexec_b64 s[4:5], vcc
	s_cbranch_execz .LBB43_280
; %bb.279:
	v_mov_b32_e32 v1, 0
	v_lshl_add_u32 v0, v0, 3, v1
	buffer_load_dword v1, v0, s[0:3], 0 offen
	buffer_load_dword v90, v0, s[0:3], 0 offen offset:4
	buffer_load_dword v91, off, s[0:3], 0 offset:312
	buffer_load_dword v92, off, s[0:3], 0 offset:316
	s_waitcnt vmcnt(3)
	buffer_store_dword v1, off, s[0:3], 0 offset:312
	s_waitcnt vmcnt(3)
	buffer_store_dword v90, off, s[0:3], 0 offset:316
	s_waitcnt vmcnt(3)
	buffer_store_dword v91, v0, s[0:3], 0 offen
	s_waitcnt vmcnt(3)
	buffer_store_dword v92, v0, s[0:3], 0 offen offset:4
.LBB43_280:
	s_or_b64 exec, exec, s[4:5]
	v_pk_mov_b32 v[0:1], s[10:11], s[10:11] op_sel:[0,1]
	flat_load_dword v0, v[0:1] offset:152
	s_waitcnt vmcnt(0) lgkmcnt(0)
	v_add_u32_e32 v0, -1, v0
	v_cmp_ne_u32_e32 vcc, 38, v0
	s_and_saveexec_b64 s[4:5], vcc
	s_cbranch_execz .LBB43_282
; %bb.281:
	v_mov_b32_e32 v1, 0
	v_lshl_add_u32 v0, v0, 3, v1
	buffer_load_dword v1, v0, s[0:3], 0 offen
	buffer_load_dword v90, v0, s[0:3], 0 offen offset:4
	buffer_load_dword v91, off, s[0:3], 0 offset:308
	buffer_load_dword v92, off, s[0:3], 0 offset:304
	s_waitcnt vmcnt(3)
	buffer_store_dword v1, off, s[0:3], 0 offset:304
	s_waitcnt vmcnt(3)
	buffer_store_dword v90, off, s[0:3], 0 offset:308
	s_waitcnt vmcnt(3)
	buffer_store_dword v91, v0, s[0:3], 0 offen offset:4
	s_waitcnt vmcnt(3)
	buffer_store_dword v92, v0, s[0:3], 0 offen
.LBB43_282:
	s_or_b64 exec, exec, s[4:5]
	v_pk_mov_b32 v[0:1], s[10:11], s[10:11] op_sel:[0,1]
	flat_load_dword v0, v[0:1] offset:148
	s_waitcnt vmcnt(0) lgkmcnt(0)
	v_add_u32_e32 v0, -1, v0
	v_cmp_ne_u32_e32 vcc, 37, v0
	s_and_saveexec_b64 s[4:5], vcc
	s_cbranch_execz .LBB43_284
; %bb.283:
	v_mov_b32_e32 v1, 0
	v_lshl_add_u32 v0, v0, 3, v1
	buffer_load_dword v1, v0, s[0:3], 0 offen
	buffer_load_dword v90, v0, s[0:3], 0 offen offset:4
	buffer_load_dword v91, off, s[0:3], 0 offset:296
	buffer_load_dword v92, off, s[0:3], 0 offset:300
	s_waitcnt vmcnt(3)
	buffer_store_dword v1, off, s[0:3], 0 offset:296
	s_waitcnt vmcnt(3)
	buffer_store_dword v90, off, s[0:3], 0 offset:300
	s_waitcnt vmcnt(3)
	buffer_store_dword v91, v0, s[0:3], 0 offen
	s_waitcnt vmcnt(3)
	buffer_store_dword v92, v0, s[0:3], 0 offen offset:4
.LBB43_284:
	s_or_b64 exec, exec, s[4:5]
	v_pk_mov_b32 v[0:1], s[10:11], s[10:11] op_sel:[0,1]
	flat_load_dword v0, v[0:1] offset:144
	s_waitcnt vmcnt(0) lgkmcnt(0)
	v_add_u32_e32 v0, -1, v0
	v_cmp_ne_u32_e32 vcc, 36, v0
	s_and_saveexec_b64 s[4:5], vcc
	s_cbranch_execz .LBB43_286
; %bb.285:
	v_mov_b32_e32 v1, 0
	v_lshl_add_u32 v0, v0, 3, v1
	buffer_load_dword v1, v0, s[0:3], 0 offen
	buffer_load_dword v90, v0, s[0:3], 0 offen offset:4
	buffer_load_dword v91, off, s[0:3], 0 offset:292
	buffer_load_dword v92, off, s[0:3], 0 offset:288
	s_waitcnt vmcnt(3)
	buffer_store_dword v1, off, s[0:3], 0 offset:288
	s_waitcnt vmcnt(3)
	buffer_store_dword v90, off, s[0:3], 0 offset:292
	s_waitcnt vmcnt(3)
	buffer_store_dword v91, v0, s[0:3], 0 offen offset:4
	s_waitcnt vmcnt(3)
	buffer_store_dword v92, v0, s[0:3], 0 offen
.LBB43_286:
	s_or_b64 exec, exec, s[4:5]
	v_pk_mov_b32 v[0:1], s[10:11], s[10:11] op_sel:[0,1]
	flat_load_dword v0, v[0:1] offset:140
	s_waitcnt vmcnt(0) lgkmcnt(0)
	v_add_u32_e32 v0, -1, v0
	v_cmp_ne_u32_e32 vcc, 35, v0
	s_and_saveexec_b64 s[4:5], vcc
	s_cbranch_execz .LBB43_288
; %bb.287:
	v_mov_b32_e32 v1, 0
	v_lshl_add_u32 v0, v0, 3, v1
	buffer_load_dword v1, v0, s[0:3], 0 offen
	buffer_load_dword v90, v0, s[0:3], 0 offen offset:4
	buffer_load_dword v91, off, s[0:3], 0 offset:280
	buffer_load_dword v92, off, s[0:3], 0 offset:284
	s_waitcnt vmcnt(3)
	buffer_store_dword v1, off, s[0:3], 0 offset:280
	s_waitcnt vmcnt(3)
	buffer_store_dword v90, off, s[0:3], 0 offset:284
	s_waitcnt vmcnt(3)
	buffer_store_dword v91, v0, s[0:3], 0 offen
	s_waitcnt vmcnt(3)
	buffer_store_dword v92, v0, s[0:3], 0 offen offset:4
.LBB43_288:
	s_or_b64 exec, exec, s[4:5]
	v_pk_mov_b32 v[0:1], s[10:11], s[10:11] op_sel:[0,1]
	flat_load_dword v0, v[0:1] offset:136
	s_waitcnt vmcnt(0) lgkmcnt(0)
	v_add_u32_e32 v0, -1, v0
	v_cmp_ne_u32_e32 vcc, 34, v0
	s_and_saveexec_b64 s[4:5], vcc
	s_cbranch_execz .LBB43_290
; %bb.289:
	v_mov_b32_e32 v1, 0
	v_lshl_add_u32 v0, v0, 3, v1
	buffer_load_dword v1, v0, s[0:3], 0 offen
	buffer_load_dword v90, v0, s[0:3], 0 offen offset:4
	buffer_load_dword v91, off, s[0:3], 0 offset:276
	buffer_load_dword v92, off, s[0:3], 0 offset:272
	s_waitcnt vmcnt(3)
	buffer_store_dword v1, off, s[0:3], 0 offset:272
	s_waitcnt vmcnt(3)
	buffer_store_dword v90, off, s[0:3], 0 offset:276
	s_waitcnt vmcnt(3)
	buffer_store_dword v91, v0, s[0:3], 0 offen offset:4
	s_waitcnt vmcnt(3)
	buffer_store_dword v92, v0, s[0:3], 0 offen
.LBB43_290:
	s_or_b64 exec, exec, s[4:5]
	v_pk_mov_b32 v[0:1], s[10:11], s[10:11] op_sel:[0,1]
	flat_load_dword v0, v[0:1] offset:132
	s_waitcnt vmcnt(0) lgkmcnt(0)
	v_add_u32_e32 v0, -1, v0
	v_cmp_ne_u32_e32 vcc, 33, v0
	s_and_saveexec_b64 s[4:5], vcc
	s_cbranch_execz .LBB43_292
; %bb.291:
	v_mov_b32_e32 v1, 0
	v_lshl_add_u32 v0, v0, 3, v1
	buffer_load_dword v1, v0, s[0:3], 0 offen
	buffer_load_dword v90, v0, s[0:3], 0 offen offset:4
	buffer_load_dword v91, off, s[0:3], 0 offset:264
	buffer_load_dword v92, off, s[0:3], 0 offset:268
	s_waitcnt vmcnt(3)
	buffer_store_dword v1, off, s[0:3], 0 offset:264
	s_waitcnt vmcnt(3)
	buffer_store_dword v90, off, s[0:3], 0 offset:268
	s_waitcnt vmcnt(3)
	buffer_store_dword v91, v0, s[0:3], 0 offen
	s_waitcnt vmcnt(3)
	buffer_store_dword v92, v0, s[0:3], 0 offen offset:4
.LBB43_292:
	s_or_b64 exec, exec, s[4:5]
	v_pk_mov_b32 v[0:1], s[10:11], s[10:11] op_sel:[0,1]
	flat_load_dword v0, v[0:1] offset:128
	s_waitcnt vmcnt(0) lgkmcnt(0)
	v_add_u32_e32 v0, -1, v0
	v_cmp_ne_u32_e32 vcc, 32, v0
	s_and_saveexec_b64 s[4:5], vcc
	s_cbranch_execz .LBB43_294
; %bb.293:
	v_mov_b32_e32 v1, 0
	v_lshl_add_u32 v0, v0, 3, v1
	buffer_load_dword v1, v0, s[0:3], 0 offen
	buffer_load_dword v90, v0, s[0:3], 0 offen offset:4
	buffer_load_dword v91, off, s[0:3], 0 offset:260
	buffer_load_dword v92, off, s[0:3], 0 offset:256
	s_waitcnt vmcnt(3)
	buffer_store_dword v1, off, s[0:3], 0 offset:256
	s_waitcnt vmcnt(3)
	buffer_store_dword v90, off, s[0:3], 0 offset:260
	s_waitcnt vmcnt(3)
	buffer_store_dword v91, v0, s[0:3], 0 offen offset:4
	s_waitcnt vmcnt(3)
	buffer_store_dword v92, v0, s[0:3], 0 offen
.LBB43_294:
	s_or_b64 exec, exec, s[4:5]
	v_pk_mov_b32 v[0:1], s[10:11], s[10:11] op_sel:[0,1]
	flat_load_dword v0, v[0:1] offset:124
	s_waitcnt vmcnt(0) lgkmcnt(0)
	v_add_u32_e32 v0, -1, v0
	v_cmp_ne_u32_e32 vcc, 31, v0
	s_and_saveexec_b64 s[4:5], vcc
	s_cbranch_execz .LBB43_296
; %bb.295:
	v_mov_b32_e32 v1, 0
	v_lshl_add_u32 v0, v0, 3, v1
	buffer_load_dword v1, v0, s[0:3], 0 offen
	buffer_load_dword v90, v0, s[0:3], 0 offen offset:4
	buffer_load_dword v91, off, s[0:3], 0 offset:248
	buffer_load_dword v92, off, s[0:3], 0 offset:252
	s_waitcnt vmcnt(3)
	buffer_store_dword v1, off, s[0:3], 0 offset:248
	s_waitcnt vmcnt(3)
	buffer_store_dword v90, off, s[0:3], 0 offset:252
	s_waitcnt vmcnt(3)
	buffer_store_dword v91, v0, s[0:3], 0 offen
	s_waitcnt vmcnt(3)
	buffer_store_dword v92, v0, s[0:3], 0 offen offset:4
.LBB43_296:
	s_or_b64 exec, exec, s[4:5]
	v_pk_mov_b32 v[0:1], s[10:11], s[10:11] op_sel:[0,1]
	flat_load_dword v0, v[0:1] offset:120
	s_waitcnt vmcnt(0) lgkmcnt(0)
	v_add_u32_e32 v0, -1, v0
	v_cmp_ne_u32_e32 vcc, 30, v0
	s_and_saveexec_b64 s[4:5], vcc
	s_cbranch_execz .LBB43_298
; %bb.297:
	v_mov_b32_e32 v1, 0
	v_lshl_add_u32 v0, v0, 3, v1
	buffer_load_dword v1, v0, s[0:3], 0 offen
	buffer_load_dword v90, v0, s[0:3], 0 offen offset:4
	buffer_load_dword v91, off, s[0:3], 0 offset:244
	buffer_load_dword v92, off, s[0:3], 0 offset:240
	s_waitcnt vmcnt(3)
	buffer_store_dword v1, off, s[0:3], 0 offset:240
	s_waitcnt vmcnt(3)
	buffer_store_dword v90, off, s[0:3], 0 offset:244
	s_waitcnt vmcnt(3)
	buffer_store_dword v91, v0, s[0:3], 0 offen offset:4
	s_waitcnt vmcnt(3)
	buffer_store_dword v92, v0, s[0:3], 0 offen
.LBB43_298:
	s_or_b64 exec, exec, s[4:5]
	v_pk_mov_b32 v[0:1], s[10:11], s[10:11] op_sel:[0,1]
	flat_load_dword v0, v[0:1] offset:116
	s_waitcnt vmcnt(0) lgkmcnt(0)
	v_add_u32_e32 v0, -1, v0
	v_cmp_ne_u32_e32 vcc, 29, v0
	s_and_saveexec_b64 s[4:5], vcc
	s_cbranch_execz .LBB43_300
; %bb.299:
	v_mov_b32_e32 v1, 0
	v_lshl_add_u32 v0, v0, 3, v1
	buffer_load_dword v1, v0, s[0:3], 0 offen
	buffer_load_dword v90, v0, s[0:3], 0 offen offset:4
	buffer_load_dword v91, off, s[0:3], 0 offset:232
	buffer_load_dword v92, off, s[0:3], 0 offset:236
	s_waitcnt vmcnt(3)
	buffer_store_dword v1, off, s[0:3], 0 offset:232
	s_waitcnt vmcnt(3)
	buffer_store_dword v90, off, s[0:3], 0 offset:236
	s_waitcnt vmcnt(3)
	buffer_store_dword v91, v0, s[0:3], 0 offen
	s_waitcnt vmcnt(3)
	buffer_store_dword v92, v0, s[0:3], 0 offen offset:4
.LBB43_300:
	s_or_b64 exec, exec, s[4:5]
	v_pk_mov_b32 v[0:1], s[10:11], s[10:11] op_sel:[0,1]
	flat_load_dword v0, v[0:1] offset:112
	s_waitcnt vmcnt(0) lgkmcnt(0)
	v_add_u32_e32 v0, -1, v0
	v_cmp_ne_u32_e32 vcc, 28, v0
	s_and_saveexec_b64 s[4:5], vcc
	s_cbranch_execz .LBB43_302
; %bb.301:
	v_mov_b32_e32 v1, 0
	v_lshl_add_u32 v0, v0, 3, v1
	buffer_load_dword v1, v0, s[0:3], 0 offen
	buffer_load_dword v90, v0, s[0:3], 0 offen offset:4
	buffer_load_dword v91, off, s[0:3], 0 offset:228
	buffer_load_dword v92, off, s[0:3], 0 offset:224
	s_waitcnt vmcnt(3)
	buffer_store_dword v1, off, s[0:3], 0 offset:224
	s_waitcnt vmcnt(3)
	buffer_store_dword v90, off, s[0:3], 0 offset:228
	s_waitcnt vmcnt(3)
	buffer_store_dword v91, v0, s[0:3], 0 offen offset:4
	s_waitcnt vmcnt(3)
	buffer_store_dword v92, v0, s[0:3], 0 offen
.LBB43_302:
	s_or_b64 exec, exec, s[4:5]
	v_pk_mov_b32 v[0:1], s[10:11], s[10:11] op_sel:[0,1]
	flat_load_dword v0, v[0:1] offset:108
	s_waitcnt vmcnt(0) lgkmcnt(0)
	v_add_u32_e32 v0, -1, v0
	v_cmp_ne_u32_e32 vcc, 27, v0
	s_and_saveexec_b64 s[4:5], vcc
	s_cbranch_execz .LBB43_304
; %bb.303:
	v_mov_b32_e32 v1, 0
	v_lshl_add_u32 v0, v0, 3, v1
	buffer_load_dword v1, v0, s[0:3], 0 offen
	buffer_load_dword v90, v0, s[0:3], 0 offen offset:4
	buffer_load_dword v91, off, s[0:3], 0 offset:216
	buffer_load_dword v92, off, s[0:3], 0 offset:220
	s_waitcnt vmcnt(3)
	buffer_store_dword v1, off, s[0:3], 0 offset:216
	s_waitcnt vmcnt(3)
	buffer_store_dword v90, off, s[0:3], 0 offset:220
	s_waitcnt vmcnt(3)
	buffer_store_dword v91, v0, s[0:3], 0 offen
	s_waitcnt vmcnt(3)
	buffer_store_dword v92, v0, s[0:3], 0 offen offset:4
.LBB43_304:
	s_or_b64 exec, exec, s[4:5]
	v_pk_mov_b32 v[0:1], s[10:11], s[10:11] op_sel:[0,1]
	flat_load_dword v0, v[0:1] offset:104
	s_waitcnt vmcnt(0) lgkmcnt(0)
	v_add_u32_e32 v0, -1, v0
	v_cmp_ne_u32_e32 vcc, 26, v0
	s_and_saveexec_b64 s[4:5], vcc
	s_cbranch_execz .LBB43_306
; %bb.305:
	v_mov_b32_e32 v1, 0
	v_lshl_add_u32 v0, v0, 3, v1
	buffer_load_dword v1, v0, s[0:3], 0 offen
	buffer_load_dword v90, v0, s[0:3], 0 offen offset:4
	buffer_load_dword v91, off, s[0:3], 0 offset:212
	buffer_load_dword v92, off, s[0:3], 0 offset:208
	s_waitcnt vmcnt(3)
	buffer_store_dword v1, off, s[0:3], 0 offset:208
	s_waitcnt vmcnt(3)
	buffer_store_dword v90, off, s[0:3], 0 offset:212
	s_waitcnt vmcnt(3)
	buffer_store_dword v91, v0, s[0:3], 0 offen offset:4
	s_waitcnt vmcnt(3)
	buffer_store_dword v92, v0, s[0:3], 0 offen
.LBB43_306:
	s_or_b64 exec, exec, s[4:5]
	v_pk_mov_b32 v[0:1], s[10:11], s[10:11] op_sel:[0,1]
	flat_load_dword v0, v[0:1] offset:100
	s_waitcnt vmcnt(0) lgkmcnt(0)
	v_add_u32_e32 v0, -1, v0
	v_cmp_ne_u32_e32 vcc, 25, v0
	s_and_saveexec_b64 s[4:5], vcc
	s_cbranch_execz .LBB43_308
; %bb.307:
	v_mov_b32_e32 v1, 0
	v_lshl_add_u32 v0, v0, 3, v1
	buffer_load_dword v1, v0, s[0:3], 0 offen
	buffer_load_dword v90, v0, s[0:3], 0 offen offset:4
	buffer_load_dword v91, off, s[0:3], 0 offset:200
	buffer_load_dword v92, off, s[0:3], 0 offset:204
	s_waitcnt vmcnt(3)
	buffer_store_dword v1, off, s[0:3], 0 offset:200
	s_waitcnt vmcnt(3)
	buffer_store_dword v90, off, s[0:3], 0 offset:204
	s_waitcnt vmcnt(3)
	buffer_store_dword v91, v0, s[0:3], 0 offen
	s_waitcnt vmcnt(3)
	buffer_store_dword v92, v0, s[0:3], 0 offen offset:4
.LBB43_308:
	s_or_b64 exec, exec, s[4:5]
	v_pk_mov_b32 v[0:1], s[10:11], s[10:11] op_sel:[0,1]
	flat_load_dword v0, v[0:1] offset:96
	s_waitcnt vmcnt(0) lgkmcnt(0)
	v_add_u32_e32 v0, -1, v0
	v_cmp_ne_u32_e32 vcc, 24, v0
	s_and_saveexec_b64 s[4:5], vcc
	s_cbranch_execz .LBB43_310
; %bb.309:
	v_mov_b32_e32 v1, 0
	v_lshl_add_u32 v0, v0, 3, v1
	buffer_load_dword v1, v0, s[0:3], 0 offen
	buffer_load_dword v90, v0, s[0:3], 0 offen offset:4
	buffer_load_dword v91, off, s[0:3], 0 offset:196
	buffer_load_dword v92, off, s[0:3], 0 offset:192
	s_waitcnt vmcnt(3)
	buffer_store_dword v1, off, s[0:3], 0 offset:192
	s_waitcnt vmcnt(3)
	buffer_store_dword v90, off, s[0:3], 0 offset:196
	s_waitcnt vmcnt(3)
	buffer_store_dword v91, v0, s[0:3], 0 offen offset:4
	s_waitcnt vmcnt(3)
	buffer_store_dword v92, v0, s[0:3], 0 offen
.LBB43_310:
	s_or_b64 exec, exec, s[4:5]
	v_pk_mov_b32 v[0:1], s[10:11], s[10:11] op_sel:[0,1]
	flat_load_dword v0, v[0:1] offset:92
	s_waitcnt vmcnt(0) lgkmcnt(0)
	v_add_u32_e32 v0, -1, v0
	v_cmp_ne_u32_e32 vcc, 23, v0
	s_and_saveexec_b64 s[4:5], vcc
	s_cbranch_execz .LBB43_312
; %bb.311:
	v_mov_b32_e32 v1, 0
	v_lshl_add_u32 v0, v0, 3, v1
	buffer_load_dword v1, v0, s[0:3], 0 offen
	buffer_load_dword v90, v0, s[0:3], 0 offen offset:4
	buffer_load_dword v91, off, s[0:3], 0 offset:184
	buffer_load_dword v92, off, s[0:3], 0 offset:188
	s_waitcnt vmcnt(3)
	buffer_store_dword v1, off, s[0:3], 0 offset:184
	s_waitcnt vmcnt(3)
	buffer_store_dword v90, off, s[0:3], 0 offset:188
	s_waitcnt vmcnt(3)
	buffer_store_dword v91, v0, s[0:3], 0 offen
	s_waitcnt vmcnt(3)
	buffer_store_dword v92, v0, s[0:3], 0 offen offset:4
.LBB43_312:
	s_or_b64 exec, exec, s[4:5]
	v_pk_mov_b32 v[0:1], s[10:11], s[10:11] op_sel:[0,1]
	flat_load_dword v0, v[0:1] offset:88
	s_waitcnt vmcnt(0) lgkmcnt(0)
	v_add_u32_e32 v0, -1, v0
	v_cmp_ne_u32_e32 vcc, 22, v0
	s_and_saveexec_b64 s[4:5], vcc
	s_cbranch_execz .LBB43_314
; %bb.313:
	v_mov_b32_e32 v1, 0
	v_lshl_add_u32 v0, v0, 3, v1
	buffer_load_dword v1, v0, s[0:3], 0 offen
	buffer_load_dword v90, v0, s[0:3], 0 offen offset:4
	buffer_load_dword v91, off, s[0:3], 0 offset:180
	buffer_load_dword v92, off, s[0:3], 0 offset:176
	s_waitcnt vmcnt(3)
	buffer_store_dword v1, off, s[0:3], 0 offset:176
	s_waitcnt vmcnt(3)
	buffer_store_dword v90, off, s[0:3], 0 offset:180
	s_waitcnt vmcnt(3)
	buffer_store_dword v91, v0, s[0:3], 0 offen offset:4
	s_waitcnt vmcnt(3)
	buffer_store_dword v92, v0, s[0:3], 0 offen
.LBB43_314:
	s_or_b64 exec, exec, s[4:5]
	v_pk_mov_b32 v[0:1], s[10:11], s[10:11] op_sel:[0,1]
	flat_load_dword v0, v[0:1] offset:84
	s_waitcnt vmcnt(0) lgkmcnt(0)
	v_add_u32_e32 v0, -1, v0
	v_cmp_ne_u32_e32 vcc, 21, v0
	s_and_saveexec_b64 s[4:5], vcc
	s_cbranch_execz .LBB43_316
; %bb.315:
	v_mov_b32_e32 v1, 0
	v_lshl_add_u32 v0, v0, 3, v1
	buffer_load_dword v1, v0, s[0:3], 0 offen
	buffer_load_dword v90, v0, s[0:3], 0 offen offset:4
	buffer_load_dword v91, off, s[0:3], 0 offset:168
	buffer_load_dword v92, off, s[0:3], 0 offset:172
	s_waitcnt vmcnt(3)
	buffer_store_dword v1, off, s[0:3], 0 offset:168
	s_waitcnt vmcnt(3)
	buffer_store_dword v90, off, s[0:3], 0 offset:172
	s_waitcnt vmcnt(3)
	buffer_store_dword v91, v0, s[0:3], 0 offen
	s_waitcnt vmcnt(3)
	buffer_store_dword v92, v0, s[0:3], 0 offen offset:4
.LBB43_316:
	s_or_b64 exec, exec, s[4:5]
	v_pk_mov_b32 v[0:1], s[10:11], s[10:11] op_sel:[0,1]
	flat_load_dword v0, v[0:1] offset:80
	s_waitcnt vmcnt(0) lgkmcnt(0)
	v_add_u32_e32 v0, -1, v0
	v_cmp_ne_u32_e32 vcc, 20, v0
	s_and_saveexec_b64 s[4:5], vcc
	s_cbranch_execz .LBB43_318
; %bb.317:
	v_mov_b32_e32 v1, 0
	v_lshl_add_u32 v0, v0, 3, v1
	buffer_load_dword v1, v0, s[0:3], 0 offen
	buffer_load_dword v90, v0, s[0:3], 0 offen offset:4
	buffer_load_dword v91, off, s[0:3], 0 offset:164
	buffer_load_dword v92, off, s[0:3], 0 offset:160
	s_waitcnt vmcnt(3)
	buffer_store_dword v1, off, s[0:3], 0 offset:160
	s_waitcnt vmcnt(3)
	buffer_store_dword v90, off, s[0:3], 0 offset:164
	s_waitcnt vmcnt(3)
	buffer_store_dword v91, v0, s[0:3], 0 offen offset:4
	s_waitcnt vmcnt(3)
	buffer_store_dword v92, v0, s[0:3], 0 offen
.LBB43_318:
	s_or_b64 exec, exec, s[4:5]
	v_pk_mov_b32 v[0:1], s[10:11], s[10:11] op_sel:[0,1]
	flat_load_dword v0, v[0:1] offset:76
	s_waitcnt vmcnt(0) lgkmcnt(0)
	v_add_u32_e32 v0, -1, v0
	v_cmp_ne_u32_e32 vcc, 19, v0
	s_and_saveexec_b64 s[4:5], vcc
	s_cbranch_execz .LBB43_320
; %bb.319:
	v_mov_b32_e32 v1, 0
	v_lshl_add_u32 v0, v0, 3, v1
	buffer_load_dword v1, v0, s[0:3], 0 offen
	buffer_load_dword v90, v0, s[0:3], 0 offen offset:4
	buffer_load_dword v91, off, s[0:3], 0 offset:152
	buffer_load_dword v92, off, s[0:3], 0 offset:156
	s_waitcnt vmcnt(3)
	buffer_store_dword v1, off, s[0:3], 0 offset:152
	s_waitcnt vmcnt(3)
	buffer_store_dword v90, off, s[0:3], 0 offset:156
	s_waitcnt vmcnt(3)
	buffer_store_dword v91, v0, s[0:3], 0 offen
	s_waitcnt vmcnt(3)
	buffer_store_dword v92, v0, s[0:3], 0 offen offset:4
.LBB43_320:
	s_or_b64 exec, exec, s[4:5]
	v_pk_mov_b32 v[0:1], s[10:11], s[10:11] op_sel:[0,1]
	flat_load_dword v0, v[0:1] offset:72
	s_waitcnt vmcnt(0) lgkmcnt(0)
	v_add_u32_e32 v0, -1, v0
	v_cmp_ne_u32_e32 vcc, 18, v0
	s_and_saveexec_b64 s[4:5], vcc
	s_cbranch_execz .LBB43_322
; %bb.321:
	v_mov_b32_e32 v1, 0
	v_lshl_add_u32 v0, v0, 3, v1
	buffer_load_dword v1, v0, s[0:3], 0 offen
	buffer_load_dword v90, v0, s[0:3], 0 offen offset:4
	buffer_load_dword v91, off, s[0:3], 0 offset:148
	buffer_load_dword v92, off, s[0:3], 0 offset:144
	s_waitcnt vmcnt(3)
	buffer_store_dword v1, off, s[0:3], 0 offset:144
	s_waitcnt vmcnt(3)
	buffer_store_dword v90, off, s[0:3], 0 offset:148
	s_waitcnt vmcnt(3)
	buffer_store_dword v91, v0, s[0:3], 0 offen offset:4
	s_waitcnt vmcnt(3)
	buffer_store_dword v92, v0, s[0:3], 0 offen
.LBB43_322:
	s_or_b64 exec, exec, s[4:5]
	v_pk_mov_b32 v[0:1], s[10:11], s[10:11] op_sel:[0,1]
	flat_load_dword v0, v[0:1] offset:68
	s_waitcnt vmcnt(0) lgkmcnt(0)
	v_add_u32_e32 v0, -1, v0
	v_cmp_ne_u32_e32 vcc, 17, v0
	s_and_saveexec_b64 s[4:5], vcc
	s_cbranch_execz .LBB43_324
; %bb.323:
	v_mov_b32_e32 v1, 0
	v_lshl_add_u32 v0, v0, 3, v1
	buffer_load_dword v1, v0, s[0:3], 0 offen
	buffer_load_dword v90, v0, s[0:3], 0 offen offset:4
	buffer_load_dword v91, off, s[0:3], 0 offset:136
	buffer_load_dword v92, off, s[0:3], 0 offset:140
	s_waitcnt vmcnt(3)
	buffer_store_dword v1, off, s[0:3], 0 offset:136
	s_waitcnt vmcnt(3)
	buffer_store_dword v90, off, s[0:3], 0 offset:140
	s_waitcnt vmcnt(3)
	buffer_store_dword v91, v0, s[0:3], 0 offen
	s_waitcnt vmcnt(3)
	buffer_store_dword v92, v0, s[0:3], 0 offen offset:4
.LBB43_324:
	s_or_b64 exec, exec, s[4:5]
	v_pk_mov_b32 v[0:1], s[10:11], s[10:11] op_sel:[0,1]
	flat_load_dword v0, v[0:1] offset:64
	s_waitcnt vmcnt(0) lgkmcnt(0)
	v_add_u32_e32 v0, -1, v0
	v_cmp_ne_u32_e32 vcc, 16, v0
	s_and_saveexec_b64 s[4:5], vcc
	s_cbranch_execz .LBB43_326
; %bb.325:
	v_mov_b32_e32 v1, 0
	v_lshl_add_u32 v0, v0, 3, v1
	buffer_load_dword v1, v0, s[0:3], 0 offen
	buffer_load_dword v90, v0, s[0:3], 0 offen offset:4
	buffer_load_dword v91, off, s[0:3], 0 offset:132
	buffer_load_dword v92, off, s[0:3], 0 offset:128
	s_waitcnt vmcnt(3)
	buffer_store_dword v1, off, s[0:3], 0 offset:128
	s_waitcnt vmcnt(3)
	buffer_store_dword v90, off, s[0:3], 0 offset:132
	s_waitcnt vmcnt(3)
	buffer_store_dword v91, v0, s[0:3], 0 offen offset:4
	s_waitcnt vmcnt(3)
	buffer_store_dword v92, v0, s[0:3], 0 offen
.LBB43_326:
	s_or_b64 exec, exec, s[4:5]
	v_pk_mov_b32 v[0:1], s[10:11], s[10:11] op_sel:[0,1]
	flat_load_dword v0, v[0:1] offset:60
	s_waitcnt vmcnt(0) lgkmcnt(0)
	v_add_u32_e32 v0, -1, v0
	v_cmp_ne_u32_e32 vcc, 15, v0
	s_and_saveexec_b64 s[4:5], vcc
	s_cbranch_execz .LBB43_328
; %bb.327:
	v_mov_b32_e32 v1, 0
	v_lshl_add_u32 v0, v0, 3, v1
	buffer_load_dword v1, v0, s[0:3], 0 offen
	buffer_load_dword v90, v0, s[0:3], 0 offen offset:4
	buffer_load_dword v91, off, s[0:3], 0 offset:120
	buffer_load_dword v92, off, s[0:3], 0 offset:124
	s_waitcnt vmcnt(3)
	buffer_store_dword v1, off, s[0:3], 0 offset:120
	s_waitcnt vmcnt(3)
	buffer_store_dword v90, off, s[0:3], 0 offset:124
	s_waitcnt vmcnt(3)
	buffer_store_dword v91, v0, s[0:3], 0 offen
	s_waitcnt vmcnt(3)
	buffer_store_dword v92, v0, s[0:3], 0 offen offset:4
.LBB43_328:
	s_or_b64 exec, exec, s[4:5]
	v_pk_mov_b32 v[0:1], s[10:11], s[10:11] op_sel:[0,1]
	flat_load_dword v0, v[0:1] offset:56
	s_waitcnt vmcnt(0) lgkmcnt(0)
	v_add_u32_e32 v0, -1, v0
	v_cmp_ne_u32_e32 vcc, 14, v0
	s_and_saveexec_b64 s[4:5], vcc
	s_cbranch_execz .LBB43_330
; %bb.329:
	v_mov_b32_e32 v1, 0
	v_lshl_add_u32 v0, v0, 3, v1
	buffer_load_dword v1, v0, s[0:3], 0 offen
	buffer_load_dword v90, v0, s[0:3], 0 offen offset:4
	buffer_load_dword v91, off, s[0:3], 0 offset:116
	buffer_load_dword v92, off, s[0:3], 0 offset:112
	s_waitcnt vmcnt(3)
	buffer_store_dword v1, off, s[0:3], 0 offset:112
	s_waitcnt vmcnt(3)
	buffer_store_dword v90, off, s[0:3], 0 offset:116
	s_waitcnt vmcnt(3)
	buffer_store_dword v91, v0, s[0:3], 0 offen offset:4
	s_waitcnt vmcnt(3)
	buffer_store_dword v92, v0, s[0:3], 0 offen
.LBB43_330:
	s_or_b64 exec, exec, s[4:5]
	v_pk_mov_b32 v[0:1], s[10:11], s[10:11] op_sel:[0,1]
	flat_load_dword v0, v[0:1] offset:52
	s_waitcnt vmcnt(0) lgkmcnt(0)
	v_add_u32_e32 v0, -1, v0
	v_cmp_ne_u32_e32 vcc, 13, v0
	s_and_saveexec_b64 s[4:5], vcc
	s_cbranch_execz .LBB43_332
; %bb.331:
	v_mov_b32_e32 v1, 0
	v_lshl_add_u32 v0, v0, 3, v1
	buffer_load_dword v1, v0, s[0:3], 0 offen
	buffer_load_dword v90, v0, s[0:3], 0 offen offset:4
	buffer_load_dword v91, off, s[0:3], 0 offset:104
	buffer_load_dword v92, off, s[0:3], 0 offset:108
	s_waitcnt vmcnt(3)
	buffer_store_dword v1, off, s[0:3], 0 offset:104
	s_waitcnt vmcnt(3)
	buffer_store_dword v90, off, s[0:3], 0 offset:108
	s_waitcnt vmcnt(3)
	buffer_store_dword v91, v0, s[0:3], 0 offen
	s_waitcnt vmcnt(3)
	buffer_store_dword v92, v0, s[0:3], 0 offen offset:4
.LBB43_332:
	s_or_b64 exec, exec, s[4:5]
	v_pk_mov_b32 v[0:1], s[10:11], s[10:11] op_sel:[0,1]
	flat_load_dword v0, v[0:1] offset:48
	s_waitcnt vmcnt(0) lgkmcnt(0)
	v_add_u32_e32 v0, -1, v0
	v_cmp_ne_u32_e32 vcc, 12, v0
	s_and_saveexec_b64 s[4:5], vcc
	s_cbranch_execz .LBB43_334
; %bb.333:
	v_mov_b32_e32 v1, 0
	v_lshl_add_u32 v0, v0, 3, v1
	buffer_load_dword v1, v0, s[0:3], 0 offen
	buffer_load_dword v90, v0, s[0:3], 0 offen offset:4
	buffer_load_dword v91, off, s[0:3], 0 offset:100
	buffer_load_dword v92, off, s[0:3], 0 offset:96
	s_waitcnt vmcnt(3)
	buffer_store_dword v1, off, s[0:3], 0 offset:96
	s_waitcnt vmcnt(3)
	buffer_store_dword v90, off, s[0:3], 0 offset:100
	s_waitcnt vmcnt(3)
	buffer_store_dword v91, v0, s[0:3], 0 offen offset:4
	s_waitcnt vmcnt(3)
	buffer_store_dword v92, v0, s[0:3], 0 offen
.LBB43_334:
	s_or_b64 exec, exec, s[4:5]
	v_pk_mov_b32 v[0:1], s[10:11], s[10:11] op_sel:[0,1]
	flat_load_dword v0, v[0:1] offset:44
	s_waitcnt vmcnt(0) lgkmcnt(0)
	v_add_u32_e32 v0, -1, v0
	v_cmp_ne_u32_e32 vcc, 11, v0
	s_and_saveexec_b64 s[4:5], vcc
	s_cbranch_execz .LBB43_336
; %bb.335:
	v_mov_b32_e32 v1, 0
	v_lshl_add_u32 v0, v0, 3, v1
	buffer_load_dword v1, v0, s[0:3], 0 offen
	buffer_load_dword v90, v0, s[0:3], 0 offen offset:4
	buffer_load_dword v91, off, s[0:3], 0 offset:88
	buffer_load_dword v92, off, s[0:3], 0 offset:92
	s_waitcnt vmcnt(3)
	buffer_store_dword v1, off, s[0:3], 0 offset:88
	s_waitcnt vmcnt(3)
	buffer_store_dword v90, off, s[0:3], 0 offset:92
	s_waitcnt vmcnt(3)
	buffer_store_dword v91, v0, s[0:3], 0 offen
	s_waitcnt vmcnt(3)
	buffer_store_dword v92, v0, s[0:3], 0 offen offset:4
.LBB43_336:
	s_or_b64 exec, exec, s[4:5]
	v_pk_mov_b32 v[0:1], s[10:11], s[10:11] op_sel:[0,1]
	flat_load_dword v0, v[0:1] offset:40
	s_waitcnt vmcnt(0) lgkmcnt(0)
	v_add_u32_e32 v0, -1, v0
	v_cmp_ne_u32_e32 vcc, 10, v0
	s_and_saveexec_b64 s[4:5], vcc
	s_cbranch_execz .LBB43_338
; %bb.337:
	v_mov_b32_e32 v1, 0
	v_lshl_add_u32 v0, v0, 3, v1
	buffer_load_dword v1, v0, s[0:3], 0 offen
	buffer_load_dword v90, v0, s[0:3], 0 offen offset:4
	buffer_load_dword v91, off, s[0:3], 0 offset:84
	buffer_load_dword v92, off, s[0:3], 0 offset:80
	s_waitcnt vmcnt(3)
	buffer_store_dword v1, off, s[0:3], 0 offset:80
	s_waitcnt vmcnt(3)
	buffer_store_dword v90, off, s[0:3], 0 offset:84
	s_waitcnt vmcnt(3)
	buffer_store_dword v91, v0, s[0:3], 0 offen offset:4
	s_waitcnt vmcnt(3)
	buffer_store_dword v92, v0, s[0:3], 0 offen
.LBB43_338:
	s_or_b64 exec, exec, s[4:5]
	v_pk_mov_b32 v[0:1], s[10:11], s[10:11] op_sel:[0,1]
	flat_load_dword v0, v[0:1] offset:36
	s_waitcnt vmcnt(0) lgkmcnt(0)
	v_add_u32_e32 v0, -1, v0
	v_cmp_ne_u32_e32 vcc, 9, v0
	s_and_saveexec_b64 s[4:5], vcc
	s_cbranch_execz .LBB43_340
; %bb.339:
	v_mov_b32_e32 v1, 0
	v_lshl_add_u32 v0, v0, 3, v1
	buffer_load_dword v1, v0, s[0:3], 0 offen
	buffer_load_dword v90, v0, s[0:3], 0 offen offset:4
	buffer_load_dword v91, off, s[0:3], 0 offset:72
	buffer_load_dword v92, off, s[0:3], 0 offset:76
	s_waitcnt vmcnt(3)
	buffer_store_dword v1, off, s[0:3], 0 offset:72
	s_waitcnt vmcnt(3)
	buffer_store_dword v90, off, s[0:3], 0 offset:76
	s_waitcnt vmcnt(3)
	buffer_store_dword v91, v0, s[0:3], 0 offen
	s_waitcnt vmcnt(3)
	buffer_store_dword v92, v0, s[0:3], 0 offen offset:4
.LBB43_340:
	s_or_b64 exec, exec, s[4:5]
	v_pk_mov_b32 v[0:1], s[10:11], s[10:11] op_sel:[0,1]
	flat_load_dword v0, v[0:1] offset:32
	s_waitcnt vmcnt(0) lgkmcnt(0)
	v_add_u32_e32 v0, -1, v0
	v_cmp_ne_u32_e32 vcc, 8, v0
	s_and_saveexec_b64 s[4:5], vcc
	s_cbranch_execz .LBB43_342
; %bb.341:
	v_mov_b32_e32 v1, 0
	v_lshl_add_u32 v0, v0, 3, v1
	buffer_load_dword v1, v0, s[0:3], 0 offen
	buffer_load_dword v90, v0, s[0:3], 0 offen offset:4
	buffer_load_dword v91, off, s[0:3], 0 offset:68
	buffer_load_dword v92, off, s[0:3], 0 offset:64
	s_waitcnt vmcnt(3)
	buffer_store_dword v1, off, s[0:3], 0 offset:64
	s_waitcnt vmcnt(3)
	buffer_store_dword v90, off, s[0:3], 0 offset:68
	s_waitcnt vmcnt(3)
	buffer_store_dword v91, v0, s[0:3], 0 offen offset:4
	s_waitcnt vmcnt(3)
	buffer_store_dword v92, v0, s[0:3], 0 offen
.LBB43_342:
	s_or_b64 exec, exec, s[4:5]
	v_pk_mov_b32 v[0:1], s[10:11], s[10:11] op_sel:[0,1]
	flat_load_dword v0, v[0:1] offset:28
	s_waitcnt vmcnt(0) lgkmcnt(0)
	v_add_u32_e32 v0, -1, v0
	v_cmp_ne_u32_e32 vcc, 7, v0
	s_and_saveexec_b64 s[4:5], vcc
	s_cbranch_execz .LBB43_344
; %bb.343:
	v_mov_b32_e32 v1, 0
	v_lshl_add_u32 v0, v0, 3, v1
	buffer_load_dword v1, v0, s[0:3], 0 offen
	buffer_load_dword v90, v0, s[0:3], 0 offen offset:4
	buffer_load_dword v91, off, s[0:3], 0 offset:56
	buffer_load_dword v92, off, s[0:3], 0 offset:60
	s_waitcnt vmcnt(3)
	buffer_store_dword v1, off, s[0:3], 0 offset:56
	s_waitcnt vmcnt(3)
	buffer_store_dword v90, off, s[0:3], 0 offset:60
	s_waitcnt vmcnt(3)
	buffer_store_dword v91, v0, s[0:3], 0 offen
	s_waitcnt vmcnt(3)
	buffer_store_dword v92, v0, s[0:3], 0 offen offset:4
.LBB43_344:
	s_or_b64 exec, exec, s[4:5]
	v_pk_mov_b32 v[0:1], s[10:11], s[10:11] op_sel:[0,1]
	flat_load_dword v0, v[0:1] offset:24
	s_waitcnt vmcnt(0) lgkmcnt(0)
	v_add_u32_e32 v0, -1, v0
	v_cmp_ne_u32_e32 vcc, 6, v0
	s_and_saveexec_b64 s[4:5], vcc
	s_cbranch_execz .LBB43_346
; %bb.345:
	v_mov_b32_e32 v1, 0
	v_lshl_add_u32 v0, v0, 3, v1
	buffer_load_dword v1, v0, s[0:3], 0 offen
	buffer_load_dword v90, v0, s[0:3], 0 offen offset:4
	buffer_load_dword v91, off, s[0:3], 0 offset:52
	buffer_load_dword v92, off, s[0:3], 0 offset:48
	s_waitcnt vmcnt(3)
	buffer_store_dword v1, off, s[0:3], 0 offset:48
	s_waitcnt vmcnt(3)
	buffer_store_dword v90, off, s[0:3], 0 offset:52
	s_waitcnt vmcnt(3)
	buffer_store_dword v91, v0, s[0:3], 0 offen offset:4
	s_waitcnt vmcnt(3)
	buffer_store_dword v92, v0, s[0:3], 0 offen
.LBB43_346:
	s_or_b64 exec, exec, s[4:5]
	v_pk_mov_b32 v[0:1], s[10:11], s[10:11] op_sel:[0,1]
	flat_load_dword v0, v[0:1] offset:20
	s_waitcnt vmcnt(0) lgkmcnt(0)
	v_add_u32_e32 v0, -1, v0
	v_cmp_ne_u32_e32 vcc, 5, v0
	s_and_saveexec_b64 s[4:5], vcc
	s_cbranch_execz .LBB43_348
; %bb.347:
	v_mov_b32_e32 v1, 0
	v_lshl_add_u32 v0, v0, 3, v1
	buffer_load_dword v1, v0, s[0:3], 0 offen
	buffer_load_dword v90, v0, s[0:3], 0 offen offset:4
	buffer_load_dword v91, off, s[0:3], 0 offset:40
	buffer_load_dword v92, off, s[0:3], 0 offset:44
	s_waitcnt vmcnt(3)
	buffer_store_dword v1, off, s[0:3], 0 offset:40
	s_waitcnt vmcnt(3)
	buffer_store_dword v90, off, s[0:3], 0 offset:44
	s_waitcnt vmcnt(3)
	buffer_store_dword v91, v0, s[0:3], 0 offen
	s_waitcnt vmcnt(3)
	buffer_store_dword v92, v0, s[0:3], 0 offen offset:4
.LBB43_348:
	s_or_b64 exec, exec, s[4:5]
	v_pk_mov_b32 v[0:1], s[10:11], s[10:11] op_sel:[0,1]
	flat_load_dword v0, v[0:1] offset:16
	s_waitcnt vmcnt(0) lgkmcnt(0)
	v_add_u32_e32 v0, -1, v0
	v_cmp_ne_u32_e32 vcc, 4, v0
	s_and_saveexec_b64 s[4:5], vcc
	s_cbranch_execz .LBB43_350
; %bb.349:
	v_mov_b32_e32 v1, 0
	v_lshl_add_u32 v0, v0, 3, v1
	buffer_load_dword v1, v0, s[0:3], 0 offen
	buffer_load_dword v90, v0, s[0:3], 0 offen offset:4
	buffer_load_dword v91, off, s[0:3], 0 offset:36
	buffer_load_dword v92, off, s[0:3], 0 offset:32
	s_waitcnt vmcnt(3)
	buffer_store_dword v1, off, s[0:3], 0 offset:32
	s_waitcnt vmcnt(3)
	buffer_store_dword v90, off, s[0:3], 0 offset:36
	s_waitcnt vmcnt(3)
	buffer_store_dword v91, v0, s[0:3], 0 offen offset:4
	s_waitcnt vmcnt(3)
	buffer_store_dword v92, v0, s[0:3], 0 offen
.LBB43_350:
	s_or_b64 exec, exec, s[4:5]
	v_pk_mov_b32 v[0:1], s[10:11], s[10:11] op_sel:[0,1]
	flat_load_dword v0, v[0:1] offset:12
	s_waitcnt vmcnt(0) lgkmcnt(0)
	v_add_u32_e32 v0, -1, v0
	v_cmp_ne_u32_e32 vcc, 3, v0
	s_and_saveexec_b64 s[4:5], vcc
	s_cbranch_execz .LBB43_352
; %bb.351:
	v_mov_b32_e32 v1, 0
	v_lshl_add_u32 v0, v0, 3, v1
	buffer_load_dword v1, v0, s[0:3], 0 offen
	buffer_load_dword v90, v0, s[0:3], 0 offen offset:4
	buffer_load_dword v91, off, s[0:3], 0 offset:24
	buffer_load_dword v92, off, s[0:3], 0 offset:28
	s_waitcnt vmcnt(3)
	buffer_store_dword v1, off, s[0:3], 0 offset:24
	s_waitcnt vmcnt(3)
	buffer_store_dword v90, off, s[0:3], 0 offset:28
	s_waitcnt vmcnt(3)
	buffer_store_dword v91, v0, s[0:3], 0 offen
	s_waitcnt vmcnt(3)
	buffer_store_dword v92, v0, s[0:3], 0 offen offset:4
.LBB43_352:
	s_or_b64 exec, exec, s[4:5]
	v_pk_mov_b32 v[0:1], s[10:11], s[10:11] op_sel:[0,1]
	flat_load_dword v0, v[0:1] offset:8
	s_waitcnt vmcnt(0) lgkmcnt(0)
	v_add_u32_e32 v0, -1, v0
	v_cmp_ne_u32_e32 vcc, 2, v0
	s_and_saveexec_b64 s[4:5], vcc
	s_cbranch_execz .LBB43_354
; %bb.353:
	v_mov_b32_e32 v1, 0
	v_lshl_add_u32 v0, v0, 3, v1
	buffer_load_dword v1, v0, s[0:3], 0 offen
	buffer_load_dword v90, v0, s[0:3], 0 offen offset:4
	buffer_load_dword v91, off, s[0:3], 0 offset:20
	buffer_load_dword v92, off, s[0:3], 0 offset:16
	s_waitcnt vmcnt(3)
	buffer_store_dword v1, off, s[0:3], 0 offset:16
	s_waitcnt vmcnt(3)
	buffer_store_dword v90, off, s[0:3], 0 offset:20
	s_waitcnt vmcnt(3)
	buffer_store_dword v91, v0, s[0:3], 0 offen offset:4
	s_waitcnt vmcnt(3)
	buffer_store_dword v92, v0, s[0:3], 0 offen
.LBB43_354:
	s_or_b64 exec, exec, s[4:5]
	v_pk_mov_b32 v[0:1], s[10:11], s[10:11] op_sel:[0,1]
	flat_load_dword v0, v[0:1] offset:4
	s_waitcnt vmcnt(0) lgkmcnt(0)
	v_add_u32_e32 v0, -1, v0
	v_cmp_ne_u32_e32 vcc, 1, v0
	s_and_saveexec_b64 s[4:5], vcc
	s_cbranch_execz .LBB43_356
; %bb.355:
	v_mov_b32_e32 v1, 0
	v_lshl_add_u32 v0, v0, 3, v1
	buffer_load_dword v1, v0, s[0:3], 0 offen
	buffer_load_dword v90, v0, s[0:3], 0 offen offset:4
	buffer_load_dword v91, off, s[0:3], 0 offset:8
	buffer_load_dword v92, off, s[0:3], 0 offset:12
	s_waitcnt vmcnt(3)
	buffer_store_dword v1, off, s[0:3], 0 offset:8
	s_waitcnt vmcnt(3)
	buffer_store_dword v90, off, s[0:3], 0 offset:12
	s_waitcnt vmcnt(3)
	buffer_store_dword v91, v0, s[0:3], 0 offen
	s_waitcnt vmcnt(3)
	buffer_store_dword v92, v0, s[0:3], 0 offen offset:4
.LBB43_356:
	s_or_b64 exec, exec, s[4:5]
	v_pk_mov_b32 v[0:1], s[10:11], s[10:11] op_sel:[0,1]
	flat_load_dword v90, v[0:1]
	s_nop 0
	buffer_load_dword v0, off, s[0:3], 0
	buffer_load_dword v1, off, s[0:3], 0 offset:4
	s_waitcnt vmcnt(0) lgkmcnt(0)
	v_add_u32_e32 v90, -1, v90
	v_cmp_ne_u32_e32 vcc, 0, v90
	s_and_saveexec_b64 s[4:5], vcc
	s_cbranch_execz .LBB43_358
; %bb.357:
	v_mov_b32_e32 v91, 0
	v_lshl_add_u32 v90, v90, 3, v91
	buffer_load_dword v91, v90, s[0:3], 0 offen offset:4
	buffer_load_dword v92, v90, s[0:3], 0 offen
	s_waitcnt vmcnt(1)
	buffer_store_dword v91, off, s[0:3], 0 offset:4
	s_waitcnt vmcnt(1)
	buffer_store_dword v92, off, s[0:3], 0
	buffer_store_dword v1, v90, s[0:3], 0 offen offset:4
	buffer_store_dword v0, v90, s[0:3], 0 offen
	buffer_load_dword v0, off, s[0:3], 0
	s_nop 0
	buffer_load_dword v1, off, s[0:3], 0 offset:4
.LBB43_358:
	s_or_b64 exec, exec, s[4:5]
.LBB43_359:
	s_waitcnt vmcnt(0)
	global_store_dwordx2 v[88:89], v[0:1], off
	buffer_load_dword v0, off, s[0:3], 0 offset:8
	s_nop 0
	buffer_load_dword v1, off, s[0:3], 0 offset:12
	buffer_load_dword v88, off, s[0:3], 0 offset:16
	;; [unrolled: 1-line block ×15, first 2 shown]
	s_waitcnt vmcnt(14)
	global_store_dwordx2 v[86:87], v[0:1], off
	s_waitcnt vmcnt(13)
	global_store_dwordx2 v[2:3], v[88:89], off
	;; [unrolled: 2-line block ×8, first 2 shown]
	buffer_load_dword v0, off, s[0:3], 0 offset:72
	buffer_load_dword v1, off, s[0:3], 0 offset:76
	s_waitcnt vmcnt(0)
	global_store_dwordx2 v[14:15], v[0:1], off
	buffer_load_dword v0, off, s[0:3], 0 offset:80
	s_nop 0
	buffer_load_dword v1, off, s[0:3], 0 offset:84
	s_waitcnt vmcnt(0)
	global_store_dwordx2 v[16:17], v[0:1], off
	buffer_load_dword v0, off, s[0:3], 0 offset:88
	s_nop 0
	;; [unrolled: 5-line block ×34, first 2 shown]
	buffer_load_dword v1, off, s[0:3], 0 offset:348
	s_waitcnt vmcnt(0)
	global_store_dwordx2 v[70:71], v[0:1], off
	s_endpgm
	.section	.rodata,"a",@progbits
	.p2align	6, 0x0
	.amdhsa_kernel _ZN9rocsolver6v33100L18getri_kernel_smallILi44EdPdEEvT1_iilPiilS4_bb
		.amdhsa_group_segment_fixed_size 712
		.amdhsa_private_segment_fixed_size 368
		.amdhsa_kernarg_size 60
		.amdhsa_user_sgpr_count 8
		.amdhsa_user_sgpr_private_segment_buffer 1
		.amdhsa_user_sgpr_dispatch_ptr 0
		.amdhsa_user_sgpr_queue_ptr 0
		.amdhsa_user_sgpr_kernarg_segment_ptr 1
		.amdhsa_user_sgpr_dispatch_id 0
		.amdhsa_user_sgpr_flat_scratch_init 1
		.amdhsa_user_sgpr_kernarg_preload_length 0
		.amdhsa_user_sgpr_kernarg_preload_offset 0
		.amdhsa_user_sgpr_private_segment_size 0
		.amdhsa_uses_dynamic_stack 0
		.amdhsa_system_sgpr_private_segment_wavefront_offset 1
		.amdhsa_system_sgpr_workgroup_id_x 1
		.amdhsa_system_sgpr_workgroup_id_y 0
		.amdhsa_system_sgpr_workgroup_id_z 0
		.amdhsa_system_sgpr_workgroup_info 0
		.amdhsa_system_vgpr_workitem_id 0
		.amdhsa_next_free_vgpr 126
		.amdhsa_next_free_sgpr 23
		.amdhsa_accum_offset 128
		.amdhsa_reserve_vcc 1
		.amdhsa_reserve_flat_scratch 1
		.amdhsa_float_round_mode_32 0
		.amdhsa_float_round_mode_16_64 0
		.amdhsa_float_denorm_mode_32 3
		.amdhsa_float_denorm_mode_16_64 3
		.amdhsa_dx10_clamp 1
		.amdhsa_ieee_mode 1
		.amdhsa_fp16_overflow 0
		.amdhsa_tg_split 0
		.amdhsa_exception_fp_ieee_invalid_op 0
		.amdhsa_exception_fp_denorm_src 0
		.amdhsa_exception_fp_ieee_div_zero 0
		.amdhsa_exception_fp_ieee_overflow 0
		.amdhsa_exception_fp_ieee_underflow 0
		.amdhsa_exception_fp_ieee_inexact 0
		.amdhsa_exception_int_div_zero 0
	.end_amdhsa_kernel
	.section	.text._ZN9rocsolver6v33100L18getri_kernel_smallILi44EdPdEEvT1_iilPiilS4_bb,"axG",@progbits,_ZN9rocsolver6v33100L18getri_kernel_smallILi44EdPdEEvT1_iilPiilS4_bb,comdat
.Lfunc_end43:
	.size	_ZN9rocsolver6v33100L18getri_kernel_smallILi44EdPdEEvT1_iilPiilS4_bb, .Lfunc_end43-_ZN9rocsolver6v33100L18getri_kernel_smallILi44EdPdEEvT1_iilPiilS4_bb
                                        ; -- End function
	.section	.AMDGPU.csdata,"",@progbits
; Kernel info:
; codeLenInByte = 49608
; NumSgprs: 29
; NumVgprs: 126
; NumAgprs: 0
; TotalNumVgprs: 126
; ScratchSize: 368
; MemoryBound: 1
; FloatMode: 240
; IeeeMode: 1
; LDSByteSize: 712 bytes/workgroup (compile time only)
; SGPRBlocks: 3
; VGPRBlocks: 15
; NumSGPRsForWavesPerEU: 29
; NumVGPRsForWavesPerEU: 126
; AccumOffset: 128
; Occupancy: 4
; WaveLimiterHint : 1
; COMPUTE_PGM_RSRC2:SCRATCH_EN: 1
; COMPUTE_PGM_RSRC2:USER_SGPR: 8
; COMPUTE_PGM_RSRC2:TRAP_HANDLER: 0
; COMPUTE_PGM_RSRC2:TGID_X_EN: 1
; COMPUTE_PGM_RSRC2:TGID_Y_EN: 0
; COMPUTE_PGM_RSRC2:TGID_Z_EN: 0
; COMPUTE_PGM_RSRC2:TIDIG_COMP_CNT: 0
; COMPUTE_PGM_RSRC3_GFX90A:ACCUM_OFFSET: 31
; COMPUTE_PGM_RSRC3_GFX90A:TG_SPLIT: 0
	.section	.text._ZN9rocsolver6v33100L18getri_kernel_smallILi45EdPdEEvT1_iilPiilS4_bb,"axG",@progbits,_ZN9rocsolver6v33100L18getri_kernel_smallILi45EdPdEEvT1_iilPiilS4_bb,comdat
	.globl	_ZN9rocsolver6v33100L18getri_kernel_smallILi45EdPdEEvT1_iilPiilS4_bb ; -- Begin function _ZN9rocsolver6v33100L18getri_kernel_smallILi45EdPdEEvT1_iilPiilS4_bb
	.p2align	8
	.type	_ZN9rocsolver6v33100L18getri_kernel_smallILi45EdPdEEvT1_iilPiilS4_bb,@function
_ZN9rocsolver6v33100L18getri_kernel_smallILi45EdPdEEvT1_iilPiilS4_bb: ; @_ZN9rocsolver6v33100L18getri_kernel_smallILi45EdPdEEvT1_iilPiilS4_bb
; %bb.0:
	s_add_u32 flat_scratch_lo, s6, s9
	s_addc_u32 flat_scratch_hi, s7, 0
	s_add_u32 s0, s0, s9
	s_addc_u32 s1, s1, 0
	v_cmp_gt_u32_e32 vcc, 45, v0
	s_and_saveexec_b64 s[6:7], vcc
	s_cbranch_execz .LBB44_188
; %bb.1:
	s_load_dword s22, s[4:5], 0x38
	s_load_dwordx4 s[16:19], s[4:5], 0x10
	s_load_dwordx4 s[12:15], s[4:5], 0x28
                                        ; implicit-def: $sgpr10_sgpr11
	s_waitcnt lgkmcnt(0)
	s_bitcmp1_b32 s22, 8
	s_cselect_b64 s[20:21], -1, 0
	s_ashr_i32 s9, s8, 31
	s_bfe_u32 s6, s22, 0x10008
	s_cmp_eq_u32 s6, 0
	s_cbranch_scc1 .LBB44_3
; %bb.2:
	s_load_dword s6, s[4:5], 0x20
	s_mul_i32 s7, s8, s13
	s_mul_hi_u32 s10, s8, s12
	s_mul_i32 s11, s9, s12
	s_add_i32 s10, s10, s7
	s_add_i32 s11, s10, s11
	s_mul_i32 s10, s8, s12
	s_waitcnt lgkmcnt(0)
	s_ashr_i32 s7, s6, 31
	s_lshl_b64 s[10:11], s[10:11], 2
	s_add_u32 s10, s18, s10
	s_addc_u32 s11, s19, s11
	s_lshl_b64 s[6:7], s[6:7], 2
	s_add_u32 s10, s10, s6
	s_addc_u32 s11, s11, s7
.LBB44_3:
	s_load_dwordx4 s[4:7], s[4:5], 0x0
	s_mul_i32 s12, s8, s17
	s_mul_hi_u32 s13, s8, s16
	s_add_i32 s17, s13, s12
	s_waitcnt lgkmcnt(0)
	s_ashr_i32 s13, s6, 31
	s_mov_b32 s12, s6
	s_mul_i32 s6, s9, s16
	s_add_i32 s17, s17, s6
	s_mul_i32 s16, s8, s16
	s_lshl_b64 s[16:17], s[16:17], 3
	s_add_u32 s6, s4, s16
	s_addc_u32 s16, s5, s17
	s_lshl_b64 s[4:5], s[12:13], 3
	s_add_u32 s4, s6, s4
	s_addc_u32 s5, s16, s5
	s_add_i32 s6, s7, s7
	v_add_u32_e32 v4, s6, v0
	v_ashrrev_i32_e32 v5, 31, v4
	v_lshlrev_b64 v[2:3], 3, v[4:5]
	v_add_u32_e32 v6, s7, v4
	v_mov_b32_e32 v1, s5
	v_add_co_u32_e32 v2, vcc, s4, v2
	v_ashrrev_i32_e32 v7, 31, v6
	v_addc_co_u32_e32 v3, vcc, v1, v3, vcc
	v_lshlrev_b64 v[4:5], 3, v[6:7]
	v_add_u32_e32 v8, s7, v6
	v_add_co_u32_e32 v4, vcc, s4, v4
	v_ashrrev_i32_e32 v9, 31, v8
	v_addc_co_u32_e32 v5, vcc, v1, v5, vcc
	v_lshlrev_b64 v[6:7], 3, v[8:9]
	v_add_u32_e32 v10, s7, v8
	v_add_co_u32_e32 v6, vcc, s4, v6
	v_ashrrev_i32_e32 v11, 31, v10
	v_addc_co_u32_e32 v7, vcc, v1, v7, vcc
	v_lshlrev_b64 v[8:9], 3, v[10:11]
	v_add_u32_e32 v12, s7, v10
	v_add_co_u32_e32 v8, vcc, s4, v8
	v_ashrrev_i32_e32 v13, 31, v12
	v_addc_co_u32_e32 v9, vcc, v1, v9, vcc
	v_lshlrev_b64 v[10:11], 3, v[12:13]
	v_add_u32_e32 v14, s7, v12
	v_add_co_u32_e32 v10, vcc, s4, v10
	v_ashrrev_i32_e32 v15, 31, v14
	v_addc_co_u32_e32 v11, vcc, v1, v11, vcc
	v_lshlrev_b64 v[12:13], 3, v[14:15]
	v_add_u32_e32 v14, s7, v14
	v_add_co_u32_e32 v12, vcc, s4, v12
	v_ashrrev_i32_e32 v15, 31, v14
	v_addc_co_u32_e32 v13, vcc, v1, v13, vcc
	v_lshlrev_b64 v[16:17], 3, v[14:15]
	v_add_co_u32_e32 v18, vcc, s4, v16
	v_add_u32_e32 v16, s7, v14
	v_addc_co_u32_e32 v19, vcc, v1, v17, vcc
	v_ashrrev_i32_e32 v17, 31, v16
	v_lshlrev_b64 v[14:15], 3, v[16:17]
	v_add_u32_e32 v20, s7, v16
	v_add_co_u32_e32 v14, vcc, s4, v14
	v_ashrrev_i32_e32 v21, 31, v20
	v_addc_co_u32_e32 v15, vcc, v1, v15, vcc
	v_lshlrev_b64 v[16:17], 3, v[20:21]
	v_add_u32_e32 v22, s7, v20
	v_add_co_u32_e32 v16, vcc, s4, v16
	v_ashrrev_i32_e32 v23, 31, v22
	v_addc_co_u32_e32 v17, vcc, v1, v17, vcc
	;; [unrolled: 5-line block ×26, first 2 shown]
	v_lshlrev_b64 v[68:69], 3, v[70:71]
	v_add_co_u32_e32 v68, vcc, s4, v68
	v_add_u32_e32 v70, s7, v70
	v_addc_co_u32_e32 v69, vcc, v1, v69, vcc
	v_ashrrev_i32_e32 v71, 31, v70
	v_lshlrev_b32_e32 v1, 3, v0
	v_lshlrev_b64 v[72:73], 3, v[70:71]
	v_mov_b32_e32 v71, s5
	v_add_co_u32_e32 v90, vcc, s4, v1
	s_ashr_i32 s13, s7, 31
	s_mov_b32 s12, s7
	v_addc_co_u32_e32 v91, vcc, 0, v71, vcc
	s_lshl_b64 s[12:13], s[12:13], 3
	global_load_dwordx2 v[92:93], v1, s[4:5]
	global_load_dwordx2 v[96:97], v[2:3], off
	global_load_dwordx2 v[98:99], v[4:5], off
	;; [unrolled: 1-line block ×3, first 2 shown]
	v_mov_b32_e32 v71, s13
	v_add_co_u32_e32 v88, vcc, s12, v90
	v_addc_co_u32_e32 v89, vcc, v91, v71, vcc
	global_load_dwordx2 v[94:95], v[88:89], off
	global_load_dwordx2 v[108:109], v[18:19], off
	;; [unrolled: 1-line block ×9, first 2 shown]
	v_add_u32_e32 v70, s7, v70
	v_mov_b32_e32 v74, s5
	v_add_co_u32_e32 v72, vcc, s4, v72
	v_ashrrev_i32_e32 v71, 31, v70
	v_addc_co_u32_e32 v73, vcc, v74, v73, vcc
	v_lshlrev_b64 v[74:75], 3, v[70:71]
	v_add_u32_e32 v70, s7, v70
	v_mov_b32_e32 v76, s5
	v_add_co_u32_e32 v74, vcc, s4, v74
	v_ashrrev_i32_e32 v71, 31, v70
	v_addc_co_u32_e32 v75, vcc, v76, v75, vcc
	v_lshlrev_b64 v[76:77], 3, v[70:71]
	;; [unrolled: 6-line block ×5, first 2 shown]
	v_add_u32_e32 v70, s7, v70
	v_mov_b32_e32 v84, s5
	v_add_co_u32_e32 v82, vcc, s4, v82
	v_ashrrev_i32_e32 v71, 31, v70
	s_waitcnt vmcnt(12)
	buffer_store_dword v93, off, s[0:3], 0 offset:4
	buffer_store_dword v92, off, s[0:3], 0
	s_waitcnt vmcnt(10)
	buffer_store_dword v95, off, s[0:3], 0 offset:12
	buffer_store_dword v94, off, s[0:3], 0 offset:8
	v_addc_co_u32_e32 v83, vcc, v84, v83, vcc
	v_lshlrev_b64 v[84:85], 3, v[70:71]
	v_add_u32_e32 v70, s7, v70
	global_load_dwordx2 v[92:93], v[24:25], off
	global_load_dwordx2 v[94:95], v[26:27], off
	v_mov_b32_e32 v86, s5
	v_add_co_u32_e32 v84, vcc, s4, v84
	v_ashrrev_i32_e32 v71, 31, v70
	v_addc_co_u32_e32 v85, vcc, v86, v85, vcc
	v_lshlrev_b64 v[86:87], 3, v[70:71]
	v_add_u32_e32 v70, s7, v70
	v_mov_b32_e32 v118, s5
	v_add_co_u32_e32 v86, vcc, s4, v86
	v_ashrrev_i32_e32 v71, 31, v70
	v_addc_co_u32_e32 v87, vcc, v118, v87, vcc
	v_lshlrev_b64 v[70:71], 3, v[70:71]
	buffer_store_dword v97, off, s[0:3], 0 offset:20
	buffer_store_dword v96, off, s[0:3], 0 offset:16
	global_load_dwordx2 v[96:97], v[28:29], off
	v_add_co_u32_e32 v70, vcc, s4, v70
	v_addc_co_u32_e32 v71, vcc, v118, v71, vcc
	global_load_dwordx2 v[118:119], v[30:31], off
	global_load_dwordx2 v[120:121], v[34:35], off
	global_load_dwordx2 v[122:123], v[38:39], off
	s_bitcmp0_b32 s22, 0
	buffer_store_dword v99, off, s[0:3], 0 offset:28
	buffer_store_dword v98, off, s[0:3], 0 offset:24
	global_load_dwordx2 v[98:99], v[32:33], off
	s_mov_b64 s[6:7], -1
	s_waitcnt vmcnt(20)
	buffer_store_dword v103, off, s[0:3], 0 offset:44
	buffer_store_dword v102, off, s[0:3], 0 offset:40
	global_load_dwordx2 v[102:103], v[40:41], off
	s_nop 0
	buffer_store_dword v101, off, s[0:3], 0 offset:36
	buffer_store_dword v100, off, s[0:3], 0 offset:32
	global_load_dwordx2 v[100:101], v[36:37], off
	s_waitcnt vmcnt(25)
	buffer_store_dword v105, off, s[0:3], 0 offset:52
	buffer_store_dword v104, off, s[0:3], 0 offset:48
	global_load_dwordx2 v[104:105], v[42:43], off
	s_waitcnt vmcnt(27)
	buffer_store_dword v107, off, s[0:3], 0 offset:60
	buffer_store_dword v106, off, s[0:3], 0 offset:56
	global_load_dwordx2 v[106:107], v[44:45], off
	s_nop 0
	buffer_store_dword v109, off, s[0:3], 0 offset:68
	buffer_store_dword v108, off, s[0:3], 0 offset:64
	global_load_dwordx2 v[108:109], v[46:47], off
	s_waitcnt vmcnt(32)
	buffer_store_dword v110, off, s[0:3], 0 offset:72
	buffer_store_dword v111, off, s[0:3], 0 offset:76
	global_load_dwordx2 v[110:111], v[48:49], off
	s_nop 0
	buffer_store_dword v112, off, s[0:3], 0 offset:80
	buffer_store_dword v113, off, s[0:3], 0 offset:84
	global_load_dwordx2 v[112:113], v[50:51], off
	s_waitcnt vmcnt(37)
	buffer_store_dword v114, off, s[0:3], 0 offset:88
	buffer_store_dword v115, off, s[0:3], 0 offset:92
	global_load_dwordx2 v[114:115], v[52:53], off
	s_waitcnt vmcnt(39)
	;; [unrolled: 4-line block ×3, first 2 shown]
	buffer_store_dword v92, off, s[0:3], 0 offset:104
	buffer_store_dword v93, off, s[0:3], 0 offset:108
	s_waitcnt vmcnt(38)
	buffer_store_dword v95, off, s[0:3], 0 offset:116
	buffer_store_dword v94, off, s[0:3], 0 offset:112
	s_waitcnt vmcnt(37)
	;; [unrolled: 3-line block ×4, first 2 shown]
	buffer_store_dword v98, off, s[0:3], 0 offset:136
	buffer_store_dword v99, off, s[0:3], 0 offset:140
	buffer_store_dword v120, off, s[0:3], 0 offset:144
	buffer_store_dword v121, off, s[0:3], 0 offset:148
	s_waitcnt vmcnt(33)
	buffer_store_dword v101, off, s[0:3], 0 offset:156
	buffer_store_dword v100, off, s[0:3], 0 offset:152
	;; [unrolled: 1-line block ×5, first 2 shown]
	global_load_dwordx2 v[92:93], v[56:57], off
	global_load_dwordx2 v[94:95], v[58:59], off
	;; [unrolled: 1-line block ×8, first 2 shown]
	s_nop 0
	buffer_store_dword v103, off, s[0:3], 0 offset:172
	global_load_dwordx2 v[102:103], v[66:67], off
	s_waitcnt vmcnt(45)
	buffer_store_dword v104, off, s[0:3], 0 offset:176
	buffer_store_dword v105, off, s[0:3], 0 offset:180
	global_load_dwordx2 v[104:105], v[68:69], off
	s_waitcnt vmcnt(45)
	buffer_store_dword v106, off, s[0:3], 0 offset:184
	;; [unrolled: 4-line block ×8, first 2 shown]
	buffer_store_dword v93, off, s[0:3], 0 offset:236
	s_waitcnt vmcnt(31)
	buffer_store_dword v94, off, s[0:3], 0 offset:240
	buffer_store_dword v95, off, s[0:3], 0 offset:244
	s_waitcnt vmcnt(32)
	buffer_store_dword v97, off, s[0:3], 0 offset:252
	;; [unrolled: 3-line block ×9, first 2 shown]
	buffer_store_dword v110, off, s[0:3], 0 offset:304
	buffer_store_dword v118, off, s[0:3], 0 offset:312
	buffer_store_dword v119, off, s[0:3], 0 offset:316
	s_waitcnt vmcnt(28)
	buffer_store_dword v112, off, s[0:3], 0 offset:320
	buffer_store_dword v113, off, s[0:3], 0 offset:324
	buffer_store_dword v120, off, s[0:3], 0 offset:328
	buffer_store_dword v121, off, s[0:3], 0 offset:332
	s_waitcnt vmcnt(29)
	buffer_store_dword v114, off, s[0:3], 0 offset:336
	;; [unrolled: 5-line block ×3, first 2 shown]
	buffer_store_dword v116, off, s[0:3], 0 offset:352
	s_cbranch_scc1 .LBB44_186
; %bb.4:
	v_cmp_eq_u32_e64 s[4:5], 0, v0
	s_and_saveexec_b64 s[6:7], s[4:5]
	s_cbranch_execz .LBB44_6
; %bb.5:
	v_mov_b32_e32 v92, 0
	ds_write_b32 v92, v92 offset:360
.LBB44_6:
	s_or_b64 exec, exec, s[6:7]
	v_mov_b32_e32 v92, 0
	v_lshl_add_u32 v92, v0, 3, v92
	s_waitcnt lgkmcnt(0)
	; wave barrier
	s_waitcnt lgkmcnt(0)
	buffer_load_dword v94, v92, s[0:3], 0 offen
	buffer_load_dword v95, v92, s[0:3], 0 offen offset:4
	s_waitcnt vmcnt(0)
	v_cmp_eq_f64_e32 vcc, 0, v[94:95]
	s_and_saveexec_b64 s[12:13], vcc
	s_cbranch_execz .LBB44_10
; %bb.7:
	v_mov_b32_e32 v93, 0
	ds_read_b32 v95, v93 offset:360
	v_add_u32_e32 v94, 1, v0
	s_waitcnt lgkmcnt(0)
	v_readfirstlane_b32 s6, v95
	s_cmp_eq_u32 s6, 0
	s_cselect_b64 s[16:17], -1, 0
	v_cmp_gt_i32_e32 vcc, s6, v94
	s_or_b64 s[16:17], s[16:17], vcc
	s_and_b64 exec, exec, s[16:17]
	s_cbranch_execz .LBB44_10
; %bb.8:
	s_mov_b64 s[16:17], 0
	v_mov_b32_e32 v95, s6
.LBB44_9:                               ; =>This Inner Loop Header: Depth=1
	ds_cmpst_rtn_b32 v95, v93, v95, v94 offset:360
	s_waitcnt lgkmcnt(0)
	v_cmp_ne_u32_e32 vcc, 0, v95
	v_cmp_le_i32_e64 s[6:7], v95, v94
	s_and_b64 s[6:7], vcc, s[6:7]
	s_and_b64 s[6:7], exec, s[6:7]
	s_or_b64 s[16:17], s[6:7], s[16:17]
	s_andn2_b64 exec, exec, s[16:17]
	s_cbranch_execnz .LBB44_9
.LBB44_10:
	s_or_b64 exec, exec, s[12:13]
	v_mov_b32_e32 v94, 0
	s_waitcnt lgkmcnt(0)
	; wave barrier
	ds_read_b32 v93, v94 offset:360
	s_and_saveexec_b64 s[6:7], s[4:5]
	s_cbranch_execz .LBB44_12
; %bb.11:
	s_lshl_b64 s[12:13], s[8:9], 2
	s_add_u32 s12, s14, s12
	s_addc_u32 s13, s15, s13
	s_waitcnt lgkmcnt(0)
	global_store_dword v94, v93, s[12:13]
.LBB44_12:
	s_or_b64 exec, exec, s[6:7]
	s_waitcnt lgkmcnt(0)
	v_cmp_ne_u32_e32 vcc, 0, v93
	s_mov_b64 s[6:7], 0
	s_cbranch_vccnz .LBB44_186
; %bb.13:
	buffer_load_dword v94, v92, s[0:3], 0 offen
	buffer_load_dword v95, v92, s[0:3], 0 offen offset:4
	s_waitcnt vmcnt(0)
	v_div_scale_f64 v[96:97], s[6:7], v[94:95], v[94:95], 1.0
	v_rcp_f64_e32 v[98:99], v[96:97]
	v_div_scale_f64 v[100:101], vcc, 1.0, v[94:95], 1.0
	v_fma_f64 v[102:103], -v[96:97], v[98:99], 1.0
	v_fmac_f64_e32 v[98:99], v[98:99], v[102:103]
	v_fma_f64 v[102:103], -v[96:97], v[98:99], 1.0
	v_fmac_f64_e32 v[98:99], v[98:99], v[102:103]
	v_mul_f64 v[102:103], v[100:101], v[98:99]
	v_fma_f64 v[96:97], -v[96:97], v[102:103], v[100:101]
	v_div_fmas_f64 v[96:97], v[96:97], v[98:99], v[102:103]
	v_div_fixup_f64 v[96:97], v[96:97], v[94:95], 1.0
	buffer_store_dword v97, v92, s[0:3], 0 offen offset:4
	buffer_store_dword v96, v92, s[0:3], 0 offen
	buffer_load_dword v99, off, s[0:3], 0 offset:12
	buffer_load_dword v98, off, s[0:3], 0 offset:8
	v_add_u32_e32 v94, 0x170, v1
	v_xor_b32_e32 v97, 0x80000000, v97
	s_waitcnt vmcnt(0)
	ds_write2_b64 v1, v[96:97], v[98:99] offset1:46
	s_waitcnt lgkmcnt(0)
	; wave barrier
	s_waitcnt lgkmcnt(0)
	s_and_saveexec_b64 s[6:7], s[4:5]
	s_cbranch_execz .LBB44_15
; %bb.14:
	buffer_load_dword v96, v92, s[0:3], 0 offen
	buffer_load_dword v97, v92, s[0:3], 0 offen offset:4
	v_mov_b32_e32 v93, 0
	ds_read_b64 v[98:99], v94
	ds_read_b64 v[100:101], v93 offset:8
	s_waitcnt vmcnt(0) lgkmcnt(1)
	v_fma_f64 v[96:97], v[96:97], v[98:99], 0
	s_waitcnt lgkmcnt(0)
	v_mul_f64 v[96:97], v[96:97], v[100:101]
	buffer_store_dword v96, off, s[0:3], 0 offset:8
	buffer_store_dword v97, off, s[0:3], 0 offset:12
.LBB44_15:
	s_or_b64 exec, exec, s[6:7]
	s_waitcnt lgkmcnt(0)
	; wave barrier
	buffer_load_dword v96, off, s[0:3], 0 offset:16
	buffer_load_dword v97, off, s[0:3], 0 offset:20
	v_cmp_gt_u32_e32 vcc, 2, v0
	s_waitcnt vmcnt(0)
	ds_write_b64 v94, v[96:97]
	s_waitcnt lgkmcnt(0)
	; wave barrier
	s_waitcnt lgkmcnt(0)
	s_and_saveexec_b64 s[6:7], vcc
	s_cbranch_execz .LBB44_17
; %bb.16:
	buffer_load_dword v93, v92, s[0:3], 0 offen offset:4
	buffer_load_dword v100, off, s[0:3], 0 offset:8
	s_nop 0
	buffer_load_dword v92, v92, s[0:3], 0 offen
	s_nop 0
	buffer_load_dword v101, off, s[0:3], 0 offset:12
	ds_read_b64 v[102:103], v94
	v_mov_b32_e32 v95, 0
	ds_read2_b64 v[96:99], v95 offset0:2 offset1:47
	s_waitcnt vmcnt(1) lgkmcnt(1)
	v_fma_f64 v[92:93], v[92:93], v[102:103], 0
	s_waitcnt vmcnt(0) lgkmcnt(0)
	v_fma_f64 v[98:99], v[100:101], v[98:99], v[92:93]
	v_cndmask_b32_e64 v93, v93, v99, s[4:5]
	v_cndmask_b32_e64 v92, v92, v98, s[4:5]
	v_mul_f64 v[92:93], v[92:93], v[96:97]
	buffer_store_dword v93, off, s[0:3], 0 offset:20
	buffer_store_dword v92, off, s[0:3], 0 offset:16
.LBB44_17:
	s_or_b64 exec, exec, s[6:7]
	s_waitcnt lgkmcnt(0)
	; wave barrier
	buffer_load_dword v92, off, s[0:3], 0 offset:24
	buffer_load_dword v93, off, s[0:3], 0 offset:28
	v_cmp_gt_u32_e32 vcc, 3, v0
	v_add_u32_e32 v95, -1, v0
	s_waitcnt vmcnt(0)
	ds_write_b64 v94, v[92:93]
	s_waitcnt lgkmcnt(0)
	; wave barrier
	s_waitcnt lgkmcnt(0)
	s_and_saveexec_b64 s[4:5], vcc
	s_cbranch_execz .LBB44_21
; %bb.18:
	v_add_u32_e32 v96, -1, v0
	v_add_u32_e32 v97, 0x170, v1
	v_add_u32_e32 v98, 0, v1
	s_mov_b64 s[6:7], 0
	v_pk_mov_b32 v[92:93], 0, 0
.LBB44_19:                              ; =>This Inner Loop Header: Depth=1
	buffer_load_dword v100, v98, s[0:3], 0 offen
	buffer_load_dword v101, v98, s[0:3], 0 offen offset:4
	ds_read_b64 v[102:103], v97
	v_add_u32_e32 v96, 1, v96
	v_cmp_lt_u32_e32 vcc, 1, v96
	v_add_u32_e32 v97, 8, v97
	v_add_u32_e32 v98, 8, v98
	s_or_b64 s[6:7], vcc, s[6:7]
	s_waitcnt vmcnt(0) lgkmcnt(0)
	v_fmac_f64_e32 v[92:93], v[100:101], v[102:103]
	s_andn2_b64 exec, exec, s[6:7]
	s_cbranch_execnz .LBB44_19
; %bb.20:
	s_or_b64 exec, exec, s[6:7]
	v_mov_b32_e32 v96, 0
	ds_read_b64 v[96:97], v96 offset:24
	s_waitcnt lgkmcnt(0)
	v_mul_f64 v[92:93], v[92:93], v[96:97]
	buffer_store_dword v93, off, s[0:3], 0 offset:28
	buffer_store_dword v92, off, s[0:3], 0 offset:24
.LBB44_21:
	s_or_b64 exec, exec, s[4:5]
	s_waitcnt lgkmcnt(0)
	; wave barrier
	buffer_load_dword v92, off, s[0:3], 0 offset:32
	buffer_load_dword v93, off, s[0:3], 0 offset:36
	v_cmp_gt_u32_e32 vcc, 4, v0
	s_waitcnt vmcnt(0)
	ds_write_b64 v94, v[92:93]
	s_waitcnt lgkmcnt(0)
	; wave barrier
	s_waitcnt lgkmcnt(0)
	s_and_saveexec_b64 s[4:5], vcc
	s_cbranch_execz .LBB44_25
; %bb.22:
	v_add_u32_e32 v96, -1, v0
	v_add_u32_e32 v97, 0x170, v1
	v_add_u32_e32 v98, 0, v1
	s_mov_b64 s[6:7], 0
	v_pk_mov_b32 v[92:93], 0, 0
.LBB44_23:                              ; =>This Inner Loop Header: Depth=1
	buffer_load_dword v100, v98, s[0:3], 0 offen
	buffer_load_dword v101, v98, s[0:3], 0 offen offset:4
	ds_read_b64 v[102:103], v97
	v_add_u32_e32 v96, 1, v96
	v_cmp_lt_u32_e32 vcc, 2, v96
	v_add_u32_e32 v97, 8, v97
	v_add_u32_e32 v98, 8, v98
	s_or_b64 s[6:7], vcc, s[6:7]
	s_waitcnt vmcnt(0) lgkmcnt(0)
	v_fmac_f64_e32 v[92:93], v[100:101], v[102:103]
	s_andn2_b64 exec, exec, s[6:7]
	s_cbranch_execnz .LBB44_23
; %bb.24:
	s_or_b64 exec, exec, s[6:7]
	v_mov_b32_e32 v96, 0
	ds_read_b64 v[96:97], v96 offset:32
	s_waitcnt lgkmcnt(0)
	v_mul_f64 v[92:93], v[92:93], v[96:97]
	buffer_store_dword v93, off, s[0:3], 0 offset:36
	buffer_store_dword v92, off, s[0:3], 0 offset:32
.LBB44_25:
	s_or_b64 exec, exec, s[4:5]
	s_waitcnt lgkmcnt(0)
	; wave barrier
	buffer_load_dword v92, off, s[0:3], 0 offset:40
	buffer_load_dword v93, off, s[0:3], 0 offset:44
	v_cmp_gt_u32_e32 vcc, 5, v0
	;; [unrolled: 41-line block ×21, first 2 shown]
	s_waitcnt vmcnt(0)
	ds_write_b64 v94, v[92:93]
	s_waitcnt lgkmcnt(0)
	; wave barrier
	s_waitcnt lgkmcnt(0)
	s_and_saveexec_b64 s[4:5], vcc
	s_cbranch_execz .LBB44_105
; %bb.102:
	v_add_u32_e32 v96, -1, v0
	v_add_u32_e32 v97, 0x170, v1
	v_add_u32_e32 v98, 0, v1
	s_mov_b64 s[6:7], 0
	v_pk_mov_b32 v[92:93], 0, 0
.LBB44_103:                             ; =>This Inner Loop Header: Depth=1
	buffer_load_dword v100, v98, s[0:3], 0 offen
	buffer_load_dword v101, v98, s[0:3], 0 offen offset:4
	ds_read_b64 v[102:103], v97
	v_add_u32_e32 v96, 1, v96
	v_cmp_lt_u32_e32 vcc, 22, v96
	v_add_u32_e32 v97, 8, v97
	v_add_u32_e32 v98, 8, v98
	s_or_b64 s[6:7], vcc, s[6:7]
	s_waitcnt vmcnt(0) lgkmcnt(0)
	v_fmac_f64_e32 v[92:93], v[100:101], v[102:103]
	s_andn2_b64 exec, exec, s[6:7]
	s_cbranch_execnz .LBB44_103
; %bb.104:
	s_or_b64 exec, exec, s[6:7]
	v_mov_b32_e32 v96, 0
	ds_read_b64 v[96:97], v96 offset:192
	s_waitcnt lgkmcnt(0)
	v_mul_f64 v[92:93], v[92:93], v[96:97]
	buffer_store_dword v93, off, s[0:3], 0 offset:196
	buffer_store_dword v92, off, s[0:3], 0 offset:192
.LBB44_105:
	s_or_b64 exec, exec, s[4:5]
	s_waitcnt lgkmcnt(0)
	; wave barrier
	buffer_load_dword v92, off, s[0:3], 0 offset:200
	buffer_load_dword v93, off, s[0:3], 0 offset:204
	v_cmp_gt_u32_e32 vcc, 25, v0
	s_waitcnt vmcnt(0)
	ds_write_b64 v94, v[92:93]
	s_waitcnt lgkmcnt(0)
	; wave barrier
	s_waitcnt lgkmcnt(0)
	s_and_saveexec_b64 s[4:5], vcc
	s_cbranch_execz .LBB44_109
; %bb.106:
	v_add_u32_e32 v96, -1, v0
	v_add_u32_e32 v97, 0x170, v1
	v_add_u32_e32 v98, 0, v1
	s_mov_b64 s[6:7], 0
	v_pk_mov_b32 v[92:93], 0, 0
.LBB44_107:                             ; =>This Inner Loop Header: Depth=1
	buffer_load_dword v100, v98, s[0:3], 0 offen
	buffer_load_dword v101, v98, s[0:3], 0 offen offset:4
	ds_read_b64 v[102:103], v97
	v_add_u32_e32 v96, 1, v96
	v_cmp_lt_u32_e32 vcc, 23, v96
	v_add_u32_e32 v97, 8, v97
	v_add_u32_e32 v98, 8, v98
	s_or_b64 s[6:7], vcc, s[6:7]
	s_waitcnt vmcnt(0) lgkmcnt(0)
	v_fmac_f64_e32 v[92:93], v[100:101], v[102:103]
	s_andn2_b64 exec, exec, s[6:7]
	s_cbranch_execnz .LBB44_107
; %bb.108:
	s_or_b64 exec, exec, s[6:7]
	v_mov_b32_e32 v96, 0
	ds_read_b64 v[96:97], v96 offset:200
	s_waitcnt lgkmcnt(0)
	v_mul_f64 v[92:93], v[92:93], v[96:97]
	buffer_store_dword v93, off, s[0:3], 0 offset:204
	buffer_store_dword v92, off, s[0:3], 0 offset:200
.LBB44_109:
	s_or_b64 exec, exec, s[4:5]
	s_waitcnt lgkmcnt(0)
	; wave barrier
	buffer_load_dword v92, off, s[0:3], 0 offset:208
	buffer_load_dword v93, off, s[0:3], 0 offset:212
	v_cmp_gt_u32_e32 vcc, 26, v0
	;; [unrolled: 41-line block ×19, first 2 shown]
	s_waitcnt vmcnt(0)
	ds_write_b64 v94, v[92:93]
	s_waitcnt lgkmcnt(0)
	; wave barrier
	s_waitcnt lgkmcnt(0)
	s_and_saveexec_b64 s[4:5], vcc
	s_cbranch_execz .LBB44_181
; %bb.178:
	v_add_u32_e32 v96, -1, v0
	v_add_u32_e32 v97, 0x170, v1
	v_add_u32_e32 v98, 0, v1
	s_mov_b64 s[6:7], 0
	v_pk_mov_b32 v[92:93], 0, 0
.LBB44_179:                             ; =>This Inner Loop Header: Depth=1
	buffer_load_dword v100, v98, s[0:3], 0 offen
	buffer_load_dword v101, v98, s[0:3], 0 offen offset:4
	ds_read_b64 v[102:103], v97
	v_add_u32_e32 v96, 1, v96
	v_cmp_lt_u32_e32 vcc, 41, v96
	v_add_u32_e32 v97, 8, v97
	v_add_u32_e32 v98, 8, v98
	s_or_b64 s[6:7], vcc, s[6:7]
	s_waitcnt vmcnt(0) lgkmcnt(0)
	v_fmac_f64_e32 v[92:93], v[100:101], v[102:103]
	s_andn2_b64 exec, exec, s[6:7]
	s_cbranch_execnz .LBB44_179
; %bb.180:
	s_or_b64 exec, exec, s[6:7]
	v_mov_b32_e32 v96, 0
	ds_read_b64 v[96:97], v96 offset:344
	s_waitcnt lgkmcnt(0)
	v_mul_f64 v[92:93], v[92:93], v[96:97]
	buffer_store_dword v93, off, s[0:3], 0 offset:348
	buffer_store_dword v92, off, s[0:3], 0 offset:344
.LBB44_181:
	s_or_b64 exec, exec, s[4:5]
	s_waitcnt lgkmcnt(0)
	; wave barrier
	buffer_load_dword v92, off, s[0:3], 0 offset:352
	buffer_load_dword v93, off, s[0:3], 0 offset:356
	v_cmp_ne_u32_e32 vcc, 44, v0
	s_waitcnt vmcnt(0)
	ds_write_b64 v94, v[92:93]
	s_waitcnt lgkmcnt(0)
	; wave barrier
	s_waitcnt lgkmcnt(0)
	s_and_saveexec_b64 s[4:5], vcc
	s_cbranch_execz .LBB44_185
; %bb.182:
	v_add_u32_e32 v94, 0x170, v1
	v_add_u32_e32 v1, 0, v1
	s_mov_b64 s[6:7], 0
	v_pk_mov_b32 v[92:93], 0, 0
.LBB44_183:                             ; =>This Inner Loop Header: Depth=1
	buffer_load_dword v96, v1, s[0:3], 0 offen
	buffer_load_dword v97, v1, s[0:3], 0 offen offset:4
	ds_read_b64 v[98:99], v94
	v_add_u32_e32 v95, 1, v95
	v_cmp_lt_u32_e32 vcc, 42, v95
	v_add_u32_e32 v94, 8, v94
	v_add_u32_e32 v1, 8, v1
	s_or_b64 s[6:7], vcc, s[6:7]
	s_waitcnt vmcnt(0) lgkmcnt(0)
	v_fmac_f64_e32 v[92:93], v[96:97], v[98:99]
	s_andn2_b64 exec, exec, s[6:7]
	s_cbranch_execnz .LBB44_183
; %bb.184:
	s_or_b64 exec, exec, s[6:7]
	v_mov_b32_e32 v1, 0
	ds_read_b64 v[94:95], v1 offset:352
	s_waitcnt lgkmcnt(0)
	v_mul_f64 v[92:93], v[92:93], v[94:95]
	buffer_store_dword v93, off, s[0:3], 0 offset:356
	buffer_store_dword v92, off, s[0:3], 0 offset:352
.LBB44_185:
	s_or_b64 exec, exec, s[4:5]
	s_mov_b64 s[6:7], -1
	s_waitcnt lgkmcnt(0)
	; wave barrier
.LBB44_186:
	s_and_b64 vcc, exec, s[6:7]
	s_cbranch_vccz .LBB44_188
; %bb.187:
	s_lshl_b64 s[4:5], s[8:9], 2
	s_add_u32 s4, s14, s4
	s_addc_u32 s5, s15, s5
	v_mov_b32_e32 v1, 0
	global_load_dword v1, v1, s[4:5]
	s_waitcnt vmcnt(0)
	v_cmp_ne_u32_e32 vcc, 0, v1
	s_cbranch_vccz .LBB44_189
.LBB44_188:
	s_endpgm
.LBB44_189:
	v_mov_b32_e32 v1, 0x170
	v_lshl_add_u32 v1, v0, 3, v1
	v_cmp_eq_u32_e32 vcc, 44, v0
	s_and_saveexec_b64 s[4:5], vcc
	s_cbranch_execz .LBB44_191
; %bb.190:
	buffer_load_dword v92, off, s[0:3], 0 offset:344
	buffer_load_dword v93, off, s[0:3], 0 offset:348
	v_mov_b32_e32 v94, 0
	buffer_store_dword v94, off, s[0:3], 0 offset:344
	buffer_store_dword v94, off, s[0:3], 0 offset:348
	s_waitcnt vmcnt(2)
	ds_write_b64 v1, v[92:93]
.LBB44_191:
	s_or_b64 exec, exec, s[4:5]
	s_waitcnt lgkmcnt(0)
	; wave barrier
	s_waitcnt lgkmcnt(0)
	buffer_load_dword v94, off, s[0:3], 0 offset:352
	buffer_load_dword v95, off, s[0:3], 0 offset:356
	;; [unrolled: 1-line block ×4, first 2 shown]
	v_mov_b32_e32 v92, 0
	ds_read_b64 v[98:99], v92 offset:720
	v_cmp_lt_u32_e32 vcc, 42, v0
	s_waitcnt vmcnt(2) lgkmcnt(0)
	v_fma_f64 v[94:95], v[94:95], v[98:99], 0
	s_waitcnt vmcnt(0)
	v_add_f64 v[94:95], v[96:97], -v[94:95]
	buffer_store_dword v94, off, s[0:3], 0 offset:344
	buffer_store_dword v95, off, s[0:3], 0 offset:348
	s_and_saveexec_b64 s[4:5], vcc
	s_cbranch_execz .LBB44_193
; %bb.192:
	buffer_load_dword v94, off, s[0:3], 0 offset:336
	buffer_load_dword v95, off, s[0:3], 0 offset:340
	s_waitcnt vmcnt(0)
	ds_write_b64 v1, v[94:95]
	buffer_store_dword v92, off, s[0:3], 0 offset:336
	buffer_store_dword v92, off, s[0:3], 0 offset:340
.LBB44_193:
	s_or_b64 exec, exec, s[4:5]
	s_waitcnt lgkmcnt(0)
	; wave barrier
	s_waitcnt lgkmcnt(0)
	buffer_load_dword v96, off, s[0:3], 0 offset:344
	buffer_load_dword v97, off, s[0:3], 0 offset:348
	buffer_load_dword v98, off, s[0:3], 0 offset:352
	buffer_load_dword v99, off, s[0:3], 0 offset:356
	buffer_load_dword v100, off, s[0:3], 0 offset:336
	buffer_load_dword v101, off, s[0:3], 0 offset:340
	ds_read2_b64 v[92:95], v92 offset0:89 offset1:90
	v_cmp_lt_u32_e32 vcc, 41, v0
	s_waitcnt vmcnt(4) lgkmcnt(0)
	v_fma_f64 v[92:93], v[96:97], v[92:93], 0
	s_waitcnt vmcnt(2)
	v_fmac_f64_e32 v[92:93], v[98:99], v[94:95]
	s_waitcnt vmcnt(0)
	v_add_f64 v[92:93], v[100:101], -v[92:93]
	buffer_store_dword v92, off, s[0:3], 0 offset:336
	buffer_store_dword v93, off, s[0:3], 0 offset:340
	s_and_saveexec_b64 s[4:5], vcc
	s_cbranch_execz .LBB44_195
; %bb.194:
	buffer_load_dword v92, off, s[0:3], 0 offset:328
	buffer_load_dword v93, off, s[0:3], 0 offset:332
	v_mov_b32_e32 v94, 0
	buffer_store_dword v94, off, s[0:3], 0 offset:328
	buffer_store_dword v94, off, s[0:3], 0 offset:332
	s_waitcnt vmcnt(2)
	ds_write_b64 v1, v[92:93]
.LBB44_195:
	s_or_b64 exec, exec, s[4:5]
	s_waitcnt lgkmcnt(0)
	; wave barrier
	s_waitcnt lgkmcnt(0)
	buffer_load_dword v98, off, s[0:3], 0 offset:336
	buffer_load_dword v99, off, s[0:3], 0 offset:340
	;; [unrolled: 1-line block ×8, first 2 shown]
	v_mov_b32_e32 v92, 0
	ds_read_b128 v[94:97], v92 offset:704
	ds_read_b64 v[106:107], v92 offset:720
	v_cmp_lt_u32_e32 vcc, 40, v0
	s_waitcnt vmcnt(6) lgkmcnt(1)
	v_fma_f64 v[94:95], v[98:99], v[94:95], 0
	s_waitcnt vmcnt(4)
	v_fmac_f64_e32 v[94:95], v[100:101], v[96:97]
	s_waitcnt vmcnt(2) lgkmcnt(0)
	v_fmac_f64_e32 v[94:95], v[102:103], v[106:107]
	s_waitcnt vmcnt(0)
	v_add_f64 v[94:95], v[104:105], -v[94:95]
	buffer_store_dword v94, off, s[0:3], 0 offset:328
	buffer_store_dword v95, off, s[0:3], 0 offset:332
	s_and_saveexec_b64 s[4:5], vcc
	s_cbranch_execz .LBB44_197
; %bb.196:
	buffer_load_dword v94, off, s[0:3], 0 offset:320
	buffer_load_dword v95, off, s[0:3], 0 offset:324
	s_waitcnt vmcnt(0)
	ds_write_b64 v1, v[94:95]
	buffer_store_dword v92, off, s[0:3], 0 offset:320
	buffer_store_dword v92, off, s[0:3], 0 offset:324
.LBB44_197:
	s_or_b64 exec, exec, s[4:5]
	s_waitcnt lgkmcnt(0)
	; wave barrier
	s_waitcnt lgkmcnt(0)
	buffer_load_dword v102, off, s[0:3], 0 offset:328
	buffer_load_dword v103, off, s[0:3], 0 offset:332
	;; [unrolled: 1-line block ×10, first 2 shown]
	ds_read2_b64 v[94:97], v92 offset0:87 offset1:88
	ds_read2_b64 v[98:101], v92 offset0:89 offset1:90
	v_cmp_lt_u32_e32 vcc, 39, v0
	s_waitcnt vmcnt(8) lgkmcnt(1)
	v_fma_f64 v[92:93], v[102:103], v[94:95], 0
	s_waitcnt vmcnt(6)
	v_fmac_f64_e32 v[92:93], v[104:105], v[96:97]
	s_waitcnt vmcnt(4) lgkmcnt(0)
	v_fmac_f64_e32 v[92:93], v[106:107], v[98:99]
	s_waitcnt vmcnt(2)
	v_fmac_f64_e32 v[92:93], v[108:109], v[100:101]
	s_waitcnt vmcnt(0)
	v_add_f64 v[92:93], v[110:111], -v[92:93]
	buffer_store_dword v92, off, s[0:3], 0 offset:320
	buffer_store_dword v93, off, s[0:3], 0 offset:324
	s_and_saveexec_b64 s[4:5], vcc
	s_cbranch_execz .LBB44_199
; %bb.198:
	buffer_load_dword v92, off, s[0:3], 0 offset:312
	buffer_load_dword v93, off, s[0:3], 0 offset:316
	v_mov_b32_e32 v94, 0
	buffer_store_dword v94, off, s[0:3], 0 offset:312
	buffer_store_dword v94, off, s[0:3], 0 offset:316
	s_waitcnt vmcnt(2)
	ds_write_b64 v1, v[92:93]
.LBB44_199:
	s_or_b64 exec, exec, s[4:5]
	s_waitcnt lgkmcnt(0)
	; wave barrier
	s_waitcnt lgkmcnt(0)
	buffer_load_dword v102, off, s[0:3], 0 offset:320
	buffer_load_dword v103, off, s[0:3], 0 offset:324
	;; [unrolled: 1-line block ×12, first 2 shown]
	v_mov_b32_e32 v92, 0
	ds_read_b128 v[94:97], v92 offset:688
	ds_read_b128 v[98:101], v92 offset:704
	ds_read_b64 v[114:115], v92 offset:720
	v_cmp_lt_u32_e32 vcc, 38, v0
	s_waitcnt vmcnt(10) lgkmcnt(2)
	v_fma_f64 v[94:95], v[102:103], v[94:95], 0
	s_waitcnt vmcnt(8)
	v_fmac_f64_e32 v[94:95], v[104:105], v[96:97]
	s_waitcnt vmcnt(6) lgkmcnt(1)
	v_fmac_f64_e32 v[94:95], v[106:107], v[98:99]
	s_waitcnt vmcnt(4)
	v_fmac_f64_e32 v[94:95], v[108:109], v[100:101]
	s_waitcnt vmcnt(2) lgkmcnt(0)
	v_fmac_f64_e32 v[94:95], v[110:111], v[114:115]
	s_waitcnt vmcnt(0)
	v_add_f64 v[94:95], v[112:113], -v[94:95]
	buffer_store_dword v94, off, s[0:3], 0 offset:312
	buffer_store_dword v95, off, s[0:3], 0 offset:316
	s_and_saveexec_b64 s[4:5], vcc
	s_cbranch_execz .LBB44_201
; %bb.200:
	buffer_load_dword v94, off, s[0:3], 0 offset:304
	buffer_load_dword v95, off, s[0:3], 0 offset:308
	s_waitcnt vmcnt(0)
	ds_write_b64 v1, v[94:95]
	buffer_store_dword v92, off, s[0:3], 0 offset:304
	buffer_store_dword v92, off, s[0:3], 0 offset:308
.LBB44_201:
	s_or_b64 exec, exec, s[4:5]
	s_waitcnt lgkmcnt(0)
	; wave barrier
	s_waitcnt lgkmcnt(0)
	buffer_load_dword v106, off, s[0:3], 0 offset:312
	buffer_load_dword v107, off, s[0:3], 0 offset:316
	buffer_load_dword v108, off, s[0:3], 0 offset:320
	buffer_load_dword v109, off, s[0:3], 0 offset:324
	buffer_load_dword v110, off, s[0:3], 0 offset:328
	buffer_load_dword v111, off, s[0:3], 0 offset:332
	buffer_load_dword v112, off, s[0:3], 0 offset:336
	buffer_load_dword v113, off, s[0:3], 0 offset:340
	buffer_load_dword v114, off, s[0:3], 0 offset:344
	buffer_load_dword v115, off, s[0:3], 0 offset:348
	buffer_load_dword v116, off, s[0:3], 0 offset:352
	buffer_load_dword v117, off, s[0:3], 0 offset:356
	buffer_load_dword v118, off, s[0:3], 0 offset:304
	buffer_load_dword v119, off, s[0:3], 0 offset:308
	ds_read2_b64 v[94:97], v92 offset0:85 offset1:86
	ds_read2_b64 v[98:101], v92 offset0:87 offset1:88
	;; [unrolled: 1-line block ×3, first 2 shown]
	v_cmp_lt_u32_e32 vcc, 37, v0
	s_waitcnt vmcnt(12) lgkmcnt(2)
	v_fma_f64 v[92:93], v[106:107], v[94:95], 0
	s_waitcnt vmcnt(10)
	v_fmac_f64_e32 v[92:93], v[108:109], v[96:97]
	s_waitcnt vmcnt(8) lgkmcnt(1)
	v_fmac_f64_e32 v[92:93], v[110:111], v[98:99]
	s_waitcnt vmcnt(6)
	v_fmac_f64_e32 v[92:93], v[112:113], v[100:101]
	s_waitcnt vmcnt(4) lgkmcnt(0)
	v_fmac_f64_e32 v[92:93], v[114:115], v[102:103]
	s_waitcnt vmcnt(2)
	v_fmac_f64_e32 v[92:93], v[116:117], v[104:105]
	s_waitcnt vmcnt(0)
	v_add_f64 v[92:93], v[118:119], -v[92:93]
	buffer_store_dword v92, off, s[0:3], 0 offset:304
	buffer_store_dword v93, off, s[0:3], 0 offset:308
	s_and_saveexec_b64 s[4:5], vcc
	s_cbranch_execz .LBB44_203
; %bb.202:
	buffer_load_dword v92, off, s[0:3], 0 offset:296
	buffer_load_dword v93, off, s[0:3], 0 offset:300
	v_mov_b32_e32 v94, 0
	buffer_store_dword v94, off, s[0:3], 0 offset:296
	buffer_store_dword v94, off, s[0:3], 0 offset:300
	s_waitcnt vmcnt(2)
	ds_write_b64 v1, v[92:93]
.LBB44_203:
	s_or_b64 exec, exec, s[4:5]
	s_waitcnt lgkmcnt(0)
	; wave barrier
	s_waitcnt lgkmcnt(0)
	buffer_load_dword v106, off, s[0:3], 0 offset:304
	buffer_load_dword v107, off, s[0:3], 0 offset:308
	;; [unrolled: 1-line block ×16, first 2 shown]
	v_mov_b32_e32 v92, 0
	ds_read_b128 v[94:97], v92 offset:672
	ds_read_b128 v[98:101], v92 offset:688
	;; [unrolled: 1-line block ×3, first 2 shown]
	ds_read_b64 v[122:123], v92 offset:720
	v_cmp_lt_u32_e32 vcc, 36, v0
	s_waitcnt vmcnt(14) lgkmcnt(3)
	v_fma_f64 v[94:95], v[106:107], v[94:95], 0
	s_waitcnt vmcnt(12)
	v_fmac_f64_e32 v[94:95], v[108:109], v[96:97]
	s_waitcnt vmcnt(10) lgkmcnt(2)
	v_fmac_f64_e32 v[94:95], v[110:111], v[98:99]
	s_waitcnt vmcnt(8)
	v_fmac_f64_e32 v[94:95], v[112:113], v[100:101]
	s_waitcnt vmcnt(6) lgkmcnt(1)
	v_fmac_f64_e32 v[94:95], v[114:115], v[102:103]
	;; [unrolled: 4-line block ×3, first 2 shown]
	s_waitcnt vmcnt(0)
	v_add_f64 v[94:95], v[120:121], -v[94:95]
	buffer_store_dword v94, off, s[0:3], 0 offset:296
	buffer_store_dword v95, off, s[0:3], 0 offset:300
	s_and_saveexec_b64 s[4:5], vcc
	s_cbranch_execz .LBB44_205
; %bb.204:
	buffer_load_dword v94, off, s[0:3], 0 offset:288
	buffer_load_dword v95, off, s[0:3], 0 offset:292
	s_waitcnt vmcnt(0)
	ds_write_b64 v1, v[94:95]
	buffer_store_dword v92, off, s[0:3], 0 offset:288
	buffer_store_dword v92, off, s[0:3], 0 offset:292
.LBB44_205:
	s_or_b64 exec, exec, s[4:5]
	s_waitcnt lgkmcnt(0)
	; wave barrier
	s_waitcnt lgkmcnt(0)
	buffer_load_dword v110, off, s[0:3], 0 offset:296
	buffer_load_dword v111, off, s[0:3], 0 offset:300
	;; [unrolled: 1-line block ×18, first 2 shown]
	ds_read2_b64 v[94:97], v92 offset0:83 offset1:84
	ds_read2_b64 v[98:101], v92 offset0:85 offset1:86
	;; [unrolled: 1-line block ×4, first 2 shown]
	v_cmp_lt_u32_e32 vcc, 35, v0
	s_waitcnt vmcnt(16) lgkmcnt(3)
	v_fma_f64 v[92:93], v[110:111], v[94:95], 0
	s_waitcnt vmcnt(14)
	v_fmac_f64_e32 v[92:93], v[112:113], v[96:97]
	s_waitcnt vmcnt(12) lgkmcnt(2)
	v_fmac_f64_e32 v[92:93], v[114:115], v[98:99]
	s_waitcnt vmcnt(10)
	v_fmac_f64_e32 v[92:93], v[116:117], v[100:101]
	s_waitcnt vmcnt(8) lgkmcnt(1)
	v_fmac_f64_e32 v[92:93], v[118:119], v[102:103]
	;; [unrolled: 4-line block ×3, first 2 shown]
	s_waitcnt vmcnt(2)
	v_fmac_f64_e32 v[92:93], v[124:125], v[108:109]
	s_waitcnt vmcnt(0)
	v_add_f64 v[92:93], v[126:127], -v[92:93]
	buffer_store_dword v92, off, s[0:3], 0 offset:288
	buffer_store_dword v93, off, s[0:3], 0 offset:292
	s_and_saveexec_b64 s[4:5], vcc
	s_cbranch_execz .LBB44_207
; %bb.206:
	buffer_load_dword v92, off, s[0:3], 0 offset:280
	buffer_load_dword v93, off, s[0:3], 0 offset:284
	v_mov_b32_e32 v94, 0
	buffer_store_dword v94, off, s[0:3], 0 offset:280
	buffer_store_dword v94, off, s[0:3], 0 offset:284
	s_waitcnt vmcnt(2)
	ds_write_b64 v1, v[92:93]
.LBB44_207:
	s_or_b64 exec, exec, s[4:5]
	s_waitcnt lgkmcnt(0)
	; wave barrier
	s_waitcnt lgkmcnt(0)
	buffer_load_dword v110, off, s[0:3], 0 offset:280
	buffer_load_dword v111, off, s[0:3], 0 offset:284
	;; [unrolled: 1-line block ×16, first 2 shown]
	v_mov_b32_e32 v92, 0
	ds_read_b128 v[94:97], v92 offset:656
	ds_read_b128 v[98:101], v92 offset:672
	;; [unrolled: 1-line block ×4, first 2 shown]
	v_cmp_lt_u32_e32 vcc, 34, v0
	s_waitcnt vmcnt(12) lgkmcnt(3)
	v_fma_f64 v[94:95], v[112:113], v[94:95], 0
	s_waitcnt vmcnt(10)
	v_fmac_f64_e32 v[94:95], v[114:115], v[96:97]
	buffer_load_dword v97, off, s[0:3], 0 offset:348
	buffer_load_dword v96, off, s[0:3], 0 offset:344
	s_waitcnt vmcnt(10) lgkmcnt(2)
	v_fmac_f64_e32 v[94:95], v[116:117], v[98:99]
	s_waitcnt vmcnt(8)
	v_fmac_f64_e32 v[94:95], v[118:119], v[100:101]
	s_waitcnt vmcnt(6) lgkmcnt(1)
	v_fmac_f64_e32 v[94:95], v[120:121], v[102:103]
	s_waitcnt vmcnt(4)
	v_fmac_f64_e32 v[94:95], v[122:123], v[104:105]
	;; [unrolled: 4-line block ×3, first 2 shown]
	buffer_load_dword v97, off, s[0:3], 0 offset:356
	buffer_load_dword v96, off, s[0:3], 0 offset:352
	ds_read_b64 v[98:99], v92 offset:720
	s_waitcnt vmcnt(0) lgkmcnt(0)
	v_fmac_f64_e32 v[94:95], v[96:97], v[98:99]
	v_add_f64 v[94:95], v[110:111], -v[94:95]
	buffer_store_dword v94, off, s[0:3], 0 offset:280
	buffer_store_dword v95, off, s[0:3], 0 offset:284
	s_and_saveexec_b64 s[4:5], vcc
	s_cbranch_execz .LBB44_209
; %bb.208:
	buffer_load_dword v94, off, s[0:3], 0 offset:272
	buffer_load_dword v95, off, s[0:3], 0 offset:276
	s_waitcnt vmcnt(0)
	ds_write_b64 v1, v[94:95]
	buffer_store_dword v92, off, s[0:3], 0 offset:272
	buffer_store_dword v92, off, s[0:3], 0 offset:276
.LBB44_209:
	s_or_b64 exec, exec, s[4:5]
	s_waitcnt lgkmcnt(0)
	; wave barrier
	s_waitcnt lgkmcnt(0)
	buffer_load_dword v98, off, s[0:3], 0 offset:272
	buffer_load_dword v99, off, s[0:3], 0 offset:276
	;; [unrolled: 1-line block ×16, first 2 shown]
	ds_read2_b64 v[94:97], v92 offset0:81 offset1:82
	v_cmp_lt_u32_e32 vcc, 33, v0
	s_waitcnt vmcnt(12) lgkmcnt(0)
	v_fma_f64 v[100:101], v[100:101], v[94:95], 0
	s_waitcnt vmcnt(10)
	v_fmac_f64_e32 v[100:101], v[102:103], v[96:97]
	ds_read2_b64 v[94:97], v92 offset0:83 offset1:84
	s_waitcnt vmcnt(8) lgkmcnt(0)
	v_fmac_f64_e32 v[100:101], v[104:105], v[94:95]
	s_waitcnt vmcnt(6)
	v_fmac_f64_e32 v[100:101], v[106:107], v[96:97]
	ds_read2_b64 v[94:97], v92 offset0:85 offset1:86
	s_waitcnt vmcnt(4) lgkmcnt(0)
	v_fmac_f64_e32 v[100:101], v[108:109], v[94:95]
	;; [unrolled: 5-line block ×3, first 2 shown]
	buffer_load_dword v95, off, s[0:3], 0 offset:340
	buffer_load_dword v94, off, s[0:3], 0 offset:336
	s_waitcnt vmcnt(0)
	v_fmac_f64_e32 v[100:101], v[94:95], v[96:97]
	buffer_load_dword v97, off, s[0:3], 0 offset:348
	buffer_load_dword v96, off, s[0:3], 0 offset:344
	ds_read2_b64 v[92:95], v92 offset0:89 offset1:90
	s_waitcnt vmcnt(0) lgkmcnt(0)
	v_fmac_f64_e32 v[100:101], v[96:97], v[92:93]
	buffer_load_dword v93, off, s[0:3], 0 offset:356
	buffer_load_dword v92, off, s[0:3], 0 offset:352
	s_waitcnt vmcnt(0)
	v_fmac_f64_e32 v[100:101], v[92:93], v[94:95]
	v_add_f64 v[92:93], v[98:99], -v[100:101]
	buffer_store_dword v92, off, s[0:3], 0 offset:272
	buffer_store_dword v93, off, s[0:3], 0 offset:276
	s_and_saveexec_b64 s[4:5], vcc
	s_cbranch_execz .LBB44_211
; %bb.210:
	buffer_load_dword v92, off, s[0:3], 0 offset:264
	buffer_load_dword v93, off, s[0:3], 0 offset:268
	v_mov_b32_e32 v94, 0
	buffer_store_dword v94, off, s[0:3], 0 offset:264
	buffer_store_dword v94, off, s[0:3], 0 offset:268
	s_waitcnt vmcnt(2)
	ds_write_b64 v1, v[92:93]
.LBB44_211:
	s_or_b64 exec, exec, s[4:5]
	s_waitcnt lgkmcnt(0)
	; wave barrier
	s_waitcnt lgkmcnt(0)
	buffer_load_dword v110, off, s[0:3], 0 offset:264
	buffer_load_dword v111, off, s[0:3], 0 offset:268
	;; [unrolled: 1-line block ×16, first 2 shown]
	v_mov_b32_e32 v92, 0
	ds_read_b128 v[94:97], v92 offset:640
	ds_read_b128 v[98:101], v92 offset:656
	;; [unrolled: 1-line block ×4, first 2 shown]
	v_cmp_lt_u32_e32 vcc, 32, v0
	s_waitcnt vmcnt(12) lgkmcnt(3)
	v_fma_f64 v[112:113], v[112:113], v[94:95], 0
	buffer_load_dword v95, off, s[0:3], 0 offset:332
	buffer_load_dword v94, off, s[0:3], 0 offset:328
	s_waitcnt vmcnt(12)
	v_fmac_f64_e32 v[112:113], v[114:115], v[96:97]
	s_waitcnt vmcnt(10) lgkmcnt(2)
	v_fmac_f64_e32 v[112:113], v[116:117], v[98:99]
	buffer_load_dword v99, off, s[0:3], 0 offset:340
	buffer_load_dword v98, off, s[0:3], 0 offset:336
	s_waitcnt vmcnt(10)
	v_fmac_f64_e32 v[112:113], v[118:119], v[100:101]
	s_waitcnt vmcnt(8) lgkmcnt(1)
	v_fmac_f64_e32 v[112:113], v[120:121], v[102:103]
	s_waitcnt vmcnt(6)
	v_fmac_f64_e32 v[112:113], v[122:123], v[104:105]
	s_waitcnt vmcnt(4) lgkmcnt(0)
	v_fmac_f64_e32 v[112:113], v[124:125], v[106:107]
	s_waitcnt vmcnt(2)
	v_fmac_f64_e32 v[112:113], v[94:95], v[108:109]
	ds_read_b128 v[94:97], v92 offset:704
	s_waitcnt vmcnt(0) lgkmcnt(0)
	v_fmac_f64_e32 v[112:113], v[98:99], v[94:95]
	buffer_load_dword v95, off, s[0:3], 0 offset:348
	buffer_load_dword v94, off, s[0:3], 0 offset:344
	s_waitcnt vmcnt(0)
	v_fmac_f64_e32 v[112:113], v[94:95], v[96:97]
	buffer_load_dword v95, off, s[0:3], 0 offset:356
	buffer_load_dword v94, off, s[0:3], 0 offset:352
	ds_read_b64 v[96:97], v92 offset:720
	s_waitcnt vmcnt(0) lgkmcnt(0)
	v_fmac_f64_e32 v[112:113], v[94:95], v[96:97]
	v_add_f64 v[94:95], v[110:111], -v[112:113]
	buffer_store_dword v95, off, s[0:3], 0 offset:268
	buffer_store_dword v94, off, s[0:3], 0 offset:264
	s_and_saveexec_b64 s[4:5], vcc
	s_cbranch_execz .LBB44_213
; %bb.212:
	buffer_load_dword v94, off, s[0:3], 0 offset:256
	buffer_load_dword v95, off, s[0:3], 0 offset:260
	s_waitcnt vmcnt(0)
	ds_write_b64 v1, v[94:95]
	buffer_store_dword v92, off, s[0:3], 0 offset:256
	buffer_store_dword v92, off, s[0:3], 0 offset:260
.LBB44_213:
	s_or_b64 exec, exec, s[4:5]
	s_waitcnt lgkmcnt(0)
	; wave barrier
	s_waitcnt lgkmcnt(0)
	buffer_load_dword v98, off, s[0:3], 0 offset:256
	buffer_load_dword v99, off, s[0:3], 0 offset:260
	;; [unrolled: 1-line block ×16, first 2 shown]
	ds_read2_b64 v[94:97], v92 offset0:79 offset1:80
	v_cmp_lt_u32_e32 vcc, 31, v0
	s_waitcnt vmcnt(12) lgkmcnt(0)
	v_fma_f64 v[100:101], v[100:101], v[94:95], 0
	s_waitcnt vmcnt(10)
	v_fmac_f64_e32 v[100:101], v[102:103], v[96:97]
	ds_read2_b64 v[94:97], v92 offset0:81 offset1:82
	s_waitcnt vmcnt(8) lgkmcnt(0)
	v_fmac_f64_e32 v[100:101], v[104:105], v[94:95]
	s_waitcnt vmcnt(6)
	v_fmac_f64_e32 v[100:101], v[106:107], v[96:97]
	ds_read2_b64 v[94:97], v92 offset0:83 offset1:84
	s_waitcnt vmcnt(4) lgkmcnt(0)
	v_fmac_f64_e32 v[100:101], v[108:109], v[94:95]
	;; [unrolled: 5-line block ×3, first 2 shown]
	buffer_load_dword v95, off, s[0:3], 0 offset:324
	buffer_load_dword v94, off, s[0:3], 0 offset:320
	buffer_load_dword v103, off, s[0:3], 0 offset:332
	buffer_load_dword v102, off, s[0:3], 0 offset:328
	s_waitcnt vmcnt(2)
	v_fmac_f64_e32 v[100:101], v[94:95], v[96:97]
	ds_read2_b64 v[94:97], v92 offset0:87 offset1:88
	s_waitcnt vmcnt(0) lgkmcnt(0)
	v_fmac_f64_e32 v[100:101], v[102:103], v[94:95]
	buffer_load_dword v95, off, s[0:3], 0 offset:340
	buffer_load_dword v94, off, s[0:3], 0 offset:336
	s_waitcnt vmcnt(0)
	v_fmac_f64_e32 v[100:101], v[94:95], v[96:97]
	buffer_load_dword v97, off, s[0:3], 0 offset:348
	buffer_load_dword v96, off, s[0:3], 0 offset:344
	ds_read2_b64 v[92:95], v92 offset0:89 offset1:90
	s_waitcnt vmcnt(0) lgkmcnt(0)
	v_fmac_f64_e32 v[100:101], v[96:97], v[92:93]
	buffer_load_dword v93, off, s[0:3], 0 offset:356
	buffer_load_dword v92, off, s[0:3], 0 offset:352
	s_waitcnt vmcnt(0)
	v_fmac_f64_e32 v[100:101], v[92:93], v[94:95]
	v_add_f64 v[92:93], v[98:99], -v[100:101]
	buffer_store_dword v93, off, s[0:3], 0 offset:260
	buffer_store_dword v92, off, s[0:3], 0 offset:256
	s_and_saveexec_b64 s[4:5], vcc
	s_cbranch_execz .LBB44_215
; %bb.214:
	buffer_load_dword v92, off, s[0:3], 0 offset:248
	buffer_load_dword v93, off, s[0:3], 0 offset:252
	v_mov_b32_e32 v94, 0
	buffer_store_dword v94, off, s[0:3], 0 offset:248
	buffer_store_dword v94, off, s[0:3], 0 offset:252
	s_waitcnt vmcnt(2)
	ds_write_b64 v1, v[92:93]
.LBB44_215:
	s_or_b64 exec, exec, s[4:5]
	s_waitcnt lgkmcnt(0)
	; wave barrier
	s_waitcnt lgkmcnt(0)
	buffer_load_dword v110, off, s[0:3], 0 offset:248
	buffer_load_dword v111, off, s[0:3], 0 offset:252
	;; [unrolled: 1-line block ×16, first 2 shown]
	v_mov_b32_e32 v92, 0
	ds_read_b128 v[94:97], v92 offset:624
	ds_read_b128 v[98:101], v92 offset:640
	;; [unrolled: 1-line block ×4, first 2 shown]
	v_cmp_lt_u32_e32 vcc, 30, v0
	s_waitcnt vmcnt(12) lgkmcnt(3)
	v_fma_f64 v[112:113], v[112:113], v[94:95], 0
	buffer_load_dword v95, off, s[0:3], 0 offset:316
	buffer_load_dword v94, off, s[0:3], 0 offset:312
	s_waitcnt vmcnt(12)
	v_fmac_f64_e32 v[112:113], v[114:115], v[96:97]
	s_waitcnt vmcnt(10) lgkmcnt(2)
	v_fmac_f64_e32 v[112:113], v[116:117], v[98:99]
	buffer_load_dword v99, off, s[0:3], 0 offset:324
	buffer_load_dword v98, off, s[0:3], 0 offset:320
	s_waitcnt vmcnt(10)
	v_fmac_f64_e32 v[112:113], v[118:119], v[100:101]
	s_waitcnt vmcnt(8) lgkmcnt(1)
	v_fmac_f64_e32 v[112:113], v[120:121], v[102:103]
	s_waitcnt vmcnt(6)
	v_fmac_f64_e32 v[112:113], v[122:123], v[104:105]
	s_waitcnt vmcnt(4) lgkmcnt(0)
	v_fmac_f64_e32 v[112:113], v[124:125], v[106:107]
	s_waitcnt vmcnt(2)
	v_fmac_f64_e32 v[112:113], v[94:95], v[108:109]
	ds_read_b128 v[94:97], v92 offset:688
	s_waitcnt vmcnt(0) lgkmcnt(0)
	v_fmac_f64_e32 v[112:113], v[98:99], v[94:95]
	buffer_load_dword v95, off, s[0:3], 0 offset:332
	buffer_load_dword v94, off, s[0:3], 0 offset:328
	;; [unrolled: 1-line block ×4, first 2 shown]
	s_waitcnt vmcnt(2)
	v_fmac_f64_e32 v[112:113], v[94:95], v[96:97]
	ds_read_b128 v[94:97], v92 offset:704
	s_waitcnt vmcnt(0) lgkmcnt(0)
	v_fmac_f64_e32 v[112:113], v[98:99], v[94:95]
	buffer_load_dword v95, off, s[0:3], 0 offset:348
	buffer_load_dword v94, off, s[0:3], 0 offset:344
	s_waitcnt vmcnt(0)
	v_fmac_f64_e32 v[112:113], v[94:95], v[96:97]
	buffer_load_dword v95, off, s[0:3], 0 offset:356
	buffer_load_dword v94, off, s[0:3], 0 offset:352
	ds_read_b64 v[96:97], v92 offset:720
	s_waitcnt vmcnt(0) lgkmcnt(0)
	v_fmac_f64_e32 v[112:113], v[94:95], v[96:97]
	v_add_f64 v[94:95], v[110:111], -v[112:113]
	buffer_store_dword v95, off, s[0:3], 0 offset:252
	buffer_store_dword v94, off, s[0:3], 0 offset:248
	s_and_saveexec_b64 s[4:5], vcc
	s_cbranch_execz .LBB44_217
; %bb.216:
	buffer_load_dword v94, off, s[0:3], 0 offset:240
	buffer_load_dword v95, off, s[0:3], 0 offset:244
	s_waitcnt vmcnt(0)
	ds_write_b64 v1, v[94:95]
	buffer_store_dword v92, off, s[0:3], 0 offset:240
	buffer_store_dword v92, off, s[0:3], 0 offset:244
.LBB44_217:
	s_or_b64 exec, exec, s[4:5]
	s_waitcnt lgkmcnt(0)
	; wave barrier
	s_waitcnt lgkmcnt(0)
	buffer_load_dword v98, off, s[0:3], 0 offset:240
	buffer_load_dword v99, off, s[0:3], 0 offset:244
	;; [unrolled: 1-line block ×16, first 2 shown]
	ds_read2_b64 v[94:97], v92 offset0:77 offset1:78
	v_cmp_lt_u32_e32 vcc, 29, v0
	s_waitcnt vmcnt(12) lgkmcnt(0)
	v_fma_f64 v[100:101], v[100:101], v[94:95], 0
	s_waitcnt vmcnt(10)
	v_fmac_f64_e32 v[100:101], v[102:103], v[96:97]
	ds_read2_b64 v[94:97], v92 offset0:79 offset1:80
	s_waitcnt vmcnt(8) lgkmcnt(0)
	v_fmac_f64_e32 v[100:101], v[104:105], v[94:95]
	s_waitcnt vmcnt(6)
	v_fmac_f64_e32 v[100:101], v[106:107], v[96:97]
	ds_read2_b64 v[94:97], v92 offset0:81 offset1:82
	s_waitcnt vmcnt(4) lgkmcnt(0)
	v_fmac_f64_e32 v[100:101], v[108:109], v[94:95]
	;; [unrolled: 5-line block ×3, first 2 shown]
	buffer_load_dword v95, off, s[0:3], 0 offset:308
	buffer_load_dword v94, off, s[0:3], 0 offset:304
	;; [unrolled: 1-line block ×4, first 2 shown]
	s_waitcnt vmcnt(2)
	v_fmac_f64_e32 v[100:101], v[94:95], v[96:97]
	ds_read2_b64 v[94:97], v92 offset0:85 offset1:86
	s_waitcnt vmcnt(0) lgkmcnt(0)
	v_fmac_f64_e32 v[100:101], v[102:103], v[94:95]
	buffer_load_dword v95, off, s[0:3], 0 offset:324
	buffer_load_dword v94, off, s[0:3], 0 offset:320
	;; [unrolled: 1-line block ×4, first 2 shown]
	s_waitcnt vmcnt(2)
	v_fmac_f64_e32 v[100:101], v[94:95], v[96:97]
	ds_read2_b64 v[94:97], v92 offset0:87 offset1:88
	s_waitcnt vmcnt(0) lgkmcnt(0)
	v_fmac_f64_e32 v[100:101], v[102:103], v[94:95]
	buffer_load_dword v95, off, s[0:3], 0 offset:340
	buffer_load_dword v94, off, s[0:3], 0 offset:336
	s_waitcnt vmcnt(0)
	v_fmac_f64_e32 v[100:101], v[94:95], v[96:97]
	buffer_load_dword v97, off, s[0:3], 0 offset:348
	buffer_load_dword v96, off, s[0:3], 0 offset:344
	ds_read2_b64 v[92:95], v92 offset0:89 offset1:90
	s_waitcnt vmcnt(0) lgkmcnt(0)
	v_fmac_f64_e32 v[100:101], v[96:97], v[92:93]
	buffer_load_dword v93, off, s[0:3], 0 offset:356
	buffer_load_dword v92, off, s[0:3], 0 offset:352
	s_waitcnt vmcnt(0)
	v_fmac_f64_e32 v[100:101], v[92:93], v[94:95]
	v_add_f64 v[92:93], v[98:99], -v[100:101]
	buffer_store_dword v93, off, s[0:3], 0 offset:244
	buffer_store_dword v92, off, s[0:3], 0 offset:240
	s_and_saveexec_b64 s[4:5], vcc
	s_cbranch_execz .LBB44_219
; %bb.218:
	buffer_load_dword v92, off, s[0:3], 0 offset:232
	buffer_load_dword v93, off, s[0:3], 0 offset:236
	v_mov_b32_e32 v94, 0
	buffer_store_dword v94, off, s[0:3], 0 offset:232
	buffer_store_dword v94, off, s[0:3], 0 offset:236
	s_waitcnt vmcnt(2)
	ds_write_b64 v1, v[92:93]
.LBB44_219:
	s_or_b64 exec, exec, s[4:5]
	s_waitcnt lgkmcnt(0)
	; wave barrier
	s_waitcnt lgkmcnt(0)
	buffer_load_dword v110, off, s[0:3], 0 offset:232
	buffer_load_dword v111, off, s[0:3], 0 offset:236
	;; [unrolled: 1-line block ×16, first 2 shown]
	v_mov_b32_e32 v92, 0
	ds_read_b128 v[94:97], v92 offset:608
	ds_read_b128 v[98:101], v92 offset:624
	;; [unrolled: 1-line block ×4, first 2 shown]
	v_cmp_lt_u32_e32 vcc, 28, v0
	s_waitcnt vmcnt(12) lgkmcnt(3)
	v_fma_f64 v[112:113], v[112:113], v[94:95], 0
	buffer_load_dword v95, off, s[0:3], 0 offset:300
	buffer_load_dword v94, off, s[0:3], 0 offset:296
	s_waitcnt vmcnt(12)
	v_fmac_f64_e32 v[112:113], v[114:115], v[96:97]
	s_waitcnt vmcnt(10) lgkmcnt(2)
	v_fmac_f64_e32 v[112:113], v[116:117], v[98:99]
	buffer_load_dword v99, off, s[0:3], 0 offset:308
	buffer_load_dword v98, off, s[0:3], 0 offset:304
	s_waitcnt vmcnt(10)
	v_fmac_f64_e32 v[112:113], v[118:119], v[100:101]
	s_waitcnt vmcnt(8) lgkmcnt(1)
	v_fmac_f64_e32 v[112:113], v[120:121], v[102:103]
	s_waitcnt vmcnt(6)
	v_fmac_f64_e32 v[112:113], v[122:123], v[104:105]
	s_waitcnt vmcnt(4) lgkmcnt(0)
	v_fmac_f64_e32 v[112:113], v[124:125], v[106:107]
	s_waitcnt vmcnt(2)
	v_fmac_f64_e32 v[112:113], v[94:95], v[108:109]
	ds_read_b128 v[94:97], v92 offset:672
	s_waitcnt vmcnt(0) lgkmcnt(0)
	v_fmac_f64_e32 v[112:113], v[98:99], v[94:95]
	buffer_load_dword v95, off, s[0:3], 0 offset:316
	buffer_load_dword v94, off, s[0:3], 0 offset:312
	;; [unrolled: 1-line block ×4, first 2 shown]
	s_waitcnt vmcnt(2)
	v_fmac_f64_e32 v[112:113], v[94:95], v[96:97]
	ds_read_b128 v[94:97], v92 offset:688
	s_waitcnt vmcnt(0) lgkmcnt(0)
	v_fmac_f64_e32 v[112:113], v[98:99], v[94:95]
	buffer_load_dword v95, off, s[0:3], 0 offset:332
	buffer_load_dword v94, off, s[0:3], 0 offset:328
	;; [unrolled: 1-line block ×4, first 2 shown]
	s_waitcnt vmcnt(2)
	v_fmac_f64_e32 v[112:113], v[94:95], v[96:97]
	ds_read_b128 v[94:97], v92 offset:704
	s_waitcnt vmcnt(0) lgkmcnt(0)
	v_fmac_f64_e32 v[112:113], v[98:99], v[94:95]
	buffer_load_dword v95, off, s[0:3], 0 offset:348
	buffer_load_dword v94, off, s[0:3], 0 offset:344
	s_waitcnt vmcnt(0)
	v_fmac_f64_e32 v[112:113], v[94:95], v[96:97]
	buffer_load_dword v95, off, s[0:3], 0 offset:356
	buffer_load_dword v94, off, s[0:3], 0 offset:352
	ds_read_b64 v[96:97], v92 offset:720
	s_waitcnt vmcnt(0) lgkmcnt(0)
	v_fmac_f64_e32 v[112:113], v[94:95], v[96:97]
	v_add_f64 v[94:95], v[110:111], -v[112:113]
	buffer_store_dword v95, off, s[0:3], 0 offset:236
	buffer_store_dword v94, off, s[0:3], 0 offset:232
	s_and_saveexec_b64 s[4:5], vcc
	s_cbranch_execz .LBB44_221
; %bb.220:
	buffer_load_dword v94, off, s[0:3], 0 offset:224
	buffer_load_dword v95, off, s[0:3], 0 offset:228
	s_waitcnt vmcnt(0)
	ds_write_b64 v1, v[94:95]
	buffer_store_dword v92, off, s[0:3], 0 offset:224
	buffer_store_dword v92, off, s[0:3], 0 offset:228
.LBB44_221:
	s_or_b64 exec, exec, s[4:5]
	s_waitcnt lgkmcnt(0)
	; wave barrier
	s_waitcnt lgkmcnt(0)
	buffer_load_dword v98, off, s[0:3], 0 offset:224
	buffer_load_dword v99, off, s[0:3], 0 offset:228
	;; [unrolled: 1-line block ×16, first 2 shown]
	ds_read2_b64 v[94:97], v92 offset0:75 offset1:76
	v_cmp_lt_u32_e32 vcc, 27, v0
	s_waitcnt vmcnt(12) lgkmcnt(0)
	v_fma_f64 v[100:101], v[100:101], v[94:95], 0
	s_waitcnt vmcnt(10)
	v_fmac_f64_e32 v[100:101], v[102:103], v[96:97]
	ds_read2_b64 v[94:97], v92 offset0:77 offset1:78
	s_waitcnt vmcnt(8) lgkmcnt(0)
	v_fmac_f64_e32 v[100:101], v[104:105], v[94:95]
	s_waitcnt vmcnt(6)
	v_fmac_f64_e32 v[100:101], v[106:107], v[96:97]
	ds_read2_b64 v[94:97], v92 offset0:79 offset1:80
	s_waitcnt vmcnt(4) lgkmcnt(0)
	v_fmac_f64_e32 v[100:101], v[108:109], v[94:95]
	s_waitcnt vmcnt(2)
	v_fmac_f64_e32 v[100:101], v[110:111], v[96:97]
	ds_read2_b64 v[94:97], v92 offset0:81 offset1:82
	s_waitcnt vmcnt(0) lgkmcnt(0)
	v_fmac_f64_e32 v[100:101], v[112:113], v[94:95]
	buffer_load_dword v95, off, s[0:3], 0 offset:292
	buffer_load_dword v94, off, s[0:3], 0 offset:288
	buffer_load_dword v103, off, s[0:3], 0 offset:300
	buffer_load_dword v102, off, s[0:3], 0 offset:296
	s_waitcnt vmcnt(2)
	v_fmac_f64_e32 v[100:101], v[94:95], v[96:97]
	ds_read2_b64 v[94:97], v92 offset0:83 offset1:84
	s_waitcnt vmcnt(0) lgkmcnt(0)
	v_fmac_f64_e32 v[100:101], v[102:103], v[94:95]
	buffer_load_dword v95, off, s[0:3], 0 offset:308
	buffer_load_dword v94, off, s[0:3], 0 offset:304
	buffer_load_dword v103, off, s[0:3], 0 offset:316
	buffer_load_dword v102, off, s[0:3], 0 offset:312
	s_waitcnt vmcnt(2)
	v_fmac_f64_e32 v[100:101], v[94:95], v[96:97]
	ds_read2_b64 v[94:97], v92 offset0:85 offset1:86
	s_waitcnt vmcnt(0) lgkmcnt(0)
	v_fmac_f64_e32 v[100:101], v[102:103], v[94:95]
	buffer_load_dword v95, off, s[0:3], 0 offset:324
	buffer_load_dword v94, off, s[0:3], 0 offset:320
	buffer_load_dword v103, off, s[0:3], 0 offset:332
	buffer_load_dword v102, off, s[0:3], 0 offset:328
	s_waitcnt vmcnt(2)
	v_fmac_f64_e32 v[100:101], v[94:95], v[96:97]
	ds_read2_b64 v[94:97], v92 offset0:87 offset1:88
	s_waitcnt vmcnt(0) lgkmcnt(0)
	v_fmac_f64_e32 v[100:101], v[102:103], v[94:95]
	buffer_load_dword v95, off, s[0:3], 0 offset:340
	buffer_load_dword v94, off, s[0:3], 0 offset:336
	s_waitcnt vmcnt(0)
	v_fmac_f64_e32 v[100:101], v[94:95], v[96:97]
	buffer_load_dword v97, off, s[0:3], 0 offset:348
	buffer_load_dword v96, off, s[0:3], 0 offset:344
	ds_read2_b64 v[92:95], v92 offset0:89 offset1:90
	s_waitcnt vmcnt(0) lgkmcnt(0)
	v_fmac_f64_e32 v[100:101], v[96:97], v[92:93]
	buffer_load_dword v93, off, s[0:3], 0 offset:356
	buffer_load_dword v92, off, s[0:3], 0 offset:352
	s_waitcnt vmcnt(0)
	v_fmac_f64_e32 v[100:101], v[92:93], v[94:95]
	v_add_f64 v[92:93], v[98:99], -v[100:101]
	buffer_store_dword v93, off, s[0:3], 0 offset:228
	buffer_store_dword v92, off, s[0:3], 0 offset:224
	s_and_saveexec_b64 s[4:5], vcc
	s_cbranch_execz .LBB44_223
; %bb.222:
	buffer_load_dword v92, off, s[0:3], 0 offset:216
	buffer_load_dword v93, off, s[0:3], 0 offset:220
	v_mov_b32_e32 v94, 0
	buffer_store_dword v94, off, s[0:3], 0 offset:216
	buffer_store_dword v94, off, s[0:3], 0 offset:220
	s_waitcnt vmcnt(2)
	ds_write_b64 v1, v[92:93]
.LBB44_223:
	s_or_b64 exec, exec, s[4:5]
	s_waitcnt lgkmcnt(0)
	; wave barrier
	s_waitcnt lgkmcnt(0)
	buffer_load_dword v92, off, s[0:3], 0 offset:216
	buffer_load_dword v93, off, s[0:3], 0 offset:220
	;; [unrolled: 1-line block ×16, first 2 shown]
	v_mov_b32_e32 v96, 0
	ds_read_b128 v[98:101], v96 offset:592
	ds_read_b128 v[102:105], v96 offset:608
	;; [unrolled: 1-line block ×4, first 2 shown]
	v_cmp_lt_u32_e32 vcc, 26, v0
	s_waitcnt vmcnt(12) lgkmcnt(3)
	v_fma_f64 v[94:95], v[94:95], v[98:99], 0
	buffer_load_dword v99, off, s[0:3], 0 offset:284
	buffer_load_dword v98, off, s[0:3], 0 offset:280
	s_waitcnt vmcnt(12)
	v_fmac_f64_e32 v[94:95], v[114:115], v[100:101]
	s_waitcnt vmcnt(10) lgkmcnt(2)
	v_fmac_f64_e32 v[94:95], v[116:117], v[102:103]
	buffer_load_dword v103, off, s[0:3], 0 offset:292
	buffer_load_dword v102, off, s[0:3], 0 offset:288
	s_waitcnt vmcnt(10)
	v_fmac_f64_e32 v[94:95], v[118:119], v[104:105]
	s_waitcnt vmcnt(8) lgkmcnt(1)
	v_fmac_f64_e32 v[94:95], v[120:121], v[106:107]
	s_waitcnt vmcnt(6)
	v_fmac_f64_e32 v[94:95], v[122:123], v[108:109]
	s_waitcnt vmcnt(4) lgkmcnt(0)
	v_fmac_f64_e32 v[94:95], v[124:125], v[110:111]
	s_waitcnt vmcnt(2)
	v_fmac_f64_e32 v[94:95], v[98:99], v[112:113]
	ds_read_b128 v[98:101], v96 offset:656
	s_waitcnt vmcnt(0) lgkmcnt(0)
	v_fmac_f64_e32 v[94:95], v[102:103], v[98:99]
	buffer_load_dword v99, off, s[0:3], 0 offset:300
	buffer_load_dword v98, off, s[0:3], 0 offset:296
	buffer_load_dword v103, off, s[0:3], 0 offset:308
	buffer_load_dword v102, off, s[0:3], 0 offset:304
	s_waitcnt vmcnt(2)
	v_fmac_f64_e32 v[94:95], v[98:99], v[100:101]
	ds_read_b128 v[98:101], v96 offset:672
	s_waitcnt vmcnt(0) lgkmcnt(0)
	v_fmac_f64_e32 v[94:95], v[102:103], v[98:99]
	buffer_load_dword v99, off, s[0:3], 0 offset:316
	buffer_load_dword v98, off, s[0:3], 0 offset:312
	buffer_load_dword v103, off, s[0:3], 0 offset:324
	buffer_load_dword v102, off, s[0:3], 0 offset:320
	;; [unrolled: 9-line block ×3, first 2 shown]
	s_waitcnt vmcnt(2)
	v_fmac_f64_e32 v[94:95], v[98:99], v[100:101]
	ds_read_b128 v[98:101], v96 offset:704
	s_waitcnt vmcnt(0) lgkmcnt(0)
	v_fmac_f64_e32 v[94:95], v[102:103], v[98:99]
	buffer_load_dword v99, off, s[0:3], 0 offset:348
	buffer_load_dword v98, off, s[0:3], 0 offset:344
	s_waitcnt vmcnt(0)
	v_fmac_f64_e32 v[94:95], v[98:99], v[100:101]
	buffer_load_dword v99, off, s[0:3], 0 offset:356
	buffer_load_dword v98, off, s[0:3], 0 offset:352
	ds_read_b64 v[100:101], v96 offset:720
	s_waitcnt vmcnt(0) lgkmcnt(0)
	v_fmac_f64_e32 v[94:95], v[98:99], v[100:101]
	v_add_f64 v[92:93], v[92:93], -v[94:95]
	buffer_store_dword v93, off, s[0:3], 0 offset:220
	buffer_store_dword v92, off, s[0:3], 0 offset:216
	s_and_saveexec_b64 s[4:5], vcc
	s_cbranch_execz .LBB44_225
; %bb.224:
	buffer_load_dword v92, off, s[0:3], 0 offset:208
	buffer_load_dword v93, off, s[0:3], 0 offset:212
	s_waitcnt vmcnt(0)
	ds_write_b64 v1, v[92:93]
	buffer_store_dword v96, off, s[0:3], 0 offset:208
	buffer_store_dword v96, off, s[0:3], 0 offset:212
.LBB44_225:
	s_or_b64 exec, exec, s[4:5]
	s_waitcnt lgkmcnt(0)
	; wave barrier
	s_waitcnt lgkmcnt(0)
	buffer_load_dword v92, off, s[0:3], 0 offset:208
	buffer_load_dword v93, off, s[0:3], 0 offset:212
	;; [unrolled: 1-line block ×16, first 2 shown]
	ds_read2_b64 v[98:101], v96 offset0:73 offset1:74
	v_cmp_lt_u32_e32 vcc, 25, v0
	s_waitcnt vmcnt(12) lgkmcnt(0)
	v_fma_f64 v[94:95], v[94:95], v[98:99], 0
	s_waitcnt vmcnt(10)
	v_fmac_f64_e32 v[94:95], v[102:103], v[100:101]
	ds_read2_b64 v[98:101], v96 offset0:75 offset1:76
	s_waitcnt vmcnt(8) lgkmcnt(0)
	v_fmac_f64_e32 v[94:95], v[104:105], v[98:99]
	s_waitcnt vmcnt(6)
	v_fmac_f64_e32 v[94:95], v[106:107], v[100:101]
	ds_read2_b64 v[98:101], v96 offset0:77 offset1:78
	s_waitcnt vmcnt(4) lgkmcnt(0)
	v_fmac_f64_e32 v[94:95], v[108:109], v[98:99]
	;; [unrolled: 5-line block ×3, first 2 shown]
	buffer_load_dword v99, off, s[0:3], 0 offset:276
	buffer_load_dword v98, off, s[0:3], 0 offset:272
	buffer_load_dword v103, off, s[0:3], 0 offset:284
	buffer_load_dword v102, off, s[0:3], 0 offset:280
	s_waitcnt vmcnt(2)
	v_fmac_f64_e32 v[94:95], v[98:99], v[100:101]
	ds_read2_b64 v[98:101], v96 offset0:81 offset1:82
	s_waitcnt vmcnt(0) lgkmcnt(0)
	v_fmac_f64_e32 v[94:95], v[102:103], v[98:99]
	buffer_load_dword v99, off, s[0:3], 0 offset:292
	buffer_load_dword v98, off, s[0:3], 0 offset:288
	buffer_load_dword v103, off, s[0:3], 0 offset:300
	buffer_load_dword v102, off, s[0:3], 0 offset:296
	s_waitcnt vmcnt(2)
	v_fmac_f64_e32 v[94:95], v[98:99], v[100:101]
	ds_read2_b64 v[98:101], v96 offset0:83 offset1:84
	s_waitcnt vmcnt(0) lgkmcnt(0)
	v_fmac_f64_e32 v[94:95], v[102:103], v[98:99]
	;; [unrolled: 9-line block ×4, first 2 shown]
	buffer_load_dword v99, off, s[0:3], 0 offset:340
	buffer_load_dword v98, off, s[0:3], 0 offset:336
	s_waitcnt vmcnt(0)
	v_fmac_f64_e32 v[94:95], v[98:99], v[100:101]
	buffer_load_dword v101, off, s[0:3], 0 offset:348
	buffer_load_dword v100, off, s[0:3], 0 offset:344
	ds_read2_b64 v[96:99], v96 offset0:89 offset1:90
	s_waitcnt vmcnt(0) lgkmcnt(0)
	v_fmac_f64_e32 v[94:95], v[100:101], v[96:97]
	buffer_load_dword v97, off, s[0:3], 0 offset:356
	buffer_load_dword v96, off, s[0:3], 0 offset:352
	s_waitcnt vmcnt(0)
	v_fmac_f64_e32 v[94:95], v[96:97], v[98:99]
	v_add_f64 v[92:93], v[92:93], -v[94:95]
	buffer_store_dword v93, off, s[0:3], 0 offset:212
	buffer_store_dword v92, off, s[0:3], 0 offset:208
	s_and_saveexec_b64 s[4:5], vcc
	s_cbranch_execz .LBB44_227
; %bb.226:
	buffer_load_dword v92, off, s[0:3], 0 offset:200
	buffer_load_dword v93, off, s[0:3], 0 offset:204
	v_mov_b32_e32 v94, 0
	buffer_store_dword v94, off, s[0:3], 0 offset:200
	buffer_store_dword v94, off, s[0:3], 0 offset:204
	s_waitcnt vmcnt(2)
	ds_write_b64 v1, v[92:93]
.LBB44_227:
	s_or_b64 exec, exec, s[4:5]
	s_waitcnt lgkmcnt(0)
	; wave barrier
	s_waitcnt lgkmcnt(0)
	buffer_load_dword v92, off, s[0:3], 0 offset:200
	buffer_load_dword v93, off, s[0:3], 0 offset:204
	;; [unrolled: 1-line block ×16, first 2 shown]
	v_mov_b32_e32 v96, 0
	ds_read_b128 v[98:101], v96 offset:576
	ds_read_b128 v[102:105], v96 offset:592
	;; [unrolled: 1-line block ×4, first 2 shown]
	v_cmp_lt_u32_e32 vcc, 24, v0
	s_waitcnt vmcnt(12) lgkmcnt(3)
	v_fma_f64 v[94:95], v[94:95], v[98:99], 0
	buffer_load_dword v99, off, s[0:3], 0 offset:268
	buffer_load_dword v98, off, s[0:3], 0 offset:264
	s_waitcnt vmcnt(12)
	v_fmac_f64_e32 v[94:95], v[114:115], v[100:101]
	s_waitcnt vmcnt(10) lgkmcnt(2)
	v_fmac_f64_e32 v[94:95], v[116:117], v[102:103]
	buffer_load_dword v103, off, s[0:3], 0 offset:276
	buffer_load_dword v102, off, s[0:3], 0 offset:272
	s_waitcnt vmcnt(10)
	v_fmac_f64_e32 v[94:95], v[118:119], v[104:105]
	s_waitcnt vmcnt(8) lgkmcnt(1)
	v_fmac_f64_e32 v[94:95], v[120:121], v[106:107]
	s_waitcnt vmcnt(6)
	v_fmac_f64_e32 v[94:95], v[122:123], v[108:109]
	s_waitcnt vmcnt(4) lgkmcnt(0)
	v_fmac_f64_e32 v[94:95], v[124:125], v[110:111]
	s_waitcnt vmcnt(2)
	v_fmac_f64_e32 v[94:95], v[98:99], v[112:113]
	ds_read_b128 v[98:101], v96 offset:640
	s_waitcnt vmcnt(0) lgkmcnt(0)
	v_fmac_f64_e32 v[94:95], v[102:103], v[98:99]
	buffer_load_dword v99, off, s[0:3], 0 offset:284
	buffer_load_dword v98, off, s[0:3], 0 offset:280
	buffer_load_dword v103, off, s[0:3], 0 offset:292
	buffer_load_dword v102, off, s[0:3], 0 offset:288
	s_waitcnt vmcnt(2)
	v_fmac_f64_e32 v[94:95], v[98:99], v[100:101]
	ds_read_b128 v[98:101], v96 offset:656
	s_waitcnt vmcnt(0) lgkmcnt(0)
	v_fmac_f64_e32 v[94:95], v[102:103], v[98:99]
	buffer_load_dword v99, off, s[0:3], 0 offset:300
	buffer_load_dword v98, off, s[0:3], 0 offset:296
	buffer_load_dword v103, off, s[0:3], 0 offset:308
	buffer_load_dword v102, off, s[0:3], 0 offset:304
	;; [unrolled: 9-line block ×4, first 2 shown]
	s_waitcnt vmcnt(2)
	v_fmac_f64_e32 v[94:95], v[98:99], v[100:101]
	ds_read_b128 v[98:101], v96 offset:704
	s_waitcnt vmcnt(0) lgkmcnt(0)
	v_fmac_f64_e32 v[94:95], v[102:103], v[98:99]
	buffer_load_dword v99, off, s[0:3], 0 offset:348
	buffer_load_dword v98, off, s[0:3], 0 offset:344
	s_waitcnt vmcnt(0)
	v_fmac_f64_e32 v[94:95], v[98:99], v[100:101]
	buffer_load_dword v99, off, s[0:3], 0 offset:356
	buffer_load_dword v98, off, s[0:3], 0 offset:352
	ds_read_b64 v[100:101], v96 offset:720
	s_waitcnt vmcnt(0) lgkmcnt(0)
	v_fmac_f64_e32 v[94:95], v[98:99], v[100:101]
	v_add_f64 v[92:93], v[92:93], -v[94:95]
	buffer_store_dword v93, off, s[0:3], 0 offset:204
	buffer_store_dword v92, off, s[0:3], 0 offset:200
	s_and_saveexec_b64 s[4:5], vcc
	s_cbranch_execz .LBB44_229
; %bb.228:
	buffer_load_dword v92, off, s[0:3], 0 offset:192
	buffer_load_dword v93, off, s[0:3], 0 offset:196
	s_waitcnt vmcnt(0)
	ds_write_b64 v1, v[92:93]
	buffer_store_dword v96, off, s[0:3], 0 offset:192
	buffer_store_dword v96, off, s[0:3], 0 offset:196
.LBB44_229:
	s_or_b64 exec, exec, s[4:5]
	s_waitcnt lgkmcnt(0)
	; wave barrier
	s_waitcnt lgkmcnt(0)
	buffer_load_dword v92, off, s[0:3], 0 offset:192
	buffer_load_dword v93, off, s[0:3], 0 offset:196
	;; [unrolled: 1-line block ×16, first 2 shown]
	ds_read2_b64 v[98:101], v96 offset0:71 offset1:72
	v_cmp_lt_u32_e32 vcc, 23, v0
	s_waitcnt vmcnt(12) lgkmcnt(0)
	v_fma_f64 v[94:95], v[94:95], v[98:99], 0
	s_waitcnt vmcnt(10)
	v_fmac_f64_e32 v[94:95], v[102:103], v[100:101]
	ds_read2_b64 v[98:101], v96 offset0:73 offset1:74
	s_waitcnt vmcnt(8) lgkmcnt(0)
	v_fmac_f64_e32 v[94:95], v[104:105], v[98:99]
	s_waitcnt vmcnt(6)
	v_fmac_f64_e32 v[94:95], v[106:107], v[100:101]
	ds_read2_b64 v[98:101], v96 offset0:75 offset1:76
	s_waitcnt vmcnt(4) lgkmcnt(0)
	v_fmac_f64_e32 v[94:95], v[108:109], v[98:99]
	;; [unrolled: 5-line block ×3, first 2 shown]
	buffer_load_dword v99, off, s[0:3], 0 offset:260
	buffer_load_dword v98, off, s[0:3], 0 offset:256
	buffer_load_dword v103, off, s[0:3], 0 offset:268
	buffer_load_dword v102, off, s[0:3], 0 offset:264
	s_waitcnt vmcnt(2)
	v_fmac_f64_e32 v[94:95], v[98:99], v[100:101]
	ds_read2_b64 v[98:101], v96 offset0:79 offset1:80
	s_waitcnt vmcnt(0) lgkmcnt(0)
	v_fmac_f64_e32 v[94:95], v[102:103], v[98:99]
	buffer_load_dword v99, off, s[0:3], 0 offset:276
	buffer_load_dword v98, off, s[0:3], 0 offset:272
	buffer_load_dword v103, off, s[0:3], 0 offset:284
	buffer_load_dword v102, off, s[0:3], 0 offset:280
	s_waitcnt vmcnt(2)
	v_fmac_f64_e32 v[94:95], v[98:99], v[100:101]
	ds_read2_b64 v[98:101], v96 offset0:81 offset1:82
	s_waitcnt vmcnt(0) lgkmcnt(0)
	v_fmac_f64_e32 v[94:95], v[102:103], v[98:99]
	;; [unrolled: 9-line block ×5, first 2 shown]
	buffer_load_dword v99, off, s[0:3], 0 offset:340
	buffer_load_dword v98, off, s[0:3], 0 offset:336
	s_waitcnt vmcnt(0)
	v_fmac_f64_e32 v[94:95], v[98:99], v[100:101]
	buffer_load_dword v101, off, s[0:3], 0 offset:348
	buffer_load_dword v100, off, s[0:3], 0 offset:344
	ds_read2_b64 v[96:99], v96 offset0:89 offset1:90
	s_waitcnt vmcnt(0) lgkmcnt(0)
	v_fmac_f64_e32 v[94:95], v[100:101], v[96:97]
	buffer_load_dword v97, off, s[0:3], 0 offset:356
	buffer_load_dword v96, off, s[0:3], 0 offset:352
	s_waitcnt vmcnt(0)
	v_fmac_f64_e32 v[94:95], v[96:97], v[98:99]
	v_add_f64 v[92:93], v[92:93], -v[94:95]
	buffer_store_dword v93, off, s[0:3], 0 offset:196
	buffer_store_dword v92, off, s[0:3], 0 offset:192
	s_and_saveexec_b64 s[4:5], vcc
	s_cbranch_execz .LBB44_231
; %bb.230:
	buffer_load_dword v92, off, s[0:3], 0 offset:184
	buffer_load_dword v93, off, s[0:3], 0 offset:188
	v_mov_b32_e32 v94, 0
	buffer_store_dword v94, off, s[0:3], 0 offset:184
	buffer_store_dword v94, off, s[0:3], 0 offset:188
	s_waitcnt vmcnt(2)
	ds_write_b64 v1, v[92:93]
.LBB44_231:
	s_or_b64 exec, exec, s[4:5]
	s_waitcnt lgkmcnt(0)
	; wave barrier
	s_waitcnt lgkmcnt(0)
	buffer_load_dword v92, off, s[0:3], 0 offset:184
	buffer_load_dword v93, off, s[0:3], 0 offset:188
	;; [unrolled: 1-line block ×16, first 2 shown]
	v_mov_b32_e32 v96, 0
	ds_read_b128 v[98:101], v96 offset:560
	ds_read_b128 v[102:105], v96 offset:576
	;; [unrolled: 1-line block ×4, first 2 shown]
	v_cmp_lt_u32_e32 vcc, 22, v0
	s_waitcnt vmcnt(12) lgkmcnt(3)
	v_fma_f64 v[94:95], v[94:95], v[98:99], 0
	buffer_load_dword v99, off, s[0:3], 0 offset:252
	buffer_load_dword v98, off, s[0:3], 0 offset:248
	s_waitcnt vmcnt(12)
	v_fmac_f64_e32 v[94:95], v[114:115], v[100:101]
	s_waitcnt vmcnt(10) lgkmcnt(2)
	v_fmac_f64_e32 v[94:95], v[116:117], v[102:103]
	buffer_load_dword v103, off, s[0:3], 0 offset:260
	buffer_load_dword v102, off, s[0:3], 0 offset:256
	s_waitcnt vmcnt(10)
	v_fmac_f64_e32 v[94:95], v[118:119], v[104:105]
	s_waitcnt vmcnt(8) lgkmcnt(1)
	v_fmac_f64_e32 v[94:95], v[120:121], v[106:107]
	s_waitcnt vmcnt(6)
	v_fmac_f64_e32 v[94:95], v[122:123], v[108:109]
	s_waitcnt vmcnt(4) lgkmcnt(0)
	v_fmac_f64_e32 v[94:95], v[124:125], v[110:111]
	s_waitcnt vmcnt(2)
	v_fmac_f64_e32 v[94:95], v[98:99], v[112:113]
	ds_read_b128 v[98:101], v96 offset:624
	s_waitcnt vmcnt(0) lgkmcnt(0)
	v_fmac_f64_e32 v[94:95], v[102:103], v[98:99]
	buffer_load_dword v99, off, s[0:3], 0 offset:268
	buffer_load_dword v98, off, s[0:3], 0 offset:264
	buffer_load_dword v103, off, s[0:3], 0 offset:276
	buffer_load_dword v102, off, s[0:3], 0 offset:272
	s_waitcnt vmcnt(2)
	v_fmac_f64_e32 v[94:95], v[98:99], v[100:101]
	ds_read_b128 v[98:101], v96 offset:640
	s_waitcnt vmcnt(0) lgkmcnt(0)
	v_fmac_f64_e32 v[94:95], v[102:103], v[98:99]
	buffer_load_dword v99, off, s[0:3], 0 offset:284
	buffer_load_dword v98, off, s[0:3], 0 offset:280
	buffer_load_dword v103, off, s[0:3], 0 offset:292
	buffer_load_dword v102, off, s[0:3], 0 offset:288
	;; [unrolled: 9-line block ×5, first 2 shown]
	s_waitcnt vmcnt(2)
	v_fmac_f64_e32 v[94:95], v[98:99], v[100:101]
	ds_read_b128 v[98:101], v96 offset:704
	s_waitcnt vmcnt(0) lgkmcnt(0)
	v_fmac_f64_e32 v[94:95], v[102:103], v[98:99]
	buffer_load_dword v99, off, s[0:3], 0 offset:348
	buffer_load_dword v98, off, s[0:3], 0 offset:344
	s_waitcnt vmcnt(0)
	v_fmac_f64_e32 v[94:95], v[98:99], v[100:101]
	buffer_load_dword v99, off, s[0:3], 0 offset:356
	buffer_load_dword v98, off, s[0:3], 0 offset:352
	ds_read_b64 v[100:101], v96 offset:720
	s_waitcnt vmcnt(0) lgkmcnt(0)
	v_fmac_f64_e32 v[94:95], v[98:99], v[100:101]
	v_add_f64 v[92:93], v[92:93], -v[94:95]
	buffer_store_dword v93, off, s[0:3], 0 offset:188
	buffer_store_dword v92, off, s[0:3], 0 offset:184
	s_and_saveexec_b64 s[4:5], vcc
	s_cbranch_execz .LBB44_233
; %bb.232:
	buffer_load_dword v92, off, s[0:3], 0 offset:176
	buffer_load_dword v93, off, s[0:3], 0 offset:180
	s_waitcnt vmcnt(0)
	ds_write_b64 v1, v[92:93]
	buffer_store_dword v96, off, s[0:3], 0 offset:176
	buffer_store_dword v96, off, s[0:3], 0 offset:180
.LBB44_233:
	s_or_b64 exec, exec, s[4:5]
	s_waitcnt lgkmcnt(0)
	; wave barrier
	s_waitcnt lgkmcnt(0)
	buffer_load_dword v92, off, s[0:3], 0 offset:176
	buffer_load_dword v93, off, s[0:3], 0 offset:180
	buffer_load_dword v94, off, s[0:3], 0 offset:184
	buffer_load_dword v95, off, s[0:3], 0 offset:188
	buffer_load_dword v102, off, s[0:3], 0 offset:192
	buffer_load_dword v103, off, s[0:3], 0 offset:196
	buffer_load_dword v104, off, s[0:3], 0 offset:200
	buffer_load_dword v105, off, s[0:3], 0 offset:204
	buffer_load_dword v106, off, s[0:3], 0 offset:208
	buffer_load_dword v107, off, s[0:3], 0 offset:212
	buffer_load_dword v108, off, s[0:3], 0 offset:216
	buffer_load_dword v109, off, s[0:3], 0 offset:220
	buffer_load_dword v110, off, s[0:3], 0 offset:224
	buffer_load_dword v111, off, s[0:3], 0 offset:228
	buffer_load_dword v112, off, s[0:3], 0 offset:232
	buffer_load_dword v113, off, s[0:3], 0 offset:236
	ds_read2_b64 v[98:101], v96 offset0:69 offset1:70
	v_cmp_lt_u32_e32 vcc, 21, v0
	s_waitcnt vmcnt(12) lgkmcnt(0)
	v_fma_f64 v[94:95], v[94:95], v[98:99], 0
	s_waitcnt vmcnt(10)
	v_fmac_f64_e32 v[94:95], v[102:103], v[100:101]
	ds_read2_b64 v[98:101], v96 offset0:71 offset1:72
	s_waitcnt vmcnt(8) lgkmcnt(0)
	v_fmac_f64_e32 v[94:95], v[104:105], v[98:99]
	s_waitcnt vmcnt(6)
	v_fmac_f64_e32 v[94:95], v[106:107], v[100:101]
	ds_read2_b64 v[98:101], v96 offset0:73 offset1:74
	s_waitcnt vmcnt(4) lgkmcnt(0)
	v_fmac_f64_e32 v[94:95], v[108:109], v[98:99]
	;; [unrolled: 5-line block ×3, first 2 shown]
	buffer_load_dword v99, off, s[0:3], 0 offset:244
	buffer_load_dword v98, off, s[0:3], 0 offset:240
	buffer_load_dword v103, off, s[0:3], 0 offset:252
	buffer_load_dword v102, off, s[0:3], 0 offset:248
	s_waitcnt vmcnt(2)
	v_fmac_f64_e32 v[94:95], v[98:99], v[100:101]
	ds_read2_b64 v[98:101], v96 offset0:77 offset1:78
	s_waitcnt vmcnt(0) lgkmcnt(0)
	v_fmac_f64_e32 v[94:95], v[102:103], v[98:99]
	buffer_load_dword v99, off, s[0:3], 0 offset:260
	buffer_load_dword v98, off, s[0:3], 0 offset:256
	buffer_load_dword v103, off, s[0:3], 0 offset:268
	buffer_load_dword v102, off, s[0:3], 0 offset:264
	s_waitcnt vmcnt(2)
	v_fmac_f64_e32 v[94:95], v[98:99], v[100:101]
	ds_read2_b64 v[98:101], v96 offset0:79 offset1:80
	s_waitcnt vmcnt(0) lgkmcnt(0)
	v_fmac_f64_e32 v[94:95], v[102:103], v[98:99]
	;; [unrolled: 9-line block ×6, first 2 shown]
	buffer_load_dword v99, off, s[0:3], 0 offset:340
	buffer_load_dword v98, off, s[0:3], 0 offset:336
	s_waitcnt vmcnt(0)
	v_fmac_f64_e32 v[94:95], v[98:99], v[100:101]
	buffer_load_dword v101, off, s[0:3], 0 offset:348
	buffer_load_dword v100, off, s[0:3], 0 offset:344
	ds_read2_b64 v[96:99], v96 offset0:89 offset1:90
	s_waitcnt vmcnt(0) lgkmcnt(0)
	v_fmac_f64_e32 v[94:95], v[100:101], v[96:97]
	buffer_load_dword v97, off, s[0:3], 0 offset:356
	buffer_load_dword v96, off, s[0:3], 0 offset:352
	s_waitcnt vmcnt(0)
	v_fmac_f64_e32 v[94:95], v[96:97], v[98:99]
	v_add_f64 v[92:93], v[92:93], -v[94:95]
	buffer_store_dword v93, off, s[0:3], 0 offset:180
	buffer_store_dword v92, off, s[0:3], 0 offset:176
	s_and_saveexec_b64 s[4:5], vcc
	s_cbranch_execz .LBB44_235
; %bb.234:
	buffer_load_dword v92, off, s[0:3], 0 offset:168
	buffer_load_dword v93, off, s[0:3], 0 offset:172
	v_mov_b32_e32 v94, 0
	buffer_store_dword v94, off, s[0:3], 0 offset:168
	buffer_store_dword v94, off, s[0:3], 0 offset:172
	s_waitcnt vmcnt(2)
	ds_write_b64 v1, v[92:93]
.LBB44_235:
	s_or_b64 exec, exec, s[4:5]
	s_waitcnt lgkmcnt(0)
	; wave barrier
	s_waitcnt lgkmcnt(0)
	buffer_load_dword v92, off, s[0:3], 0 offset:168
	buffer_load_dword v93, off, s[0:3], 0 offset:172
	buffer_load_dword v94, off, s[0:3], 0 offset:176
	buffer_load_dword v95, off, s[0:3], 0 offset:180
	buffer_load_dword v114, off, s[0:3], 0 offset:184
	buffer_load_dword v115, off, s[0:3], 0 offset:188
	buffer_load_dword v116, off, s[0:3], 0 offset:192
	buffer_load_dword v117, off, s[0:3], 0 offset:196
	buffer_load_dword v118, off, s[0:3], 0 offset:200
	buffer_load_dword v119, off, s[0:3], 0 offset:204
	buffer_load_dword v120, off, s[0:3], 0 offset:208
	buffer_load_dword v121, off, s[0:3], 0 offset:212
	buffer_load_dword v122, off, s[0:3], 0 offset:216
	buffer_load_dword v123, off, s[0:3], 0 offset:220
	buffer_load_dword v124, off, s[0:3], 0 offset:224
	buffer_load_dword v125, off, s[0:3], 0 offset:228
	v_mov_b32_e32 v96, 0
	ds_read_b128 v[98:101], v96 offset:544
	ds_read_b128 v[102:105], v96 offset:560
	;; [unrolled: 1-line block ×4, first 2 shown]
	v_cmp_lt_u32_e32 vcc, 20, v0
	s_waitcnt vmcnt(12) lgkmcnt(3)
	v_fma_f64 v[94:95], v[94:95], v[98:99], 0
	buffer_load_dword v99, off, s[0:3], 0 offset:236
	buffer_load_dword v98, off, s[0:3], 0 offset:232
	s_waitcnt vmcnt(12)
	v_fmac_f64_e32 v[94:95], v[114:115], v[100:101]
	s_waitcnt vmcnt(10) lgkmcnt(2)
	v_fmac_f64_e32 v[94:95], v[116:117], v[102:103]
	buffer_load_dword v103, off, s[0:3], 0 offset:244
	buffer_load_dword v102, off, s[0:3], 0 offset:240
	s_waitcnt vmcnt(10)
	v_fmac_f64_e32 v[94:95], v[118:119], v[104:105]
	s_waitcnt vmcnt(8) lgkmcnt(1)
	v_fmac_f64_e32 v[94:95], v[120:121], v[106:107]
	s_waitcnt vmcnt(6)
	v_fmac_f64_e32 v[94:95], v[122:123], v[108:109]
	s_waitcnt vmcnt(4) lgkmcnt(0)
	v_fmac_f64_e32 v[94:95], v[124:125], v[110:111]
	s_waitcnt vmcnt(2)
	v_fmac_f64_e32 v[94:95], v[98:99], v[112:113]
	ds_read_b128 v[98:101], v96 offset:608
	s_waitcnt vmcnt(0) lgkmcnt(0)
	v_fmac_f64_e32 v[94:95], v[102:103], v[98:99]
	buffer_load_dword v99, off, s[0:3], 0 offset:252
	buffer_load_dword v98, off, s[0:3], 0 offset:248
	buffer_load_dword v103, off, s[0:3], 0 offset:260
	buffer_load_dword v102, off, s[0:3], 0 offset:256
	s_waitcnt vmcnt(2)
	v_fmac_f64_e32 v[94:95], v[98:99], v[100:101]
	ds_read_b128 v[98:101], v96 offset:624
	s_waitcnt vmcnt(0) lgkmcnt(0)
	v_fmac_f64_e32 v[94:95], v[102:103], v[98:99]
	buffer_load_dword v99, off, s[0:3], 0 offset:268
	buffer_load_dword v98, off, s[0:3], 0 offset:264
	buffer_load_dword v103, off, s[0:3], 0 offset:276
	buffer_load_dword v102, off, s[0:3], 0 offset:272
	;; [unrolled: 9-line block ×6, first 2 shown]
	s_waitcnt vmcnt(2)
	v_fmac_f64_e32 v[94:95], v[98:99], v[100:101]
	ds_read_b128 v[98:101], v96 offset:704
	s_waitcnt vmcnt(0) lgkmcnt(0)
	v_fmac_f64_e32 v[94:95], v[102:103], v[98:99]
	buffer_load_dword v99, off, s[0:3], 0 offset:348
	buffer_load_dword v98, off, s[0:3], 0 offset:344
	s_waitcnt vmcnt(0)
	v_fmac_f64_e32 v[94:95], v[98:99], v[100:101]
	buffer_load_dword v99, off, s[0:3], 0 offset:356
	buffer_load_dword v98, off, s[0:3], 0 offset:352
	ds_read_b64 v[100:101], v96 offset:720
	s_waitcnt vmcnt(0) lgkmcnt(0)
	v_fmac_f64_e32 v[94:95], v[98:99], v[100:101]
	v_add_f64 v[92:93], v[92:93], -v[94:95]
	buffer_store_dword v93, off, s[0:3], 0 offset:172
	buffer_store_dword v92, off, s[0:3], 0 offset:168
	s_and_saveexec_b64 s[4:5], vcc
	s_cbranch_execz .LBB44_237
; %bb.236:
	buffer_load_dword v92, off, s[0:3], 0 offset:160
	buffer_load_dword v93, off, s[0:3], 0 offset:164
	s_waitcnt vmcnt(0)
	ds_write_b64 v1, v[92:93]
	buffer_store_dword v96, off, s[0:3], 0 offset:160
	buffer_store_dword v96, off, s[0:3], 0 offset:164
.LBB44_237:
	s_or_b64 exec, exec, s[4:5]
	s_waitcnt lgkmcnt(0)
	; wave barrier
	s_waitcnt lgkmcnt(0)
	buffer_load_dword v92, off, s[0:3], 0 offset:160
	buffer_load_dword v93, off, s[0:3], 0 offset:164
	;; [unrolled: 1-line block ×16, first 2 shown]
	ds_read2_b64 v[98:101], v96 offset0:67 offset1:68
	v_cmp_lt_u32_e32 vcc, 19, v0
	s_waitcnt vmcnt(12) lgkmcnt(0)
	v_fma_f64 v[94:95], v[94:95], v[98:99], 0
	s_waitcnt vmcnt(10)
	v_fmac_f64_e32 v[94:95], v[102:103], v[100:101]
	ds_read2_b64 v[98:101], v96 offset0:69 offset1:70
	s_waitcnt vmcnt(8) lgkmcnt(0)
	v_fmac_f64_e32 v[94:95], v[104:105], v[98:99]
	s_waitcnt vmcnt(6)
	v_fmac_f64_e32 v[94:95], v[106:107], v[100:101]
	ds_read2_b64 v[98:101], v96 offset0:71 offset1:72
	s_waitcnt vmcnt(4) lgkmcnt(0)
	v_fmac_f64_e32 v[94:95], v[108:109], v[98:99]
	;; [unrolled: 5-line block ×3, first 2 shown]
	buffer_load_dword v99, off, s[0:3], 0 offset:228
	buffer_load_dword v98, off, s[0:3], 0 offset:224
	buffer_load_dword v103, off, s[0:3], 0 offset:236
	buffer_load_dword v102, off, s[0:3], 0 offset:232
	s_waitcnt vmcnt(2)
	v_fmac_f64_e32 v[94:95], v[98:99], v[100:101]
	ds_read2_b64 v[98:101], v96 offset0:75 offset1:76
	s_waitcnt vmcnt(0) lgkmcnt(0)
	v_fmac_f64_e32 v[94:95], v[102:103], v[98:99]
	buffer_load_dword v99, off, s[0:3], 0 offset:244
	buffer_load_dword v98, off, s[0:3], 0 offset:240
	buffer_load_dword v103, off, s[0:3], 0 offset:252
	buffer_load_dword v102, off, s[0:3], 0 offset:248
	s_waitcnt vmcnt(2)
	v_fmac_f64_e32 v[94:95], v[98:99], v[100:101]
	ds_read2_b64 v[98:101], v96 offset0:77 offset1:78
	s_waitcnt vmcnt(0) lgkmcnt(0)
	v_fmac_f64_e32 v[94:95], v[102:103], v[98:99]
	;; [unrolled: 9-line block ×7, first 2 shown]
	buffer_load_dword v99, off, s[0:3], 0 offset:340
	buffer_load_dword v98, off, s[0:3], 0 offset:336
	s_waitcnt vmcnt(0)
	v_fmac_f64_e32 v[94:95], v[98:99], v[100:101]
	buffer_load_dword v101, off, s[0:3], 0 offset:348
	buffer_load_dword v100, off, s[0:3], 0 offset:344
	ds_read2_b64 v[96:99], v96 offset0:89 offset1:90
	s_waitcnt vmcnt(0) lgkmcnt(0)
	v_fmac_f64_e32 v[94:95], v[100:101], v[96:97]
	buffer_load_dword v97, off, s[0:3], 0 offset:356
	buffer_load_dword v96, off, s[0:3], 0 offset:352
	s_waitcnt vmcnt(0)
	v_fmac_f64_e32 v[94:95], v[96:97], v[98:99]
	v_add_f64 v[92:93], v[92:93], -v[94:95]
	buffer_store_dword v93, off, s[0:3], 0 offset:164
	buffer_store_dword v92, off, s[0:3], 0 offset:160
	s_and_saveexec_b64 s[4:5], vcc
	s_cbranch_execz .LBB44_239
; %bb.238:
	buffer_load_dword v92, off, s[0:3], 0 offset:152
	buffer_load_dword v93, off, s[0:3], 0 offset:156
	v_mov_b32_e32 v94, 0
	buffer_store_dword v94, off, s[0:3], 0 offset:152
	buffer_store_dword v94, off, s[0:3], 0 offset:156
	s_waitcnt vmcnt(2)
	ds_write_b64 v1, v[92:93]
.LBB44_239:
	s_or_b64 exec, exec, s[4:5]
	s_waitcnt lgkmcnt(0)
	; wave barrier
	s_waitcnt lgkmcnt(0)
	buffer_load_dword v92, off, s[0:3], 0 offset:152
	buffer_load_dword v93, off, s[0:3], 0 offset:156
	;; [unrolled: 1-line block ×16, first 2 shown]
	v_mov_b32_e32 v96, 0
	ds_read_b128 v[98:101], v96 offset:528
	ds_read_b128 v[102:105], v96 offset:544
	;; [unrolled: 1-line block ×4, first 2 shown]
	v_cmp_lt_u32_e32 vcc, 18, v0
	s_waitcnt vmcnt(12) lgkmcnt(3)
	v_fma_f64 v[94:95], v[94:95], v[98:99], 0
	buffer_load_dword v99, off, s[0:3], 0 offset:220
	buffer_load_dword v98, off, s[0:3], 0 offset:216
	s_waitcnt vmcnt(12)
	v_fmac_f64_e32 v[94:95], v[114:115], v[100:101]
	s_waitcnt vmcnt(10) lgkmcnt(2)
	v_fmac_f64_e32 v[94:95], v[116:117], v[102:103]
	buffer_load_dword v103, off, s[0:3], 0 offset:228
	buffer_load_dword v102, off, s[0:3], 0 offset:224
	s_waitcnt vmcnt(10)
	v_fmac_f64_e32 v[94:95], v[118:119], v[104:105]
	s_waitcnt vmcnt(8) lgkmcnt(1)
	v_fmac_f64_e32 v[94:95], v[120:121], v[106:107]
	s_waitcnt vmcnt(6)
	v_fmac_f64_e32 v[94:95], v[122:123], v[108:109]
	s_waitcnt vmcnt(4) lgkmcnt(0)
	v_fmac_f64_e32 v[94:95], v[124:125], v[110:111]
	s_waitcnt vmcnt(2)
	v_fmac_f64_e32 v[94:95], v[98:99], v[112:113]
	ds_read_b128 v[98:101], v96 offset:592
	s_waitcnt vmcnt(0) lgkmcnt(0)
	v_fmac_f64_e32 v[94:95], v[102:103], v[98:99]
	buffer_load_dword v99, off, s[0:3], 0 offset:236
	buffer_load_dword v98, off, s[0:3], 0 offset:232
	buffer_load_dword v103, off, s[0:3], 0 offset:244
	buffer_load_dword v102, off, s[0:3], 0 offset:240
	s_waitcnt vmcnt(2)
	v_fmac_f64_e32 v[94:95], v[98:99], v[100:101]
	ds_read_b128 v[98:101], v96 offset:608
	s_waitcnt vmcnt(0) lgkmcnt(0)
	v_fmac_f64_e32 v[94:95], v[102:103], v[98:99]
	buffer_load_dword v99, off, s[0:3], 0 offset:252
	buffer_load_dword v98, off, s[0:3], 0 offset:248
	buffer_load_dword v103, off, s[0:3], 0 offset:260
	buffer_load_dword v102, off, s[0:3], 0 offset:256
	;; [unrolled: 9-line block ×7, first 2 shown]
	s_waitcnt vmcnt(2)
	v_fmac_f64_e32 v[94:95], v[98:99], v[100:101]
	ds_read_b128 v[98:101], v96 offset:704
	s_waitcnt vmcnt(0) lgkmcnt(0)
	v_fmac_f64_e32 v[94:95], v[102:103], v[98:99]
	buffer_load_dword v99, off, s[0:3], 0 offset:348
	buffer_load_dword v98, off, s[0:3], 0 offset:344
	s_waitcnt vmcnt(0)
	v_fmac_f64_e32 v[94:95], v[98:99], v[100:101]
	buffer_load_dword v99, off, s[0:3], 0 offset:356
	buffer_load_dword v98, off, s[0:3], 0 offset:352
	ds_read_b64 v[100:101], v96 offset:720
	s_waitcnt vmcnt(0) lgkmcnt(0)
	v_fmac_f64_e32 v[94:95], v[98:99], v[100:101]
	v_add_f64 v[92:93], v[92:93], -v[94:95]
	buffer_store_dword v93, off, s[0:3], 0 offset:156
	buffer_store_dword v92, off, s[0:3], 0 offset:152
	s_and_saveexec_b64 s[4:5], vcc
	s_cbranch_execz .LBB44_241
; %bb.240:
	buffer_load_dword v92, off, s[0:3], 0 offset:144
	buffer_load_dword v93, off, s[0:3], 0 offset:148
	s_waitcnt vmcnt(0)
	ds_write_b64 v1, v[92:93]
	buffer_store_dword v96, off, s[0:3], 0 offset:144
	buffer_store_dword v96, off, s[0:3], 0 offset:148
.LBB44_241:
	s_or_b64 exec, exec, s[4:5]
	s_waitcnt lgkmcnt(0)
	; wave barrier
	s_waitcnt lgkmcnt(0)
	buffer_load_dword v92, off, s[0:3], 0 offset:144
	buffer_load_dword v93, off, s[0:3], 0 offset:148
	;; [unrolled: 1-line block ×16, first 2 shown]
	ds_read2_b64 v[98:101], v96 offset0:65 offset1:66
	v_cmp_lt_u32_e32 vcc, 17, v0
	s_waitcnt vmcnt(12) lgkmcnt(0)
	v_fma_f64 v[94:95], v[94:95], v[98:99], 0
	s_waitcnt vmcnt(10)
	v_fmac_f64_e32 v[94:95], v[102:103], v[100:101]
	ds_read2_b64 v[98:101], v96 offset0:67 offset1:68
	s_waitcnt vmcnt(8) lgkmcnt(0)
	v_fmac_f64_e32 v[94:95], v[104:105], v[98:99]
	s_waitcnt vmcnt(6)
	v_fmac_f64_e32 v[94:95], v[106:107], v[100:101]
	ds_read2_b64 v[98:101], v96 offset0:69 offset1:70
	s_waitcnt vmcnt(4) lgkmcnt(0)
	v_fmac_f64_e32 v[94:95], v[108:109], v[98:99]
	;; [unrolled: 5-line block ×3, first 2 shown]
	buffer_load_dword v99, off, s[0:3], 0 offset:212
	buffer_load_dword v98, off, s[0:3], 0 offset:208
	buffer_load_dword v103, off, s[0:3], 0 offset:220
	buffer_load_dword v102, off, s[0:3], 0 offset:216
	s_waitcnt vmcnt(2)
	v_fmac_f64_e32 v[94:95], v[98:99], v[100:101]
	ds_read2_b64 v[98:101], v96 offset0:73 offset1:74
	s_waitcnt vmcnt(0) lgkmcnt(0)
	v_fmac_f64_e32 v[94:95], v[102:103], v[98:99]
	buffer_load_dword v99, off, s[0:3], 0 offset:228
	buffer_load_dword v98, off, s[0:3], 0 offset:224
	buffer_load_dword v103, off, s[0:3], 0 offset:236
	buffer_load_dword v102, off, s[0:3], 0 offset:232
	s_waitcnt vmcnt(2)
	v_fmac_f64_e32 v[94:95], v[98:99], v[100:101]
	ds_read2_b64 v[98:101], v96 offset0:75 offset1:76
	s_waitcnt vmcnt(0) lgkmcnt(0)
	v_fmac_f64_e32 v[94:95], v[102:103], v[98:99]
	;; [unrolled: 9-line block ×8, first 2 shown]
	buffer_load_dword v99, off, s[0:3], 0 offset:340
	buffer_load_dword v98, off, s[0:3], 0 offset:336
	s_waitcnt vmcnt(0)
	v_fmac_f64_e32 v[94:95], v[98:99], v[100:101]
	buffer_load_dword v101, off, s[0:3], 0 offset:348
	buffer_load_dword v100, off, s[0:3], 0 offset:344
	ds_read2_b64 v[96:99], v96 offset0:89 offset1:90
	s_waitcnt vmcnt(0) lgkmcnt(0)
	v_fmac_f64_e32 v[94:95], v[100:101], v[96:97]
	buffer_load_dword v97, off, s[0:3], 0 offset:356
	buffer_load_dword v96, off, s[0:3], 0 offset:352
	s_waitcnt vmcnt(0)
	v_fmac_f64_e32 v[94:95], v[96:97], v[98:99]
	v_add_f64 v[92:93], v[92:93], -v[94:95]
	buffer_store_dword v93, off, s[0:3], 0 offset:148
	buffer_store_dword v92, off, s[0:3], 0 offset:144
	s_and_saveexec_b64 s[4:5], vcc
	s_cbranch_execz .LBB44_243
; %bb.242:
	buffer_load_dword v92, off, s[0:3], 0 offset:136
	buffer_load_dword v93, off, s[0:3], 0 offset:140
	v_mov_b32_e32 v94, 0
	buffer_store_dword v94, off, s[0:3], 0 offset:136
	buffer_store_dword v94, off, s[0:3], 0 offset:140
	s_waitcnt vmcnt(2)
	ds_write_b64 v1, v[92:93]
.LBB44_243:
	s_or_b64 exec, exec, s[4:5]
	s_waitcnt lgkmcnt(0)
	; wave barrier
	s_waitcnt lgkmcnt(0)
	buffer_load_dword v92, off, s[0:3], 0 offset:136
	buffer_load_dword v93, off, s[0:3], 0 offset:140
	;; [unrolled: 1-line block ×16, first 2 shown]
	v_mov_b32_e32 v96, 0
	ds_read_b128 v[98:101], v96 offset:512
	ds_read_b128 v[102:105], v96 offset:528
	;; [unrolled: 1-line block ×4, first 2 shown]
	v_cmp_lt_u32_e32 vcc, 16, v0
	s_waitcnt vmcnt(12) lgkmcnt(3)
	v_fma_f64 v[94:95], v[94:95], v[98:99], 0
	buffer_load_dword v99, off, s[0:3], 0 offset:204
	buffer_load_dword v98, off, s[0:3], 0 offset:200
	s_waitcnt vmcnt(12)
	v_fmac_f64_e32 v[94:95], v[114:115], v[100:101]
	s_waitcnt vmcnt(10) lgkmcnt(2)
	v_fmac_f64_e32 v[94:95], v[116:117], v[102:103]
	buffer_load_dword v103, off, s[0:3], 0 offset:212
	buffer_load_dword v102, off, s[0:3], 0 offset:208
	s_waitcnt vmcnt(10)
	v_fmac_f64_e32 v[94:95], v[118:119], v[104:105]
	s_waitcnt vmcnt(8) lgkmcnt(1)
	v_fmac_f64_e32 v[94:95], v[120:121], v[106:107]
	s_waitcnt vmcnt(6)
	v_fmac_f64_e32 v[94:95], v[122:123], v[108:109]
	s_waitcnt vmcnt(4) lgkmcnt(0)
	v_fmac_f64_e32 v[94:95], v[124:125], v[110:111]
	s_waitcnt vmcnt(2)
	v_fmac_f64_e32 v[94:95], v[98:99], v[112:113]
	ds_read_b128 v[98:101], v96 offset:576
	s_waitcnt vmcnt(0) lgkmcnt(0)
	v_fmac_f64_e32 v[94:95], v[102:103], v[98:99]
	buffer_load_dword v99, off, s[0:3], 0 offset:220
	buffer_load_dword v98, off, s[0:3], 0 offset:216
	buffer_load_dword v103, off, s[0:3], 0 offset:228
	buffer_load_dword v102, off, s[0:3], 0 offset:224
	s_waitcnt vmcnt(2)
	v_fmac_f64_e32 v[94:95], v[98:99], v[100:101]
	ds_read_b128 v[98:101], v96 offset:592
	s_waitcnt vmcnt(0) lgkmcnt(0)
	v_fmac_f64_e32 v[94:95], v[102:103], v[98:99]
	buffer_load_dword v99, off, s[0:3], 0 offset:236
	buffer_load_dword v98, off, s[0:3], 0 offset:232
	buffer_load_dword v103, off, s[0:3], 0 offset:244
	buffer_load_dword v102, off, s[0:3], 0 offset:240
	;; [unrolled: 9-line block ×8, first 2 shown]
	s_waitcnt vmcnt(2)
	v_fmac_f64_e32 v[94:95], v[98:99], v[100:101]
	ds_read_b128 v[98:101], v96 offset:704
	s_waitcnt vmcnt(0) lgkmcnt(0)
	v_fmac_f64_e32 v[94:95], v[102:103], v[98:99]
	buffer_load_dword v99, off, s[0:3], 0 offset:348
	buffer_load_dword v98, off, s[0:3], 0 offset:344
	s_waitcnt vmcnt(0)
	v_fmac_f64_e32 v[94:95], v[98:99], v[100:101]
	buffer_load_dword v99, off, s[0:3], 0 offset:356
	buffer_load_dword v98, off, s[0:3], 0 offset:352
	ds_read_b64 v[100:101], v96 offset:720
	s_waitcnt vmcnt(0) lgkmcnt(0)
	v_fmac_f64_e32 v[94:95], v[98:99], v[100:101]
	v_add_f64 v[92:93], v[92:93], -v[94:95]
	buffer_store_dword v93, off, s[0:3], 0 offset:140
	buffer_store_dword v92, off, s[0:3], 0 offset:136
	s_and_saveexec_b64 s[4:5], vcc
	s_cbranch_execz .LBB44_245
; %bb.244:
	buffer_load_dword v92, off, s[0:3], 0 offset:128
	buffer_load_dword v93, off, s[0:3], 0 offset:132
	s_waitcnt vmcnt(0)
	ds_write_b64 v1, v[92:93]
	buffer_store_dword v96, off, s[0:3], 0 offset:128
	buffer_store_dword v96, off, s[0:3], 0 offset:132
.LBB44_245:
	s_or_b64 exec, exec, s[4:5]
	s_waitcnt lgkmcnt(0)
	; wave barrier
	s_waitcnt lgkmcnt(0)
	buffer_load_dword v92, off, s[0:3], 0 offset:128
	buffer_load_dword v93, off, s[0:3], 0 offset:132
	;; [unrolled: 1-line block ×16, first 2 shown]
	ds_read2_b64 v[98:101], v96 offset0:63 offset1:64
	v_cmp_lt_u32_e32 vcc, 15, v0
	s_waitcnt vmcnt(12) lgkmcnt(0)
	v_fma_f64 v[94:95], v[94:95], v[98:99], 0
	s_waitcnt vmcnt(10)
	v_fmac_f64_e32 v[94:95], v[102:103], v[100:101]
	ds_read2_b64 v[98:101], v96 offset0:65 offset1:66
	s_waitcnt vmcnt(8) lgkmcnt(0)
	v_fmac_f64_e32 v[94:95], v[104:105], v[98:99]
	s_waitcnt vmcnt(6)
	v_fmac_f64_e32 v[94:95], v[106:107], v[100:101]
	ds_read2_b64 v[98:101], v96 offset0:67 offset1:68
	s_waitcnt vmcnt(4) lgkmcnt(0)
	v_fmac_f64_e32 v[94:95], v[108:109], v[98:99]
	;; [unrolled: 5-line block ×3, first 2 shown]
	buffer_load_dword v99, off, s[0:3], 0 offset:196
	buffer_load_dword v98, off, s[0:3], 0 offset:192
	buffer_load_dword v103, off, s[0:3], 0 offset:204
	buffer_load_dword v102, off, s[0:3], 0 offset:200
	s_waitcnt vmcnt(2)
	v_fmac_f64_e32 v[94:95], v[98:99], v[100:101]
	ds_read2_b64 v[98:101], v96 offset0:71 offset1:72
	s_waitcnt vmcnt(0) lgkmcnt(0)
	v_fmac_f64_e32 v[94:95], v[102:103], v[98:99]
	buffer_load_dword v99, off, s[0:3], 0 offset:212
	buffer_load_dword v98, off, s[0:3], 0 offset:208
	buffer_load_dword v103, off, s[0:3], 0 offset:220
	buffer_load_dword v102, off, s[0:3], 0 offset:216
	s_waitcnt vmcnt(2)
	v_fmac_f64_e32 v[94:95], v[98:99], v[100:101]
	ds_read2_b64 v[98:101], v96 offset0:73 offset1:74
	s_waitcnt vmcnt(0) lgkmcnt(0)
	v_fmac_f64_e32 v[94:95], v[102:103], v[98:99]
	;; [unrolled: 9-line block ×9, first 2 shown]
	buffer_load_dword v99, off, s[0:3], 0 offset:340
	buffer_load_dword v98, off, s[0:3], 0 offset:336
	s_waitcnt vmcnt(0)
	v_fmac_f64_e32 v[94:95], v[98:99], v[100:101]
	buffer_load_dword v101, off, s[0:3], 0 offset:348
	buffer_load_dword v100, off, s[0:3], 0 offset:344
	ds_read2_b64 v[96:99], v96 offset0:89 offset1:90
	s_waitcnt vmcnt(0) lgkmcnt(0)
	v_fmac_f64_e32 v[94:95], v[100:101], v[96:97]
	buffer_load_dword v97, off, s[0:3], 0 offset:356
	buffer_load_dword v96, off, s[0:3], 0 offset:352
	s_waitcnt vmcnt(0)
	v_fmac_f64_e32 v[94:95], v[96:97], v[98:99]
	v_add_f64 v[92:93], v[92:93], -v[94:95]
	buffer_store_dword v93, off, s[0:3], 0 offset:132
	buffer_store_dword v92, off, s[0:3], 0 offset:128
	s_and_saveexec_b64 s[4:5], vcc
	s_cbranch_execz .LBB44_247
; %bb.246:
	buffer_load_dword v92, off, s[0:3], 0 offset:120
	buffer_load_dword v93, off, s[0:3], 0 offset:124
	v_mov_b32_e32 v94, 0
	buffer_store_dword v94, off, s[0:3], 0 offset:120
	buffer_store_dword v94, off, s[0:3], 0 offset:124
	s_waitcnt vmcnt(2)
	ds_write_b64 v1, v[92:93]
.LBB44_247:
	s_or_b64 exec, exec, s[4:5]
	s_waitcnt lgkmcnt(0)
	; wave barrier
	s_waitcnt lgkmcnt(0)
	buffer_load_dword v92, off, s[0:3], 0 offset:120
	buffer_load_dword v93, off, s[0:3], 0 offset:124
	;; [unrolled: 1-line block ×16, first 2 shown]
	v_mov_b32_e32 v96, 0
	ds_read_b128 v[98:101], v96 offset:496
	ds_read_b128 v[102:105], v96 offset:512
	;; [unrolled: 1-line block ×4, first 2 shown]
	v_cmp_lt_u32_e32 vcc, 14, v0
	s_waitcnt vmcnt(12) lgkmcnt(3)
	v_fma_f64 v[94:95], v[94:95], v[98:99], 0
	buffer_load_dword v99, off, s[0:3], 0 offset:188
	buffer_load_dword v98, off, s[0:3], 0 offset:184
	s_waitcnt vmcnt(12)
	v_fmac_f64_e32 v[94:95], v[114:115], v[100:101]
	s_waitcnt vmcnt(10) lgkmcnt(2)
	v_fmac_f64_e32 v[94:95], v[116:117], v[102:103]
	buffer_load_dword v103, off, s[0:3], 0 offset:196
	buffer_load_dword v102, off, s[0:3], 0 offset:192
	s_waitcnt vmcnt(10)
	v_fmac_f64_e32 v[94:95], v[118:119], v[104:105]
	s_waitcnt vmcnt(8) lgkmcnt(1)
	v_fmac_f64_e32 v[94:95], v[120:121], v[106:107]
	s_waitcnt vmcnt(6)
	v_fmac_f64_e32 v[94:95], v[122:123], v[108:109]
	s_waitcnt vmcnt(4) lgkmcnt(0)
	v_fmac_f64_e32 v[94:95], v[124:125], v[110:111]
	s_waitcnt vmcnt(2)
	v_fmac_f64_e32 v[94:95], v[98:99], v[112:113]
	ds_read_b128 v[98:101], v96 offset:560
	s_waitcnt vmcnt(0) lgkmcnt(0)
	v_fmac_f64_e32 v[94:95], v[102:103], v[98:99]
	buffer_load_dword v99, off, s[0:3], 0 offset:204
	buffer_load_dword v98, off, s[0:3], 0 offset:200
	buffer_load_dword v103, off, s[0:3], 0 offset:212
	buffer_load_dword v102, off, s[0:3], 0 offset:208
	s_waitcnt vmcnt(2)
	v_fmac_f64_e32 v[94:95], v[98:99], v[100:101]
	ds_read_b128 v[98:101], v96 offset:576
	s_waitcnt vmcnt(0) lgkmcnt(0)
	v_fmac_f64_e32 v[94:95], v[102:103], v[98:99]
	buffer_load_dword v99, off, s[0:3], 0 offset:220
	buffer_load_dword v98, off, s[0:3], 0 offset:216
	buffer_load_dword v103, off, s[0:3], 0 offset:228
	buffer_load_dword v102, off, s[0:3], 0 offset:224
	;; [unrolled: 9-line block ×9, first 2 shown]
	s_waitcnt vmcnt(2)
	v_fmac_f64_e32 v[94:95], v[98:99], v[100:101]
	ds_read_b128 v[98:101], v96 offset:704
	s_waitcnt vmcnt(0) lgkmcnt(0)
	v_fmac_f64_e32 v[94:95], v[102:103], v[98:99]
	buffer_load_dword v99, off, s[0:3], 0 offset:348
	buffer_load_dword v98, off, s[0:3], 0 offset:344
	s_waitcnt vmcnt(0)
	v_fmac_f64_e32 v[94:95], v[98:99], v[100:101]
	buffer_load_dword v99, off, s[0:3], 0 offset:356
	buffer_load_dword v98, off, s[0:3], 0 offset:352
	ds_read_b64 v[100:101], v96 offset:720
	s_waitcnt vmcnt(0) lgkmcnt(0)
	v_fmac_f64_e32 v[94:95], v[98:99], v[100:101]
	v_add_f64 v[92:93], v[92:93], -v[94:95]
	buffer_store_dword v93, off, s[0:3], 0 offset:124
	buffer_store_dword v92, off, s[0:3], 0 offset:120
	s_and_saveexec_b64 s[4:5], vcc
	s_cbranch_execz .LBB44_249
; %bb.248:
	buffer_load_dword v92, off, s[0:3], 0 offset:112
	buffer_load_dword v93, off, s[0:3], 0 offset:116
	s_waitcnt vmcnt(0)
	ds_write_b64 v1, v[92:93]
	buffer_store_dword v96, off, s[0:3], 0 offset:112
	buffer_store_dword v96, off, s[0:3], 0 offset:116
.LBB44_249:
	s_or_b64 exec, exec, s[4:5]
	s_waitcnt lgkmcnt(0)
	; wave barrier
	s_waitcnt lgkmcnt(0)
	buffer_load_dword v92, off, s[0:3], 0 offset:112
	buffer_load_dword v93, off, s[0:3], 0 offset:116
	;; [unrolled: 1-line block ×16, first 2 shown]
	ds_read2_b64 v[98:101], v96 offset0:61 offset1:62
	v_cmp_lt_u32_e32 vcc, 13, v0
	s_waitcnt vmcnt(12) lgkmcnt(0)
	v_fma_f64 v[94:95], v[94:95], v[98:99], 0
	s_waitcnt vmcnt(10)
	v_fmac_f64_e32 v[94:95], v[102:103], v[100:101]
	ds_read2_b64 v[98:101], v96 offset0:63 offset1:64
	s_waitcnt vmcnt(8) lgkmcnt(0)
	v_fmac_f64_e32 v[94:95], v[104:105], v[98:99]
	s_waitcnt vmcnt(6)
	v_fmac_f64_e32 v[94:95], v[106:107], v[100:101]
	ds_read2_b64 v[98:101], v96 offset0:65 offset1:66
	s_waitcnt vmcnt(4) lgkmcnt(0)
	v_fmac_f64_e32 v[94:95], v[108:109], v[98:99]
	;; [unrolled: 5-line block ×3, first 2 shown]
	buffer_load_dword v99, off, s[0:3], 0 offset:180
	buffer_load_dword v98, off, s[0:3], 0 offset:176
	buffer_load_dword v103, off, s[0:3], 0 offset:188
	buffer_load_dword v102, off, s[0:3], 0 offset:184
	s_waitcnt vmcnt(2)
	v_fmac_f64_e32 v[94:95], v[98:99], v[100:101]
	ds_read2_b64 v[98:101], v96 offset0:69 offset1:70
	s_waitcnt vmcnt(0) lgkmcnt(0)
	v_fmac_f64_e32 v[94:95], v[102:103], v[98:99]
	buffer_load_dword v99, off, s[0:3], 0 offset:196
	buffer_load_dword v98, off, s[0:3], 0 offset:192
	buffer_load_dword v103, off, s[0:3], 0 offset:204
	buffer_load_dword v102, off, s[0:3], 0 offset:200
	s_waitcnt vmcnt(2)
	v_fmac_f64_e32 v[94:95], v[98:99], v[100:101]
	ds_read2_b64 v[98:101], v96 offset0:71 offset1:72
	s_waitcnt vmcnt(0) lgkmcnt(0)
	v_fmac_f64_e32 v[94:95], v[102:103], v[98:99]
	;; [unrolled: 9-line block ×10, first 2 shown]
	buffer_load_dword v99, off, s[0:3], 0 offset:340
	buffer_load_dword v98, off, s[0:3], 0 offset:336
	s_waitcnt vmcnt(0)
	v_fmac_f64_e32 v[94:95], v[98:99], v[100:101]
	buffer_load_dword v101, off, s[0:3], 0 offset:348
	buffer_load_dword v100, off, s[0:3], 0 offset:344
	ds_read2_b64 v[96:99], v96 offset0:89 offset1:90
	s_waitcnt vmcnt(0) lgkmcnt(0)
	v_fmac_f64_e32 v[94:95], v[100:101], v[96:97]
	buffer_load_dword v97, off, s[0:3], 0 offset:356
	buffer_load_dword v96, off, s[0:3], 0 offset:352
	s_waitcnt vmcnt(0)
	v_fmac_f64_e32 v[94:95], v[96:97], v[98:99]
	v_add_f64 v[92:93], v[92:93], -v[94:95]
	buffer_store_dword v93, off, s[0:3], 0 offset:116
	buffer_store_dword v92, off, s[0:3], 0 offset:112
	s_and_saveexec_b64 s[4:5], vcc
	s_cbranch_execz .LBB44_251
; %bb.250:
	buffer_load_dword v92, off, s[0:3], 0 offset:104
	buffer_load_dword v93, off, s[0:3], 0 offset:108
	v_mov_b32_e32 v94, 0
	buffer_store_dword v94, off, s[0:3], 0 offset:104
	buffer_store_dword v94, off, s[0:3], 0 offset:108
	s_waitcnt vmcnt(2)
	ds_write_b64 v1, v[92:93]
.LBB44_251:
	s_or_b64 exec, exec, s[4:5]
	s_waitcnt lgkmcnt(0)
	; wave barrier
	s_waitcnt lgkmcnt(0)
	buffer_load_dword v92, off, s[0:3], 0 offset:104
	buffer_load_dword v93, off, s[0:3], 0 offset:108
	;; [unrolled: 1-line block ×16, first 2 shown]
	v_mov_b32_e32 v96, 0
	ds_read_b128 v[98:101], v96 offset:480
	ds_read_b128 v[102:105], v96 offset:496
	;; [unrolled: 1-line block ×4, first 2 shown]
	v_cmp_lt_u32_e32 vcc, 12, v0
	s_waitcnt vmcnt(12) lgkmcnt(3)
	v_fma_f64 v[94:95], v[94:95], v[98:99], 0
	buffer_load_dword v99, off, s[0:3], 0 offset:172
	buffer_load_dword v98, off, s[0:3], 0 offset:168
	s_waitcnt vmcnt(12)
	v_fmac_f64_e32 v[94:95], v[114:115], v[100:101]
	s_waitcnt vmcnt(10) lgkmcnt(2)
	v_fmac_f64_e32 v[94:95], v[116:117], v[102:103]
	buffer_load_dword v103, off, s[0:3], 0 offset:180
	buffer_load_dword v102, off, s[0:3], 0 offset:176
	s_waitcnt vmcnt(10)
	v_fmac_f64_e32 v[94:95], v[118:119], v[104:105]
	s_waitcnt vmcnt(8) lgkmcnt(1)
	v_fmac_f64_e32 v[94:95], v[120:121], v[106:107]
	s_waitcnt vmcnt(6)
	v_fmac_f64_e32 v[94:95], v[122:123], v[108:109]
	s_waitcnt vmcnt(4) lgkmcnt(0)
	v_fmac_f64_e32 v[94:95], v[124:125], v[110:111]
	s_waitcnt vmcnt(2)
	v_fmac_f64_e32 v[94:95], v[98:99], v[112:113]
	ds_read_b128 v[98:101], v96 offset:544
	s_waitcnt vmcnt(0) lgkmcnt(0)
	v_fmac_f64_e32 v[94:95], v[102:103], v[98:99]
	buffer_load_dword v99, off, s[0:3], 0 offset:188
	buffer_load_dword v98, off, s[0:3], 0 offset:184
	buffer_load_dword v103, off, s[0:3], 0 offset:196
	buffer_load_dword v102, off, s[0:3], 0 offset:192
	s_waitcnt vmcnt(2)
	v_fmac_f64_e32 v[94:95], v[98:99], v[100:101]
	ds_read_b128 v[98:101], v96 offset:560
	s_waitcnt vmcnt(0) lgkmcnt(0)
	v_fmac_f64_e32 v[94:95], v[102:103], v[98:99]
	buffer_load_dword v99, off, s[0:3], 0 offset:204
	buffer_load_dword v98, off, s[0:3], 0 offset:200
	buffer_load_dword v103, off, s[0:3], 0 offset:212
	buffer_load_dword v102, off, s[0:3], 0 offset:208
	;; [unrolled: 9-line block ×10, first 2 shown]
	s_waitcnt vmcnt(2)
	v_fmac_f64_e32 v[94:95], v[98:99], v[100:101]
	ds_read_b128 v[98:101], v96 offset:704
	s_waitcnt vmcnt(0) lgkmcnt(0)
	v_fmac_f64_e32 v[94:95], v[102:103], v[98:99]
	buffer_load_dword v99, off, s[0:3], 0 offset:348
	buffer_load_dword v98, off, s[0:3], 0 offset:344
	s_waitcnt vmcnt(0)
	v_fmac_f64_e32 v[94:95], v[98:99], v[100:101]
	buffer_load_dword v99, off, s[0:3], 0 offset:356
	buffer_load_dword v98, off, s[0:3], 0 offset:352
	ds_read_b64 v[100:101], v96 offset:720
	s_waitcnt vmcnt(0) lgkmcnt(0)
	v_fmac_f64_e32 v[94:95], v[98:99], v[100:101]
	v_add_f64 v[92:93], v[92:93], -v[94:95]
	buffer_store_dword v93, off, s[0:3], 0 offset:108
	buffer_store_dword v92, off, s[0:3], 0 offset:104
	s_and_saveexec_b64 s[4:5], vcc
	s_cbranch_execz .LBB44_253
; %bb.252:
	buffer_load_dword v92, off, s[0:3], 0 offset:96
	buffer_load_dword v93, off, s[0:3], 0 offset:100
	s_waitcnt vmcnt(0)
	ds_write_b64 v1, v[92:93]
	buffer_store_dword v96, off, s[0:3], 0 offset:96
	buffer_store_dword v96, off, s[0:3], 0 offset:100
.LBB44_253:
	s_or_b64 exec, exec, s[4:5]
	s_waitcnt lgkmcnt(0)
	; wave barrier
	s_waitcnt lgkmcnt(0)
	buffer_load_dword v92, off, s[0:3], 0 offset:96
	buffer_load_dword v93, off, s[0:3], 0 offset:100
	;; [unrolled: 1-line block ×16, first 2 shown]
	ds_read2_b64 v[98:101], v96 offset0:59 offset1:60
	v_cmp_lt_u32_e32 vcc, 11, v0
	s_waitcnt vmcnt(12) lgkmcnt(0)
	v_fma_f64 v[94:95], v[94:95], v[98:99], 0
	s_waitcnt vmcnt(10)
	v_fmac_f64_e32 v[94:95], v[102:103], v[100:101]
	ds_read2_b64 v[98:101], v96 offset0:61 offset1:62
	s_waitcnt vmcnt(8) lgkmcnt(0)
	v_fmac_f64_e32 v[94:95], v[104:105], v[98:99]
	s_waitcnt vmcnt(6)
	v_fmac_f64_e32 v[94:95], v[106:107], v[100:101]
	ds_read2_b64 v[98:101], v96 offset0:63 offset1:64
	s_waitcnt vmcnt(4) lgkmcnt(0)
	v_fmac_f64_e32 v[94:95], v[108:109], v[98:99]
	;; [unrolled: 5-line block ×3, first 2 shown]
	buffer_load_dword v99, off, s[0:3], 0 offset:164
	buffer_load_dword v98, off, s[0:3], 0 offset:160
	buffer_load_dword v103, off, s[0:3], 0 offset:172
	buffer_load_dword v102, off, s[0:3], 0 offset:168
	s_waitcnt vmcnt(2)
	v_fmac_f64_e32 v[94:95], v[98:99], v[100:101]
	ds_read2_b64 v[98:101], v96 offset0:67 offset1:68
	s_waitcnt vmcnt(0) lgkmcnt(0)
	v_fmac_f64_e32 v[94:95], v[102:103], v[98:99]
	buffer_load_dword v99, off, s[0:3], 0 offset:180
	buffer_load_dword v98, off, s[0:3], 0 offset:176
	buffer_load_dword v103, off, s[0:3], 0 offset:188
	buffer_load_dword v102, off, s[0:3], 0 offset:184
	s_waitcnt vmcnt(2)
	v_fmac_f64_e32 v[94:95], v[98:99], v[100:101]
	ds_read2_b64 v[98:101], v96 offset0:69 offset1:70
	s_waitcnt vmcnt(0) lgkmcnt(0)
	v_fmac_f64_e32 v[94:95], v[102:103], v[98:99]
	;; [unrolled: 9-line block ×11, first 2 shown]
	buffer_load_dword v99, off, s[0:3], 0 offset:340
	buffer_load_dword v98, off, s[0:3], 0 offset:336
	s_waitcnt vmcnt(0)
	v_fmac_f64_e32 v[94:95], v[98:99], v[100:101]
	buffer_load_dword v101, off, s[0:3], 0 offset:348
	buffer_load_dword v100, off, s[0:3], 0 offset:344
	ds_read2_b64 v[96:99], v96 offset0:89 offset1:90
	s_waitcnt vmcnt(0) lgkmcnt(0)
	v_fmac_f64_e32 v[94:95], v[100:101], v[96:97]
	buffer_load_dword v97, off, s[0:3], 0 offset:356
	buffer_load_dword v96, off, s[0:3], 0 offset:352
	s_waitcnt vmcnt(0)
	v_fmac_f64_e32 v[94:95], v[96:97], v[98:99]
	v_add_f64 v[92:93], v[92:93], -v[94:95]
	buffer_store_dword v93, off, s[0:3], 0 offset:100
	buffer_store_dword v92, off, s[0:3], 0 offset:96
	s_and_saveexec_b64 s[4:5], vcc
	s_cbranch_execz .LBB44_255
; %bb.254:
	buffer_load_dword v92, off, s[0:3], 0 offset:88
	buffer_load_dword v93, off, s[0:3], 0 offset:92
	v_mov_b32_e32 v94, 0
	buffer_store_dword v94, off, s[0:3], 0 offset:88
	buffer_store_dword v94, off, s[0:3], 0 offset:92
	s_waitcnt vmcnt(2)
	ds_write_b64 v1, v[92:93]
.LBB44_255:
	s_or_b64 exec, exec, s[4:5]
	s_waitcnt lgkmcnt(0)
	; wave barrier
	s_waitcnt lgkmcnt(0)
	buffer_load_dword v92, off, s[0:3], 0 offset:88
	buffer_load_dword v93, off, s[0:3], 0 offset:92
	;; [unrolled: 1-line block ×16, first 2 shown]
	v_mov_b32_e32 v96, 0
	ds_read_b128 v[98:101], v96 offset:464
	ds_read_b128 v[102:105], v96 offset:480
	;; [unrolled: 1-line block ×4, first 2 shown]
	v_cmp_lt_u32_e32 vcc, 10, v0
	s_waitcnt vmcnt(12) lgkmcnt(3)
	v_fma_f64 v[94:95], v[94:95], v[98:99], 0
	buffer_load_dword v99, off, s[0:3], 0 offset:156
	buffer_load_dword v98, off, s[0:3], 0 offset:152
	s_waitcnt vmcnt(12)
	v_fmac_f64_e32 v[94:95], v[114:115], v[100:101]
	s_waitcnt vmcnt(10) lgkmcnt(2)
	v_fmac_f64_e32 v[94:95], v[116:117], v[102:103]
	buffer_load_dword v103, off, s[0:3], 0 offset:164
	buffer_load_dword v102, off, s[0:3], 0 offset:160
	s_waitcnt vmcnt(10)
	v_fmac_f64_e32 v[94:95], v[118:119], v[104:105]
	s_waitcnt vmcnt(8) lgkmcnt(1)
	v_fmac_f64_e32 v[94:95], v[120:121], v[106:107]
	s_waitcnt vmcnt(6)
	v_fmac_f64_e32 v[94:95], v[122:123], v[108:109]
	s_waitcnt vmcnt(4) lgkmcnt(0)
	v_fmac_f64_e32 v[94:95], v[124:125], v[110:111]
	s_waitcnt vmcnt(2)
	v_fmac_f64_e32 v[94:95], v[98:99], v[112:113]
	ds_read_b128 v[98:101], v96 offset:528
	s_waitcnt vmcnt(0) lgkmcnt(0)
	v_fmac_f64_e32 v[94:95], v[102:103], v[98:99]
	buffer_load_dword v99, off, s[0:3], 0 offset:172
	buffer_load_dword v98, off, s[0:3], 0 offset:168
	buffer_load_dword v103, off, s[0:3], 0 offset:180
	buffer_load_dword v102, off, s[0:3], 0 offset:176
	s_waitcnt vmcnt(2)
	v_fmac_f64_e32 v[94:95], v[98:99], v[100:101]
	ds_read_b128 v[98:101], v96 offset:544
	s_waitcnt vmcnt(0) lgkmcnt(0)
	v_fmac_f64_e32 v[94:95], v[102:103], v[98:99]
	buffer_load_dword v99, off, s[0:3], 0 offset:188
	buffer_load_dword v98, off, s[0:3], 0 offset:184
	buffer_load_dword v103, off, s[0:3], 0 offset:196
	buffer_load_dword v102, off, s[0:3], 0 offset:192
	;; [unrolled: 9-line block ×11, first 2 shown]
	s_waitcnt vmcnt(2)
	v_fmac_f64_e32 v[94:95], v[98:99], v[100:101]
	ds_read_b128 v[98:101], v96 offset:704
	s_waitcnt vmcnt(0) lgkmcnt(0)
	v_fmac_f64_e32 v[94:95], v[102:103], v[98:99]
	buffer_load_dword v99, off, s[0:3], 0 offset:348
	buffer_load_dword v98, off, s[0:3], 0 offset:344
	s_waitcnt vmcnt(0)
	v_fmac_f64_e32 v[94:95], v[98:99], v[100:101]
	buffer_load_dword v99, off, s[0:3], 0 offset:356
	buffer_load_dword v98, off, s[0:3], 0 offset:352
	ds_read_b64 v[100:101], v96 offset:720
	s_waitcnt vmcnt(0) lgkmcnt(0)
	v_fmac_f64_e32 v[94:95], v[98:99], v[100:101]
	v_add_f64 v[92:93], v[92:93], -v[94:95]
	buffer_store_dword v93, off, s[0:3], 0 offset:92
	buffer_store_dword v92, off, s[0:3], 0 offset:88
	s_and_saveexec_b64 s[4:5], vcc
	s_cbranch_execz .LBB44_257
; %bb.256:
	buffer_load_dword v92, off, s[0:3], 0 offset:80
	buffer_load_dword v93, off, s[0:3], 0 offset:84
	s_waitcnt vmcnt(0)
	ds_write_b64 v1, v[92:93]
	buffer_store_dword v96, off, s[0:3], 0 offset:80
	buffer_store_dword v96, off, s[0:3], 0 offset:84
.LBB44_257:
	s_or_b64 exec, exec, s[4:5]
	s_waitcnt lgkmcnt(0)
	; wave barrier
	s_waitcnt lgkmcnt(0)
	buffer_load_dword v92, off, s[0:3], 0 offset:80
	buffer_load_dword v93, off, s[0:3], 0 offset:84
	;; [unrolled: 1-line block ×16, first 2 shown]
	ds_read2_b64 v[98:101], v96 offset0:57 offset1:58
	v_cmp_lt_u32_e32 vcc, 9, v0
	s_waitcnt vmcnt(12) lgkmcnt(0)
	v_fma_f64 v[94:95], v[94:95], v[98:99], 0
	s_waitcnt vmcnt(10)
	v_fmac_f64_e32 v[94:95], v[102:103], v[100:101]
	ds_read2_b64 v[98:101], v96 offset0:59 offset1:60
	s_waitcnt vmcnt(8) lgkmcnt(0)
	v_fmac_f64_e32 v[94:95], v[104:105], v[98:99]
	s_waitcnt vmcnt(6)
	v_fmac_f64_e32 v[94:95], v[106:107], v[100:101]
	ds_read2_b64 v[98:101], v96 offset0:61 offset1:62
	s_waitcnt vmcnt(4) lgkmcnt(0)
	v_fmac_f64_e32 v[94:95], v[108:109], v[98:99]
	;; [unrolled: 5-line block ×3, first 2 shown]
	buffer_load_dword v99, off, s[0:3], 0 offset:148
	buffer_load_dword v98, off, s[0:3], 0 offset:144
	buffer_load_dword v103, off, s[0:3], 0 offset:156
	buffer_load_dword v102, off, s[0:3], 0 offset:152
	s_waitcnt vmcnt(2)
	v_fmac_f64_e32 v[94:95], v[98:99], v[100:101]
	ds_read2_b64 v[98:101], v96 offset0:65 offset1:66
	s_waitcnt vmcnt(0) lgkmcnt(0)
	v_fmac_f64_e32 v[94:95], v[102:103], v[98:99]
	buffer_load_dword v99, off, s[0:3], 0 offset:164
	buffer_load_dword v98, off, s[0:3], 0 offset:160
	buffer_load_dword v103, off, s[0:3], 0 offset:172
	buffer_load_dword v102, off, s[0:3], 0 offset:168
	s_waitcnt vmcnt(2)
	v_fmac_f64_e32 v[94:95], v[98:99], v[100:101]
	ds_read2_b64 v[98:101], v96 offset0:67 offset1:68
	s_waitcnt vmcnt(0) lgkmcnt(0)
	v_fmac_f64_e32 v[94:95], v[102:103], v[98:99]
	;; [unrolled: 9-line block ×12, first 2 shown]
	buffer_load_dword v99, off, s[0:3], 0 offset:340
	buffer_load_dword v98, off, s[0:3], 0 offset:336
	s_waitcnt vmcnt(0)
	v_fmac_f64_e32 v[94:95], v[98:99], v[100:101]
	buffer_load_dword v101, off, s[0:3], 0 offset:348
	buffer_load_dword v100, off, s[0:3], 0 offset:344
	ds_read2_b64 v[96:99], v96 offset0:89 offset1:90
	s_waitcnt vmcnt(0) lgkmcnt(0)
	v_fmac_f64_e32 v[94:95], v[100:101], v[96:97]
	buffer_load_dword v97, off, s[0:3], 0 offset:356
	buffer_load_dword v96, off, s[0:3], 0 offset:352
	s_waitcnt vmcnt(0)
	v_fmac_f64_e32 v[94:95], v[96:97], v[98:99]
	v_add_f64 v[92:93], v[92:93], -v[94:95]
	buffer_store_dword v93, off, s[0:3], 0 offset:84
	buffer_store_dword v92, off, s[0:3], 0 offset:80
	s_and_saveexec_b64 s[4:5], vcc
	s_cbranch_execz .LBB44_259
; %bb.258:
	buffer_load_dword v92, off, s[0:3], 0 offset:72
	buffer_load_dword v93, off, s[0:3], 0 offset:76
	v_mov_b32_e32 v94, 0
	buffer_store_dword v94, off, s[0:3], 0 offset:72
	buffer_store_dword v94, off, s[0:3], 0 offset:76
	s_waitcnt vmcnt(2)
	ds_write_b64 v1, v[92:93]
.LBB44_259:
	s_or_b64 exec, exec, s[4:5]
	s_waitcnt lgkmcnt(0)
	; wave barrier
	s_waitcnt lgkmcnt(0)
	buffer_load_dword v92, off, s[0:3], 0 offset:72
	buffer_load_dword v93, off, s[0:3], 0 offset:76
	;; [unrolled: 1-line block ×16, first 2 shown]
	v_mov_b32_e32 v96, 0
	ds_read_b128 v[98:101], v96 offset:448
	ds_read_b128 v[102:105], v96 offset:464
	;; [unrolled: 1-line block ×4, first 2 shown]
	v_cmp_lt_u32_e32 vcc, 8, v0
	s_waitcnt vmcnt(12) lgkmcnt(3)
	v_fma_f64 v[94:95], v[94:95], v[98:99], 0
	buffer_load_dword v99, off, s[0:3], 0 offset:140
	buffer_load_dword v98, off, s[0:3], 0 offset:136
	s_waitcnt vmcnt(12)
	v_fmac_f64_e32 v[94:95], v[114:115], v[100:101]
	s_waitcnt vmcnt(10) lgkmcnt(2)
	v_fmac_f64_e32 v[94:95], v[116:117], v[102:103]
	buffer_load_dword v103, off, s[0:3], 0 offset:148
	buffer_load_dword v102, off, s[0:3], 0 offset:144
	s_waitcnt vmcnt(10)
	v_fmac_f64_e32 v[94:95], v[118:119], v[104:105]
	s_waitcnt vmcnt(8) lgkmcnt(1)
	v_fmac_f64_e32 v[94:95], v[120:121], v[106:107]
	s_waitcnt vmcnt(6)
	v_fmac_f64_e32 v[94:95], v[122:123], v[108:109]
	s_waitcnt vmcnt(4) lgkmcnt(0)
	v_fmac_f64_e32 v[94:95], v[124:125], v[110:111]
	s_waitcnt vmcnt(2)
	v_fmac_f64_e32 v[94:95], v[98:99], v[112:113]
	ds_read_b128 v[98:101], v96 offset:512
	s_waitcnt vmcnt(0) lgkmcnt(0)
	v_fmac_f64_e32 v[94:95], v[102:103], v[98:99]
	buffer_load_dword v99, off, s[0:3], 0 offset:156
	buffer_load_dword v98, off, s[0:3], 0 offset:152
	buffer_load_dword v103, off, s[0:3], 0 offset:164
	buffer_load_dword v102, off, s[0:3], 0 offset:160
	s_waitcnt vmcnt(2)
	v_fmac_f64_e32 v[94:95], v[98:99], v[100:101]
	ds_read_b128 v[98:101], v96 offset:528
	s_waitcnt vmcnt(0) lgkmcnt(0)
	v_fmac_f64_e32 v[94:95], v[102:103], v[98:99]
	buffer_load_dword v99, off, s[0:3], 0 offset:172
	buffer_load_dword v98, off, s[0:3], 0 offset:168
	buffer_load_dword v103, off, s[0:3], 0 offset:180
	buffer_load_dword v102, off, s[0:3], 0 offset:176
	;; [unrolled: 9-line block ×12, first 2 shown]
	s_waitcnt vmcnt(2)
	v_fmac_f64_e32 v[94:95], v[98:99], v[100:101]
	ds_read_b128 v[98:101], v96 offset:704
	s_waitcnt vmcnt(0) lgkmcnt(0)
	v_fmac_f64_e32 v[94:95], v[102:103], v[98:99]
	buffer_load_dword v99, off, s[0:3], 0 offset:348
	buffer_load_dword v98, off, s[0:3], 0 offset:344
	s_waitcnt vmcnt(0)
	v_fmac_f64_e32 v[94:95], v[98:99], v[100:101]
	buffer_load_dword v99, off, s[0:3], 0 offset:356
	buffer_load_dword v98, off, s[0:3], 0 offset:352
	ds_read_b64 v[100:101], v96 offset:720
	s_waitcnt vmcnt(0) lgkmcnt(0)
	v_fmac_f64_e32 v[94:95], v[98:99], v[100:101]
	v_add_f64 v[92:93], v[92:93], -v[94:95]
	buffer_store_dword v93, off, s[0:3], 0 offset:76
	buffer_store_dword v92, off, s[0:3], 0 offset:72
	s_and_saveexec_b64 s[4:5], vcc
	s_cbranch_execz .LBB44_261
; %bb.260:
	buffer_load_dword v92, off, s[0:3], 0 offset:64
	buffer_load_dword v93, off, s[0:3], 0 offset:68
	s_waitcnt vmcnt(0)
	ds_write_b64 v1, v[92:93]
	buffer_store_dword v96, off, s[0:3], 0 offset:64
	buffer_store_dword v96, off, s[0:3], 0 offset:68
.LBB44_261:
	s_or_b64 exec, exec, s[4:5]
	s_waitcnt lgkmcnt(0)
	; wave barrier
	s_waitcnt lgkmcnt(0)
	buffer_load_dword v92, off, s[0:3], 0 offset:64
	buffer_load_dword v93, off, s[0:3], 0 offset:68
	;; [unrolled: 1-line block ×16, first 2 shown]
	ds_read2_b64 v[98:101], v96 offset0:55 offset1:56
	v_cmp_lt_u32_e32 vcc, 7, v0
	s_waitcnt vmcnt(12) lgkmcnt(0)
	v_fma_f64 v[94:95], v[94:95], v[98:99], 0
	s_waitcnt vmcnt(10)
	v_fmac_f64_e32 v[94:95], v[102:103], v[100:101]
	ds_read2_b64 v[98:101], v96 offset0:57 offset1:58
	s_waitcnt vmcnt(8) lgkmcnt(0)
	v_fmac_f64_e32 v[94:95], v[104:105], v[98:99]
	s_waitcnt vmcnt(6)
	v_fmac_f64_e32 v[94:95], v[106:107], v[100:101]
	ds_read2_b64 v[98:101], v96 offset0:59 offset1:60
	s_waitcnt vmcnt(4) lgkmcnt(0)
	v_fmac_f64_e32 v[94:95], v[108:109], v[98:99]
	;; [unrolled: 5-line block ×3, first 2 shown]
	buffer_load_dword v99, off, s[0:3], 0 offset:132
	buffer_load_dword v98, off, s[0:3], 0 offset:128
	buffer_load_dword v103, off, s[0:3], 0 offset:140
	buffer_load_dword v102, off, s[0:3], 0 offset:136
	s_waitcnt vmcnt(2)
	v_fmac_f64_e32 v[94:95], v[98:99], v[100:101]
	ds_read2_b64 v[98:101], v96 offset0:63 offset1:64
	s_waitcnt vmcnt(0) lgkmcnt(0)
	v_fmac_f64_e32 v[94:95], v[102:103], v[98:99]
	buffer_load_dword v99, off, s[0:3], 0 offset:148
	buffer_load_dword v98, off, s[0:3], 0 offset:144
	buffer_load_dword v103, off, s[0:3], 0 offset:156
	buffer_load_dword v102, off, s[0:3], 0 offset:152
	s_waitcnt vmcnt(2)
	v_fmac_f64_e32 v[94:95], v[98:99], v[100:101]
	ds_read2_b64 v[98:101], v96 offset0:65 offset1:66
	s_waitcnt vmcnt(0) lgkmcnt(0)
	v_fmac_f64_e32 v[94:95], v[102:103], v[98:99]
	buffer_load_dword v99, off, s[0:3], 0 offset:164
	buffer_load_dword v98, off, s[0:3], 0 offset:160
	buffer_load_dword v103, off, s[0:3], 0 offset:172
	buffer_load_dword v102, off, s[0:3], 0 offset:168
	s_waitcnt vmcnt(2)
	v_fmac_f64_e32 v[94:95], v[98:99], v[100:101]
	ds_read2_b64 v[98:101], v96 offset0:67 offset1:68
	s_waitcnt vmcnt(0) lgkmcnt(0)
	v_fmac_f64_e32 v[94:95], v[102:103], v[98:99]
	buffer_load_dword v99, off, s[0:3], 0 offset:180
	buffer_load_dword v98, off, s[0:3], 0 offset:176
	buffer_load_dword v103, off, s[0:3], 0 offset:188
	buffer_load_dword v102, off, s[0:3], 0 offset:184
	s_waitcnt vmcnt(2)
	v_fmac_f64_e32 v[94:95], v[98:99], v[100:101]
	ds_read2_b64 v[98:101], v96 offset0:69 offset1:70
	s_waitcnt vmcnt(0) lgkmcnt(0)
	v_fmac_f64_e32 v[94:95], v[102:103], v[98:99]
	buffer_load_dword v99, off, s[0:3], 0 offset:196
	buffer_load_dword v98, off, s[0:3], 0 offset:192
	buffer_load_dword v103, off, s[0:3], 0 offset:204
	buffer_load_dword v102, off, s[0:3], 0 offset:200
	s_waitcnt vmcnt(2)
	v_fmac_f64_e32 v[94:95], v[98:99], v[100:101]
	ds_read2_b64 v[98:101], v96 offset0:71 offset1:72
	s_waitcnt vmcnt(0) lgkmcnt(0)
	v_fmac_f64_e32 v[94:95], v[102:103], v[98:99]
	buffer_load_dword v99, off, s[0:3], 0 offset:212
	buffer_load_dword v98, off, s[0:3], 0 offset:208
	buffer_load_dword v103, off, s[0:3], 0 offset:220
	buffer_load_dword v102, off, s[0:3], 0 offset:216
	s_waitcnt vmcnt(2)
	v_fmac_f64_e32 v[94:95], v[98:99], v[100:101]
	ds_read2_b64 v[98:101], v96 offset0:73 offset1:74
	s_waitcnt vmcnt(0) lgkmcnt(0)
	v_fmac_f64_e32 v[94:95], v[102:103], v[98:99]
	buffer_load_dword v99, off, s[0:3], 0 offset:228
	buffer_load_dword v98, off, s[0:3], 0 offset:224
	buffer_load_dword v103, off, s[0:3], 0 offset:236
	buffer_load_dword v102, off, s[0:3], 0 offset:232
	s_waitcnt vmcnt(2)
	v_fmac_f64_e32 v[94:95], v[98:99], v[100:101]
	ds_read2_b64 v[98:101], v96 offset0:75 offset1:76
	s_waitcnt vmcnt(0) lgkmcnt(0)
	v_fmac_f64_e32 v[94:95], v[102:103], v[98:99]
	buffer_load_dword v99, off, s[0:3], 0 offset:244
	buffer_load_dword v98, off, s[0:3], 0 offset:240
	buffer_load_dword v103, off, s[0:3], 0 offset:252
	buffer_load_dword v102, off, s[0:3], 0 offset:248
	s_waitcnt vmcnt(2)
	v_fmac_f64_e32 v[94:95], v[98:99], v[100:101]
	ds_read2_b64 v[98:101], v96 offset0:77 offset1:78
	s_waitcnt vmcnt(0) lgkmcnt(0)
	v_fmac_f64_e32 v[94:95], v[102:103], v[98:99]
	buffer_load_dword v99, off, s[0:3], 0 offset:260
	buffer_load_dword v98, off, s[0:3], 0 offset:256
	buffer_load_dword v103, off, s[0:3], 0 offset:268
	buffer_load_dword v102, off, s[0:3], 0 offset:264
	s_waitcnt vmcnt(2)
	v_fmac_f64_e32 v[94:95], v[98:99], v[100:101]
	ds_read2_b64 v[98:101], v96 offset0:79 offset1:80
	s_waitcnt vmcnt(0) lgkmcnt(0)
	v_fmac_f64_e32 v[94:95], v[102:103], v[98:99]
	buffer_load_dword v99, off, s[0:3], 0 offset:276
	buffer_load_dword v98, off, s[0:3], 0 offset:272
	buffer_load_dword v103, off, s[0:3], 0 offset:284
	buffer_load_dword v102, off, s[0:3], 0 offset:280
	s_waitcnt vmcnt(2)
	v_fmac_f64_e32 v[94:95], v[98:99], v[100:101]
	ds_read2_b64 v[98:101], v96 offset0:81 offset1:82
	s_waitcnt vmcnt(0) lgkmcnt(0)
	v_fmac_f64_e32 v[94:95], v[102:103], v[98:99]
	buffer_load_dword v99, off, s[0:3], 0 offset:292
	buffer_load_dword v98, off, s[0:3], 0 offset:288
	buffer_load_dword v103, off, s[0:3], 0 offset:300
	buffer_load_dword v102, off, s[0:3], 0 offset:296
	s_waitcnt vmcnt(2)
	v_fmac_f64_e32 v[94:95], v[98:99], v[100:101]
	ds_read2_b64 v[98:101], v96 offset0:83 offset1:84
	s_waitcnt vmcnt(0) lgkmcnt(0)
	v_fmac_f64_e32 v[94:95], v[102:103], v[98:99]
	buffer_load_dword v99, off, s[0:3], 0 offset:308
	buffer_load_dword v98, off, s[0:3], 0 offset:304
	buffer_load_dword v103, off, s[0:3], 0 offset:316
	buffer_load_dword v102, off, s[0:3], 0 offset:312
	s_waitcnt vmcnt(2)
	v_fmac_f64_e32 v[94:95], v[98:99], v[100:101]
	ds_read2_b64 v[98:101], v96 offset0:85 offset1:86
	s_waitcnt vmcnt(0) lgkmcnt(0)
	v_fmac_f64_e32 v[94:95], v[102:103], v[98:99]
	buffer_load_dword v99, off, s[0:3], 0 offset:324
	buffer_load_dword v98, off, s[0:3], 0 offset:320
	buffer_load_dword v103, off, s[0:3], 0 offset:332
	buffer_load_dword v102, off, s[0:3], 0 offset:328
	s_waitcnt vmcnt(2)
	v_fmac_f64_e32 v[94:95], v[98:99], v[100:101]
	ds_read2_b64 v[98:101], v96 offset0:87 offset1:88
	s_waitcnt vmcnt(0) lgkmcnt(0)
	v_fmac_f64_e32 v[94:95], v[102:103], v[98:99]
	buffer_load_dword v99, off, s[0:3], 0 offset:340
	buffer_load_dword v98, off, s[0:3], 0 offset:336
	s_waitcnt vmcnt(0)
	v_fmac_f64_e32 v[94:95], v[98:99], v[100:101]
	buffer_load_dword v101, off, s[0:3], 0 offset:348
	buffer_load_dword v100, off, s[0:3], 0 offset:344
	ds_read2_b64 v[96:99], v96 offset0:89 offset1:90
	s_waitcnt vmcnt(0) lgkmcnt(0)
	v_fmac_f64_e32 v[94:95], v[100:101], v[96:97]
	buffer_load_dword v97, off, s[0:3], 0 offset:356
	buffer_load_dword v96, off, s[0:3], 0 offset:352
	s_waitcnt vmcnt(0)
	v_fmac_f64_e32 v[94:95], v[96:97], v[98:99]
	v_add_f64 v[92:93], v[92:93], -v[94:95]
	buffer_store_dword v93, off, s[0:3], 0 offset:68
	buffer_store_dword v92, off, s[0:3], 0 offset:64
	s_and_saveexec_b64 s[4:5], vcc
	s_cbranch_execz .LBB44_263
; %bb.262:
	buffer_load_dword v92, off, s[0:3], 0 offset:56
	buffer_load_dword v93, off, s[0:3], 0 offset:60
	v_mov_b32_e32 v94, 0
	buffer_store_dword v94, off, s[0:3], 0 offset:56
	buffer_store_dword v94, off, s[0:3], 0 offset:60
	s_waitcnt vmcnt(2)
	ds_write_b64 v1, v[92:93]
.LBB44_263:
	s_or_b64 exec, exec, s[4:5]
	s_waitcnt lgkmcnt(0)
	; wave barrier
	s_waitcnt lgkmcnt(0)
	buffer_load_dword v92, off, s[0:3], 0 offset:56
	buffer_load_dword v93, off, s[0:3], 0 offset:60
	;; [unrolled: 1-line block ×16, first 2 shown]
	v_mov_b32_e32 v96, 0
	ds_read_b128 v[98:101], v96 offset:432
	ds_read_b128 v[102:105], v96 offset:448
	;; [unrolled: 1-line block ×4, first 2 shown]
	v_cmp_lt_u32_e32 vcc, 6, v0
	s_waitcnt vmcnt(12) lgkmcnt(3)
	v_fma_f64 v[94:95], v[94:95], v[98:99], 0
	buffer_load_dword v99, off, s[0:3], 0 offset:124
	buffer_load_dword v98, off, s[0:3], 0 offset:120
	s_waitcnt vmcnt(12)
	v_fmac_f64_e32 v[94:95], v[114:115], v[100:101]
	s_waitcnt vmcnt(10) lgkmcnt(2)
	v_fmac_f64_e32 v[94:95], v[116:117], v[102:103]
	buffer_load_dword v103, off, s[0:3], 0 offset:132
	buffer_load_dword v102, off, s[0:3], 0 offset:128
	s_waitcnt vmcnt(10)
	v_fmac_f64_e32 v[94:95], v[118:119], v[104:105]
	s_waitcnt vmcnt(8) lgkmcnt(1)
	v_fmac_f64_e32 v[94:95], v[120:121], v[106:107]
	s_waitcnt vmcnt(6)
	v_fmac_f64_e32 v[94:95], v[122:123], v[108:109]
	s_waitcnt vmcnt(4) lgkmcnt(0)
	v_fmac_f64_e32 v[94:95], v[124:125], v[110:111]
	s_waitcnt vmcnt(2)
	v_fmac_f64_e32 v[94:95], v[98:99], v[112:113]
	ds_read_b128 v[98:101], v96 offset:496
	s_waitcnt vmcnt(0) lgkmcnt(0)
	v_fmac_f64_e32 v[94:95], v[102:103], v[98:99]
	buffer_load_dword v99, off, s[0:3], 0 offset:140
	buffer_load_dword v98, off, s[0:3], 0 offset:136
	buffer_load_dword v103, off, s[0:3], 0 offset:148
	buffer_load_dword v102, off, s[0:3], 0 offset:144
	s_waitcnt vmcnt(2)
	v_fmac_f64_e32 v[94:95], v[98:99], v[100:101]
	ds_read_b128 v[98:101], v96 offset:512
	s_waitcnt vmcnt(0) lgkmcnt(0)
	v_fmac_f64_e32 v[94:95], v[102:103], v[98:99]
	buffer_load_dword v99, off, s[0:3], 0 offset:156
	buffer_load_dword v98, off, s[0:3], 0 offset:152
	buffer_load_dword v103, off, s[0:3], 0 offset:164
	buffer_load_dword v102, off, s[0:3], 0 offset:160
	;; [unrolled: 9-line block ×13, first 2 shown]
	s_waitcnt vmcnt(2)
	v_fmac_f64_e32 v[94:95], v[98:99], v[100:101]
	ds_read_b128 v[98:101], v96 offset:704
	s_waitcnt vmcnt(0) lgkmcnt(0)
	v_fmac_f64_e32 v[94:95], v[102:103], v[98:99]
	buffer_load_dword v99, off, s[0:3], 0 offset:348
	buffer_load_dword v98, off, s[0:3], 0 offset:344
	s_waitcnt vmcnt(0)
	v_fmac_f64_e32 v[94:95], v[98:99], v[100:101]
	buffer_load_dword v99, off, s[0:3], 0 offset:356
	buffer_load_dword v98, off, s[0:3], 0 offset:352
	ds_read_b64 v[100:101], v96 offset:720
	s_waitcnt vmcnt(0) lgkmcnt(0)
	v_fmac_f64_e32 v[94:95], v[98:99], v[100:101]
	v_add_f64 v[92:93], v[92:93], -v[94:95]
	buffer_store_dword v93, off, s[0:3], 0 offset:60
	buffer_store_dword v92, off, s[0:3], 0 offset:56
	s_and_saveexec_b64 s[4:5], vcc
	s_cbranch_execz .LBB44_265
; %bb.264:
	buffer_load_dword v92, off, s[0:3], 0 offset:48
	buffer_load_dword v93, off, s[0:3], 0 offset:52
	s_waitcnt vmcnt(0)
	ds_write_b64 v1, v[92:93]
	buffer_store_dword v96, off, s[0:3], 0 offset:48
	buffer_store_dword v96, off, s[0:3], 0 offset:52
.LBB44_265:
	s_or_b64 exec, exec, s[4:5]
	s_waitcnt lgkmcnt(0)
	; wave barrier
	s_waitcnt lgkmcnt(0)
	buffer_load_dword v92, off, s[0:3], 0 offset:48
	buffer_load_dword v93, off, s[0:3], 0 offset:52
	;; [unrolled: 1-line block ×16, first 2 shown]
	ds_read2_b64 v[98:101], v96 offset0:53 offset1:54
	v_cmp_lt_u32_e32 vcc, 5, v0
	s_waitcnt vmcnt(12) lgkmcnt(0)
	v_fma_f64 v[94:95], v[94:95], v[98:99], 0
	s_waitcnt vmcnt(10)
	v_fmac_f64_e32 v[94:95], v[102:103], v[100:101]
	ds_read2_b64 v[98:101], v96 offset0:55 offset1:56
	s_waitcnt vmcnt(8) lgkmcnt(0)
	v_fmac_f64_e32 v[94:95], v[104:105], v[98:99]
	s_waitcnt vmcnt(6)
	v_fmac_f64_e32 v[94:95], v[106:107], v[100:101]
	ds_read2_b64 v[98:101], v96 offset0:57 offset1:58
	s_waitcnt vmcnt(4) lgkmcnt(0)
	v_fmac_f64_e32 v[94:95], v[108:109], v[98:99]
	;; [unrolled: 5-line block ×3, first 2 shown]
	buffer_load_dword v99, off, s[0:3], 0 offset:116
	buffer_load_dword v98, off, s[0:3], 0 offset:112
	buffer_load_dword v103, off, s[0:3], 0 offset:124
	buffer_load_dword v102, off, s[0:3], 0 offset:120
	s_waitcnt vmcnt(2)
	v_fmac_f64_e32 v[94:95], v[98:99], v[100:101]
	ds_read2_b64 v[98:101], v96 offset0:61 offset1:62
	s_waitcnt vmcnt(0) lgkmcnt(0)
	v_fmac_f64_e32 v[94:95], v[102:103], v[98:99]
	buffer_load_dword v99, off, s[0:3], 0 offset:132
	buffer_load_dword v98, off, s[0:3], 0 offset:128
	buffer_load_dword v103, off, s[0:3], 0 offset:140
	buffer_load_dword v102, off, s[0:3], 0 offset:136
	s_waitcnt vmcnt(2)
	v_fmac_f64_e32 v[94:95], v[98:99], v[100:101]
	ds_read2_b64 v[98:101], v96 offset0:63 offset1:64
	s_waitcnt vmcnt(0) lgkmcnt(0)
	v_fmac_f64_e32 v[94:95], v[102:103], v[98:99]
	;; [unrolled: 9-line block ×14, first 2 shown]
	buffer_load_dword v99, off, s[0:3], 0 offset:340
	buffer_load_dword v98, off, s[0:3], 0 offset:336
	s_waitcnt vmcnt(0)
	v_fmac_f64_e32 v[94:95], v[98:99], v[100:101]
	buffer_load_dword v101, off, s[0:3], 0 offset:348
	buffer_load_dword v100, off, s[0:3], 0 offset:344
	ds_read2_b64 v[96:99], v96 offset0:89 offset1:90
	s_waitcnt vmcnt(0) lgkmcnt(0)
	v_fmac_f64_e32 v[94:95], v[100:101], v[96:97]
	buffer_load_dword v97, off, s[0:3], 0 offset:356
	buffer_load_dword v96, off, s[0:3], 0 offset:352
	s_waitcnt vmcnt(0)
	v_fmac_f64_e32 v[94:95], v[96:97], v[98:99]
	v_add_f64 v[92:93], v[92:93], -v[94:95]
	buffer_store_dword v93, off, s[0:3], 0 offset:52
	buffer_store_dword v92, off, s[0:3], 0 offset:48
	s_and_saveexec_b64 s[4:5], vcc
	s_cbranch_execz .LBB44_267
; %bb.266:
	buffer_load_dword v92, off, s[0:3], 0 offset:40
	buffer_load_dword v93, off, s[0:3], 0 offset:44
	v_mov_b32_e32 v94, 0
	buffer_store_dword v94, off, s[0:3], 0 offset:40
	buffer_store_dword v94, off, s[0:3], 0 offset:44
	s_waitcnt vmcnt(2)
	ds_write_b64 v1, v[92:93]
.LBB44_267:
	s_or_b64 exec, exec, s[4:5]
	s_waitcnt lgkmcnt(0)
	; wave barrier
	s_waitcnt lgkmcnt(0)
	buffer_load_dword v92, off, s[0:3], 0 offset:40
	buffer_load_dword v93, off, s[0:3], 0 offset:44
	;; [unrolled: 1-line block ×16, first 2 shown]
	v_mov_b32_e32 v96, 0
	ds_read_b128 v[98:101], v96 offset:416
	ds_read_b128 v[102:105], v96 offset:432
	;; [unrolled: 1-line block ×4, first 2 shown]
	v_cmp_lt_u32_e32 vcc, 4, v0
	s_waitcnt vmcnt(12) lgkmcnt(3)
	v_fma_f64 v[94:95], v[94:95], v[98:99], 0
	buffer_load_dword v99, off, s[0:3], 0 offset:108
	buffer_load_dword v98, off, s[0:3], 0 offset:104
	s_waitcnt vmcnt(12)
	v_fmac_f64_e32 v[94:95], v[114:115], v[100:101]
	s_waitcnt vmcnt(10) lgkmcnt(2)
	v_fmac_f64_e32 v[94:95], v[116:117], v[102:103]
	buffer_load_dword v103, off, s[0:3], 0 offset:116
	buffer_load_dword v102, off, s[0:3], 0 offset:112
	s_waitcnt vmcnt(10)
	v_fmac_f64_e32 v[94:95], v[118:119], v[104:105]
	s_waitcnt vmcnt(8) lgkmcnt(1)
	v_fmac_f64_e32 v[94:95], v[120:121], v[106:107]
	s_waitcnt vmcnt(6)
	v_fmac_f64_e32 v[94:95], v[122:123], v[108:109]
	s_waitcnt vmcnt(4) lgkmcnt(0)
	v_fmac_f64_e32 v[94:95], v[124:125], v[110:111]
	s_waitcnt vmcnt(2)
	v_fmac_f64_e32 v[94:95], v[98:99], v[112:113]
	ds_read_b128 v[98:101], v96 offset:480
	s_waitcnt vmcnt(0) lgkmcnt(0)
	v_fmac_f64_e32 v[94:95], v[102:103], v[98:99]
	buffer_load_dword v99, off, s[0:3], 0 offset:124
	buffer_load_dword v98, off, s[0:3], 0 offset:120
	buffer_load_dword v103, off, s[0:3], 0 offset:132
	buffer_load_dword v102, off, s[0:3], 0 offset:128
	s_waitcnt vmcnt(2)
	v_fmac_f64_e32 v[94:95], v[98:99], v[100:101]
	ds_read_b128 v[98:101], v96 offset:496
	s_waitcnt vmcnt(0) lgkmcnt(0)
	v_fmac_f64_e32 v[94:95], v[102:103], v[98:99]
	buffer_load_dword v99, off, s[0:3], 0 offset:140
	buffer_load_dword v98, off, s[0:3], 0 offset:136
	buffer_load_dword v103, off, s[0:3], 0 offset:148
	buffer_load_dword v102, off, s[0:3], 0 offset:144
	;; [unrolled: 9-line block ×14, first 2 shown]
	s_waitcnt vmcnt(2)
	v_fmac_f64_e32 v[94:95], v[98:99], v[100:101]
	ds_read_b128 v[98:101], v96 offset:704
	s_waitcnt vmcnt(0) lgkmcnt(0)
	v_fmac_f64_e32 v[94:95], v[102:103], v[98:99]
	buffer_load_dword v99, off, s[0:3], 0 offset:348
	buffer_load_dword v98, off, s[0:3], 0 offset:344
	s_waitcnt vmcnt(0)
	v_fmac_f64_e32 v[94:95], v[98:99], v[100:101]
	buffer_load_dword v99, off, s[0:3], 0 offset:356
	buffer_load_dword v98, off, s[0:3], 0 offset:352
	ds_read_b64 v[100:101], v96 offset:720
	s_waitcnt vmcnt(0) lgkmcnt(0)
	v_fmac_f64_e32 v[94:95], v[98:99], v[100:101]
	v_add_f64 v[92:93], v[92:93], -v[94:95]
	buffer_store_dword v93, off, s[0:3], 0 offset:44
	buffer_store_dword v92, off, s[0:3], 0 offset:40
	s_and_saveexec_b64 s[4:5], vcc
	s_cbranch_execz .LBB44_269
; %bb.268:
	buffer_load_dword v92, off, s[0:3], 0 offset:32
	buffer_load_dword v93, off, s[0:3], 0 offset:36
	s_waitcnt vmcnt(0)
	ds_write_b64 v1, v[92:93]
	buffer_store_dword v96, off, s[0:3], 0 offset:32
	buffer_store_dword v96, off, s[0:3], 0 offset:36
.LBB44_269:
	s_or_b64 exec, exec, s[4:5]
	s_waitcnt lgkmcnt(0)
	; wave barrier
	s_waitcnt lgkmcnt(0)
	buffer_load_dword v92, off, s[0:3], 0 offset:32
	buffer_load_dword v93, off, s[0:3], 0 offset:36
	;; [unrolled: 1-line block ×16, first 2 shown]
	ds_read2_b64 v[98:101], v96 offset0:51 offset1:52
	v_cmp_lt_u32_e32 vcc, 3, v0
	s_waitcnt vmcnt(12) lgkmcnt(0)
	v_fma_f64 v[94:95], v[94:95], v[98:99], 0
	s_waitcnt vmcnt(10)
	v_fmac_f64_e32 v[94:95], v[102:103], v[100:101]
	ds_read2_b64 v[98:101], v96 offset0:53 offset1:54
	s_waitcnt vmcnt(8) lgkmcnt(0)
	v_fmac_f64_e32 v[94:95], v[104:105], v[98:99]
	s_waitcnt vmcnt(6)
	v_fmac_f64_e32 v[94:95], v[106:107], v[100:101]
	ds_read2_b64 v[98:101], v96 offset0:55 offset1:56
	s_waitcnt vmcnt(4) lgkmcnt(0)
	v_fmac_f64_e32 v[94:95], v[108:109], v[98:99]
	;; [unrolled: 5-line block ×3, first 2 shown]
	buffer_load_dword v99, off, s[0:3], 0 offset:100
	buffer_load_dword v98, off, s[0:3], 0 offset:96
	buffer_load_dword v103, off, s[0:3], 0 offset:108
	buffer_load_dword v102, off, s[0:3], 0 offset:104
	s_waitcnt vmcnt(2)
	v_fmac_f64_e32 v[94:95], v[98:99], v[100:101]
	ds_read2_b64 v[98:101], v96 offset0:59 offset1:60
	s_waitcnt vmcnt(0) lgkmcnt(0)
	v_fmac_f64_e32 v[94:95], v[102:103], v[98:99]
	buffer_load_dword v99, off, s[0:3], 0 offset:116
	buffer_load_dword v98, off, s[0:3], 0 offset:112
	buffer_load_dword v103, off, s[0:3], 0 offset:124
	buffer_load_dword v102, off, s[0:3], 0 offset:120
	s_waitcnt vmcnt(2)
	v_fmac_f64_e32 v[94:95], v[98:99], v[100:101]
	ds_read2_b64 v[98:101], v96 offset0:61 offset1:62
	s_waitcnt vmcnt(0) lgkmcnt(0)
	v_fmac_f64_e32 v[94:95], v[102:103], v[98:99]
	;; [unrolled: 9-line block ×15, first 2 shown]
	buffer_load_dword v99, off, s[0:3], 0 offset:340
	buffer_load_dword v98, off, s[0:3], 0 offset:336
	s_waitcnt vmcnt(0)
	v_fmac_f64_e32 v[94:95], v[98:99], v[100:101]
	buffer_load_dword v101, off, s[0:3], 0 offset:348
	buffer_load_dword v100, off, s[0:3], 0 offset:344
	ds_read2_b64 v[96:99], v96 offset0:89 offset1:90
	s_waitcnt vmcnt(0) lgkmcnt(0)
	v_fmac_f64_e32 v[94:95], v[100:101], v[96:97]
	buffer_load_dword v97, off, s[0:3], 0 offset:356
	buffer_load_dword v96, off, s[0:3], 0 offset:352
	s_waitcnt vmcnt(0)
	v_fmac_f64_e32 v[94:95], v[96:97], v[98:99]
	v_add_f64 v[92:93], v[92:93], -v[94:95]
	buffer_store_dword v93, off, s[0:3], 0 offset:36
	buffer_store_dword v92, off, s[0:3], 0 offset:32
	s_and_saveexec_b64 s[4:5], vcc
	s_cbranch_execz .LBB44_271
; %bb.270:
	buffer_load_dword v92, off, s[0:3], 0 offset:24
	buffer_load_dword v93, off, s[0:3], 0 offset:28
	v_mov_b32_e32 v94, 0
	buffer_store_dword v94, off, s[0:3], 0 offset:24
	buffer_store_dword v94, off, s[0:3], 0 offset:28
	s_waitcnt vmcnt(2)
	ds_write_b64 v1, v[92:93]
.LBB44_271:
	s_or_b64 exec, exec, s[4:5]
	s_waitcnt lgkmcnt(0)
	; wave barrier
	s_waitcnt lgkmcnt(0)
	buffer_load_dword v92, off, s[0:3], 0 offset:24
	buffer_load_dword v93, off, s[0:3], 0 offset:28
	;; [unrolled: 1-line block ×16, first 2 shown]
	v_mov_b32_e32 v96, 0
	ds_read_b128 v[98:101], v96 offset:400
	ds_read_b128 v[102:105], v96 offset:416
	;; [unrolled: 1-line block ×4, first 2 shown]
	v_cmp_lt_u32_e32 vcc, 2, v0
	s_waitcnt vmcnt(12) lgkmcnt(3)
	v_fma_f64 v[94:95], v[94:95], v[98:99], 0
	buffer_load_dword v99, off, s[0:3], 0 offset:92
	buffer_load_dword v98, off, s[0:3], 0 offset:88
	s_waitcnt vmcnt(12)
	v_fmac_f64_e32 v[94:95], v[114:115], v[100:101]
	s_waitcnt vmcnt(10) lgkmcnt(2)
	v_fmac_f64_e32 v[94:95], v[116:117], v[102:103]
	buffer_load_dword v103, off, s[0:3], 0 offset:100
	buffer_load_dword v102, off, s[0:3], 0 offset:96
	s_waitcnt vmcnt(10)
	v_fmac_f64_e32 v[94:95], v[118:119], v[104:105]
	s_waitcnt vmcnt(8) lgkmcnt(1)
	v_fmac_f64_e32 v[94:95], v[120:121], v[106:107]
	s_waitcnt vmcnt(6)
	v_fmac_f64_e32 v[94:95], v[122:123], v[108:109]
	s_waitcnt vmcnt(4) lgkmcnt(0)
	v_fmac_f64_e32 v[94:95], v[124:125], v[110:111]
	s_waitcnt vmcnt(2)
	v_fmac_f64_e32 v[94:95], v[98:99], v[112:113]
	ds_read_b128 v[98:101], v96 offset:464
	s_waitcnt vmcnt(0) lgkmcnt(0)
	v_fmac_f64_e32 v[94:95], v[102:103], v[98:99]
	buffer_load_dword v99, off, s[0:3], 0 offset:108
	buffer_load_dword v98, off, s[0:3], 0 offset:104
	buffer_load_dword v103, off, s[0:3], 0 offset:116
	buffer_load_dword v102, off, s[0:3], 0 offset:112
	s_waitcnt vmcnt(2)
	v_fmac_f64_e32 v[94:95], v[98:99], v[100:101]
	ds_read_b128 v[98:101], v96 offset:480
	s_waitcnt vmcnt(0) lgkmcnt(0)
	v_fmac_f64_e32 v[94:95], v[102:103], v[98:99]
	buffer_load_dword v99, off, s[0:3], 0 offset:124
	buffer_load_dword v98, off, s[0:3], 0 offset:120
	buffer_load_dword v103, off, s[0:3], 0 offset:132
	buffer_load_dword v102, off, s[0:3], 0 offset:128
	s_waitcnt vmcnt(2)
	v_fmac_f64_e32 v[94:95], v[98:99], v[100:101]
	ds_read_b128 v[98:101], v96 offset:496
	s_waitcnt vmcnt(0) lgkmcnt(0)
	v_fmac_f64_e32 v[94:95], v[102:103], v[98:99]
	buffer_load_dword v99, off, s[0:3], 0 offset:140
	buffer_load_dword v98, off, s[0:3], 0 offset:136
	buffer_load_dword v103, off, s[0:3], 0 offset:148
	buffer_load_dword v102, off, s[0:3], 0 offset:144
	s_waitcnt vmcnt(2)
	v_fmac_f64_e32 v[94:95], v[98:99], v[100:101]
	ds_read_b128 v[98:101], v96 offset:512
	s_waitcnt vmcnt(0) lgkmcnt(0)
	v_fmac_f64_e32 v[94:95], v[102:103], v[98:99]
	buffer_load_dword v99, off, s[0:3], 0 offset:156
	buffer_load_dword v98, off, s[0:3], 0 offset:152
	buffer_load_dword v103, off, s[0:3], 0 offset:164
	buffer_load_dword v102, off, s[0:3], 0 offset:160
	s_waitcnt vmcnt(2)
	v_fmac_f64_e32 v[94:95], v[98:99], v[100:101]
	ds_read_b128 v[98:101], v96 offset:528
	s_waitcnt vmcnt(0) lgkmcnt(0)
	v_fmac_f64_e32 v[94:95], v[102:103], v[98:99]
	buffer_load_dword v99, off, s[0:3], 0 offset:172
	buffer_load_dword v98, off, s[0:3], 0 offset:168
	buffer_load_dword v103, off, s[0:3], 0 offset:180
	buffer_load_dword v102, off, s[0:3], 0 offset:176
	s_waitcnt vmcnt(2)
	v_fmac_f64_e32 v[94:95], v[98:99], v[100:101]
	ds_read_b128 v[98:101], v96 offset:544
	s_waitcnt vmcnt(0) lgkmcnt(0)
	v_fmac_f64_e32 v[94:95], v[102:103], v[98:99]
	buffer_load_dword v99, off, s[0:3], 0 offset:188
	buffer_load_dword v98, off, s[0:3], 0 offset:184
	buffer_load_dword v103, off, s[0:3], 0 offset:196
	buffer_load_dword v102, off, s[0:3], 0 offset:192
	s_waitcnt vmcnt(2)
	v_fmac_f64_e32 v[94:95], v[98:99], v[100:101]
	ds_read_b128 v[98:101], v96 offset:560
	s_waitcnt vmcnt(0) lgkmcnt(0)
	v_fmac_f64_e32 v[94:95], v[102:103], v[98:99]
	buffer_load_dword v99, off, s[0:3], 0 offset:204
	buffer_load_dword v98, off, s[0:3], 0 offset:200
	buffer_load_dword v103, off, s[0:3], 0 offset:212
	buffer_load_dword v102, off, s[0:3], 0 offset:208
	s_waitcnt vmcnt(2)
	v_fmac_f64_e32 v[94:95], v[98:99], v[100:101]
	ds_read_b128 v[98:101], v96 offset:576
	s_waitcnt vmcnt(0) lgkmcnt(0)
	v_fmac_f64_e32 v[94:95], v[102:103], v[98:99]
	buffer_load_dword v99, off, s[0:3], 0 offset:220
	buffer_load_dword v98, off, s[0:3], 0 offset:216
	buffer_load_dword v103, off, s[0:3], 0 offset:228
	buffer_load_dword v102, off, s[0:3], 0 offset:224
	s_waitcnt vmcnt(2)
	v_fmac_f64_e32 v[94:95], v[98:99], v[100:101]
	ds_read_b128 v[98:101], v96 offset:592
	s_waitcnt vmcnt(0) lgkmcnt(0)
	v_fmac_f64_e32 v[94:95], v[102:103], v[98:99]
	buffer_load_dword v99, off, s[0:3], 0 offset:236
	buffer_load_dword v98, off, s[0:3], 0 offset:232
	buffer_load_dword v103, off, s[0:3], 0 offset:244
	buffer_load_dword v102, off, s[0:3], 0 offset:240
	s_waitcnt vmcnt(2)
	v_fmac_f64_e32 v[94:95], v[98:99], v[100:101]
	ds_read_b128 v[98:101], v96 offset:608
	s_waitcnt vmcnt(0) lgkmcnt(0)
	v_fmac_f64_e32 v[94:95], v[102:103], v[98:99]
	buffer_load_dword v99, off, s[0:3], 0 offset:252
	buffer_load_dword v98, off, s[0:3], 0 offset:248
	buffer_load_dword v103, off, s[0:3], 0 offset:260
	buffer_load_dword v102, off, s[0:3], 0 offset:256
	s_waitcnt vmcnt(2)
	v_fmac_f64_e32 v[94:95], v[98:99], v[100:101]
	ds_read_b128 v[98:101], v96 offset:624
	s_waitcnt vmcnt(0) lgkmcnt(0)
	v_fmac_f64_e32 v[94:95], v[102:103], v[98:99]
	buffer_load_dword v99, off, s[0:3], 0 offset:268
	buffer_load_dword v98, off, s[0:3], 0 offset:264
	buffer_load_dword v103, off, s[0:3], 0 offset:276
	buffer_load_dword v102, off, s[0:3], 0 offset:272
	s_waitcnt vmcnt(2)
	v_fmac_f64_e32 v[94:95], v[98:99], v[100:101]
	ds_read_b128 v[98:101], v96 offset:640
	s_waitcnt vmcnt(0) lgkmcnt(0)
	v_fmac_f64_e32 v[94:95], v[102:103], v[98:99]
	buffer_load_dword v99, off, s[0:3], 0 offset:284
	buffer_load_dword v98, off, s[0:3], 0 offset:280
	buffer_load_dword v103, off, s[0:3], 0 offset:292
	buffer_load_dword v102, off, s[0:3], 0 offset:288
	s_waitcnt vmcnt(2)
	v_fmac_f64_e32 v[94:95], v[98:99], v[100:101]
	ds_read_b128 v[98:101], v96 offset:656
	s_waitcnt vmcnt(0) lgkmcnt(0)
	v_fmac_f64_e32 v[94:95], v[102:103], v[98:99]
	buffer_load_dword v99, off, s[0:3], 0 offset:300
	buffer_load_dword v98, off, s[0:3], 0 offset:296
	buffer_load_dword v103, off, s[0:3], 0 offset:308
	buffer_load_dword v102, off, s[0:3], 0 offset:304
	s_waitcnt vmcnt(2)
	v_fmac_f64_e32 v[94:95], v[98:99], v[100:101]
	ds_read_b128 v[98:101], v96 offset:672
	s_waitcnt vmcnt(0) lgkmcnt(0)
	v_fmac_f64_e32 v[94:95], v[102:103], v[98:99]
	buffer_load_dword v99, off, s[0:3], 0 offset:316
	buffer_load_dword v98, off, s[0:3], 0 offset:312
	buffer_load_dword v103, off, s[0:3], 0 offset:324
	buffer_load_dword v102, off, s[0:3], 0 offset:320
	s_waitcnt vmcnt(2)
	v_fmac_f64_e32 v[94:95], v[98:99], v[100:101]
	ds_read_b128 v[98:101], v96 offset:688
	s_waitcnt vmcnt(0) lgkmcnt(0)
	v_fmac_f64_e32 v[94:95], v[102:103], v[98:99]
	buffer_load_dword v99, off, s[0:3], 0 offset:332
	buffer_load_dword v98, off, s[0:3], 0 offset:328
	buffer_load_dword v103, off, s[0:3], 0 offset:340
	buffer_load_dword v102, off, s[0:3], 0 offset:336
	s_waitcnt vmcnt(2)
	v_fmac_f64_e32 v[94:95], v[98:99], v[100:101]
	ds_read_b128 v[98:101], v96 offset:704
	s_waitcnt vmcnt(0) lgkmcnt(0)
	v_fmac_f64_e32 v[94:95], v[102:103], v[98:99]
	buffer_load_dword v99, off, s[0:3], 0 offset:348
	buffer_load_dword v98, off, s[0:3], 0 offset:344
	s_waitcnt vmcnt(0)
	v_fmac_f64_e32 v[94:95], v[98:99], v[100:101]
	buffer_load_dword v99, off, s[0:3], 0 offset:356
	buffer_load_dword v98, off, s[0:3], 0 offset:352
	ds_read_b64 v[100:101], v96 offset:720
	s_waitcnt vmcnt(0) lgkmcnt(0)
	v_fmac_f64_e32 v[94:95], v[98:99], v[100:101]
	v_add_f64 v[92:93], v[92:93], -v[94:95]
	buffer_store_dword v93, off, s[0:3], 0 offset:28
	buffer_store_dword v92, off, s[0:3], 0 offset:24
	s_and_saveexec_b64 s[4:5], vcc
	s_cbranch_execz .LBB44_273
; %bb.272:
	buffer_load_dword v92, off, s[0:3], 0 offset:16
	buffer_load_dword v93, off, s[0:3], 0 offset:20
	s_waitcnt vmcnt(0)
	ds_write_b64 v1, v[92:93]
	buffer_store_dword v96, off, s[0:3], 0 offset:16
	buffer_store_dword v96, off, s[0:3], 0 offset:20
.LBB44_273:
	s_or_b64 exec, exec, s[4:5]
	s_waitcnt lgkmcnt(0)
	; wave barrier
	s_waitcnt lgkmcnt(0)
	buffer_load_dword v92, off, s[0:3], 0 offset:16
	buffer_load_dword v93, off, s[0:3], 0 offset:20
	;; [unrolled: 1-line block ×16, first 2 shown]
	ds_read2_b64 v[98:101], v96 offset0:49 offset1:50
	v_cmp_lt_u32_e32 vcc, 1, v0
	s_waitcnt vmcnt(12) lgkmcnt(0)
	v_fma_f64 v[94:95], v[94:95], v[98:99], 0
	s_waitcnt vmcnt(10)
	v_fmac_f64_e32 v[94:95], v[102:103], v[100:101]
	ds_read2_b64 v[98:101], v96 offset0:51 offset1:52
	s_waitcnt vmcnt(8) lgkmcnt(0)
	v_fmac_f64_e32 v[94:95], v[104:105], v[98:99]
	s_waitcnt vmcnt(6)
	v_fmac_f64_e32 v[94:95], v[106:107], v[100:101]
	ds_read2_b64 v[98:101], v96 offset0:53 offset1:54
	s_waitcnt vmcnt(4) lgkmcnt(0)
	v_fmac_f64_e32 v[94:95], v[108:109], v[98:99]
	s_waitcnt vmcnt(2)
	v_fmac_f64_e32 v[94:95], v[110:111], v[100:101]
	ds_read2_b64 v[98:101], v96 offset0:55 offset1:56
	s_waitcnt vmcnt(0) lgkmcnt(0)
	v_fmac_f64_e32 v[94:95], v[112:113], v[98:99]
	buffer_load_dword v99, off, s[0:3], 0 offset:84
	buffer_load_dword v98, off, s[0:3], 0 offset:80
	buffer_load_dword v103, off, s[0:3], 0 offset:92
	buffer_load_dword v102, off, s[0:3], 0 offset:88
	s_waitcnt vmcnt(2)
	v_fmac_f64_e32 v[94:95], v[98:99], v[100:101]
	ds_read2_b64 v[98:101], v96 offset0:57 offset1:58
	s_waitcnt vmcnt(0) lgkmcnt(0)
	v_fmac_f64_e32 v[94:95], v[102:103], v[98:99]
	buffer_load_dword v99, off, s[0:3], 0 offset:100
	buffer_load_dword v98, off, s[0:3], 0 offset:96
	buffer_load_dword v103, off, s[0:3], 0 offset:108
	buffer_load_dword v102, off, s[0:3], 0 offset:104
	s_waitcnt vmcnt(2)
	v_fmac_f64_e32 v[94:95], v[98:99], v[100:101]
	ds_read2_b64 v[98:101], v96 offset0:59 offset1:60
	s_waitcnt vmcnt(0) lgkmcnt(0)
	v_fmac_f64_e32 v[94:95], v[102:103], v[98:99]
	;; [unrolled: 9-line block ×16, first 2 shown]
	buffer_load_dword v99, off, s[0:3], 0 offset:340
	buffer_load_dword v98, off, s[0:3], 0 offset:336
	s_waitcnt vmcnt(0)
	v_fmac_f64_e32 v[94:95], v[98:99], v[100:101]
	buffer_load_dword v101, off, s[0:3], 0 offset:348
	buffer_load_dword v100, off, s[0:3], 0 offset:344
	ds_read2_b64 v[96:99], v96 offset0:89 offset1:90
	s_waitcnt vmcnt(0) lgkmcnt(0)
	v_fmac_f64_e32 v[94:95], v[100:101], v[96:97]
	buffer_load_dword v97, off, s[0:3], 0 offset:356
	buffer_load_dword v96, off, s[0:3], 0 offset:352
	s_waitcnt vmcnt(0)
	v_fmac_f64_e32 v[94:95], v[96:97], v[98:99]
	v_add_f64 v[92:93], v[92:93], -v[94:95]
	buffer_store_dword v93, off, s[0:3], 0 offset:20
	buffer_store_dword v92, off, s[0:3], 0 offset:16
	s_and_saveexec_b64 s[4:5], vcc
	s_cbranch_execz .LBB44_275
; %bb.274:
	buffer_load_dword v92, off, s[0:3], 0 offset:8
	buffer_load_dword v93, off, s[0:3], 0 offset:12
	v_mov_b32_e32 v94, 0
	buffer_store_dword v94, off, s[0:3], 0 offset:8
	buffer_store_dword v94, off, s[0:3], 0 offset:12
	s_waitcnt vmcnt(2)
	ds_write_b64 v1, v[92:93]
.LBB44_275:
	s_or_b64 exec, exec, s[4:5]
	s_waitcnt lgkmcnt(0)
	; wave barrier
	s_waitcnt lgkmcnt(0)
	buffer_load_dword v92, off, s[0:3], 0 offset:8
	buffer_load_dword v93, off, s[0:3], 0 offset:12
	;; [unrolled: 1-line block ×16, first 2 shown]
	v_mov_b32_e32 v96, 0
	ds_read_b128 v[98:101], v96 offset:384
	ds_read_b128 v[102:105], v96 offset:400
	;; [unrolled: 1-line block ×4, first 2 shown]
	v_cmp_ne_u32_e32 vcc, 0, v0
	s_waitcnt vmcnt(12) lgkmcnt(3)
	v_fma_f64 v[94:95], v[94:95], v[98:99], 0
	buffer_load_dword v99, off, s[0:3], 0 offset:76
	buffer_load_dword v98, off, s[0:3], 0 offset:72
	s_waitcnt vmcnt(12)
	v_fmac_f64_e32 v[94:95], v[114:115], v[100:101]
	s_waitcnt vmcnt(10) lgkmcnt(2)
	v_fmac_f64_e32 v[94:95], v[116:117], v[102:103]
	buffer_load_dword v103, off, s[0:3], 0 offset:84
	buffer_load_dword v102, off, s[0:3], 0 offset:80
	s_waitcnt vmcnt(10)
	v_fmac_f64_e32 v[94:95], v[118:119], v[104:105]
	s_waitcnt vmcnt(8) lgkmcnt(1)
	v_fmac_f64_e32 v[94:95], v[120:121], v[106:107]
	s_waitcnt vmcnt(6)
	v_fmac_f64_e32 v[94:95], v[122:123], v[108:109]
	s_waitcnt vmcnt(4) lgkmcnt(0)
	v_fmac_f64_e32 v[94:95], v[124:125], v[110:111]
	s_waitcnt vmcnt(2)
	v_fmac_f64_e32 v[94:95], v[98:99], v[112:113]
	ds_read_b128 v[98:101], v96 offset:448
	s_waitcnt vmcnt(0) lgkmcnt(0)
	v_fmac_f64_e32 v[94:95], v[102:103], v[98:99]
	buffer_load_dword v99, off, s[0:3], 0 offset:92
	buffer_load_dword v98, off, s[0:3], 0 offset:88
	buffer_load_dword v103, off, s[0:3], 0 offset:100
	buffer_load_dword v102, off, s[0:3], 0 offset:96
	s_waitcnt vmcnt(2)
	v_fmac_f64_e32 v[94:95], v[98:99], v[100:101]
	ds_read_b128 v[98:101], v96 offset:464
	s_waitcnt vmcnt(0) lgkmcnt(0)
	v_fmac_f64_e32 v[94:95], v[102:103], v[98:99]
	buffer_load_dword v99, off, s[0:3], 0 offset:108
	buffer_load_dword v98, off, s[0:3], 0 offset:104
	buffer_load_dword v103, off, s[0:3], 0 offset:116
	buffer_load_dword v102, off, s[0:3], 0 offset:112
	;; [unrolled: 9-line block ×16, first 2 shown]
	s_waitcnt vmcnt(2)
	v_fmac_f64_e32 v[94:95], v[98:99], v[100:101]
	ds_read_b128 v[98:101], v96 offset:704
	s_waitcnt vmcnt(0) lgkmcnt(0)
	v_fmac_f64_e32 v[94:95], v[102:103], v[98:99]
	buffer_load_dword v99, off, s[0:3], 0 offset:348
	buffer_load_dword v98, off, s[0:3], 0 offset:344
	s_waitcnt vmcnt(0)
	v_fmac_f64_e32 v[94:95], v[98:99], v[100:101]
	buffer_load_dword v99, off, s[0:3], 0 offset:356
	buffer_load_dword v98, off, s[0:3], 0 offset:352
	ds_read_b64 v[100:101], v96 offset:720
	s_waitcnt vmcnt(0) lgkmcnt(0)
	v_fmac_f64_e32 v[94:95], v[98:99], v[100:101]
	v_add_f64 v[92:93], v[92:93], -v[94:95]
	buffer_store_dword v93, off, s[0:3], 0 offset:12
	buffer_store_dword v92, off, s[0:3], 0 offset:8
	s_and_saveexec_b64 s[4:5], vcc
	s_cbranch_execz .LBB44_277
; %bb.276:
	buffer_load_dword v92, off, s[0:3], 0
	buffer_load_dword v93, off, s[0:3], 0 offset:4
	s_waitcnt vmcnt(0)
	ds_write_b64 v1, v[92:93]
	buffer_store_dword v96, off, s[0:3], 0
	buffer_store_dword v96, off, s[0:3], 0 offset:4
.LBB44_277:
	s_or_b64 exec, exec, s[4:5]
	s_waitcnt lgkmcnt(0)
	; wave barrier
	s_waitcnt lgkmcnt(0)
	buffer_load_dword v0, off, s[0:3], 0
	buffer_load_dword v1, off, s[0:3], 0 offset:4
	buffer_load_dword v98, off, s[0:3], 0 offset:8
	;; [unrolled: 1-line block ×15, first 2 shown]
	ds_read2_b64 v[92:95], v96 offset0:47 offset1:48
	s_and_b64 vcc, exec, s[20:21]
	s_waitcnt vmcnt(12) lgkmcnt(0)
	v_fma_f64 v[92:93], v[98:99], v[92:93], 0
	s_waitcnt vmcnt(10)
	v_fmac_f64_e32 v[92:93], v[100:101], v[94:95]
	ds_read2_b64 v[98:101], v96 offset0:49 offset1:50
	s_waitcnt vmcnt(8) lgkmcnt(0)
	v_fmac_f64_e32 v[92:93], v[102:103], v[98:99]
	s_waitcnt vmcnt(6)
	v_fmac_f64_e32 v[92:93], v[104:105], v[100:101]
	ds_read2_b64 v[98:101], v96 offset0:51 offset1:52
	s_waitcnt vmcnt(4) lgkmcnt(0)
	v_fmac_f64_e32 v[92:93], v[106:107], v[98:99]
	s_waitcnt vmcnt(2)
	v_fmac_f64_e32 v[92:93], v[108:109], v[100:101]
	ds_read2_b64 v[98:101], v96 offset0:53 offset1:54
	buffer_load_dword v95, off, s[0:3], 0 offset:68
	buffer_load_dword v94, off, s[0:3], 0 offset:64
	s_waitcnt vmcnt(2) lgkmcnt(0)
	v_fmac_f64_e32 v[92:93], v[110:111], v[98:99]
	s_waitcnt vmcnt(0)
	v_fmac_f64_e32 v[92:93], v[94:95], v[100:101]
	buffer_load_dword v95, off, s[0:3], 0 offset:76
	buffer_load_dword v94, off, s[0:3], 0 offset:72
	ds_read2_b64 v[98:101], v96 offset0:55 offset1:56
	s_waitcnt vmcnt(0) lgkmcnt(0)
	v_fmac_f64_e32 v[92:93], v[94:95], v[98:99]
	buffer_load_dword v95, off, s[0:3], 0 offset:84
	buffer_load_dword v94, off, s[0:3], 0 offset:80
	s_waitcnt vmcnt(0)
	v_fmac_f64_e32 v[92:93], v[94:95], v[100:101]
	buffer_load_dword v95, off, s[0:3], 0 offset:92
	buffer_load_dword v94, off, s[0:3], 0 offset:88
	ds_read2_b64 v[98:101], v96 offset0:57 offset1:58
	s_waitcnt vmcnt(0) lgkmcnt(0)
	v_fmac_f64_e32 v[92:93], v[94:95], v[98:99]
	buffer_load_dword v95, off, s[0:3], 0 offset:100
	buffer_load_dword v94, off, s[0:3], 0 offset:96
	;; [unrolled: 9-line block ×18, first 2 shown]
	s_waitcnt vmcnt(0)
	v_fmac_f64_e32 v[92:93], v[96:97], v[98:99]
	v_add_f64 v[0:1], v[0:1], -v[92:93]
	buffer_store_dword v1, off, s[0:3], 0 offset:4
	buffer_store_dword v0, off, s[0:3], 0
	s_cbranch_vccz .LBB44_367
; %bb.278:
	v_pk_mov_b32 v[0:1], s[10:11], s[10:11] op_sel:[0,1]
	flat_load_dword v0, v[0:1] offset:172
	s_waitcnt vmcnt(0) lgkmcnt(0)
	v_add_u32_e32 v0, -1, v0
	v_cmp_ne_u32_e32 vcc, 43, v0
	s_and_saveexec_b64 s[4:5], vcc
	s_cbranch_execz .LBB44_280
; %bb.279:
	v_mov_b32_e32 v1, 0
	v_lshl_add_u32 v0, v0, 3, v1
	buffer_load_dword v1, v0, s[0:3], 0 offen
	buffer_load_dword v92, v0, s[0:3], 0 offen offset:4
	s_waitcnt vmcnt(1)
	buffer_store_dword v1, off, s[0:3], 0 offset:344
	s_waitcnt vmcnt(1)
	buffer_store_dword v92, off, s[0:3], 0 offset:348
	buffer_store_dword v94, v0, s[0:3], 0 offen
	buffer_store_dword v95, v0, s[0:3], 0 offen offset:4
.LBB44_280:
	s_or_b64 exec, exec, s[4:5]
	v_pk_mov_b32 v[0:1], s[10:11], s[10:11] op_sel:[0,1]
	flat_load_dword v0, v[0:1] offset:168
	s_waitcnt vmcnt(0) lgkmcnt(0)
	v_add_u32_e32 v0, -1, v0
	v_cmp_ne_u32_e32 vcc, 42, v0
	s_and_saveexec_b64 s[4:5], vcc
	s_cbranch_execz .LBB44_282
; %bb.281:
	v_mov_b32_e32 v1, 0
	v_lshl_add_u32 v0, v0, 3, v1
	buffer_load_dword v1, v0, s[0:3], 0 offen
	buffer_load_dword v92, v0, s[0:3], 0 offen offset:4
	buffer_load_dword v93, off, s[0:3], 0 offset:340
	buffer_load_dword v94, off, s[0:3], 0 offset:336
	s_waitcnt vmcnt(3)
	buffer_store_dword v1, off, s[0:3], 0 offset:336
	s_waitcnt vmcnt(3)
	buffer_store_dword v92, off, s[0:3], 0 offset:340
	s_waitcnt vmcnt(3)
	buffer_store_dword v93, v0, s[0:3], 0 offen offset:4
	s_waitcnt vmcnt(3)
	buffer_store_dword v94, v0, s[0:3], 0 offen
.LBB44_282:
	s_or_b64 exec, exec, s[4:5]
	v_pk_mov_b32 v[0:1], s[10:11], s[10:11] op_sel:[0,1]
	flat_load_dword v0, v[0:1] offset:164
	s_waitcnt vmcnt(0) lgkmcnt(0)
	v_add_u32_e32 v0, -1, v0
	v_cmp_ne_u32_e32 vcc, 41, v0
	s_and_saveexec_b64 s[4:5], vcc
	s_cbranch_execz .LBB44_284
; %bb.283:
	v_mov_b32_e32 v1, 0
	v_lshl_add_u32 v0, v0, 3, v1
	buffer_load_dword v1, v0, s[0:3], 0 offen
	buffer_load_dword v92, v0, s[0:3], 0 offen offset:4
	buffer_load_dword v93, off, s[0:3], 0 offset:328
	buffer_load_dword v94, off, s[0:3], 0 offset:332
	s_waitcnt vmcnt(3)
	buffer_store_dword v1, off, s[0:3], 0 offset:328
	s_waitcnt vmcnt(3)
	buffer_store_dword v92, off, s[0:3], 0 offset:332
	s_waitcnt vmcnt(3)
	buffer_store_dword v93, v0, s[0:3], 0 offen
	s_waitcnt vmcnt(3)
	buffer_store_dword v94, v0, s[0:3], 0 offen offset:4
.LBB44_284:
	s_or_b64 exec, exec, s[4:5]
	v_pk_mov_b32 v[0:1], s[10:11], s[10:11] op_sel:[0,1]
	flat_load_dword v0, v[0:1] offset:160
	s_waitcnt vmcnt(0) lgkmcnt(0)
	v_add_u32_e32 v0, -1, v0
	v_cmp_ne_u32_e32 vcc, 40, v0
	s_and_saveexec_b64 s[4:5], vcc
	s_cbranch_execz .LBB44_286
; %bb.285:
	v_mov_b32_e32 v1, 0
	v_lshl_add_u32 v0, v0, 3, v1
	buffer_load_dword v1, v0, s[0:3], 0 offen
	buffer_load_dword v92, v0, s[0:3], 0 offen offset:4
	buffer_load_dword v93, off, s[0:3], 0 offset:324
	buffer_load_dword v94, off, s[0:3], 0 offset:320
	s_waitcnt vmcnt(3)
	buffer_store_dword v1, off, s[0:3], 0 offset:320
	s_waitcnt vmcnt(3)
	buffer_store_dword v92, off, s[0:3], 0 offset:324
	s_waitcnt vmcnt(3)
	buffer_store_dword v93, v0, s[0:3], 0 offen offset:4
	s_waitcnt vmcnt(3)
	buffer_store_dword v94, v0, s[0:3], 0 offen
.LBB44_286:
	s_or_b64 exec, exec, s[4:5]
	v_pk_mov_b32 v[0:1], s[10:11], s[10:11] op_sel:[0,1]
	flat_load_dword v0, v[0:1] offset:156
	s_waitcnt vmcnt(0) lgkmcnt(0)
	v_add_u32_e32 v0, -1, v0
	v_cmp_ne_u32_e32 vcc, 39, v0
	s_and_saveexec_b64 s[4:5], vcc
	s_cbranch_execz .LBB44_288
; %bb.287:
	v_mov_b32_e32 v1, 0
	v_lshl_add_u32 v0, v0, 3, v1
	buffer_load_dword v1, v0, s[0:3], 0 offen
	buffer_load_dword v92, v0, s[0:3], 0 offen offset:4
	buffer_load_dword v93, off, s[0:3], 0 offset:312
	buffer_load_dword v94, off, s[0:3], 0 offset:316
	s_waitcnt vmcnt(3)
	buffer_store_dword v1, off, s[0:3], 0 offset:312
	s_waitcnt vmcnt(3)
	buffer_store_dword v92, off, s[0:3], 0 offset:316
	s_waitcnt vmcnt(3)
	buffer_store_dword v93, v0, s[0:3], 0 offen
	s_waitcnt vmcnt(3)
	buffer_store_dword v94, v0, s[0:3], 0 offen offset:4
.LBB44_288:
	;; [unrolled: 48-line block ×21, first 2 shown]
	s_or_b64 exec, exec, s[4:5]
	v_pk_mov_b32 v[0:1], s[10:11], s[10:11] op_sel:[0,1]
	flat_load_dword v92, v[0:1]
	s_nop 0
	buffer_load_dword v0, off, s[0:3], 0
	buffer_load_dword v1, off, s[0:3], 0 offset:4
	s_waitcnt vmcnt(0) lgkmcnt(0)
	v_add_u32_e32 v92, -1, v92
	v_cmp_ne_u32_e32 vcc, 0, v92
	s_and_saveexec_b64 s[4:5], vcc
	s_cbranch_execz .LBB44_366
; %bb.365:
	v_mov_b32_e32 v93, 0
	v_lshl_add_u32 v92, v92, 3, v93
	buffer_load_dword v93, v92, s[0:3], 0 offen offset:4
	buffer_load_dword v94, v92, s[0:3], 0 offen
	s_waitcnt vmcnt(1)
	buffer_store_dword v93, off, s[0:3], 0 offset:4
	s_waitcnt vmcnt(1)
	buffer_store_dword v94, off, s[0:3], 0
	buffer_store_dword v1, v92, s[0:3], 0 offen offset:4
	buffer_store_dword v0, v92, s[0:3], 0 offen
	buffer_load_dword v0, off, s[0:3], 0
	s_nop 0
	buffer_load_dword v1, off, s[0:3], 0 offset:4
.LBB44_366:
	s_or_b64 exec, exec, s[4:5]
.LBB44_367:
	s_waitcnt vmcnt(0)
	global_store_dwordx2 v[90:91], v[0:1], off
	buffer_load_dword v0, off, s[0:3], 0 offset:8
	s_nop 0
	buffer_load_dword v1, off, s[0:3], 0 offset:12
	buffer_load_dword v90, off, s[0:3], 0 offset:16
	;; [unrolled: 1-line block ×15, first 2 shown]
	s_waitcnt vmcnt(14)
	global_store_dwordx2 v[88:89], v[0:1], off
	s_waitcnt vmcnt(13)
	global_store_dwordx2 v[2:3], v[90:91], off
	s_waitcnt vmcnt(12)
	global_store_dwordx2 v[4:5], v[92:93], off
	s_waitcnt vmcnt(11)
	global_store_dwordx2 v[6:7], v[94:95], off
	s_waitcnt vmcnt(10)
	global_store_dwordx2 v[8:9], v[96:97], off
	s_waitcnt vmcnt(9)
	global_store_dwordx2 v[10:11], v[98:99], off
	s_waitcnt vmcnt(8)
	global_store_dwordx2 v[12:13], v[100:101], off
	s_waitcnt vmcnt(7)
	global_store_dwordx2 v[18:19], v[102:103], off
	buffer_load_dword v0, off, s[0:3], 0 offset:72
	buffer_load_dword v1, off, s[0:3], 0 offset:76
	s_waitcnt vmcnt(0)
	global_store_dwordx2 v[14:15], v[0:1], off
	buffer_load_dword v0, off, s[0:3], 0 offset:80
	s_nop 0
	buffer_load_dword v1, off, s[0:3], 0 offset:84
	s_waitcnt vmcnt(0)
	global_store_dwordx2 v[16:17], v[0:1], off
	buffer_load_dword v0, off, s[0:3], 0 offset:88
	s_nop 0
	;; [unrolled: 5-line block ×35, first 2 shown]
	buffer_load_dword v1, off, s[0:3], 0 offset:356
	s_waitcnt vmcnt(0)
	global_store_dwordx2 v[70:71], v[0:1], off
	s_endpgm
	.section	.rodata,"a",@progbits
	.p2align	6, 0x0
	.amdhsa_kernel _ZN9rocsolver6v33100L18getri_kernel_smallILi45EdPdEEvT1_iilPiilS4_bb
		.amdhsa_group_segment_fixed_size 728
		.amdhsa_private_segment_fixed_size 368
		.amdhsa_kernarg_size 60
		.amdhsa_user_sgpr_count 8
		.amdhsa_user_sgpr_private_segment_buffer 1
		.amdhsa_user_sgpr_dispatch_ptr 0
		.amdhsa_user_sgpr_queue_ptr 0
		.amdhsa_user_sgpr_kernarg_segment_ptr 1
		.amdhsa_user_sgpr_dispatch_id 0
		.amdhsa_user_sgpr_flat_scratch_init 1
		.amdhsa_user_sgpr_kernarg_preload_length 0
		.amdhsa_user_sgpr_kernarg_preload_offset 0
		.amdhsa_user_sgpr_private_segment_size 0
		.amdhsa_uses_dynamic_stack 0
		.amdhsa_system_sgpr_private_segment_wavefront_offset 1
		.amdhsa_system_sgpr_workgroup_id_x 1
		.amdhsa_system_sgpr_workgroup_id_y 0
		.amdhsa_system_sgpr_workgroup_id_z 0
		.amdhsa_system_sgpr_workgroup_info 0
		.amdhsa_system_vgpr_workitem_id 0
		.amdhsa_next_free_vgpr 128
		.amdhsa_next_free_sgpr 23
		.amdhsa_accum_offset 128
		.amdhsa_reserve_vcc 1
		.amdhsa_reserve_flat_scratch 1
		.amdhsa_float_round_mode_32 0
		.amdhsa_float_round_mode_16_64 0
		.amdhsa_float_denorm_mode_32 3
		.amdhsa_float_denorm_mode_16_64 3
		.amdhsa_dx10_clamp 1
		.amdhsa_ieee_mode 1
		.amdhsa_fp16_overflow 0
		.amdhsa_tg_split 0
		.amdhsa_exception_fp_ieee_invalid_op 0
		.amdhsa_exception_fp_denorm_src 0
		.amdhsa_exception_fp_ieee_div_zero 0
		.amdhsa_exception_fp_ieee_overflow 0
		.amdhsa_exception_fp_ieee_underflow 0
		.amdhsa_exception_fp_ieee_inexact 0
		.amdhsa_exception_int_div_zero 0
	.end_amdhsa_kernel
	.section	.text._ZN9rocsolver6v33100L18getri_kernel_smallILi45EdPdEEvT1_iilPiilS4_bb,"axG",@progbits,_ZN9rocsolver6v33100L18getri_kernel_smallILi45EdPdEEvT1_iilPiilS4_bb,comdat
.Lfunc_end44:
	.size	_ZN9rocsolver6v33100L18getri_kernel_smallILi45EdPdEEvT1_iilPiilS4_bb, .Lfunc_end44-_ZN9rocsolver6v33100L18getri_kernel_smallILi45EdPdEEvT1_iilPiilS4_bb
                                        ; -- End function
	.section	.AMDGPU.csdata,"",@progbits
; Kernel info:
; codeLenInByte = 51372
; NumSgprs: 29
; NumVgprs: 128
; NumAgprs: 0
; TotalNumVgprs: 128
; ScratchSize: 368
; MemoryBound: 1
; FloatMode: 240
; IeeeMode: 1
; LDSByteSize: 728 bytes/workgroup (compile time only)
; SGPRBlocks: 3
; VGPRBlocks: 15
; NumSGPRsForWavesPerEU: 29
; NumVGPRsForWavesPerEU: 128
; AccumOffset: 128
; Occupancy: 4
; WaveLimiterHint : 1
; COMPUTE_PGM_RSRC2:SCRATCH_EN: 1
; COMPUTE_PGM_RSRC2:USER_SGPR: 8
; COMPUTE_PGM_RSRC2:TRAP_HANDLER: 0
; COMPUTE_PGM_RSRC2:TGID_X_EN: 1
; COMPUTE_PGM_RSRC2:TGID_Y_EN: 0
; COMPUTE_PGM_RSRC2:TGID_Z_EN: 0
; COMPUTE_PGM_RSRC2:TIDIG_COMP_CNT: 0
; COMPUTE_PGM_RSRC3_GFX90A:ACCUM_OFFSET: 31
; COMPUTE_PGM_RSRC3_GFX90A:TG_SPLIT: 0
	.section	.text._ZN9rocsolver6v33100L18getri_kernel_smallILi46EdPdEEvT1_iilPiilS4_bb,"axG",@progbits,_ZN9rocsolver6v33100L18getri_kernel_smallILi46EdPdEEvT1_iilPiilS4_bb,comdat
	.globl	_ZN9rocsolver6v33100L18getri_kernel_smallILi46EdPdEEvT1_iilPiilS4_bb ; -- Begin function _ZN9rocsolver6v33100L18getri_kernel_smallILi46EdPdEEvT1_iilPiilS4_bb
	.p2align	8
	.type	_ZN9rocsolver6v33100L18getri_kernel_smallILi46EdPdEEvT1_iilPiilS4_bb,@function
_ZN9rocsolver6v33100L18getri_kernel_smallILi46EdPdEEvT1_iilPiilS4_bb: ; @_ZN9rocsolver6v33100L18getri_kernel_smallILi46EdPdEEvT1_iilPiilS4_bb
; %bb.0:
	s_add_u32 flat_scratch_lo, s6, s9
	s_addc_u32 flat_scratch_hi, s7, 0
	s_add_u32 s0, s0, s9
	s_addc_u32 s1, s1, 0
	v_cmp_gt_u32_e32 vcc, 46, v0
	s_and_saveexec_b64 s[6:7], vcc
	s_cbranch_execz .LBB45_192
; %bb.1:
	s_load_dword s22, s[4:5], 0x38
	s_load_dwordx4 s[16:19], s[4:5], 0x10
	s_load_dwordx4 s[12:15], s[4:5], 0x28
                                        ; implicit-def: $sgpr10_sgpr11
	s_waitcnt lgkmcnt(0)
	s_bitcmp1_b32 s22, 8
	s_cselect_b64 s[20:21], -1, 0
	s_ashr_i32 s9, s8, 31
	s_bfe_u32 s6, s22, 0x10008
	s_cmp_eq_u32 s6, 0
	s_cbranch_scc1 .LBB45_3
; %bb.2:
	s_load_dword s6, s[4:5], 0x20
	s_mul_i32 s7, s8, s13
	s_mul_hi_u32 s10, s8, s12
	s_mul_i32 s11, s9, s12
	s_add_i32 s10, s10, s7
	s_add_i32 s11, s10, s11
	s_mul_i32 s10, s8, s12
	s_waitcnt lgkmcnt(0)
	s_ashr_i32 s7, s6, 31
	s_lshl_b64 s[10:11], s[10:11], 2
	s_add_u32 s10, s18, s10
	s_addc_u32 s11, s19, s11
	s_lshl_b64 s[6:7], s[6:7], 2
	s_add_u32 s10, s10, s6
	s_addc_u32 s11, s11, s7
.LBB45_3:
	s_load_dwordx4 s[4:7], s[4:5], 0x0
	s_mul_i32 s12, s8, s17
	s_mul_hi_u32 s13, s8, s16
	s_add_i32 s17, s13, s12
	s_waitcnt lgkmcnt(0)
	s_ashr_i32 s13, s6, 31
	s_mov_b32 s12, s6
	s_mul_i32 s6, s9, s16
	s_add_i32 s17, s17, s6
	s_mul_i32 s16, s8, s16
	s_lshl_b64 s[16:17], s[16:17], 3
	s_add_u32 s6, s4, s16
	s_addc_u32 s16, s5, s17
	s_lshl_b64 s[4:5], s[12:13], 3
	s_add_u32 s4, s6, s4
	s_addc_u32 s5, s16, s5
	s_add_i32 s6, s7, s7
	v_add_u32_e32 v4, s6, v0
	v_ashrrev_i32_e32 v5, 31, v4
	v_lshlrev_b64 v[2:3], 3, v[4:5]
	v_add_u32_e32 v6, s7, v4
	v_mov_b32_e32 v1, s5
	v_add_co_u32_e32 v2, vcc, s4, v2
	v_ashrrev_i32_e32 v7, 31, v6
	v_addc_co_u32_e32 v3, vcc, v1, v3, vcc
	v_lshlrev_b64 v[4:5], 3, v[6:7]
	v_add_u32_e32 v8, s7, v6
	v_add_co_u32_e32 v4, vcc, s4, v4
	v_ashrrev_i32_e32 v9, 31, v8
	v_addc_co_u32_e32 v5, vcc, v1, v5, vcc
	v_lshlrev_b64 v[6:7], 3, v[8:9]
	v_add_u32_e32 v10, s7, v8
	;; [unrolled: 5-line block ×5, first 2 shown]
	v_add_co_u32_e32 v12, vcc, s4, v12
	v_ashrrev_i32_e32 v15, 31, v14
	v_addc_co_u32_e32 v13, vcc, v1, v13, vcc
	v_lshlrev_b64 v[16:17], 3, v[14:15]
	v_add_co_u32_e32 v18, vcc, s4, v16
	v_add_u32_e32 v16, s7, v14
	v_addc_co_u32_e32 v19, vcc, v1, v17, vcc
	v_ashrrev_i32_e32 v17, 31, v16
	v_lshlrev_b64 v[14:15], 3, v[16:17]
	v_add_u32_e32 v20, s7, v16
	v_add_co_u32_e32 v14, vcc, s4, v14
	v_ashrrev_i32_e32 v21, 31, v20
	v_addc_co_u32_e32 v15, vcc, v1, v15, vcc
	v_lshlrev_b64 v[16:17], 3, v[20:21]
	v_add_u32_e32 v22, s7, v20
	v_add_co_u32_e32 v16, vcc, s4, v16
	v_ashrrev_i32_e32 v23, 31, v22
	v_addc_co_u32_e32 v17, vcc, v1, v17, vcc
	;; [unrolled: 5-line block ×29, first 2 shown]
	v_lshlrev_b64 v[74:75], 3, v[76:77]
	v_add_co_u32_e32 v74, vcc, s4, v74
	v_addc_co_u32_e32 v75, vcc, v1, v75, vcc
	v_lshlrev_b32_e32 v1, 3, v0
	v_add_u32_e32 v78, s7, v76
	global_load_dwordx2 v[94:95], v1, s[4:5]
	global_load_dwordx2 v[98:99], v[2:3], off
	global_load_dwordx2 v[100:101], v[4:5], off
	v_mov_b32_e32 v76, s5
	v_add_co_u32_e32 v92, vcc, s4, v1
	s_ashr_i32 s13, s7, 31
	s_mov_b32 s12, s7
	v_addc_co_u32_e32 v93, vcc, 0, v76, vcc
	s_lshl_b64 s[12:13], s[12:13], 3
	v_mov_b32_e32 v76, s13
	v_add_co_u32_e32 v90, vcc, s12, v92
	v_addc_co_u32_e32 v91, vcc, v93, v76, vcc
	global_load_dwordx2 v[96:97], v[90:91], off
	global_load_dwordx2 v[102:103], v[6:7], off
	;; [unrolled: 1-line block ×8, first 2 shown]
	v_ashrrev_i32_e32 v79, 31, v78
	v_lshlrev_b64 v[76:77], 3, v[78:79]
	v_add_u32_e32 v78, s7, v78
	v_mov_b32_e32 v80, s5
	v_add_co_u32_e32 v76, vcc, s4, v76
	v_ashrrev_i32_e32 v79, 31, v78
	v_addc_co_u32_e32 v77, vcc, v80, v77, vcc
	v_lshlrev_b64 v[80:81], 3, v[78:79]
	v_add_u32_e32 v78, s7, v78
	v_mov_b32_e32 v82, s5
	v_add_co_u32_e32 v80, vcc, s4, v80
	v_ashrrev_i32_e32 v79, 31, v78
	v_addc_co_u32_e32 v81, vcc, v82, v81, vcc
	;; [unrolled: 6-line block ×6, first 2 shown]
	v_lshlrev_b64 v[78:79], 3, v[78:79]
	v_mov_b32_e32 v136, s5
	v_add_co_u32_e32 v78, vcc, s4, v78
	global_load_dwordx2 v[116:117], v[20:21], off
	global_load_dwordx2 v[118:119], v[22:23], off
	;; [unrolled: 1-line block ×10, first 2 shown]
	v_addc_co_u32_e32 v79, vcc, v136, v79, vcc
	global_load_dwordx2 v[136:137], v[40:41], off
	global_load_dwordx2 v[138:139], v[78:79], off
	;; [unrolled: 1-line block ×14, first 2 shown]
	s_bitcmp0_b32 s22, 0
	s_waitcnt vmcnt(34)
	buffer_store_dword v95, off, s[0:3], 0 offset:4
	buffer_store_dword v94, off, s[0:3], 0
	global_load_dwordx2 v[94:95], v[46:47], off
	s_mov_b64 s[6:7], -1
	s_waitcnt vmcnt(34)
	buffer_store_dword v97, off, s[0:3], 0 offset:12
	buffer_store_dword v96, off, s[0:3], 0 offset:8
	global_load_dwordx2 v[96:97], v[50:51], off
	s_nop 0
	buffer_store_dword v99, off, s[0:3], 0 offset:20
	buffer_store_dword v98, off, s[0:3], 0 offset:16
	global_load_dwordx2 v[98:99], v[54:55], off
	s_nop 0
	buffer_store_dword v101, off, s[0:3], 0 offset:28
	buffer_store_dword v100, off, s[0:3], 0 offset:24
	global_load_dwordx2 v[100:101], v[58:59], off
	s_waitcnt vmcnt(42)
	buffer_store_dword v103, off, s[0:3], 0 offset:36
	buffer_store_dword v102, off, s[0:3], 0 offset:32
	global_load_dwordx2 v[102:103], v[62:63], off
	s_waitcnt vmcnt(44)
	;; [unrolled: 4-line block ×5, first 2 shown]
	buffer_store_dword v111, off, s[0:3], 0 offset:68
	buffer_store_dword v110, off, s[0:3], 0 offset:64
	global_load_dwordx2 v[110:111], v[80:81], off
	s_nop 0
	buffer_store_dword v112, off, s[0:3], 0 offset:72
	buffer_store_dword v113, off, s[0:3], 0 offset:76
	global_load_dwordx2 v[112:113], v[84:85], off
	s_nop 0
	buffer_store_dword v114, off, s[0:3], 0 offset:80
	buffer_store_dword v115, off, s[0:3], 0 offset:84
	global_load_dwordx2 v[114:115], v[88:89], off
	s_waitcnt vmcnt(56)
	buffer_store_dword v116, off, s[0:3], 0 offset:88
	buffer_store_dword v117, off, s[0:3], 0 offset:92
	s_waitcnt vmcnt(57)
	buffer_store_dword v118, off, s[0:3], 0 offset:96
	buffer_store_dword v119, off, s[0:3], 0 offset:100
	;; [unrolled: 3-line block ×8, first 2 shown]
	buffer_store_dword v133, off, s[0:3], 0 offset:156
	buffer_store_dword v132, off, s[0:3], 0 offset:152
	s_waitcnt vmcnt(62)
	buffer_store_dword v135, off, s[0:3], 0 offset:164
	buffer_store_dword v134, off, s[0:3], 0 offset:160
	;; [unrolled: 1-line block ×6, first 2 shown]
	s_waitcnt vmcnt(62)
	buffer_store_dword v142, off, s[0:3], 0 offset:184
	buffer_store_dword v143, off, s[0:3], 0 offset:188
	s_waitcnt vmcnt(56)
	buffer_store_dword v94, off, s[0:3], 0 offset:192
	buffer_store_dword v95, off, s[0:3], 0 offset:196
	buffer_store_dword v145, off, s[0:3], 0 offset:204
	buffer_store_dword v144, off, s[0:3], 0 offset:200
	s_waitcnt vmcnt(57)
	buffer_store_dword v97, off, s[0:3], 0 offset:212
	buffer_store_dword v96, off, s[0:3], 0 offset:208
	;; [unrolled: 5-line block ×10, first 2 shown]
	buffer_store_dword v163, off, s[0:3], 0 offset:348
	buffer_store_dword v162, off, s[0:3], 0 offset:344
	;; [unrolled: 1-line block ×6, first 2 shown]
	s_cbranch_scc1 .LBB45_190
; %bb.4:
	v_cmp_eq_u32_e64 s[4:5], 0, v0
	s_and_saveexec_b64 s[6:7], s[4:5]
	s_cbranch_execz .LBB45_6
; %bb.5:
	v_mov_b32_e32 v94, 0
	ds_write_b32 v94, v94 offset:736
.LBB45_6:
	s_or_b64 exec, exec, s[6:7]
	v_mov_b32_e32 v94, 0
	v_lshl_add_u32 v94, v0, 3, v94
	s_waitcnt lgkmcnt(0)
	; wave barrier
	s_waitcnt lgkmcnt(0)
	buffer_load_dword v96, v94, s[0:3], 0 offen
	buffer_load_dword v97, v94, s[0:3], 0 offen offset:4
	s_waitcnt vmcnt(0)
	v_cmp_eq_f64_e32 vcc, 0, v[96:97]
	s_and_saveexec_b64 s[12:13], vcc
	s_cbranch_execz .LBB45_10
; %bb.7:
	v_mov_b32_e32 v95, 0
	ds_read_b32 v97, v95 offset:736
	v_add_u32_e32 v96, 1, v0
	s_waitcnt lgkmcnt(0)
	v_readfirstlane_b32 s6, v97
	s_cmp_eq_u32 s6, 0
	s_cselect_b64 s[16:17], -1, 0
	v_cmp_gt_i32_e32 vcc, s6, v96
	s_or_b64 s[16:17], s[16:17], vcc
	s_and_b64 exec, exec, s[16:17]
	s_cbranch_execz .LBB45_10
; %bb.8:
	s_mov_b64 s[16:17], 0
	v_mov_b32_e32 v97, s6
.LBB45_9:                               ; =>This Inner Loop Header: Depth=1
	ds_cmpst_rtn_b32 v97, v95, v97, v96 offset:736
	s_waitcnt lgkmcnt(0)
	v_cmp_ne_u32_e32 vcc, 0, v97
	v_cmp_le_i32_e64 s[6:7], v97, v96
	s_and_b64 s[6:7], vcc, s[6:7]
	s_and_b64 s[6:7], exec, s[6:7]
	s_or_b64 s[16:17], s[6:7], s[16:17]
	s_andn2_b64 exec, exec, s[16:17]
	s_cbranch_execnz .LBB45_9
.LBB45_10:
	s_or_b64 exec, exec, s[12:13]
	v_mov_b32_e32 v96, 0
	s_waitcnt lgkmcnt(0)
	; wave barrier
	ds_read_b32 v95, v96 offset:736
	s_and_saveexec_b64 s[6:7], s[4:5]
	s_cbranch_execz .LBB45_12
; %bb.11:
	s_lshl_b64 s[12:13], s[8:9], 2
	s_add_u32 s12, s14, s12
	s_addc_u32 s13, s15, s13
	s_waitcnt lgkmcnt(0)
	global_store_dword v96, v95, s[12:13]
.LBB45_12:
	s_or_b64 exec, exec, s[6:7]
	s_waitcnt lgkmcnt(0)
	v_cmp_ne_u32_e32 vcc, 0, v95
	s_mov_b64 s[6:7], 0
	s_cbranch_vccnz .LBB45_190
; %bb.13:
	buffer_load_dword v96, v94, s[0:3], 0 offen
	buffer_load_dword v97, v94, s[0:3], 0 offen offset:4
	s_waitcnt vmcnt(0)
	v_div_scale_f64 v[98:99], s[6:7], v[96:97], v[96:97], 1.0
	v_rcp_f64_e32 v[100:101], v[98:99]
	v_div_scale_f64 v[102:103], vcc, 1.0, v[96:97], 1.0
	v_fma_f64 v[104:105], -v[98:99], v[100:101], 1.0
	v_fmac_f64_e32 v[100:101], v[100:101], v[104:105]
	v_fma_f64 v[104:105], -v[98:99], v[100:101], 1.0
	v_fmac_f64_e32 v[100:101], v[100:101], v[104:105]
	v_mul_f64 v[104:105], v[102:103], v[100:101]
	v_fma_f64 v[98:99], -v[98:99], v[104:105], v[102:103]
	v_div_fmas_f64 v[98:99], v[98:99], v[100:101], v[104:105]
	v_div_fixup_f64 v[98:99], v[98:99], v[96:97], 1.0
	buffer_store_dword v99, v94, s[0:3], 0 offen offset:4
	buffer_store_dword v98, v94, s[0:3], 0 offen
	buffer_load_dword v101, off, s[0:3], 0 offset:12
	buffer_load_dword v100, off, s[0:3], 0 offset:8
	v_add_u32_e32 v96, 0x170, v1
	v_xor_b32_e32 v99, 0x80000000, v99
	s_waitcnt vmcnt(0)
	ds_write2_b64 v1, v[98:99], v[100:101] offset1:46
	s_waitcnt lgkmcnt(0)
	; wave barrier
	s_waitcnt lgkmcnt(0)
	s_and_saveexec_b64 s[6:7], s[4:5]
	s_cbranch_execz .LBB45_15
; %bb.14:
	buffer_load_dword v98, v94, s[0:3], 0 offen
	buffer_load_dword v99, v94, s[0:3], 0 offen offset:4
	v_mov_b32_e32 v95, 0
	ds_read_b64 v[100:101], v96
	ds_read_b64 v[102:103], v95 offset:8
	s_waitcnt vmcnt(0) lgkmcnt(1)
	v_fma_f64 v[98:99], v[98:99], v[100:101], 0
	s_waitcnt lgkmcnt(0)
	v_mul_f64 v[98:99], v[98:99], v[102:103]
	buffer_store_dword v98, off, s[0:3], 0 offset:8
	buffer_store_dword v99, off, s[0:3], 0 offset:12
.LBB45_15:
	s_or_b64 exec, exec, s[6:7]
	s_waitcnt lgkmcnt(0)
	; wave barrier
	buffer_load_dword v98, off, s[0:3], 0 offset:16
	buffer_load_dword v99, off, s[0:3], 0 offset:20
	v_cmp_gt_u32_e32 vcc, 2, v0
	s_waitcnt vmcnt(0)
	ds_write_b64 v96, v[98:99]
	s_waitcnt lgkmcnt(0)
	; wave barrier
	s_waitcnt lgkmcnt(0)
	s_and_saveexec_b64 s[6:7], vcc
	s_cbranch_execz .LBB45_17
; %bb.16:
	buffer_load_dword v95, v94, s[0:3], 0 offen offset:4
	buffer_load_dword v102, off, s[0:3], 0 offset:8
	s_nop 0
	buffer_load_dword v94, v94, s[0:3], 0 offen
	s_nop 0
	buffer_load_dword v103, off, s[0:3], 0 offset:12
	ds_read_b64 v[104:105], v96
	v_mov_b32_e32 v97, 0
	ds_read2_b64 v[98:101], v97 offset0:2 offset1:47
	s_waitcnt vmcnt(1) lgkmcnt(1)
	v_fma_f64 v[94:95], v[94:95], v[104:105], 0
	s_waitcnt vmcnt(0) lgkmcnt(0)
	v_fma_f64 v[100:101], v[102:103], v[100:101], v[94:95]
	v_cndmask_b32_e64 v95, v95, v101, s[4:5]
	v_cndmask_b32_e64 v94, v94, v100, s[4:5]
	v_mul_f64 v[94:95], v[94:95], v[98:99]
	buffer_store_dword v95, off, s[0:3], 0 offset:20
	buffer_store_dword v94, off, s[0:3], 0 offset:16
.LBB45_17:
	s_or_b64 exec, exec, s[6:7]
	s_waitcnt lgkmcnt(0)
	; wave barrier
	buffer_load_dword v94, off, s[0:3], 0 offset:24
	buffer_load_dword v95, off, s[0:3], 0 offset:28
	v_cmp_gt_u32_e32 vcc, 3, v0
	v_add_u32_e32 v97, -1, v0
	s_waitcnt vmcnt(0)
	ds_write_b64 v96, v[94:95]
	s_waitcnt lgkmcnt(0)
	; wave barrier
	s_waitcnt lgkmcnt(0)
	s_and_saveexec_b64 s[4:5], vcc
	s_cbranch_execz .LBB45_21
; %bb.18:
	v_add_u32_e32 v98, -1, v0
	v_add_u32_e32 v99, 0x170, v1
	v_add_u32_e32 v100, 0, v1
	s_mov_b64 s[6:7], 0
	v_pk_mov_b32 v[94:95], 0, 0
.LBB45_19:                              ; =>This Inner Loop Header: Depth=1
	buffer_load_dword v102, v100, s[0:3], 0 offen
	buffer_load_dword v103, v100, s[0:3], 0 offen offset:4
	ds_read_b64 v[104:105], v99
	v_add_u32_e32 v98, 1, v98
	v_cmp_lt_u32_e32 vcc, 1, v98
	v_add_u32_e32 v99, 8, v99
	v_add_u32_e32 v100, 8, v100
	s_or_b64 s[6:7], vcc, s[6:7]
	s_waitcnt vmcnt(0) lgkmcnt(0)
	v_fmac_f64_e32 v[94:95], v[102:103], v[104:105]
	s_andn2_b64 exec, exec, s[6:7]
	s_cbranch_execnz .LBB45_19
; %bb.20:
	s_or_b64 exec, exec, s[6:7]
	v_mov_b32_e32 v98, 0
	ds_read_b64 v[98:99], v98 offset:24
	s_waitcnt lgkmcnt(0)
	v_mul_f64 v[94:95], v[94:95], v[98:99]
	buffer_store_dword v95, off, s[0:3], 0 offset:28
	buffer_store_dword v94, off, s[0:3], 0 offset:24
.LBB45_21:
	s_or_b64 exec, exec, s[4:5]
	s_waitcnt lgkmcnt(0)
	; wave barrier
	buffer_load_dword v94, off, s[0:3], 0 offset:32
	buffer_load_dword v95, off, s[0:3], 0 offset:36
	v_cmp_gt_u32_e32 vcc, 4, v0
	s_waitcnt vmcnt(0)
	ds_write_b64 v96, v[94:95]
	s_waitcnt lgkmcnt(0)
	; wave barrier
	s_waitcnt lgkmcnt(0)
	s_and_saveexec_b64 s[4:5], vcc
	s_cbranch_execz .LBB45_25
; %bb.22:
	v_add_u32_e32 v98, -1, v0
	v_add_u32_e32 v99, 0x170, v1
	v_add_u32_e32 v100, 0, v1
	s_mov_b64 s[6:7], 0
	v_pk_mov_b32 v[94:95], 0, 0
.LBB45_23:                              ; =>This Inner Loop Header: Depth=1
	buffer_load_dword v102, v100, s[0:3], 0 offen
	buffer_load_dword v103, v100, s[0:3], 0 offen offset:4
	ds_read_b64 v[104:105], v99
	v_add_u32_e32 v98, 1, v98
	v_cmp_lt_u32_e32 vcc, 2, v98
	v_add_u32_e32 v99, 8, v99
	v_add_u32_e32 v100, 8, v100
	s_or_b64 s[6:7], vcc, s[6:7]
	s_waitcnt vmcnt(0) lgkmcnt(0)
	v_fmac_f64_e32 v[94:95], v[102:103], v[104:105]
	s_andn2_b64 exec, exec, s[6:7]
	s_cbranch_execnz .LBB45_23
; %bb.24:
	s_or_b64 exec, exec, s[6:7]
	v_mov_b32_e32 v98, 0
	ds_read_b64 v[98:99], v98 offset:32
	s_waitcnt lgkmcnt(0)
	v_mul_f64 v[94:95], v[94:95], v[98:99]
	buffer_store_dword v95, off, s[0:3], 0 offset:36
	buffer_store_dword v94, off, s[0:3], 0 offset:32
.LBB45_25:
	s_or_b64 exec, exec, s[4:5]
	s_waitcnt lgkmcnt(0)
	; wave barrier
	buffer_load_dword v94, off, s[0:3], 0 offset:40
	buffer_load_dword v95, off, s[0:3], 0 offset:44
	v_cmp_gt_u32_e32 vcc, 5, v0
	s_waitcnt vmcnt(0)
	ds_write_b64 v96, v[94:95]
	s_waitcnt lgkmcnt(0)
	; wave barrier
	s_waitcnt lgkmcnt(0)
	s_and_saveexec_b64 s[4:5], vcc
	s_cbranch_execz .LBB45_29
; %bb.26:
	v_add_u32_e32 v98, -1, v0
	v_add_u32_e32 v99, 0x170, v1
	v_add_u32_e32 v100, 0, v1
	s_mov_b64 s[6:7], 0
	v_pk_mov_b32 v[94:95], 0, 0
.LBB45_27:                              ; =>This Inner Loop Header: Depth=1
	buffer_load_dword v102, v100, s[0:3], 0 offen
	buffer_load_dword v103, v100, s[0:3], 0 offen offset:4
	ds_read_b64 v[104:105], v99
	v_add_u32_e32 v98, 1, v98
	v_cmp_lt_u32_e32 vcc, 3, v98
	v_add_u32_e32 v99, 8, v99
	v_add_u32_e32 v100, 8, v100
	s_or_b64 s[6:7], vcc, s[6:7]
	s_waitcnt vmcnt(0) lgkmcnt(0)
	v_fmac_f64_e32 v[94:95], v[102:103], v[104:105]
	s_andn2_b64 exec, exec, s[6:7]
	s_cbranch_execnz .LBB45_27
; %bb.28:
	s_or_b64 exec, exec, s[6:7]
	v_mov_b32_e32 v98, 0
	ds_read_b64 v[98:99], v98 offset:40
	s_waitcnt lgkmcnt(0)
	v_mul_f64 v[94:95], v[94:95], v[98:99]
	buffer_store_dword v95, off, s[0:3], 0 offset:44
	buffer_store_dword v94, off, s[0:3], 0 offset:40
.LBB45_29:
	s_or_b64 exec, exec, s[4:5]
	s_waitcnt lgkmcnt(0)
	; wave barrier
	buffer_load_dword v94, off, s[0:3], 0 offset:48
	buffer_load_dword v95, off, s[0:3], 0 offset:52
	v_cmp_gt_u32_e32 vcc, 6, v0
	s_waitcnt vmcnt(0)
	ds_write_b64 v96, v[94:95]
	s_waitcnt lgkmcnt(0)
	; wave barrier
	s_waitcnt lgkmcnt(0)
	s_and_saveexec_b64 s[4:5], vcc
	s_cbranch_execz .LBB45_33
; %bb.30:
	v_add_u32_e32 v98, -1, v0
	v_add_u32_e32 v99, 0x170, v1
	v_add_u32_e32 v100, 0, v1
	s_mov_b64 s[6:7], 0
	v_pk_mov_b32 v[94:95], 0, 0
.LBB45_31:                              ; =>This Inner Loop Header: Depth=1
	buffer_load_dword v102, v100, s[0:3], 0 offen
	buffer_load_dword v103, v100, s[0:3], 0 offen offset:4
	ds_read_b64 v[104:105], v99
	v_add_u32_e32 v98, 1, v98
	v_cmp_lt_u32_e32 vcc, 4, v98
	v_add_u32_e32 v99, 8, v99
	v_add_u32_e32 v100, 8, v100
	s_or_b64 s[6:7], vcc, s[6:7]
	s_waitcnt vmcnt(0) lgkmcnt(0)
	v_fmac_f64_e32 v[94:95], v[102:103], v[104:105]
	s_andn2_b64 exec, exec, s[6:7]
	s_cbranch_execnz .LBB45_31
; %bb.32:
	s_or_b64 exec, exec, s[6:7]
	v_mov_b32_e32 v98, 0
	ds_read_b64 v[98:99], v98 offset:48
	s_waitcnt lgkmcnt(0)
	v_mul_f64 v[94:95], v[94:95], v[98:99]
	buffer_store_dword v95, off, s[0:3], 0 offset:52
	buffer_store_dword v94, off, s[0:3], 0 offset:48
.LBB45_33:
	s_or_b64 exec, exec, s[4:5]
	s_waitcnt lgkmcnt(0)
	; wave barrier
	buffer_load_dword v94, off, s[0:3], 0 offset:56
	buffer_load_dword v95, off, s[0:3], 0 offset:60
	v_cmp_gt_u32_e32 vcc, 7, v0
	s_waitcnt vmcnt(0)
	ds_write_b64 v96, v[94:95]
	s_waitcnt lgkmcnt(0)
	; wave barrier
	s_waitcnt lgkmcnt(0)
	s_and_saveexec_b64 s[4:5], vcc
	s_cbranch_execz .LBB45_37
; %bb.34:
	v_add_u32_e32 v98, -1, v0
	v_add_u32_e32 v99, 0x170, v1
	v_add_u32_e32 v100, 0, v1
	s_mov_b64 s[6:7], 0
	v_pk_mov_b32 v[94:95], 0, 0
.LBB45_35:                              ; =>This Inner Loop Header: Depth=1
	buffer_load_dword v102, v100, s[0:3], 0 offen
	buffer_load_dword v103, v100, s[0:3], 0 offen offset:4
	ds_read_b64 v[104:105], v99
	v_add_u32_e32 v98, 1, v98
	v_cmp_lt_u32_e32 vcc, 5, v98
	v_add_u32_e32 v99, 8, v99
	v_add_u32_e32 v100, 8, v100
	s_or_b64 s[6:7], vcc, s[6:7]
	s_waitcnt vmcnt(0) lgkmcnt(0)
	v_fmac_f64_e32 v[94:95], v[102:103], v[104:105]
	s_andn2_b64 exec, exec, s[6:7]
	s_cbranch_execnz .LBB45_35
; %bb.36:
	s_or_b64 exec, exec, s[6:7]
	v_mov_b32_e32 v98, 0
	ds_read_b64 v[98:99], v98 offset:56
	s_waitcnt lgkmcnt(0)
	v_mul_f64 v[94:95], v[94:95], v[98:99]
	buffer_store_dword v95, off, s[0:3], 0 offset:60
	buffer_store_dword v94, off, s[0:3], 0 offset:56
.LBB45_37:
	s_or_b64 exec, exec, s[4:5]
	s_waitcnt lgkmcnt(0)
	; wave barrier
	buffer_load_dword v94, off, s[0:3], 0 offset:64
	buffer_load_dword v95, off, s[0:3], 0 offset:68
	v_cmp_gt_u32_e32 vcc, 8, v0
	s_waitcnt vmcnt(0)
	ds_write_b64 v96, v[94:95]
	s_waitcnt lgkmcnt(0)
	; wave barrier
	s_waitcnt lgkmcnt(0)
	s_and_saveexec_b64 s[4:5], vcc
	s_cbranch_execz .LBB45_41
; %bb.38:
	v_add_u32_e32 v98, -1, v0
	v_add_u32_e32 v99, 0x170, v1
	v_add_u32_e32 v100, 0, v1
	s_mov_b64 s[6:7], 0
	v_pk_mov_b32 v[94:95], 0, 0
.LBB45_39:                              ; =>This Inner Loop Header: Depth=1
	buffer_load_dword v102, v100, s[0:3], 0 offen
	buffer_load_dword v103, v100, s[0:3], 0 offen offset:4
	ds_read_b64 v[104:105], v99
	v_add_u32_e32 v98, 1, v98
	v_cmp_lt_u32_e32 vcc, 6, v98
	v_add_u32_e32 v99, 8, v99
	v_add_u32_e32 v100, 8, v100
	s_or_b64 s[6:7], vcc, s[6:7]
	s_waitcnt vmcnt(0) lgkmcnt(0)
	v_fmac_f64_e32 v[94:95], v[102:103], v[104:105]
	s_andn2_b64 exec, exec, s[6:7]
	s_cbranch_execnz .LBB45_39
; %bb.40:
	s_or_b64 exec, exec, s[6:7]
	v_mov_b32_e32 v98, 0
	ds_read_b64 v[98:99], v98 offset:64
	s_waitcnt lgkmcnt(0)
	v_mul_f64 v[94:95], v[94:95], v[98:99]
	buffer_store_dword v95, off, s[0:3], 0 offset:68
	buffer_store_dword v94, off, s[0:3], 0 offset:64
.LBB45_41:
	s_or_b64 exec, exec, s[4:5]
	s_waitcnt lgkmcnt(0)
	; wave barrier
	buffer_load_dword v94, off, s[0:3], 0 offset:72
	buffer_load_dword v95, off, s[0:3], 0 offset:76
	v_cmp_gt_u32_e32 vcc, 9, v0
	s_waitcnt vmcnt(0)
	ds_write_b64 v96, v[94:95]
	s_waitcnt lgkmcnt(0)
	; wave barrier
	s_waitcnt lgkmcnt(0)
	s_and_saveexec_b64 s[4:5], vcc
	s_cbranch_execz .LBB45_45
; %bb.42:
	v_add_u32_e32 v98, -1, v0
	v_add_u32_e32 v99, 0x170, v1
	v_add_u32_e32 v100, 0, v1
	s_mov_b64 s[6:7], 0
	v_pk_mov_b32 v[94:95], 0, 0
.LBB45_43:                              ; =>This Inner Loop Header: Depth=1
	buffer_load_dword v102, v100, s[0:3], 0 offen
	buffer_load_dword v103, v100, s[0:3], 0 offen offset:4
	ds_read_b64 v[104:105], v99
	v_add_u32_e32 v98, 1, v98
	v_cmp_lt_u32_e32 vcc, 7, v98
	v_add_u32_e32 v99, 8, v99
	v_add_u32_e32 v100, 8, v100
	s_or_b64 s[6:7], vcc, s[6:7]
	s_waitcnt vmcnt(0) lgkmcnt(0)
	v_fmac_f64_e32 v[94:95], v[102:103], v[104:105]
	s_andn2_b64 exec, exec, s[6:7]
	s_cbranch_execnz .LBB45_43
; %bb.44:
	s_or_b64 exec, exec, s[6:7]
	v_mov_b32_e32 v98, 0
	ds_read_b64 v[98:99], v98 offset:72
	s_waitcnt lgkmcnt(0)
	v_mul_f64 v[94:95], v[94:95], v[98:99]
	buffer_store_dword v95, off, s[0:3], 0 offset:76
	buffer_store_dword v94, off, s[0:3], 0 offset:72
.LBB45_45:
	s_or_b64 exec, exec, s[4:5]
	s_waitcnt lgkmcnt(0)
	; wave barrier
	buffer_load_dword v94, off, s[0:3], 0 offset:80
	buffer_load_dword v95, off, s[0:3], 0 offset:84
	v_cmp_gt_u32_e32 vcc, 10, v0
	s_waitcnt vmcnt(0)
	ds_write_b64 v96, v[94:95]
	s_waitcnt lgkmcnt(0)
	; wave barrier
	s_waitcnt lgkmcnt(0)
	s_and_saveexec_b64 s[4:5], vcc
	s_cbranch_execz .LBB45_49
; %bb.46:
	v_add_u32_e32 v98, -1, v0
	v_add_u32_e32 v99, 0x170, v1
	v_add_u32_e32 v100, 0, v1
	s_mov_b64 s[6:7], 0
	v_pk_mov_b32 v[94:95], 0, 0
.LBB45_47:                              ; =>This Inner Loop Header: Depth=1
	buffer_load_dword v102, v100, s[0:3], 0 offen
	buffer_load_dword v103, v100, s[0:3], 0 offen offset:4
	ds_read_b64 v[104:105], v99
	v_add_u32_e32 v98, 1, v98
	v_cmp_lt_u32_e32 vcc, 8, v98
	v_add_u32_e32 v99, 8, v99
	v_add_u32_e32 v100, 8, v100
	s_or_b64 s[6:7], vcc, s[6:7]
	s_waitcnt vmcnt(0) lgkmcnt(0)
	v_fmac_f64_e32 v[94:95], v[102:103], v[104:105]
	s_andn2_b64 exec, exec, s[6:7]
	s_cbranch_execnz .LBB45_47
; %bb.48:
	s_or_b64 exec, exec, s[6:7]
	v_mov_b32_e32 v98, 0
	ds_read_b64 v[98:99], v98 offset:80
	s_waitcnt lgkmcnt(0)
	v_mul_f64 v[94:95], v[94:95], v[98:99]
	buffer_store_dword v95, off, s[0:3], 0 offset:84
	buffer_store_dword v94, off, s[0:3], 0 offset:80
.LBB45_49:
	s_or_b64 exec, exec, s[4:5]
	s_waitcnt lgkmcnt(0)
	; wave barrier
	buffer_load_dword v94, off, s[0:3], 0 offset:88
	buffer_load_dword v95, off, s[0:3], 0 offset:92
	v_cmp_gt_u32_e32 vcc, 11, v0
	s_waitcnt vmcnt(0)
	ds_write_b64 v96, v[94:95]
	s_waitcnt lgkmcnt(0)
	; wave barrier
	s_waitcnt lgkmcnt(0)
	s_and_saveexec_b64 s[4:5], vcc
	s_cbranch_execz .LBB45_53
; %bb.50:
	v_add_u32_e32 v98, -1, v0
	v_add_u32_e32 v99, 0x170, v1
	v_add_u32_e32 v100, 0, v1
	s_mov_b64 s[6:7], 0
	v_pk_mov_b32 v[94:95], 0, 0
.LBB45_51:                              ; =>This Inner Loop Header: Depth=1
	buffer_load_dword v102, v100, s[0:3], 0 offen
	buffer_load_dword v103, v100, s[0:3], 0 offen offset:4
	ds_read_b64 v[104:105], v99
	v_add_u32_e32 v98, 1, v98
	v_cmp_lt_u32_e32 vcc, 9, v98
	v_add_u32_e32 v99, 8, v99
	v_add_u32_e32 v100, 8, v100
	s_or_b64 s[6:7], vcc, s[6:7]
	s_waitcnt vmcnt(0) lgkmcnt(0)
	v_fmac_f64_e32 v[94:95], v[102:103], v[104:105]
	s_andn2_b64 exec, exec, s[6:7]
	s_cbranch_execnz .LBB45_51
; %bb.52:
	s_or_b64 exec, exec, s[6:7]
	v_mov_b32_e32 v98, 0
	ds_read_b64 v[98:99], v98 offset:88
	s_waitcnt lgkmcnt(0)
	v_mul_f64 v[94:95], v[94:95], v[98:99]
	buffer_store_dword v95, off, s[0:3], 0 offset:92
	buffer_store_dword v94, off, s[0:3], 0 offset:88
.LBB45_53:
	s_or_b64 exec, exec, s[4:5]
	s_waitcnt lgkmcnt(0)
	; wave barrier
	buffer_load_dword v94, off, s[0:3], 0 offset:96
	buffer_load_dword v95, off, s[0:3], 0 offset:100
	v_cmp_gt_u32_e32 vcc, 12, v0
	s_waitcnt vmcnt(0)
	ds_write_b64 v96, v[94:95]
	s_waitcnt lgkmcnt(0)
	; wave barrier
	s_waitcnt lgkmcnt(0)
	s_and_saveexec_b64 s[4:5], vcc
	s_cbranch_execz .LBB45_57
; %bb.54:
	v_add_u32_e32 v98, -1, v0
	v_add_u32_e32 v99, 0x170, v1
	v_add_u32_e32 v100, 0, v1
	s_mov_b64 s[6:7], 0
	v_pk_mov_b32 v[94:95], 0, 0
.LBB45_55:                              ; =>This Inner Loop Header: Depth=1
	buffer_load_dword v102, v100, s[0:3], 0 offen
	buffer_load_dword v103, v100, s[0:3], 0 offen offset:4
	ds_read_b64 v[104:105], v99
	v_add_u32_e32 v98, 1, v98
	v_cmp_lt_u32_e32 vcc, 10, v98
	v_add_u32_e32 v99, 8, v99
	v_add_u32_e32 v100, 8, v100
	s_or_b64 s[6:7], vcc, s[6:7]
	s_waitcnt vmcnt(0) lgkmcnt(0)
	v_fmac_f64_e32 v[94:95], v[102:103], v[104:105]
	s_andn2_b64 exec, exec, s[6:7]
	s_cbranch_execnz .LBB45_55
; %bb.56:
	s_or_b64 exec, exec, s[6:7]
	v_mov_b32_e32 v98, 0
	ds_read_b64 v[98:99], v98 offset:96
	s_waitcnt lgkmcnt(0)
	v_mul_f64 v[94:95], v[94:95], v[98:99]
	buffer_store_dword v95, off, s[0:3], 0 offset:100
	buffer_store_dword v94, off, s[0:3], 0 offset:96
.LBB45_57:
	s_or_b64 exec, exec, s[4:5]
	s_waitcnt lgkmcnt(0)
	; wave barrier
	buffer_load_dword v94, off, s[0:3], 0 offset:104
	buffer_load_dword v95, off, s[0:3], 0 offset:108
	v_cmp_gt_u32_e32 vcc, 13, v0
	s_waitcnt vmcnt(0)
	ds_write_b64 v96, v[94:95]
	s_waitcnt lgkmcnt(0)
	; wave barrier
	s_waitcnt lgkmcnt(0)
	s_and_saveexec_b64 s[4:5], vcc
	s_cbranch_execz .LBB45_61
; %bb.58:
	v_add_u32_e32 v98, -1, v0
	v_add_u32_e32 v99, 0x170, v1
	v_add_u32_e32 v100, 0, v1
	s_mov_b64 s[6:7], 0
	v_pk_mov_b32 v[94:95], 0, 0
.LBB45_59:                              ; =>This Inner Loop Header: Depth=1
	buffer_load_dword v102, v100, s[0:3], 0 offen
	buffer_load_dword v103, v100, s[0:3], 0 offen offset:4
	ds_read_b64 v[104:105], v99
	v_add_u32_e32 v98, 1, v98
	v_cmp_lt_u32_e32 vcc, 11, v98
	v_add_u32_e32 v99, 8, v99
	v_add_u32_e32 v100, 8, v100
	s_or_b64 s[6:7], vcc, s[6:7]
	s_waitcnt vmcnt(0) lgkmcnt(0)
	v_fmac_f64_e32 v[94:95], v[102:103], v[104:105]
	s_andn2_b64 exec, exec, s[6:7]
	s_cbranch_execnz .LBB45_59
; %bb.60:
	s_or_b64 exec, exec, s[6:7]
	v_mov_b32_e32 v98, 0
	ds_read_b64 v[98:99], v98 offset:104
	s_waitcnt lgkmcnt(0)
	v_mul_f64 v[94:95], v[94:95], v[98:99]
	buffer_store_dword v95, off, s[0:3], 0 offset:108
	buffer_store_dword v94, off, s[0:3], 0 offset:104
.LBB45_61:
	s_or_b64 exec, exec, s[4:5]
	s_waitcnt lgkmcnt(0)
	; wave barrier
	buffer_load_dword v94, off, s[0:3], 0 offset:112
	buffer_load_dword v95, off, s[0:3], 0 offset:116
	v_cmp_gt_u32_e32 vcc, 14, v0
	s_waitcnt vmcnt(0)
	ds_write_b64 v96, v[94:95]
	s_waitcnt lgkmcnt(0)
	; wave barrier
	s_waitcnt lgkmcnt(0)
	s_and_saveexec_b64 s[4:5], vcc
	s_cbranch_execz .LBB45_65
; %bb.62:
	v_add_u32_e32 v98, -1, v0
	v_add_u32_e32 v99, 0x170, v1
	v_add_u32_e32 v100, 0, v1
	s_mov_b64 s[6:7], 0
	v_pk_mov_b32 v[94:95], 0, 0
.LBB45_63:                              ; =>This Inner Loop Header: Depth=1
	buffer_load_dword v102, v100, s[0:3], 0 offen
	buffer_load_dword v103, v100, s[0:3], 0 offen offset:4
	ds_read_b64 v[104:105], v99
	v_add_u32_e32 v98, 1, v98
	v_cmp_lt_u32_e32 vcc, 12, v98
	v_add_u32_e32 v99, 8, v99
	v_add_u32_e32 v100, 8, v100
	s_or_b64 s[6:7], vcc, s[6:7]
	s_waitcnt vmcnt(0) lgkmcnt(0)
	v_fmac_f64_e32 v[94:95], v[102:103], v[104:105]
	s_andn2_b64 exec, exec, s[6:7]
	s_cbranch_execnz .LBB45_63
; %bb.64:
	s_or_b64 exec, exec, s[6:7]
	v_mov_b32_e32 v98, 0
	ds_read_b64 v[98:99], v98 offset:112
	s_waitcnt lgkmcnt(0)
	v_mul_f64 v[94:95], v[94:95], v[98:99]
	buffer_store_dword v95, off, s[0:3], 0 offset:116
	buffer_store_dword v94, off, s[0:3], 0 offset:112
.LBB45_65:
	s_or_b64 exec, exec, s[4:5]
	s_waitcnt lgkmcnt(0)
	; wave barrier
	buffer_load_dword v94, off, s[0:3], 0 offset:120
	buffer_load_dword v95, off, s[0:3], 0 offset:124
	v_cmp_gt_u32_e32 vcc, 15, v0
	s_waitcnt vmcnt(0)
	ds_write_b64 v96, v[94:95]
	s_waitcnt lgkmcnt(0)
	; wave barrier
	s_waitcnt lgkmcnt(0)
	s_and_saveexec_b64 s[4:5], vcc
	s_cbranch_execz .LBB45_69
; %bb.66:
	v_add_u32_e32 v98, -1, v0
	v_add_u32_e32 v99, 0x170, v1
	v_add_u32_e32 v100, 0, v1
	s_mov_b64 s[6:7], 0
	v_pk_mov_b32 v[94:95], 0, 0
.LBB45_67:                              ; =>This Inner Loop Header: Depth=1
	buffer_load_dword v102, v100, s[0:3], 0 offen
	buffer_load_dword v103, v100, s[0:3], 0 offen offset:4
	ds_read_b64 v[104:105], v99
	v_add_u32_e32 v98, 1, v98
	v_cmp_lt_u32_e32 vcc, 13, v98
	v_add_u32_e32 v99, 8, v99
	v_add_u32_e32 v100, 8, v100
	s_or_b64 s[6:7], vcc, s[6:7]
	s_waitcnt vmcnt(0) lgkmcnt(0)
	v_fmac_f64_e32 v[94:95], v[102:103], v[104:105]
	s_andn2_b64 exec, exec, s[6:7]
	s_cbranch_execnz .LBB45_67
; %bb.68:
	s_or_b64 exec, exec, s[6:7]
	v_mov_b32_e32 v98, 0
	ds_read_b64 v[98:99], v98 offset:120
	s_waitcnt lgkmcnt(0)
	v_mul_f64 v[94:95], v[94:95], v[98:99]
	buffer_store_dword v95, off, s[0:3], 0 offset:124
	buffer_store_dword v94, off, s[0:3], 0 offset:120
.LBB45_69:
	s_or_b64 exec, exec, s[4:5]
	s_waitcnt lgkmcnt(0)
	; wave barrier
	buffer_load_dword v94, off, s[0:3], 0 offset:128
	buffer_load_dword v95, off, s[0:3], 0 offset:132
	v_cmp_gt_u32_e32 vcc, 16, v0
	s_waitcnt vmcnt(0)
	ds_write_b64 v96, v[94:95]
	s_waitcnt lgkmcnt(0)
	; wave barrier
	s_waitcnt lgkmcnt(0)
	s_and_saveexec_b64 s[4:5], vcc
	s_cbranch_execz .LBB45_73
; %bb.70:
	v_add_u32_e32 v98, -1, v0
	v_add_u32_e32 v99, 0x170, v1
	v_add_u32_e32 v100, 0, v1
	s_mov_b64 s[6:7], 0
	v_pk_mov_b32 v[94:95], 0, 0
.LBB45_71:                              ; =>This Inner Loop Header: Depth=1
	buffer_load_dword v102, v100, s[0:3], 0 offen
	buffer_load_dword v103, v100, s[0:3], 0 offen offset:4
	ds_read_b64 v[104:105], v99
	v_add_u32_e32 v98, 1, v98
	v_cmp_lt_u32_e32 vcc, 14, v98
	v_add_u32_e32 v99, 8, v99
	v_add_u32_e32 v100, 8, v100
	s_or_b64 s[6:7], vcc, s[6:7]
	s_waitcnt vmcnt(0) lgkmcnt(0)
	v_fmac_f64_e32 v[94:95], v[102:103], v[104:105]
	s_andn2_b64 exec, exec, s[6:7]
	s_cbranch_execnz .LBB45_71
; %bb.72:
	s_or_b64 exec, exec, s[6:7]
	v_mov_b32_e32 v98, 0
	ds_read_b64 v[98:99], v98 offset:128
	s_waitcnt lgkmcnt(0)
	v_mul_f64 v[94:95], v[94:95], v[98:99]
	buffer_store_dword v95, off, s[0:3], 0 offset:132
	buffer_store_dword v94, off, s[0:3], 0 offset:128
.LBB45_73:
	s_or_b64 exec, exec, s[4:5]
	s_waitcnt lgkmcnt(0)
	; wave barrier
	buffer_load_dword v94, off, s[0:3], 0 offset:136
	buffer_load_dword v95, off, s[0:3], 0 offset:140
	v_cmp_gt_u32_e32 vcc, 17, v0
	s_waitcnt vmcnt(0)
	ds_write_b64 v96, v[94:95]
	s_waitcnt lgkmcnt(0)
	; wave barrier
	s_waitcnt lgkmcnt(0)
	s_and_saveexec_b64 s[4:5], vcc
	s_cbranch_execz .LBB45_77
; %bb.74:
	v_add_u32_e32 v98, -1, v0
	v_add_u32_e32 v99, 0x170, v1
	v_add_u32_e32 v100, 0, v1
	s_mov_b64 s[6:7], 0
	v_pk_mov_b32 v[94:95], 0, 0
.LBB45_75:                              ; =>This Inner Loop Header: Depth=1
	buffer_load_dword v102, v100, s[0:3], 0 offen
	buffer_load_dword v103, v100, s[0:3], 0 offen offset:4
	ds_read_b64 v[104:105], v99
	v_add_u32_e32 v98, 1, v98
	v_cmp_lt_u32_e32 vcc, 15, v98
	v_add_u32_e32 v99, 8, v99
	v_add_u32_e32 v100, 8, v100
	s_or_b64 s[6:7], vcc, s[6:7]
	s_waitcnt vmcnt(0) lgkmcnt(0)
	v_fmac_f64_e32 v[94:95], v[102:103], v[104:105]
	s_andn2_b64 exec, exec, s[6:7]
	s_cbranch_execnz .LBB45_75
; %bb.76:
	s_or_b64 exec, exec, s[6:7]
	v_mov_b32_e32 v98, 0
	ds_read_b64 v[98:99], v98 offset:136
	s_waitcnt lgkmcnt(0)
	v_mul_f64 v[94:95], v[94:95], v[98:99]
	buffer_store_dword v95, off, s[0:3], 0 offset:140
	buffer_store_dword v94, off, s[0:3], 0 offset:136
.LBB45_77:
	s_or_b64 exec, exec, s[4:5]
	s_waitcnt lgkmcnt(0)
	; wave barrier
	buffer_load_dword v94, off, s[0:3], 0 offset:144
	buffer_load_dword v95, off, s[0:3], 0 offset:148
	v_cmp_gt_u32_e32 vcc, 18, v0
	s_waitcnt vmcnt(0)
	ds_write_b64 v96, v[94:95]
	s_waitcnt lgkmcnt(0)
	; wave barrier
	s_waitcnt lgkmcnt(0)
	s_and_saveexec_b64 s[4:5], vcc
	s_cbranch_execz .LBB45_81
; %bb.78:
	v_add_u32_e32 v98, -1, v0
	v_add_u32_e32 v99, 0x170, v1
	v_add_u32_e32 v100, 0, v1
	s_mov_b64 s[6:7], 0
	v_pk_mov_b32 v[94:95], 0, 0
.LBB45_79:                              ; =>This Inner Loop Header: Depth=1
	buffer_load_dword v102, v100, s[0:3], 0 offen
	buffer_load_dword v103, v100, s[0:3], 0 offen offset:4
	ds_read_b64 v[104:105], v99
	v_add_u32_e32 v98, 1, v98
	v_cmp_lt_u32_e32 vcc, 16, v98
	v_add_u32_e32 v99, 8, v99
	v_add_u32_e32 v100, 8, v100
	s_or_b64 s[6:7], vcc, s[6:7]
	s_waitcnt vmcnt(0) lgkmcnt(0)
	v_fmac_f64_e32 v[94:95], v[102:103], v[104:105]
	s_andn2_b64 exec, exec, s[6:7]
	s_cbranch_execnz .LBB45_79
; %bb.80:
	s_or_b64 exec, exec, s[6:7]
	v_mov_b32_e32 v98, 0
	ds_read_b64 v[98:99], v98 offset:144
	s_waitcnt lgkmcnt(0)
	v_mul_f64 v[94:95], v[94:95], v[98:99]
	buffer_store_dword v95, off, s[0:3], 0 offset:148
	buffer_store_dword v94, off, s[0:3], 0 offset:144
.LBB45_81:
	s_or_b64 exec, exec, s[4:5]
	s_waitcnt lgkmcnt(0)
	; wave barrier
	buffer_load_dword v94, off, s[0:3], 0 offset:152
	buffer_load_dword v95, off, s[0:3], 0 offset:156
	v_cmp_gt_u32_e32 vcc, 19, v0
	s_waitcnt vmcnt(0)
	ds_write_b64 v96, v[94:95]
	s_waitcnt lgkmcnt(0)
	; wave barrier
	s_waitcnt lgkmcnt(0)
	s_and_saveexec_b64 s[4:5], vcc
	s_cbranch_execz .LBB45_85
; %bb.82:
	v_add_u32_e32 v98, -1, v0
	v_add_u32_e32 v99, 0x170, v1
	v_add_u32_e32 v100, 0, v1
	s_mov_b64 s[6:7], 0
	v_pk_mov_b32 v[94:95], 0, 0
.LBB45_83:                              ; =>This Inner Loop Header: Depth=1
	buffer_load_dword v102, v100, s[0:3], 0 offen
	buffer_load_dword v103, v100, s[0:3], 0 offen offset:4
	ds_read_b64 v[104:105], v99
	v_add_u32_e32 v98, 1, v98
	v_cmp_lt_u32_e32 vcc, 17, v98
	v_add_u32_e32 v99, 8, v99
	v_add_u32_e32 v100, 8, v100
	s_or_b64 s[6:7], vcc, s[6:7]
	s_waitcnt vmcnt(0) lgkmcnt(0)
	v_fmac_f64_e32 v[94:95], v[102:103], v[104:105]
	s_andn2_b64 exec, exec, s[6:7]
	s_cbranch_execnz .LBB45_83
; %bb.84:
	s_or_b64 exec, exec, s[6:7]
	v_mov_b32_e32 v98, 0
	ds_read_b64 v[98:99], v98 offset:152
	s_waitcnt lgkmcnt(0)
	v_mul_f64 v[94:95], v[94:95], v[98:99]
	buffer_store_dword v95, off, s[0:3], 0 offset:156
	buffer_store_dword v94, off, s[0:3], 0 offset:152
.LBB45_85:
	s_or_b64 exec, exec, s[4:5]
	s_waitcnt lgkmcnt(0)
	; wave barrier
	buffer_load_dword v94, off, s[0:3], 0 offset:160
	buffer_load_dword v95, off, s[0:3], 0 offset:164
	v_cmp_gt_u32_e32 vcc, 20, v0
	s_waitcnt vmcnt(0)
	ds_write_b64 v96, v[94:95]
	s_waitcnt lgkmcnt(0)
	; wave barrier
	s_waitcnt lgkmcnt(0)
	s_and_saveexec_b64 s[4:5], vcc
	s_cbranch_execz .LBB45_89
; %bb.86:
	v_add_u32_e32 v98, -1, v0
	v_add_u32_e32 v99, 0x170, v1
	v_add_u32_e32 v100, 0, v1
	s_mov_b64 s[6:7], 0
	v_pk_mov_b32 v[94:95], 0, 0
.LBB45_87:                              ; =>This Inner Loop Header: Depth=1
	buffer_load_dword v102, v100, s[0:3], 0 offen
	buffer_load_dword v103, v100, s[0:3], 0 offen offset:4
	ds_read_b64 v[104:105], v99
	v_add_u32_e32 v98, 1, v98
	v_cmp_lt_u32_e32 vcc, 18, v98
	v_add_u32_e32 v99, 8, v99
	v_add_u32_e32 v100, 8, v100
	s_or_b64 s[6:7], vcc, s[6:7]
	s_waitcnt vmcnt(0) lgkmcnt(0)
	v_fmac_f64_e32 v[94:95], v[102:103], v[104:105]
	s_andn2_b64 exec, exec, s[6:7]
	s_cbranch_execnz .LBB45_87
; %bb.88:
	s_or_b64 exec, exec, s[6:7]
	v_mov_b32_e32 v98, 0
	ds_read_b64 v[98:99], v98 offset:160
	s_waitcnt lgkmcnt(0)
	v_mul_f64 v[94:95], v[94:95], v[98:99]
	buffer_store_dword v95, off, s[0:3], 0 offset:164
	buffer_store_dword v94, off, s[0:3], 0 offset:160
.LBB45_89:
	s_or_b64 exec, exec, s[4:5]
	s_waitcnt lgkmcnt(0)
	; wave barrier
	buffer_load_dword v94, off, s[0:3], 0 offset:168
	buffer_load_dword v95, off, s[0:3], 0 offset:172
	v_cmp_gt_u32_e32 vcc, 21, v0
	s_waitcnt vmcnt(0)
	ds_write_b64 v96, v[94:95]
	s_waitcnt lgkmcnt(0)
	; wave barrier
	s_waitcnt lgkmcnt(0)
	s_and_saveexec_b64 s[4:5], vcc
	s_cbranch_execz .LBB45_93
; %bb.90:
	v_add_u32_e32 v98, -1, v0
	v_add_u32_e32 v99, 0x170, v1
	v_add_u32_e32 v100, 0, v1
	s_mov_b64 s[6:7], 0
	v_pk_mov_b32 v[94:95], 0, 0
.LBB45_91:                              ; =>This Inner Loop Header: Depth=1
	buffer_load_dword v102, v100, s[0:3], 0 offen
	buffer_load_dword v103, v100, s[0:3], 0 offen offset:4
	ds_read_b64 v[104:105], v99
	v_add_u32_e32 v98, 1, v98
	v_cmp_lt_u32_e32 vcc, 19, v98
	v_add_u32_e32 v99, 8, v99
	v_add_u32_e32 v100, 8, v100
	s_or_b64 s[6:7], vcc, s[6:7]
	s_waitcnt vmcnt(0) lgkmcnt(0)
	v_fmac_f64_e32 v[94:95], v[102:103], v[104:105]
	s_andn2_b64 exec, exec, s[6:7]
	s_cbranch_execnz .LBB45_91
; %bb.92:
	s_or_b64 exec, exec, s[6:7]
	v_mov_b32_e32 v98, 0
	ds_read_b64 v[98:99], v98 offset:168
	s_waitcnt lgkmcnt(0)
	v_mul_f64 v[94:95], v[94:95], v[98:99]
	buffer_store_dword v95, off, s[0:3], 0 offset:172
	buffer_store_dword v94, off, s[0:3], 0 offset:168
.LBB45_93:
	s_or_b64 exec, exec, s[4:5]
	s_waitcnt lgkmcnt(0)
	; wave barrier
	buffer_load_dword v94, off, s[0:3], 0 offset:176
	buffer_load_dword v95, off, s[0:3], 0 offset:180
	v_cmp_gt_u32_e32 vcc, 22, v0
	s_waitcnt vmcnt(0)
	ds_write_b64 v96, v[94:95]
	s_waitcnt lgkmcnt(0)
	; wave barrier
	s_waitcnt lgkmcnt(0)
	s_and_saveexec_b64 s[4:5], vcc
	s_cbranch_execz .LBB45_97
; %bb.94:
	v_add_u32_e32 v98, -1, v0
	v_add_u32_e32 v99, 0x170, v1
	v_add_u32_e32 v100, 0, v1
	s_mov_b64 s[6:7], 0
	v_pk_mov_b32 v[94:95], 0, 0
.LBB45_95:                              ; =>This Inner Loop Header: Depth=1
	buffer_load_dword v102, v100, s[0:3], 0 offen
	buffer_load_dword v103, v100, s[0:3], 0 offen offset:4
	ds_read_b64 v[104:105], v99
	v_add_u32_e32 v98, 1, v98
	v_cmp_lt_u32_e32 vcc, 20, v98
	v_add_u32_e32 v99, 8, v99
	v_add_u32_e32 v100, 8, v100
	s_or_b64 s[6:7], vcc, s[6:7]
	s_waitcnt vmcnt(0) lgkmcnt(0)
	v_fmac_f64_e32 v[94:95], v[102:103], v[104:105]
	s_andn2_b64 exec, exec, s[6:7]
	s_cbranch_execnz .LBB45_95
; %bb.96:
	s_or_b64 exec, exec, s[6:7]
	v_mov_b32_e32 v98, 0
	ds_read_b64 v[98:99], v98 offset:176
	s_waitcnt lgkmcnt(0)
	v_mul_f64 v[94:95], v[94:95], v[98:99]
	buffer_store_dword v95, off, s[0:3], 0 offset:180
	buffer_store_dword v94, off, s[0:3], 0 offset:176
.LBB45_97:
	s_or_b64 exec, exec, s[4:5]
	s_waitcnt lgkmcnt(0)
	; wave barrier
	buffer_load_dword v94, off, s[0:3], 0 offset:184
	buffer_load_dword v95, off, s[0:3], 0 offset:188
	v_cmp_gt_u32_e32 vcc, 23, v0
	s_waitcnt vmcnt(0)
	ds_write_b64 v96, v[94:95]
	s_waitcnt lgkmcnt(0)
	; wave barrier
	s_waitcnt lgkmcnt(0)
	s_and_saveexec_b64 s[4:5], vcc
	s_cbranch_execz .LBB45_101
; %bb.98:
	v_add_u32_e32 v98, -1, v0
	v_add_u32_e32 v99, 0x170, v1
	v_add_u32_e32 v100, 0, v1
	s_mov_b64 s[6:7], 0
	v_pk_mov_b32 v[94:95], 0, 0
.LBB45_99:                              ; =>This Inner Loop Header: Depth=1
	buffer_load_dword v102, v100, s[0:3], 0 offen
	buffer_load_dword v103, v100, s[0:3], 0 offen offset:4
	ds_read_b64 v[104:105], v99
	v_add_u32_e32 v98, 1, v98
	v_cmp_lt_u32_e32 vcc, 21, v98
	v_add_u32_e32 v99, 8, v99
	v_add_u32_e32 v100, 8, v100
	s_or_b64 s[6:7], vcc, s[6:7]
	s_waitcnt vmcnt(0) lgkmcnt(0)
	v_fmac_f64_e32 v[94:95], v[102:103], v[104:105]
	s_andn2_b64 exec, exec, s[6:7]
	s_cbranch_execnz .LBB45_99
; %bb.100:
	s_or_b64 exec, exec, s[6:7]
	v_mov_b32_e32 v98, 0
	ds_read_b64 v[98:99], v98 offset:184
	s_waitcnt lgkmcnt(0)
	v_mul_f64 v[94:95], v[94:95], v[98:99]
	buffer_store_dword v95, off, s[0:3], 0 offset:188
	buffer_store_dword v94, off, s[0:3], 0 offset:184
.LBB45_101:
	s_or_b64 exec, exec, s[4:5]
	s_waitcnt lgkmcnt(0)
	; wave barrier
	buffer_load_dword v94, off, s[0:3], 0 offset:192
	buffer_load_dword v95, off, s[0:3], 0 offset:196
	v_cmp_gt_u32_e32 vcc, 24, v0
	s_waitcnt vmcnt(0)
	ds_write_b64 v96, v[94:95]
	s_waitcnt lgkmcnt(0)
	; wave barrier
	s_waitcnt lgkmcnt(0)
	s_and_saveexec_b64 s[4:5], vcc
	s_cbranch_execz .LBB45_105
; %bb.102:
	v_add_u32_e32 v98, -1, v0
	v_add_u32_e32 v99, 0x170, v1
	v_add_u32_e32 v100, 0, v1
	s_mov_b64 s[6:7], 0
	v_pk_mov_b32 v[94:95], 0, 0
.LBB45_103:                             ; =>This Inner Loop Header: Depth=1
	buffer_load_dword v102, v100, s[0:3], 0 offen
	buffer_load_dword v103, v100, s[0:3], 0 offen offset:4
	ds_read_b64 v[104:105], v99
	v_add_u32_e32 v98, 1, v98
	v_cmp_lt_u32_e32 vcc, 22, v98
	v_add_u32_e32 v99, 8, v99
	v_add_u32_e32 v100, 8, v100
	s_or_b64 s[6:7], vcc, s[6:7]
	s_waitcnt vmcnt(0) lgkmcnt(0)
	v_fmac_f64_e32 v[94:95], v[102:103], v[104:105]
	s_andn2_b64 exec, exec, s[6:7]
	s_cbranch_execnz .LBB45_103
; %bb.104:
	s_or_b64 exec, exec, s[6:7]
	v_mov_b32_e32 v98, 0
	ds_read_b64 v[98:99], v98 offset:192
	s_waitcnt lgkmcnt(0)
	v_mul_f64 v[94:95], v[94:95], v[98:99]
	buffer_store_dword v95, off, s[0:3], 0 offset:196
	buffer_store_dword v94, off, s[0:3], 0 offset:192
.LBB45_105:
	s_or_b64 exec, exec, s[4:5]
	s_waitcnt lgkmcnt(0)
	; wave barrier
	buffer_load_dword v94, off, s[0:3], 0 offset:200
	buffer_load_dword v95, off, s[0:3], 0 offset:204
	v_cmp_gt_u32_e32 vcc, 25, v0
	s_waitcnt vmcnt(0)
	ds_write_b64 v96, v[94:95]
	s_waitcnt lgkmcnt(0)
	; wave barrier
	s_waitcnt lgkmcnt(0)
	s_and_saveexec_b64 s[4:5], vcc
	s_cbranch_execz .LBB45_109
; %bb.106:
	v_add_u32_e32 v98, -1, v0
	v_add_u32_e32 v99, 0x170, v1
	v_add_u32_e32 v100, 0, v1
	s_mov_b64 s[6:7], 0
	v_pk_mov_b32 v[94:95], 0, 0
.LBB45_107:                             ; =>This Inner Loop Header: Depth=1
	buffer_load_dword v102, v100, s[0:3], 0 offen
	buffer_load_dword v103, v100, s[0:3], 0 offen offset:4
	ds_read_b64 v[104:105], v99
	v_add_u32_e32 v98, 1, v98
	v_cmp_lt_u32_e32 vcc, 23, v98
	v_add_u32_e32 v99, 8, v99
	v_add_u32_e32 v100, 8, v100
	s_or_b64 s[6:7], vcc, s[6:7]
	s_waitcnt vmcnt(0) lgkmcnt(0)
	v_fmac_f64_e32 v[94:95], v[102:103], v[104:105]
	s_andn2_b64 exec, exec, s[6:7]
	s_cbranch_execnz .LBB45_107
; %bb.108:
	s_or_b64 exec, exec, s[6:7]
	v_mov_b32_e32 v98, 0
	ds_read_b64 v[98:99], v98 offset:200
	s_waitcnt lgkmcnt(0)
	v_mul_f64 v[94:95], v[94:95], v[98:99]
	buffer_store_dword v95, off, s[0:3], 0 offset:204
	buffer_store_dword v94, off, s[0:3], 0 offset:200
.LBB45_109:
	s_or_b64 exec, exec, s[4:5]
	s_waitcnt lgkmcnt(0)
	; wave barrier
	buffer_load_dword v94, off, s[0:3], 0 offset:208
	buffer_load_dword v95, off, s[0:3], 0 offset:212
	v_cmp_gt_u32_e32 vcc, 26, v0
	;; [unrolled: 41-line block ×20, first 2 shown]
	s_waitcnt vmcnt(0)
	ds_write_b64 v96, v[94:95]
	s_waitcnt lgkmcnt(0)
	; wave barrier
	s_waitcnt lgkmcnt(0)
	s_and_saveexec_b64 s[4:5], vcc
	s_cbranch_execz .LBB45_185
; %bb.182:
	v_add_u32_e32 v98, -1, v0
	v_add_u32_e32 v99, 0x170, v1
	v_add_u32_e32 v100, 0, v1
	s_mov_b64 s[6:7], 0
	v_pk_mov_b32 v[94:95], 0, 0
.LBB45_183:                             ; =>This Inner Loop Header: Depth=1
	buffer_load_dword v102, v100, s[0:3], 0 offen
	buffer_load_dword v103, v100, s[0:3], 0 offen offset:4
	ds_read_b64 v[104:105], v99
	v_add_u32_e32 v98, 1, v98
	v_cmp_lt_u32_e32 vcc, 42, v98
	v_add_u32_e32 v99, 8, v99
	v_add_u32_e32 v100, 8, v100
	s_or_b64 s[6:7], vcc, s[6:7]
	s_waitcnt vmcnt(0) lgkmcnt(0)
	v_fmac_f64_e32 v[94:95], v[102:103], v[104:105]
	s_andn2_b64 exec, exec, s[6:7]
	s_cbranch_execnz .LBB45_183
; %bb.184:
	s_or_b64 exec, exec, s[6:7]
	v_mov_b32_e32 v98, 0
	ds_read_b64 v[98:99], v98 offset:352
	s_waitcnt lgkmcnt(0)
	v_mul_f64 v[94:95], v[94:95], v[98:99]
	buffer_store_dword v95, off, s[0:3], 0 offset:356
	buffer_store_dword v94, off, s[0:3], 0 offset:352
.LBB45_185:
	s_or_b64 exec, exec, s[4:5]
	s_waitcnt lgkmcnt(0)
	; wave barrier
	buffer_load_dword v94, off, s[0:3], 0 offset:360
	buffer_load_dword v95, off, s[0:3], 0 offset:364
	v_cmp_ne_u32_e32 vcc, 45, v0
	s_waitcnt vmcnt(0)
	ds_write_b64 v96, v[94:95]
	s_waitcnt lgkmcnt(0)
	; wave barrier
	s_waitcnt lgkmcnt(0)
	s_and_saveexec_b64 s[4:5], vcc
	s_cbranch_execz .LBB45_189
; %bb.186:
	v_add_u32_e32 v96, 0x170, v1
	v_add_u32_e32 v1, 0, v1
	s_mov_b64 s[6:7], 0
	v_pk_mov_b32 v[94:95], 0, 0
.LBB45_187:                             ; =>This Inner Loop Header: Depth=1
	buffer_load_dword v98, v1, s[0:3], 0 offen
	buffer_load_dword v99, v1, s[0:3], 0 offen offset:4
	ds_read_b64 v[100:101], v96
	v_add_u32_e32 v97, 1, v97
	v_cmp_lt_u32_e32 vcc, 43, v97
	v_add_u32_e32 v96, 8, v96
	v_add_u32_e32 v1, 8, v1
	s_or_b64 s[6:7], vcc, s[6:7]
	s_waitcnt vmcnt(0) lgkmcnt(0)
	v_fmac_f64_e32 v[94:95], v[98:99], v[100:101]
	s_andn2_b64 exec, exec, s[6:7]
	s_cbranch_execnz .LBB45_187
; %bb.188:
	s_or_b64 exec, exec, s[6:7]
	v_mov_b32_e32 v1, 0
	ds_read_b64 v[96:97], v1 offset:360
	s_waitcnt lgkmcnt(0)
	v_mul_f64 v[94:95], v[94:95], v[96:97]
	buffer_store_dword v95, off, s[0:3], 0 offset:364
	buffer_store_dword v94, off, s[0:3], 0 offset:360
.LBB45_189:
	s_or_b64 exec, exec, s[4:5]
	s_mov_b64 s[6:7], -1
	s_waitcnt lgkmcnt(0)
	; wave barrier
.LBB45_190:
	s_and_b64 vcc, exec, s[6:7]
	s_cbranch_vccz .LBB45_192
; %bb.191:
	s_lshl_b64 s[4:5], s[8:9], 2
	s_add_u32 s4, s14, s4
	s_addc_u32 s5, s15, s5
	v_mov_b32_e32 v1, 0
	global_load_dword v1, v1, s[4:5]
	s_waitcnt vmcnt(0)
	v_cmp_ne_u32_e32 vcc, 0, v1
	s_cbranch_vccz .LBB45_193
.LBB45_192:
	s_endpgm
.LBB45_193:
	v_mov_b32_e32 v1, 0x170
	v_lshl_add_u32 v1, v0, 3, v1
	v_cmp_eq_u32_e32 vcc, 45, v0
	s_and_saveexec_b64 s[4:5], vcc
	s_cbranch_execz .LBB45_195
; %bb.194:
	buffer_load_dword v94, off, s[0:3], 0 offset:352
	buffer_load_dword v95, off, s[0:3], 0 offset:356
	v_mov_b32_e32 v96, 0
	buffer_store_dword v96, off, s[0:3], 0 offset:352
	buffer_store_dword v96, off, s[0:3], 0 offset:356
	s_waitcnt vmcnt(2)
	ds_write_b64 v1, v[94:95]
.LBB45_195:
	s_or_b64 exec, exec, s[4:5]
	s_waitcnt lgkmcnt(0)
	; wave barrier
	s_waitcnt lgkmcnt(0)
	buffer_load_dword v96, off, s[0:3], 0 offset:360
	buffer_load_dword v97, off, s[0:3], 0 offset:364
	;; [unrolled: 1-line block ×4, first 2 shown]
	v_mov_b32_e32 v94, 0
	ds_read_b64 v[100:101], v94 offset:728
	v_cmp_lt_u32_e32 vcc, 43, v0
	s_waitcnt vmcnt(2) lgkmcnt(0)
	v_fma_f64 v[96:97], v[96:97], v[100:101], 0
	s_waitcnt vmcnt(0)
	v_add_f64 v[96:97], v[98:99], -v[96:97]
	buffer_store_dword v96, off, s[0:3], 0 offset:352
	buffer_store_dword v97, off, s[0:3], 0 offset:356
	s_and_saveexec_b64 s[4:5], vcc
	s_cbranch_execz .LBB45_197
; %bb.196:
	buffer_load_dword v96, off, s[0:3], 0 offset:344
	buffer_load_dword v97, off, s[0:3], 0 offset:348
	s_waitcnt vmcnt(0)
	ds_write_b64 v1, v[96:97]
	buffer_store_dword v94, off, s[0:3], 0 offset:344
	buffer_store_dword v94, off, s[0:3], 0 offset:348
.LBB45_197:
	s_or_b64 exec, exec, s[4:5]
	s_waitcnt lgkmcnt(0)
	; wave barrier
	s_waitcnt lgkmcnt(0)
	buffer_load_dword v98, off, s[0:3], 0 offset:352
	buffer_load_dword v99, off, s[0:3], 0 offset:356
	;; [unrolled: 1-line block ×6, first 2 shown]
	ds_read_b128 v[94:97], v94 offset:720
	v_cmp_lt_u32_e32 vcc, 42, v0
	s_waitcnt vmcnt(4) lgkmcnt(0)
	v_fma_f64 v[94:95], v[98:99], v[94:95], 0
	s_waitcnt vmcnt(2)
	v_fmac_f64_e32 v[94:95], v[100:101], v[96:97]
	s_waitcnt vmcnt(0)
	v_add_f64 v[94:95], v[102:103], -v[94:95]
	buffer_store_dword v94, off, s[0:3], 0 offset:344
	buffer_store_dword v95, off, s[0:3], 0 offset:348
	s_and_saveexec_b64 s[4:5], vcc
	s_cbranch_execz .LBB45_199
; %bb.198:
	buffer_load_dword v94, off, s[0:3], 0 offset:336
	buffer_load_dword v95, off, s[0:3], 0 offset:340
	v_mov_b32_e32 v96, 0
	buffer_store_dword v96, off, s[0:3], 0 offset:336
	buffer_store_dword v96, off, s[0:3], 0 offset:340
	s_waitcnt vmcnt(2)
	ds_write_b64 v1, v[94:95]
.LBB45_199:
	s_or_b64 exec, exec, s[4:5]
	s_waitcnt lgkmcnt(0)
	; wave barrier
	s_waitcnt lgkmcnt(0)
	buffer_load_dword v100, off, s[0:3], 0 offset:344
	buffer_load_dword v101, off, s[0:3], 0 offset:348
	;; [unrolled: 1-line block ×8, first 2 shown]
	v_mov_b32_e32 v94, 0
	ds_read2_b64 v[96:99], v94 offset0:89 offset1:90
	ds_read_b64 v[108:109], v94 offset:728
	v_cmp_lt_u32_e32 vcc, 41, v0
	s_waitcnt vmcnt(6) lgkmcnt(1)
	v_fma_f64 v[96:97], v[100:101], v[96:97], 0
	s_waitcnt vmcnt(4)
	v_fmac_f64_e32 v[96:97], v[102:103], v[98:99]
	s_waitcnt vmcnt(2) lgkmcnt(0)
	v_fmac_f64_e32 v[96:97], v[104:105], v[108:109]
	s_waitcnt vmcnt(0)
	v_add_f64 v[96:97], v[106:107], -v[96:97]
	buffer_store_dword v96, off, s[0:3], 0 offset:336
	buffer_store_dword v97, off, s[0:3], 0 offset:340
	s_and_saveexec_b64 s[4:5], vcc
	s_cbranch_execz .LBB45_201
; %bb.200:
	buffer_load_dword v96, off, s[0:3], 0 offset:328
	buffer_load_dword v97, off, s[0:3], 0 offset:332
	s_waitcnt vmcnt(0)
	ds_write_b64 v1, v[96:97]
	buffer_store_dword v94, off, s[0:3], 0 offset:328
	buffer_store_dword v94, off, s[0:3], 0 offset:332
.LBB45_201:
	s_or_b64 exec, exec, s[4:5]
	s_waitcnt lgkmcnt(0)
	; wave barrier
	s_waitcnt lgkmcnt(0)
	buffer_load_dword v104, off, s[0:3], 0 offset:336
	buffer_load_dword v105, off, s[0:3], 0 offset:340
	;; [unrolled: 1-line block ×10, first 2 shown]
	ds_read_b128 v[96:99], v94 offset:704
	ds_read_b128 v[100:103], v94 offset:720
	v_cmp_lt_u32_e32 vcc, 40, v0
	s_waitcnt vmcnt(8) lgkmcnt(1)
	v_fma_f64 v[94:95], v[104:105], v[96:97], 0
	s_waitcnt vmcnt(6)
	v_fmac_f64_e32 v[94:95], v[106:107], v[98:99]
	s_waitcnt vmcnt(4) lgkmcnt(0)
	v_fmac_f64_e32 v[94:95], v[108:109], v[100:101]
	s_waitcnt vmcnt(2)
	v_fmac_f64_e32 v[94:95], v[110:111], v[102:103]
	s_waitcnt vmcnt(0)
	v_add_f64 v[94:95], v[112:113], -v[94:95]
	buffer_store_dword v94, off, s[0:3], 0 offset:328
	buffer_store_dword v95, off, s[0:3], 0 offset:332
	s_and_saveexec_b64 s[4:5], vcc
	s_cbranch_execz .LBB45_203
; %bb.202:
	buffer_load_dword v94, off, s[0:3], 0 offset:320
	buffer_load_dword v95, off, s[0:3], 0 offset:324
	v_mov_b32_e32 v96, 0
	buffer_store_dword v96, off, s[0:3], 0 offset:320
	buffer_store_dword v96, off, s[0:3], 0 offset:324
	s_waitcnt vmcnt(2)
	ds_write_b64 v1, v[94:95]
.LBB45_203:
	s_or_b64 exec, exec, s[4:5]
	s_waitcnt lgkmcnt(0)
	; wave barrier
	s_waitcnt lgkmcnt(0)
	buffer_load_dword v104, off, s[0:3], 0 offset:328
	buffer_load_dword v105, off, s[0:3], 0 offset:332
	;; [unrolled: 1-line block ×12, first 2 shown]
	v_mov_b32_e32 v94, 0
	ds_read2_b64 v[96:99], v94 offset0:87 offset1:88
	ds_read2_b64 v[100:103], v94 offset0:89 offset1:90
	ds_read_b64 v[116:117], v94 offset:728
	v_cmp_lt_u32_e32 vcc, 39, v0
	s_waitcnt vmcnt(10) lgkmcnt(2)
	v_fma_f64 v[96:97], v[104:105], v[96:97], 0
	s_waitcnt vmcnt(8)
	v_fmac_f64_e32 v[96:97], v[106:107], v[98:99]
	s_waitcnt vmcnt(6) lgkmcnt(1)
	v_fmac_f64_e32 v[96:97], v[108:109], v[100:101]
	s_waitcnt vmcnt(4)
	v_fmac_f64_e32 v[96:97], v[110:111], v[102:103]
	s_waitcnt vmcnt(2) lgkmcnt(0)
	v_fmac_f64_e32 v[96:97], v[112:113], v[116:117]
	s_waitcnt vmcnt(0)
	v_add_f64 v[96:97], v[114:115], -v[96:97]
	buffer_store_dword v96, off, s[0:3], 0 offset:320
	buffer_store_dword v97, off, s[0:3], 0 offset:324
	s_and_saveexec_b64 s[4:5], vcc
	s_cbranch_execz .LBB45_205
; %bb.204:
	buffer_load_dword v96, off, s[0:3], 0 offset:312
	buffer_load_dword v97, off, s[0:3], 0 offset:316
	s_waitcnt vmcnt(0)
	ds_write_b64 v1, v[96:97]
	buffer_store_dword v94, off, s[0:3], 0 offset:312
	buffer_store_dword v94, off, s[0:3], 0 offset:316
.LBB45_205:
	s_or_b64 exec, exec, s[4:5]
	s_waitcnt lgkmcnt(0)
	; wave barrier
	s_waitcnt lgkmcnt(0)
	buffer_load_dword v108, off, s[0:3], 0 offset:320
	buffer_load_dword v109, off, s[0:3], 0 offset:324
	;; [unrolled: 1-line block ×14, first 2 shown]
	ds_read_b128 v[96:99], v94 offset:688
	ds_read_b128 v[100:103], v94 offset:704
	;; [unrolled: 1-line block ×3, first 2 shown]
	v_cmp_lt_u32_e32 vcc, 38, v0
	s_waitcnt vmcnt(12) lgkmcnt(2)
	v_fma_f64 v[94:95], v[108:109], v[96:97], 0
	s_waitcnt vmcnt(10)
	v_fmac_f64_e32 v[94:95], v[110:111], v[98:99]
	s_waitcnt vmcnt(8) lgkmcnt(1)
	v_fmac_f64_e32 v[94:95], v[112:113], v[100:101]
	s_waitcnt vmcnt(6)
	v_fmac_f64_e32 v[94:95], v[114:115], v[102:103]
	s_waitcnt vmcnt(4) lgkmcnt(0)
	v_fmac_f64_e32 v[94:95], v[116:117], v[104:105]
	s_waitcnt vmcnt(2)
	v_fmac_f64_e32 v[94:95], v[118:119], v[106:107]
	s_waitcnt vmcnt(0)
	v_add_f64 v[94:95], v[120:121], -v[94:95]
	buffer_store_dword v94, off, s[0:3], 0 offset:312
	buffer_store_dword v95, off, s[0:3], 0 offset:316
	s_and_saveexec_b64 s[4:5], vcc
	s_cbranch_execz .LBB45_207
; %bb.206:
	buffer_load_dword v94, off, s[0:3], 0 offset:304
	buffer_load_dword v95, off, s[0:3], 0 offset:308
	v_mov_b32_e32 v96, 0
	buffer_store_dword v96, off, s[0:3], 0 offset:304
	buffer_store_dword v96, off, s[0:3], 0 offset:308
	s_waitcnt vmcnt(2)
	ds_write_b64 v1, v[94:95]
.LBB45_207:
	s_or_b64 exec, exec, s[4:5]
	s_waitcnt lgkmcnt(0)
	; wave barrier
	s_waitcnt lgkmcnt(0)
	buffer_load_dword v108, off, s[0:3], 0 offset:312
	buffer_load_dword v109, off, s[0:3], 0 offset:316
	;; [unrolled: 1-line block ×16, first 2 shown]
	v_mov_b32_e32 v94, 0
	ds_read2_b64 v[96:99], v94 offset0:85 offset1:86
	ds_read2_b64 v[100:103], v94 offset0:87 offset1:88
	ds_read2_b64 v[104:107], v94 offset0:89 offset1:90
	ds_read_b64 v[124:125], v94 offset:728
	v_cmp_lt_u32_e32 vcc, 37, v0
	s_waitcnt vmcnt(14) lgkmcnt(3)
	v_fma_f64 v[96:97], v[108:109], v[96:97], 0
	s_waitcnt vmcnt(12)
	v_fmac_f64_e32 v[96:97], v[110:111], v[98:99]
	s_waitcnt vmcnt(10) lgkmcnt(2)
	v_fmac_f64_e32 v[96:97], v[112:113], v[100:101]
	s_waitcnt vmcnt(8)
	v_fmac_f64_e32 v[96:97], v[114:115], v[102:103]
	s_waitcnt vmcnt(6) lgkmcnt(1)
	v_fmac_f64_e32 v[96:97], v[116:117], v[104:105]
	;; [unrolled: 4-line block ×3, first 2 shown]
	s_waitcnt vmcnt(0)
	v_add_f64 v[96:97], v[122:123], -v[96:97]
	buffer_store_dword v96, off, s[0:3], 0 offset:304
	buffer_store_dword v97, off, s[0:3], 0 offset:308
	s_and_saveexec_b64 s[4:5], vcc
	s_cbranch_execz .LBB45_209
; %bb.208:
	buffer_load_dword v96, off, s[0:3], 0 offset:296
	buffer_load_dword v97, off, s[0:3], 0 offset:300
	s_waitcnt vmcnt(0)
	ds_write_b64 v1, v[96:97]
	buffer_store_dword v94, off, s[0:3], 0 offset:296
	buffer_store_dword v94, off, s[0:3], 0 offset:300
.LBB45_209:
	s_or_b64 exec, exec, s[4:5]
	s_waitcnt lgkmcnt(0)
	; wave barrier
	s_waitcnt lgkmcnt(0)
	buffer_load_dword v112, off, s[0:3], 0 offset:296
	buffer_load_dword v113, off, s[0:3], 0 offset:300
	;; [unrolled: 1-line block ×16, first 2 shown]
	ds_read_b128 v[96:99], v94 offset:672
	ds_read_b128 v[100:103], v94 offset:688
	ds_read_b128 v[104:107], v94 offset:704
	ds_read_b128 v[108:111], v94 offset:720
	v_cmp_lt_u32_e32 vcc, 36, v0
	s_waitcnt vmcnt(12) lgkmcnt(3)
	v_fma_f64 v[94:95], v[114:115], v[96:97], 0
	buffer_load_dword v97, off, s[0:3], 0 offset:364
	buffer_load_dword v96, off, s[0:3], 0 offset:360
	s_waitcnt vmcnt(12)
	v_fmac_f64_e32 v[94:95], v[116:117], v[98:99]
	s_waitcnt vmcnt(10) lgkmcnt(2)
	v_fmac_f64_e32 v[94:95], v[118:119], v[100:101]
	s_waitcnt vmcnt(8)
	v_fmac_f64_e32 v[94:95], v[120:121], v[102:103]
	s_waitcnt vmcnt(6) lgkmcnt(1)
	v_fmac_f64_e32 v[94:95], v[122:123], v[104:105]
	;; [unrolled: 4-line block ×3, first 2 shown]
	s_waitcnt vmcnt(0)
	v_fmac_f64_e32 v[94:95], v[96:97], v[110:111]
	v_add_f64 v[94:95], v[112:113], -v[94:95]
	buffer_store_dword v94, off, s[0:3], 0 offset:296
	buffer_store_dword v95, off, s[0:3], 0 offset:300
	s_and_saveexec_b64 s[4:5], vcc
	s_cbranch_execz .LBB45_211
; %bb.210:
	buffer_load_dword v94, off, s[0:3], 0 offset:288
	buffer_load_dword v95, off, s[0:3], 0 offset:292
	v_mov_b32_e32 v96, 0
	buffer_store_dword v96, off, s[0:3], 0 offset:288
	buffer_store_dword v96, off, s[0:3], 0 offset:292
	s_waitcnt vmcnt(2)
	ds_write_b64 v1, v[94:95]
.LBB45_211:
	s_or_b64 exec, exec, s[4:5]
	s_waitcnt lgkmcnt(0)
	; wave barrier
	s_waitcnt lgkmcnt(0)
	buffer_load_dword v100, off, s[0:3], 0 offset:288
	buffer_load_dword v101, off, s[0:3], 0 offset:292
	;; [unrolled: 1-line block ×16, first 2 shown]
	v_mov_b32_e32 v94, 0
	ds_read2_b64 v[96:99], v94 offset0:83 offset1:84
	v_cmp_lt_u32_e32 vcc, 35, v0
	s_waitcnt vmcnt(12) lgkmcnt(0)
	v_fma_f64 v[102:103], v[102:103], v[96:97], 0
	s_waitcnt vmcnt(10)
	v_fmac_f64_e32 v[102:103], v[104:105], v[98:99]
	ds_read2_b64 v[96:99], v94 offset0:85 offset1:86
	s_waitcnt vmcnt(8) lgkmcnt(0)
	v_fmac_f64_e32 v[102:103], v[106:107], v[96:97]
	s_waitcnt vmcnt(6)
	v_fmac_f64_e32 v[102:103], v[108:109], v[98:99]
	ds_read2_b64 v[96:99], v94 offset0:87 offset1:88
	s_waitcnt vmcnt(4) lgkmcnt(0)
	v_fmac_f64_e32 v[102:103], v[110:111], v[96:97]
	;; [unrolled: 5-line block ×3, first 2 shown]
	buffer_load_dword v97, off, s[0:3], 0 offset:356
	buffer_load_dword v96, off, s[0:3], 0 offset:352
	s_waitcnt vmcnt(0)
	v_fmac_f64_e32 v[102:103], v[96:97], v[98:99]
	buffer_load_dword v97, off, s[0:3], 0 offset:364
	buffer_load_dword v96, off, s[0:3], 0 offset:360
	ds_read_b64 v[98:99], v94 offset:728
	s_waitcnt vmcnt(0) lgkmcnt(0)
	v_fmac_f64_e32 v[102:103], v[96:97], v[98:99]
	v_add_f64 v[96:97], v[100:101], -v[102:103]
	buffer_store_dword v96, off, s[0:3], 0 offset:288
	buffer_store_dword v97, off, s[0:3], 0 offset:292
	s_and_saveexec_b64 s[4:5], vcc
	s_cbranch_execz .LBB45_213
; %bb.212:
	buffer_load_dword v96, off, s[0:3], 0 offset:280
	buffer_load_dword v97, off, s[0:3], 0 offset:284
	s_waitcnt vmcnt(0)
	ds_write_b64 v1, v[96:97]
	buffer_store_dword v94, off, s[0:3], 0 offset:280
	buffer_store_dword v94, off, s[0:3], 0 offset:284
.LBB45_213:
	s_or_b64 exec, exec, s[4:5]
	s_waitcnt lgkmcnt(0)
	; wave barrier
	s_waitcnt lgkmcnt(0)
	buffer_load_dword v116, off, s[0:3], 0 offset:288
	buffer_load_dword v117, off, s[0:3], 0 offset:292
	;; [unrolled: 1-line block ×22, first 2 shown]
	ds_read_b128 v[96:99], v94 offset:656
	ds_read_b128 v[100:103], v94 offset:672
	;; [unrolled: 1-line block ×5, first 2 shown]
	v_cmp_lt_u32_e32 vcc, 34, v0
	s_waitcnt vmcnt(20) lgkmcnt(4)
	v_fma_f64 v[94:95], v[116:117], v[96:97], 0
	s_waitcnt vmcnt(18)
	v_fmac_f64_e32 v[94:95], v[118:119], v[98:99]
	s_waitcnt vmcnt(16) lgkmcnt(3)
	v_fmac_f64_e32 v[94:95], v[120:121], v[100:101]
	s_waitcnt vmcnt(14)
	v_fmac_f64_e32 v[94:95], v[122:123], v[102:103]
	s_waitcnt vmcnt(12) lgkmcnt(2)
	v_fmac_f64_e32 v[94:95], v[124:125], v[104:105]
	;; [unrolled: 4-line block ×3, first 2 shown]
	s_waitcnt vmcnt(3)
	v_fmac_f64_e32 v[94:95], v[134:135], v[110:111]
	s_waitcnt lgkmcnt(0)
	v_fmac_f64_e32 v[94:95], v[132:133], v[112:113]
	s_waitcnt vmcnt(2)
	v_fmac_f64_e32 v[94:95], v[130:131], v[114:115]
	s_waitcnt vmcnt(0)
	v_add_f64 v[94:95], v[136:137], -v[94:95]
	buffer_store_dword v94, off, s[0:3], 0 offset:280
	buffer_store_dword v95, off, s[0:3], 0 offset:284
	s_and_saveexec_b64 s[4:5], vcc
	s_cbranch_execz .LBB45_215
; %bb.214:
	buffer_load_dword v94, off, s[0:3], 0 offset:272
	buffer_load_dword v95, off, s[0:3], 0 offset:276
	v_mov_b32_e32 v96, 0
	buffer_store_dword v96, off, s[0:3], 0 offset:272
	buffer_store_dword v96, off, s[0:3], 0 offset:276
	s_waitcnt vmcnt(2)
	ds_write_b64 v1, v[94:95]
.LBB45_215:
	s_or_b64 exec, exec, s[4:5]
	s_waitcnt lgkmcnt(0)
	; wave barrier
	s_waitcnt lgkmcnt(0)
	buffer_load_dword v116, off, s[0:3], 0 offset:280
	buffer_load_dword v117, off, s[0:3], 0 offset:284
	;; [unrolled: 1-line block ×24, first 2 shown]
	v_mov_b32_e32 v94, 0
	ds_read2_b64 v[96:99], v94 offset0:81 offset1:82
	ds_read2_b64 v[100:103], v94 offset0:83 offset1:84
	;; [unrolled: 1-line block ×5, first 2 shown]
	ds_read_b64 v[140:141], v94 offset:728
	v_cmp_lt_u32_e32 vcc, 33, v0
	s_waitcnt vmcnt(22) lgkmcnt(5)
	v_fma_f64 v[96:97], v[116:117], v[96:97], 0
	s_waitcnt vmcnt(20)
	v_fmac_f64_e32 v[96:97], v[118:119], v[98:99]
	s_waitcnt vmcnt(18) lgkmcnt(4)
	v_fmac_f64_e32 v[96:97], v[120:121], v[100:101]
	s_waitcnt vmcnt(16)
	v_fmac_f64_e32 v[96:97], v[122:123], v[102:103]
	s_waitcnt vmcnt(14) lgkmcnt(3)
	v_fmac_f64_e32 v[96:97], v[124:125], v[104:105]
	;; [unrolled: 4-line block ×3, first 2 shown]
	s_waitcnt vmcnt(4)
	v_fmac_f64_e32 v[96:97], v[136:137], v[110:111]
	s_waitcnt lgkmcnt(1)
	v_fmac_f64_e32 v[96:97], v[134:135], v[112:113]
	s_waitcnt vmcnt(3)
	v_fmac_f64_e32 v[96:97], v[132:133], v[114:115]
	s_waitcnt vmcnt(2) lgkmcnt(0)
	v_fmac_f64_e32 v[96:97], v[130:131], v[140:141]
	s_waitcnt vmcnt(0)
	v_add_f64 v[96:97], v[138:139], -v[96:97]
	buffer_store_dword v97, off, s[0:3], 0 offset:276
	buffer_store_dword v96, off, s[0:3], 0 offset:272
	s_and_saveexec_b64 s[4:5], vcc
	s_cbranch_execz .LBB45_217
; %bb.216:
	buffer_load_dword v96, off, s[0:3], 0 offset:264
	buffer_load_dword v97, off, s[0:3], 0 offset:268
	s_waitcnt vmcnt(0)
	ds_write_b64 v1, v[96:97]
	buffer_store_dword v94, off, s[0:3], 0 offset:264
	buffer_store_dword v94, off, s[0:3], 0 offset:268
.LBB45_217:
	s_or_b64 exec, exec, s[4:5]
	s_waitcnt lgkmcnt(0)
	; wave barrier
	s_waitcnt lgkmcnt(0)
	buffer_load_dword v120, off, s[0:3], 0 offset:272
	buffer_load_dword v121, off, s[0:3], 0 offset:276
	buffer_load_dword v122, off, s[0:3], 0 offset:280
	buffer_load_dword v123, off, s[0:3], 0 offset:284
	buffer_load_dword v124, off, s[0:3], 0 offset:288
	buffer_load_dword v125, off, s[0:3], 0 offset:292
	buffer_load_dword v126, off, s[0:3], 0 offset:296
	buffer_load_dword v127, off, s[0:3], 0 offset:300
	buffer_load_dword v128, off, s[0:3], 0 offset:304
	buffer_load_dword v129, off, s[0:3], 0 offset:308
	buffer_load_dword v130, off, s[0:3], 0 offset:312
	buffer_load_dword v131, off, s[0:3], 0 offset:316
	buffer_load_dword v132, off, s[0:3], 0 offset:320
	buffer_load_dword v133, off, s[0:3], 0 offset:324
	buffer_load_dword v134, off, s[0:3], 0 offset:352
	buffer_load_dword v137, off, s[0:3], 0 offset:348
	buffer_load_dword v136, off, s[0:3], 0 offset:344
	buffer_load_dword v139, off, s[0:3], 0 offset:340
	buffer_load_dword v138, off, s[0:3], 0 offset:336
	buffer_load_dword v141, off, s[0:3], 0 offset:332
	buffer_load_dword v140, off, s[0:3], 0 offset:328
	buffer_load_dword v135, off, s[0:3], 0 offset:356
	buffer_load_dword v143, off, s[0:3], 0 offset:364
	buffer_load_dword v142, off, s[0:3], 0 offset:360
	buffer_load_dword v144, off, s[0:3], 0 offset:264
	buffer_load_dword v145, off, s[0:3], 0 offset:268
	ds_read_b128 v[96:99], v94 offset:640
	ds_read_b128 v[100:103], v94 offset:656
	ds_read_b128 v[104:107], v94 offset:672
	ds_read_b128 v[108:111], v94 offset:688
	ds_read_b128 v[112:115], v94 offset:704
	ds_read_b128 v[116:119], v94 offset:720
	v_cmp_lt_u32_e32 vcc, 32, v0
	s_waitcnt vmcnt(24) lgkmcnt(5)
	v_fma_f64 v[94:95], v[120:121], v[96:97], 0
	s_waitcnt vmcnt(22)
	v_fmac_f64_e32 v[94:95], v[122:123], v[98:99]
	s_waitcnt vmcnt(20) lgkmcnt(4)
	v_fmac_f64_e32 v[94:95], v[124:125], v[100:101]
	s_waitcnt vmcnt(18)
	v_fmac_f64_e32 v[94:95], v[126:127], v[102:103]
	s_waitcnt vmcnt(16) lgkmcnt(3)
	v_fmac_f64_e32 v[94:95], v[128:129], v[104:105]
	s_waitcnt vmcnt(14)
	v_fmac_f64_e32 v[94:95], v[130:131], v[106:107]
	s_waitcnt vmcnt(12) lgkmcnt(2)
	v_fmac_f64_e32 v[94:95], v[132:133], v[108:109]
	s_waitcnt vmcnt(5)
	v_fmac_f64_e32 v[94:95], v[140:141], v[110:111]
	s_waitcnt lgkmcnt(1)
	v_fmac_f64_e32 v[94:95], v[138:139], v[112:113]
	v_fmac_f64_e32 v[94:95], v[136:137], v[114:115]
	s_waitcnt vmcnt(4) lgkmcnt(0)
	v_fmac_f64_e32 v[94:95], v[134:135], v[116:117]
	s_waitcnt vmcnt(2)
	v_fmac_f64_e32 v[94:95], v[142:143], v[118:119]
	s_waitcnt vmcnt(0)
	v_add_f64 v[94:95], v[144:145], -v[94:95]
	buffer_store_dword v95, off, s[0:3], 0 offset:268
	buffer_store_dword v94, off, s[0:3], 0 offset:264
	s_and_saveexec_b64 s[4:5], vcc
	s_cbranch_execz .LBB45_219
; %bb.218:
	buffer_load_dword v94, off, s[0:3], 0 offset:256
	buffer_load_dword v95, off, s[0:3], 0 offset:260
	v_mov_b32_e32 v96, 0
	buffer_store_dword v96, off, s[0:3], 0 offset:256
	buffer_store_dword v96, off, s[0:3], 0 offset:260
	s_waitcnt vmcnt(2)
	ds_write_b64 v1, v[94:95]
.LBB45_219:
	s_or_b64 exec, exec, s[4:5]
	s_waitcnt lgkmcnt(0)
	; wave barrier
	s_waitcnt lgkmcnt(0)
	buffer_load_dword v120, off, s[0:3], 0 offset:264
	buffer_load_dword v121, off, s[0:3], 0 offset:268
	;; [unrolled: 1-line block ×28, first 2 shown]
	v_mov_b32_e32 v94, 0
	ds_read2_b64 v[96:99], v94 offset0:79 offset1:80
	ds_read2_b64 v[100:103], v94 offset0:81 offset1:82
	;; [unrolled: 1-line block ×6, first 2 shown]
	ds_read_b64 v[148:149], v94 offset:728
	v_cmp_lt_u32_e32 vcc, 31, v0
	s_waitcnt vmcnt(26) lgkmcnt(6)
	v_fma_f64 v[96:97], v[120:121], v[96:97], 0
	s_waitcnt vmcnt(24)
	v_fmac_f64_e32 v[96:97], v[122:123], v[98:99]
	s_waitcnt vmcnt(22) lgkmcnt(5)
	v_fmac_f64_e32 v[96:97], v[124:125], v[100:101]
	s_waitcnt vmcnt(20)
	v_fmac_f64_e32 v[96:97], v[126:127], v[102:103]
	s_waitcnt vmcnt(18) lgkmcnt(4)
	v_fmac_f64_e32 v[96:97], v[128:129], v[104:105]
	;; [unrolled: 4-line block ×3, first 2 shown]
	s_waitcnt vmcnt(6)
	v_fmac_f64_e32 v[96:97], v[140:141], v[110:111]
	s_waitcnt lgkmcnt(2)
	v_fmac_f64_e32 v[96:97], v[138:139], v[112:113]
	v_fmac_f64_e32 v[96:97], v[136:137], v[114:115]
	s_waitcnt lgkmcnt(1)
	v_fmac_f64_e32 v[96:97], v[134:135], v[116:117]
	s_waitcnt vmcnt(2)
	v_fmac_f64_e32 v[96:97], v[144:145], v[118:119]
	s_waitcnt lgkmcnt(0)
	v_fmac_f64_e32 v[96:97], v[142:143], v[148:149]
	s_waitcnt vmcnt(0)
	v_add_f64 v[96:97], v[146:147], -v[96:97]
	buffer_store_dword v97, off, s[0:3], 0 offset:260
	buffer_store_dword v96, off, s[0:3], 0 offset:256
	s_and_saveexec_b64 s[4:5], vcc
	s_cbranch_execz .LBB45_221
; %bb.220:
	buffer_load_dword v96, off, s[0:3], 0 offset:248
	buffer_load_dword v97, off, s[0:3], 0 offset:252
	s_waitcnt vmcnt(0)
	ds_write_b64 v1, v[96:97]
	buffer_store_dword v94, off, s[0:3], 0 offset:248
	buffer_store_dword v94, off, s[0:3], 0 offset:252
.LBB45_221:
	s_or_b64 exec, exec, s[4:5]
	s_waitcnt lgkmcnt(0)
	; wave barrier
	s_waitcnt lgkmcnt(0)
	buffer_load_dword v124, off, s[0:3], 0 offset:256
	buffer_load_dword v125, off, s[0:3], 0 offset:260
	;; [unrolled: 1-line block ×30, first 2 shown]
	ds_read_b128 v[96:99], v94 offset:624
	ds_read_b128 v[100:103], v94 offset:640
	;; [unrolled: 1-line block ×7, first 2 shown]
	v_cmp_lt_u32_e32 vcc, 30, v0
	s_waitcnt vmcnt(28) lgkmcnt(6)
	v_fma_f64 v[94:95], v[124:125], v[96:97], 0
	s_waitcnt vmcnt(26)
	v_fmac_f64_e32 v[94:95], v[126:127], v[98:99]
	s_waitcnt vmcnt(24) lgkmcnt(5)
	v_fmac_f64_e32 v[94:95], v[128:129], v[100:101]
	s_waitcnt vmcnt(22)
	v_fmac_f64_e32 v[94:95], v[130:131], v[102:103]
	s_waitcnt vmcnt(20) lgkmcnt(4)
	v_fmac_f64_e32 v[94:95], v[132:133], v[104:105]
	s_waitcnt vmcnt(18)
	v_fmac_f64_e32 v[94:95], v[134:135], v[106:107]
	s_waitcnt vmcnt(16) lgkmcnt(3)
	v_fmac_f64_e32 v[94:95], v[136:137], v[108:109]
	s_waitcnt vmcnt(8)
	v_fmac_f64_e32 v[94:95], v[144:145], v[110:111]
	s_waitcnt lgkmcnt(2)
	v_fmac_f64_e32 v[94:95], v[142:143], v[112:113]
	v_fmac_f64_e32 v[94:95], v[140:141], v[114:115]
	s_waitcnt lgkmcnt(1)
	v_fmac_f64_e32 v[94:95], v[138:139], v[116:117]
	s_waitcnt vmcnt(3)
	v_fmac_f64_e32 v[94:95], v[150:151], v[118:119]
	s_waitcnt lgkmcnt(0)
	v_fmac_f64_e32 v[94:95], v[148:149], v[120:121]
	s_waitcnt vmcnt(2)
	v_fmac_f64_e32 v[94:95], v[146:147], v[122:123]
	s_waitcnt vmcnt(0)
	v_add_f64 v[94:95], v[152:153], -v[94:95]
	buffer_store_dword v95, off, s[0:3], 0 offset:252
	buffer_store_dword v94, off, s[0:3], 0 offset:248
	s_and_saveexec_b64 s[4:5], vcc
	s_cbranch_execz .LBB45_223
; %bb.222:
	buffer_load_dword v94, off, s[0:3], 0 offset:240
	buffer_load_dword v95, off, s[0:3], 0 offset:244
	v_mov_b32_e32 v96, 0
	buffer_store_dword v96, off, s[0:3], 0 offset:240
	buffer_store_dword v96, off, s[0:3], 0 offset:244
	s_waitcnt vmcnt(2)
	ds_write_b64 v1, v[94:95]
.LBB45_223:
	s_or_b64 exec, exec, s[4:5]
	s_waitcnt lgkmcnt(0)
	; wave barrier
	s_waitcnt lgkmcnt(0)
	buffer_load_dword v124, off, s[0:3], 0 offset:248
	buffer_load_dword v125, off, s[0:3], 0 offset:252
	;; [unrolled: 1-line block ×32, first 2 shown]
	v_mov_b32_e32 v94, 0
	ds_read2_b64 v[96:99], v94 offset0:77 offset1:78
	ds_read2_b64 v[100:103], v94 offset0:79 offset1:80
	;; [unrolled: 1-line block ×7, first 2 shown]
	ds_read_b64 v[156:157], v94 offset:728
	v_cmp_lt_u32_e32 vcc, 29, v0
	s_waitcnt vmcnt(30) lgkmcnt(7)
	v_fma_f64 v[96:97], v[124:125], v[96:97], 0
	s_waitcnt vmcnt(28)
	v_fmac_f64_e32 v[96:97], v[126:127], v[98:99]
	s_waitcnt vmcnt(26) lgkmcnt(6)
	v_fmac_f64_e32 v[96:97], v[128:129], v[100:101]
	s_waitcnt vmcnt(24)
	v_fmac_f64_e32 v[96:97], v[130:131], v[102:103]
	s_waitcnt vmcnt(22) lgkmcnt(5)
	v_fmac_f64_e32 v[96:97], v[132:133], v[104:105]
	;; [unrolled: 4-line block ×3, first 2 shown]
	s_waitcnt vmcnt(10)
	v_fmac_f64_e32 v[96:97], v[144:145], v[110:111]
	s_waitcnt lgkmcnt(3)
	v_fmac_f64_e32 v[96:97], v[142:143], v[112:113]
	v_fmac_f64_e32 v[96:97], v[140:141], v[114:115]
	s_waitcnt lgkmcnt(2)
	v_fmac_f64_e32 v[96:97], v[138:139], v[116:117]
	s_waitcnt vmcnt(4)
	v_fmac_f64_e32 v[96:97], v[152:153], v[118:119]
	s_waitcnt lgkmcnt(1)
	v_fmac_f64_e32 v[96:97], v[150:151], v[120:121]
	s_waitcnt vmcnt(3)
	v_fmac_f64_e32 v[96:97], v[148:149], v[122:123]
	s_waitcnt vmcnt(2) lgkmcnt(0)
	v_fmac_f64_e32 v[96:97], v[146:147], v[156:157]
	s_waitcnt vmcnt(0)
	v_add_f64 v[96:97], v[154:155], -v[96:97]
	buffer_store_dword v97, off, s[0:3], 0 offset:244
	buffer_store_dword v96, off, s[0:3], 0 offset:240
	s_and_saveexec_b64 s[4:5], vcc
	s_cbranch_execz .LBB45_225
; %bb.224:
	buffer_load_dword v96, off, s[0:3], 0 offset:232
	buffer_load_dword v97, off, s[0:3], 0 offset:236
	s_waitcnt vmcnt(0)
	ds_write_b64 v1, v[96:97]
	buffer_store_dword v94, off, s[0:3], 0 offset:232
	buffer_store_dword v94, off, s[0:3], 0 offset:236
.LBB45_225:
	s_or_b64 exec, exec, s[4:5]
	s_waitcnt lgkmcnt(0)
	; wave barrier
	s_waitcnt lgkmcnt(0)
	buffer_load_dword v128, off, s[0:3], 0 offset:240
	buffer_load_dword v129, off, s[0:3], 0 offset:244
	;; [unrolled: 1-line block ×34, first 2 shown]
	ds_read_b128 v[96:99], v94 offset:608
	ds_read_b128 v[100:103], v94 offset:624
	;; [unrolled: 1-line block ×8, first 2 shown]
	v_cmp_lt_u32_e32 vcc, 28, v0
	s_waitcnt vmcnt(32) lgkmcnt(7)
	v_fma_f64 v[94:95], v[128:129], v[96:97], 0
	s_waitcnt vmcnt(30)
	v_fmac_f64_e32 v[94:95], v[130:131], v[98:99]
	s_waitcnt vmcnt(28) lgkmcnt(6)
	v_fmac_f64_e32 v[94:95], v[132:133], v[100:101]
	s_waitcnt vmcnt(26)
	v_fmac_f64_e32 v[94:95], v[134:135], v[102:103]
	s_waitcnt vmcnt(24) lgkmcnt(5)
	v_fmac_f64_e32 v[94:95], v[136:137], v[104:105]
	;; [unrolled: 4-line block ×3, first 2 shown]
	s_waitcnt vmcnt(12)
	v_fmac_f64_e32 v[94:95], v[148:149], v[110:111]
	s_waitcnt lgkmcnt(3)
	v_fmac_f64_e32 v[94:95], v[146:147], v[112:113]
	v_fmac_f64_e32 v[94:95], v[144:145], v[114:115]
	s_waitcnt lgkmcnt(2)
	v_fmac_f64_e32 v[94:95], v[142:143], v[116:117]
	s_waitcnt vmcnt(5)
	v_fmac_f64_e32 v[94:95], v[156:157], v[118:119]
	s_waitcnt lgkmcnt(1)
	v_fmac_f64_e32 v[94:95], v[154:155], v[120:121]
	v_fmac_f64_e32 v[94:95], v[152:153], v[122:123]
	s_waitcnt vmcnt(4) lgkmcnt(0)
	v_fmac_f64_e32 v[94:95], v[150:151], v[124:125]
	s_waitcnt vmcnt(2)
	v_fmac_f64_e32 v[94:95], v[158:159], v[126:127]
	s_waitcnt vmcnt(0)
	v_add_f64 v[94:95], v[160:161], -v[94:95]
	buffer_store_dword v95, off, s[0:3], 0 offset:236
	buffer_store_dword v94, off, s[0:3], 0 offset:232
	s_and_saveexec_b64 s[4:5], vcc
	s_cbranch_execz .LBB45_227
; %bb.226:
	buffer_load_dword v94, off, s[0:3], 0 offset:224
	buffer_load_dword v95, off, s[0:3], 0 offset:228
	v_mov_b32_e32 v96, 0
	buffer_store_dword v96, off, s[0:3], 0 offset:224
	buffer_store_dword v96, off, s[0:3], 0 offset:228
	s_waitcnt vmcnt(2)
	ds_write_b64 v1, v[94:95]
.LBB45_227:
	s_or_b64 exec, exec, s[4:5]
	s_waitcnt lgkmcnt(0)
	; wave barrier
	s_waitcnt lgkmcnt(0)
	buffer_load_dword v128, off, s[0:3], 0 offset:232
	buffer_load_dword v129, off, s[0:3], 0 offset:236
	;; [unrolled: 1-line block ×36, first 2 shown]
	v_mov_b32_e32 v98, 0
	ds_read2_b64 v[94:97], v98 offset0:75 offset1:76
	ds_read2_b64 v[100:103], v98 offset0:77 offset1:78
	;; [unrolled: 1-line block ×8, first 2 shown]
	ds_read_b64 v[164:165], v98 offset:728
	v_cmp_lt_u32_e32 vcc, 27, v0
	s_waitcnt vmcnt(34) lgkmcnt(8)
	v_fma_f64 v[94:95], v[128:129], v[94:95], 0
	s_waitcnt vmcnt(32)
	v_fmac_f64_e32 v[94:95], v[130:131], v[96:97]
	s_waitcnt vmcnt(30) lgkmcnt(7)
	v_fmac_f64_e32 v[94:95], v[132:133], v[100:101]
	s_waitcnt vmcnt(28)
	v_fmac_f64_e32 v[94:95], v[134:135], v[102:103]
	s_waitcnt vmcnt(26) lgkmcnt(6)
	v_fmac_f64_e32 v[94:95], v[136:137], v[104:105]
	;; [unrolled: 4-line block ×3, first 2 shown]
	s_waitcnt vmcnt(14)
	v_fmac_f64_e32 v[94:95], v[148:149], v[110:111]
	s_waitcnt lgkmcnt(4)
	v_fmac_f64_e32 v[94:95], v[146:147], v[112:113]
	v_fmac_f64_e32 v[94:95], v[144:145], v[114:115]
	s_waitcnt lgkmcnt(3)
	v_fmac_f64_e32 v[94:95], v[142:143], v[116:117]
	s_waitcnt vmcnt(6)
	v_fmac_f64_e32 v[94:95], v[156:157], v[118:119]
	s_waitcnt lgkmcnt(2)
	v_fmac_f64_e32 v[94:95], v[154:155], v[120:121]
	v_fmac_f64_e32 v[94:95], v[152:153], v[122:123]
	s_waitcnt lgkmcnt(1)
	v_fmac_f64_e32 v[94:95], v[150:151], v[124:125]
	s_waitcnt vmcnt(2)
	v_fmac_f64_e32 v[94:95], v[160:161], v[126:127]
	s_waitcnt lgkmcnt(0)
	v_fmac_f64_e32 v[94:95], v[158:159], v[164:165]
	s_waitcnt vmcnt(0)
	v_add_f64 v[94:95], v[162:163], -v[94:95]
	buffer_store_dword v95, off, s[0:3], 0 offset:228
	buffer_store_dword v94, off, s[0:3], 0 offset:224
	s_and_saveexec_b64 s[4:5], vcc
	s_cbranch_execz .LBB45_229
; %bb.228:
	buffer_load_dword v94, off, s[0:3], 0 offset:216
	buffer_load_dword v95, off, s[0:3], 0 offset:220
	s_waitcnt vmcnt(0)
	ds_write_b64 v1, v[94:95]
	buffer_store_dword v98, off, s[0:3], 0 offset:216
	buffer_store_dword v98, off, s[0:3], 0 offset:220
.LBB45_229:
	s_or_b64 exec, exec, s[4:5]
	s_waitcnt lgkmcnt(0)
	; wave barrier
	s_waitcnt lgkmcnt(0)
	buffer_load_dword v94, off, s[0:3], 0 offset:216
	buffer_load_dword v95, off, s[0:3], 0 offset:220
	;; [unrolled: 1-line block ×16, first 2 shown]
	ds_read_b128 v[100:103], v98 offset:592
	ds_read_b128 v[104:107], v98 offset:608
	;; [unrolled: 1-line block ×4, first 2 shown]
	v_cmp_lt_u32_e32 vcc, 26, v0
	s_waitcnt vmcnt(12) lgkmcnt(3)
	v_fma_f64 v[96:97], v[96:97], v[100:101], 0
	buffer_load_dword v101, off, s[0:3], 0 offset:284
	buffer_load_dword v100, off, s[0:3], 0 offset:280
	s_waitcnt vmcnt(12)
	v_fmac_f64_e32 v[96:97], v[116:117], v[102:103]
	s_waitcnt vmcnt(10) lgkmcnt(2)
	v_fmac_f64_e32 v[96:97], v[118:119], v[104:105]
	buffer_load_dword v105, off, s[0:3], 0 offset:292
	buffer_load_dword v104, off, s[0:3], 0 offset:288
	s_waitcnt vmcnt(10)
	v_fmac_f64_e32 v[96:97], v[120:121], v[106:107]
	s_waitcnt vmcnt(8) lgkmcnt(1)
	v_fmac_f64_e32 v[96:97], v[122:123], v[108:109]
	s_waitcnt vmcnt(6)
	v_fmac_f64_e32 v[96:97], v[124:125], v[110:111]
	s_waitcnt vmcnt(4) lgkmcnt(0)
	v_fmac_f64_e32 v[96:97], v[126:127], v[112:113]
	s_waitcnt vmcnt(2)
	v_fmac_f64_e32 v[96:97], v[100:101], v[114:115]
	ds_read_b128 v[100:103], v98 offset:656
	s_waitcnt vmcnt(0) lgkmcnt(0)
	v_fmac_f64_e32 v[96:97], v[104:105], v[100:101]
	buffer_load_dword v101, off, s[0:3], 0 offset:300
	buffer_load_dword v100, off, s[0:3], 0 offset:296
	buffer_load_dword v105, off, s[0:3], 0 offset:308
	buffer_load_dword v104, off, s[0:3], 0 offset:304
	s_waitcnt vmcnt(2)
	v_fmac_f64_e32 v[96:97], v[100:101], v[102:103]
	ds_read_b128 v[100:103], v98 offset:672
	s_waitcnt vmcnt(0) lgkmcnt(0)
	v_fmac_f64_e32 v[96:97], v[104:105], v[100:101]
	buffer_load_dword v101, off, s[0:3], 0 offset:316
	buffer_load_dword v100, off, s[0:3], 0 offset:312
	buffer_load_dword v105, off, s[0:3], 0 offset:324
	buffer_load_dword v104, off, s[0:3], 0 offset:320
	;; [unrolled: 9-line block ×3, first 2 shown]
	s_waitcnt vmcnt(2)
	v_fmac_f64_e32 v[96:97], v[100:101], v[102:103]
	ds_read_b128 v[100:103], v98 offset:704
	s_waitcnt vmcnt(0) lgkmcnt(0)
	v_fmac_f64_e32 v[96:97], v[104:105], v[100:101]
	buffer_load_dword v101, off, s[0:3], 0 offset:348
	buffer_load_dword v100, off, s[0:3], 0 offset:344
	s_waitcnt vmcnt(0)
	v_fmac_f64_e32 v[96:97], v[100:101], v[102:103]
	buffer_load_dword v103, off, s[0:3], 0 offset:356
	buffer_load_dword v102, off, s[0:3], 0 offset:352
	ds_read_b128 v[98:101], v98 offset:720
	s_waitcnt vmcnt(0) lgkmcnt(0)
	v_fmac_f64_e32 v[96:97], v[102:103], v[98:99]
	buffer_load_dword v99, off, s[0:3], 0 offset:364
	buffer_load_dword v98, off, s[0:3], 0 offset:360
	s_waitcnt vmcnt(0)
	v_fmac_f64_e32 v[96:97], v[98:99], v[100:101]
	v_add_f64 v[94:95], v[94:95], -v[96:97]
	buffer_store_dword v95, off, s[0:3], 0 offset:220
	buffer_store_dword v94, off, s[0:3], 0 offset:216
	s_and_saveexec_b64 s[4:5], vcc
	s_cbranch_execz .LBB45_231
; %bb.230:
	buffer_load_dword v94, off, s[0:3], 0 offset:208
	buffer_load_dword v95, off, s[0:3], 0 offset:212
	v_mov_b32_e32 v96, 0
	buffer_store_dword v96, off, s[0:3], 0 offset:208
	buffer_store_dword v96, off, s[0:3], 0 offset:212
	s_waitcnt vmcnt(2)
	ds_write_b64 v1, v[94:95]
.LBB45_231:
	s_or_b64 exec, exec, s[4:5]
	s_waitcnt lgkmcnt(0)
	; wave barrier
	s_waitcnt lgkmcnt(0)
	buffer_load_dword v94, off, s[0:3], 0 offset:208
	buffer_load_dword v95, off, s[0:3], 0 offset:212
	;; [unrolled: 1-line block ×16, first 2 shown]
	v_mov_b32_e32 v98, 0
	ds_read2_b64 v[100:103], v98 offset0:73 offset1:74
	v_cmp_lt_u32_e32 vcc, 25, v0
	s_waitcnt vmcnt(12) lgkmcnt(0)
	v_fma_f64 v[96:97], v[96:97], v[100:101], 0
	s_waitcnt vmcnt(10)
	v_fmac_f64_e32 v[96:97], v[104:105], v[102:103]
	ds_read2_b64 v[100:103], v98 offset0:75 offset1:76
	s_waitcnt vmcnt(8) lgkmcnt(0)
	v_fmac_f64_e32 v[96:97], v[106:107], v[100:101]
	s_waitcnt vmcnt(6)
	v_fmac_f64_e32 v[96:97], v[108:109], v[102:103]
	ds_read2_b64 v[100:103], v98 offset0:77 offset1:78
	s_waitcnt vmcnt(4) lgkmcnt(0)
	v_fmac_f64_e32 v[96:97], v[110:111], v[100:101]
	;; [unrolled: 5-line block ×3, first 2 shown]
	buffer_load_dword v101, off, s[0:3], 0 offset:276
	buffer_load_dword v100, off, s[0:3], 0 offset:272
	buffer_load_dword v105, off, s[0:3], 0 offset:284
	buffer_load_dword v104, off, s[0:3], 0 offset:280
	s_waitcnt vmcnt(2)
	v_fmac_f64_e32 v[96:97], v[100:101], v[102:103]
	ds_read2_b64 v[100:103], v98 offset0:81 offset1:82
	s_waitcnt vmcnt(0) lgkmcnt(0)
	v_fmac_f64_e32 v[96:97], v[104:105], v[100:101]
	buffer_load_dword v101, off, s[0:3], 0 offset:292
	buffer_load_dword v100, off, s[0:3], 0 offset:288
	buffer_load_dword v105, off, s[0:3], 0 offset:300
	buffer_load_dword v104, off, s[0:3], 0 offset:296
	s_waitcnt vmcnt(2)
	v_fmac_f64_e32 v[96:97], v[100:101], v[102:103]
	ds_read2_b64 v[100:103], v98 offset0:83 offset1:84
	s_waitcnt vmcnt(0) lgkmcnt(0)
	v_fmac_f64_e32 v[96:97], v[104:105], v[100:101]
	;; [unrolled: 9-line block ×5, first 2 shown]
	buffer_load_dword v101, off, s[0:3], 0 offset:356
	buffer_load_dword v100, off, s[0:3], 0 offset:352
	s_waitcnt vmcnt(0)
	v_fmac_f64_e32 v[96:97], v[100:101], v[102:103]
	buffer_load_dword v101, off, s[0:3], 0 offset:364
	buffer_load_dword v100, off, s[0:3], 0 offset:360
	ds_read_b64 v[102:103], v98 offset:728
	s_waitcnt vmcnt(0) lgkmcnt(0)
	v_fmac_f64_e32 v[96:97], v[100:101], v[102:103]
	v_add_f64 v[94:95], v[94:95], -v[96:97]
	buffer_store_dword v95, off, s[0:3], 0 offset:212
	buffer_store_dword v94, off, s[0:3], 0 offset:208
	s_and_saveexec_b64 s[4:5], vcc
	s_cbranch_execz .LBB45_233
; %bb.232:
	buffer_load_dword v94, off, s[0:3], 0 offset:200
	buffer_load_dword v95, off, s[0:3], 0 offset:204
	s_waitcnt vmcnt(0)
	ds_write_b64 v1, v[94:95]
	buffer_store_dword v98, off, s[0:3], 0 offset:200
	buffer_store_dword v98, off, s[0:3], 0 offset:204
.LBB45_233:
	s_or_b64 exec, exec, s[4:5]
	s_waitcnt lgkmcnt(0)
	; wave barrier
	s_waitcnt lgkmcnt(0)
	buffer_load_dword v94, off, s[0:3], 0 offset:200
	buffer_load_dword v95, off, s[0:3], 0 offset:204
	;; [unrolled: 1-line block ×16, first 2 shown]
	ds_read_b128 v[100:103], v98 offset:576
	ds_read_b128 v[104:107], v98 offset:592
	;; [unrolled: 1-line block ×4, first 2 shown]
	v_cmp_lt_u32_e32 vcc, 24, v0
	s_waitcnt vmcnt(12) lgkmcnt(3)
	v_fma_f64 v[96:97], v[96:97], v[100:101], 0
	buffer_load_dword v101, off, s[0:3], 0 offset:268
	buffer_load_dword v100, off, s[0:3], 0 offset:264
	s_waitcnt vmcnt(12)
	v_fmac_f64_e32 v[96:97], v[116:117], v[102:103]
	s_waitcnt vmcnt(10) lgkmcnt(2)
	v_fmac_f64_e32 v[96:97], v[118:119], v[104:105]
	buffer_load_dword v105, off, s[0:3], 0 offset:276
	buffer_load_dword v104, off, s[0:3], 0 offset:272
	s_waitcnt vmcnt(10)
	v_fmac_f64_e32 v[96:97], v[120:121], v[106:107]
	s_waitcnt vmcnt(8) lgkmcnt(1)
	v_fmac_f64_e32 v[96:97], v[122:123], v[108:109]
	s_waitcnt vmcnt(6)
	v_fmac_f64_e32 v[96:97], v[124:125], v[110:111]
	s_waitcnt vmcnt(4) lgkmcnt(0)
	v_fmac_f64_e32 v[96:97], v[126:127], v[112:113]
	s_waitcnt vmcnt(2)
	v_fmac_f64_e32 v[96:97], v[100:101], v[114:115]
	ds_read_b128 v[100:103], v98 offset:640
	s_waitcnt vmcnt(0) lgkmcnt(0)
	v_fmac_f64_e32 v[96:97], v[104:105], v[100:101]
	buffer_load_dword v101, off, s[0:3], 0 offset:284
	buffer_load_dword v100, off, s[0:3], 0 offset:280
	buffer_load_dword v105, off, s[0:3], 0 offset:292
	buffer_load_dword v104, off, s[0:3], 0 offset:288
	s_waitcnt vmcnt(2)
	v_fmac_f64_e32 v[96:97], v[100:101], v[102:103]
	ds_read_b128 v[100:103], v98 offset:656
	s_waitcnt vmcnt(0) lgkmcnt(0)
	v_fmac_f64_e32 v[96:97], v[104:105], v[100:101]
	buffer_load_dword v101, off, s[0:3], 0 offset:300
	buffer_load_dword v100, off, s[0:3], 0 offset:296
	buffer_load_dword v105, off, s[0:3], 0 offset:308
	buffer_load_dword v104, off, s[0:3], 0 offset:304
	;; [unrolled: 9-line block ×4, first 2 shown]
	s_waitcnt vmcnt(2)
	v_fmac_f64_e32 v[96:97], v[100:101], v[102:103]
	ds_read_b128 v[100:103], v98 offset:704
	s_waitcnt vmcnt(0) lgkmcnt(0)
	v_fmac_f64_e32 v[96:97], v[104:105], v[100:101]
	buffer_load_dword v101, off, s[0:3], 0 offset:348
	buffer_load_dword v100, off, s[0:3], 0 offset:344
	s_waitcnt vmcnt(0)
	v_fmac_f64_e32 v[96:97], v[100:101], v[102:103]
	buffer_load_dword v103, off, s[0:3], 0 offset:356
	buffer_load_dword v102, off, s[0:3], 0 offset:352
	ds_read_b128 v[98:101], v98 offset:720
	s_waitcnt vmcnt(0) lgkmcnt(0)
	v_fmac_f64_e32 v[96:97], v[102:103], v[98:99]
	buffer_load_dword v99, off, s[0:3], 0 offset:364
	buffer_load_dword v98, off, s[0:3], 0 offset:360
	s_waitcnt vmcnt(0)
	v_fmac_f64_e32 v[96:97], v[98:99], v[100:101]
	v_add_f64 v[94:95], v[94:95], -v[96:97]
	buffer_store_dword v95, off, s[0:3], 0 offset:204
	buffer_store_dword v94, off, s[0:3], 0 offset:200
	s_and_saveexec_b64 s[4:5], vcc
	s_cbranch_execz .LBB45_235
; %bb.234:
	buffer_load_dword v94, off, s[0:3], 0 offset:192
	buffer_load_dword v95, off, s[0:3], 0 offset:196
	v_mov_b32_e32 v96, 0
	buffer_store_dword v96, off, s[0:3], 0 offset:192
	buffer_store_dword v96, off, s[0:3], 0 offset:196
	s_waitcnt vmcnt(2)
	ds_write_b64 v1, v[94:95]
.LBB45_235:
	s_or_b64 exec, exec, s[4:5]
	s_waitcnt lgkmcnt(0)
	; wave barrier
	s_waitcnt lgkmcnt(0)
	buffer_load_dword v94, off, s[0:3], 0 offset:192
	buffer_load_dword v95, off, s[0:3], 0 offset:196
	;; [unrolled: 1-line block ×16, first 2 shown]
	v_mov_b32_e32 v98, 0
	ds_read2_b64 v[100:103], v98 offset0:71 offset1:72
	v_cmp_lt_u32_e32 vcc, 23, v0
	s_waitcnt vmcnt(12) lgkmcnt(0)
	v_fma_f64 v[96:97], v[96:97], v[100:101], 0
	s_waitcnt vmcnt(10)
	v_fmac_f64_e32 v[96:97], v[104:105], v[102:103]
	ds_read2_b64 v[100:103], v98 offset0:73 offset1:74
	s_waitcnt vmcnt(8) lgkmcnt(0)
	v_fmac_f64_e32 v[96:97], v[106:107], v[100:101]
	s_waitcnt vmcnt(6)
	v_fmac_f64_e32 v[96:97], v[108:109], v[102:103]
	ds_read2_b64 v[100:103], v98 offset0:75 offset1:76
	s_waitcnt vmcnt(4) lgkmcnt(0)
	v_fmac_f64_e32 v[96:97], v[110:111], v[100:101]
	;; [unrolled: 5-line block ×3, first 2 shown]
	buffer_load_dword v101, off, s[0:3], 0 offset:260
	buffer_load_dword v100, off, s[0:3], 0 offset:256
	buffer_load_dword v105, off, s[0:3], 0 offset:268
	buffer_load_dword v104, off, s[0:3], 0 offset:264
	s_waitcnt vmcnt(2)
	v_fmac_f64_e32 v[96:97], v[100:101], v[102:103]
	ds_read2_b64 v[100:103], v98 offset0:79 offset1:80
	s_waitcnt vmcnt(0) lgkmcnt(0)
	v_fmac_f64_e32 v[96:97], v[104:105], v[100:101]
	buffer_load_dword v101, off, s[0:3], 0 offset:276
	buffer_load_dword v100, off, s[0:3], 0 offset:272
	buffer_load_dword v105, off, s[0:3], 0 offset:284
	buffer_load_dword v104, off, s[0:3], 0 offset:280
	s_waitcnt vmcnt(2)
	v_fmac_f64_e32 v[96:97], v[100:101], v[102:103]
	ds_read2_b64 v[100:103], v98 offset0:81 offset1:82
	s_waitcnt vmcnt(0) lgkmcnt(0)
	v_fmac_f64_e32 v[96:97], v[104:105], v[100:101]
	;; [unrolled: 9-line block ×6, first 2 shown]
	buffer_load_dword v101, off, s[0:3], 0 offset:356
	buffer_load_dword v100, off, s[0:3], 0 offset:352
	s_waitcnt vmcnt(0)
	v_fmac_f64_e32 v[96:97], v[100:101], v[102:103]
	buffer_load_dword v101, off, s[0:3], 0 offset:364
	buffer_load_dword v100, off, s[0:3], 0 offset:360
	ds_read_b64 v[102:103], v98 offset:728
	s_waitcnt vmcnt(0) lgkmcnt(0)
	v_fmac_f64_e32 v[96:97], v[100:101], v[102:103]
	v_add_f64 v[94:95], v[94:95], -v[96:97]
	buffer_store_dword v95, off, s[0:3], 0 offset:196
	buffer_store_dword v94, off, s[0:3], 0 offset:192
	s_and_saveexec_b64 s[4:5], vcc
	s_cbranch_execz .LBB45_237
; %bb.236:
	buffer_load_dword v94, off, s[0:3], 0 offset:184
	buffer_load_dword v95, off, s[0:3], 0 offset:188
	s_waitcnt vmcnt(0)
	ds_write_b64 v1, v[94:95]
	buffer_store_dword v98, off, s[0:3], 0 offset:184
	buffer_store_dword v98, off, s[0:3], 0 offset:188
.LBB45_237:
	s_or_b64 exec, exec, s[4:5]
	s_waitcnt lgkmcnt(0)
	; wave barrier
	s_waitcnt lgkmcnt(0)
	buffer_load_dword v94, off, s[0:3], 0 offset:184
	buffer_load_dword v95, off, s[0:3], 0 offset:188
	;; [unrolled: 1-line block ×16, first 2 shown]
	ds_read_b128 v[100:103], v98 offset:560
	ds_read_b128 v[104:107], v98 offset:576
	;; [unrolled: 1-line block ×4, first 2 shown]
	v_cmp_lt_u32_e32 vcc, 22, v0
	s_waitcnt vmcnt(12) lgkmcnt(3)
	v_fma_f64 v[96:97], v[96:97], v[100:101], 0
	buffer_load_dword v101, off, s[0:3], 0 offset:252
	buffer_load_dword v100, off, s[0:3], 0 offset:248
	s_waitcnt vmcnt(12)
	v_fmac_f64_e32 v[96:97], v[116:117], v[102:103]
	s_waitcnt vmcnt(10) lgkmcnt(2)
	v_fmac_f64_e32 v[96:97], v[118:119], v[104:105]
	buffer_load_dword v105, off, s[0:3], 0 offset:260
	buffer_load_dword v104, off, s[0:3], 0 offset:256
	s_waitcnt vmcnt(10)
	v_fmac_f64_e32 v[96:97], v[120:121], v[106:107]
	s_waitcnt vmcnt(8) lgkmcnt(1)
	v_fmac_f64_e32 v[96:97], v[122:123], v[108:109]
	s_waitcnt vmcnt(6)
	v_fmac_f64_e32 v[96:97], v[124:125], v[110:111]
	s_waitcnt vmcnt(4) lgkmcnt(0)
	v_fmac_f64_e32 v[96:97], v[126:127], v[112:113]
	s_waitcnt vmcnt(2)
	v_fmac_f64_e32 v[96:97], v[100:101], v[114:115]
	ds_read_b128 v[100:103], v98 offset:624
	s_waitcnt vmcnt(0) lgkmcnt(0)
	v_fmac_f64_e32 v[96:97], v[104:105], v[100:101]
	buffer_load_dword v101, off, s[0:3], 0 offset:268
	buffer_load_dword v100, off, s[0:3], 0 offset:264
	buffer_load_dword v105, off, s[0:3], 0 offset:276
	buffer_load_dword v104, off, s[0:3], 0 offset:272
	s_waitcnt vmcnt(2)
	v_fmac_f64_e32 v[96:97], v[100:101], v[102:103]
	ds_read_b128 v[100:103], v98 offset:640
	s_waitcnt vmcnt(0) lgkmcnt(0)
	v_fmac_f64_e32 v[96:97], v[104:105], v[100:101]
	buffer_load_dword v101, off, s[0:3], 0 offset:284
	buffer_load_dword v100, off, s[0:3], 0 offset:280
	buffer_load_dword v105, off, s[0:3], 0 offset:292
	buffer_load_dword v104, off, s[0:3], 0 offset:288
	;; [unrolled: 9-line block ×5, first 2 shown]
	s_waitcnt vmcnt(2)
	v_fmac_f64_e32 v[96:97], v[100:101], v[102:103]
	ds_read_b128 v[100:103], v98 offset:704
	s_waitcnt vmcnt(0) lgkmcnt(0)
	v_fmac_f64_e32 v[96:97], v[104:105], v[100:101]
	buffer_load_dword v101, off, s[0:3], 0 offset:348
	buffer_load_dword v100, off, s[0:3], 0 offset:344
	s_waitcnt vmcnt(0)
	v_fmac_f64_e32 v[96:97], v[100:101], v[102:103]
	buffer_load_dword v103, off, s[0:3], 0 offset:356
	buffer_load_dword v102, off, s[0:3], 0 offset:352
	ds_read_b128 v[98:101], v98 offset:720
	s_waitcnt vmcnt(0) lgkmcnt(0)
	v_fmac_f64_e32 v[96:97], v[102:103], v[98:99]
	buffer_load_dword v99, off, s[0:3], 0 offset:364
	buffer_load_dword v98, off, s[0:3], 0 offset:360
	s_waitcnt vmcnt(0)
	v_fmac_f64_e32 v[96:97], v[98:99], v[100:101]
	v_add_f64 v[94:95], v[94:95], -v[96:97]
	buffer_store_dword v95, off, s[0:3], 0 offset:188
	buffer_store_dword v94, off, s[0:3], 0 offset:184
	s_and_saveexec_b64 s[4:5], vcc
	s_cbranch_execz .LBB45_239
; %bb.238:
	buffer_load_dword v94, off, s[0:3], 0 offset:176
	buffer_load_dword v95, off, s[0:3], 0 offset:180
	v_mov_b32_e32 v96, 0
	buffer_store_dword v96, off, s[0:3], 0 offset:176
	buffer_store_dword v96, off, s[0:3], 0 offset:180
	s_waitcnt vmcnt(2)
	ds_write_b64 v1, v[94:95]
.LBB45_239:
	s_or_b64 exec, exec, s[4:5]
	s_waitcnt lgkmcnt(0)
	; wave barrier
	s_waitcnt lgkmcnt(0)
	buffer_load_dword v94, off, s[0:3], 0 offset:176
	buffer_load_dword v95, off, s[0:3], 0 offset:180
	;; [unrolled: 1-line block ×16, first 2 shown]
	v_mov_b32_e32 v98, 0
	ds_read2_b64 v[100:103], v98 offset0:69 offset1:70
	v_cmp_lt_u32_e32 vcc, 21, v0
	s_waitcnt vmcnt(12) lgkmcnt(0)
	v_fma_f64 v[96:97], v[96:97], v[100:101], 0
	s_waitcnt vmcnt(10)
	v_fmac_f64_e32 v[96:97], v[104:105], v[102:103]
	ds_read2_b64 v[100:103], v98 offset0:71 offset1:72
	s_waitcnt vmcnt(8) lgkmcnt(0)
	v_fmac_f64_e32 v[96:97], v[106:107], v[100:101]
	s_waitcnt vmcnt(6)
	v_fmac_f64_e32 v[96:97], v[108:109], v[102:103]
	ds_read2_b64 v[100:103], v98 offset0:73 offset1:74
	s_waitcnt vmcnt(4) lgkmcnt(0)
	v_fmac_f64_e32 v[96:97], v[110:111], v[100:101]
	;; [unrolled: 5-line block ×3, first 2 shown]
	buffer_load_dword v101, off, s[0:3], 0 offset:244
	buffer_load_dword v100, off, s[0:3], 0 offset:240
	buffer_load_dword v105, off, s[0:3], 0 offset:252
	buffer_load_dword v104, off, s[0:3], 0 offset:248
	s_waitcnt vmcnt(2)
	v_fmac_f64_e32 v[96:97], v[100:101], v[102:103]
	ds_read2_b64 v[100:103], v98 offset0:77 offset1:78
	s_waitcnt vmcnt(0) lgkmcnt(0)
	v_fmac_f64_e32 v[96:97], v[104:105], v[100:101]
	buffer_load_dword v101, off, s[0:3], 0 offset:260
	buffer_load_dword v100, off, s[0:3], 0 offset:256
	buffer_load_dword v105, off, s[0:3], 0 offset:268
	buffer_load_dword v104, off, s[0:3], 0 offset:264
	s_waitcnt vmcnt(2)
	v_fmac_f64_e32 v[96:97], v[100:101], v[102:103]
	ds_read2_b64 v[100:103], v98 offset0:79 offset1:80
	s_waitcnt vmcnt(0) lgkmcnt(0)
	v_fmac_f64_e32 v[96:97], v[104:105], v[100:101]
	;; [unrolled: 9-line block ×7, first 2 shown]
	buffer_load_dword v101, off, s[0:3], 0 offset:356
	buffer_load_dword v100, off, s[0:3], 0 offset:352
	s_waitcnt vmcnt(0)
	v_fmac_f64_e32 v[96:97], v[100:101], v[102:103]
	buffer_load_dword v101, off, s[0:3], 0 offset:364
	buffer_load_dword v100, off, s[0:3], 0 offset:360
	ds_read_b64 v[102:103], v98 offset:728
	s_waitcnt vmcnt(0) lgkmcnt(0)
	v_fmac_f64_e32 v[96:97], v[100:101], v[102:103]
	v_add_f64 v[94:95], v[94:95], -v[96:97]
	buffer_store_dword v95, off, s[0:3], 0 offset:180
	buffer_store_dword v94, off, s[0:3], 0 offset:176
	s_and_saveexec_b64 s[4:5], vcc
	s_cbranch_execz .LBB45_241
; %bb.240:
	buffer_load_dword v94, off, s[0:3], 0 offset:168
	buffer_load_dword v95, off, s[0:3], 0 offset:172
	s_waitcnt vmcnt(0)
	ds_write_b64 v1, v[94:95]
	buffer_store_dword v98, off, s[0:3], 0 offset:168
	buffer_store_dword v98, off, s[0:3], 0 offset:172
.LBB45_241:
	s_or_b64 exec, exec, s[4:5]
	s_waitcnt lgkmcnt(0)
	; wave barrier
	s_waitcnt lgkmcnt(0)
	buffer_load_dword v94, off, s[0:3], 0 offset:168
	buffer_load_dword v95, off, s[0:3], 0 offset:172
	;; [unrolled: 1-line block ×16, first 2 shown]
	ds_read_b128 v[100:103], v98 offset:544
	ds_read_b128 v[104:107], v98 offset:560
	;; [unrolled: 1-line block ×4, first 2 shown]
	v_cmp_lt_u32_e32 vcc, 20, v0
	s_waitcnt vmcnt(12) lgkmcnt(3)
	v_fma_f64 v[96:97], v[96:97], v[100:101], 0
	buffer_load_dword v101, off, s[0:3], 0 offset:236
	buffer_load_dword v100, off, s[0:3], 0 offset:232
	s_waitcnt vmcnt(12)
	v_fmac_f64_e32 v[96:97], v[116:117], v[102:103]
	s_waitcnt vmcnt(10) lgkmcnt(2)
	v_fmac_f64_e32 v[96:97], v[118:119], v[104:105]
	buffer_load_dword v105, off, s[0:3], 0 offset:244
	buffer_load_dword v104, off, s[0:3], 0 offset:240
	s_waitcnt vmcnt(10)
	v_fmac_f64_e32 v[96:97], v[120:121], v[106:107]
	s_waitcnt vmcnt(8) lgkmcnt(1)
	v_fmac_f64_e32 v[96:97], v[122:123], v[108:109]
	s_waitcnt vmcnt(6)
	v_fmac_f64_e32 v[96:97], v[124:125], v[110:111]
	s_waitcnt vmcnt(4) lgkmcnt(0)
	v_fmac_f64_e32 v[96:97], v[126:127], v[112:113]
	s_waitcnt vmcnt(2)
	v_fmac_f64_e32 v[96:97], v[100:101], v[114:115]
	ds_read_b128 v[100:103], v98 offset:608
	s_waitcnt vmcnt(0) lgkmcnt(0)
	v_fmac_f64_e32 v[96:97], v[104:105], v[100:101]
	buffer_load_dword v101, off, s[0:3], 0 offset:252
	buffer_load_dword v100, off, s[0:3], 0 offset:248
	buffer_load_dword v105, off, s[0:3], 0 offset:260
	buffer_load_dword v104, off, s[0:3], 0 offset:256
	s_waitcnt vmcnt(2)
	v_fmac_f64_e32 v[96:97], v[100:101], v[102:103]
	ds_read_b128 v[100:103], v98 offset:624
	s_waitcnt vmcnt(0) lgkmcnt(0)
	v_fmac_f64_e32 v[96:97], v[104:105], v[100:101]
	buffer_load_dword v101, off, s[0:3], 0 offset:268
	buffer_load_dword v100, off, s[0:3], 0 offset:264
	buffer_load_dword v105, off, s[0:3], 0 offset:276
	buffer_load_dword v104, off, s[0:3], 0 offset:272
	s_waitcnt vmcnt(2)
	v_fmac_f64_e32 v[96:97], v[100:101], v[102:103]
	ds_read_b128 v[100:103], v98 offset:640
	s_waitcnt vmcnt(0) lgkmcnt(0)
	v_fmac_f64_e32 v[96:97], v[104:105], v[100:101]
	buffer_load_dword v101, off, s[0:3], 0 offset:284
	buffer_load_dword v100, off, s[0:3], 0 offset:280
	buffer_load_dword v105, off, s[0:3], 0 offset:292
	buffer_load_dword v104, off, s[0:3], 0 offset:288
	s_waitcnt vmcnt(2)
	v_fmac_f64_e32 v[96:97], v[100:101], v[102:103]
	ds_read_b128 v[100:103], v98 offset:656
	s_waitcnt vmcnt(0) lgkmcnt(0)
	v_fmac_f64_e32 v[96:97], v[104:105], v[100:101]
	buffer_load_dword v101, off, s[0:3], 0 offset:300
	buffer_load_dword v100, off, s[0:3], 0 offset:296
	buffer_load_dword v105, off, s[0:3], 0 offset:308
	buffer_load_dword v104, off, s[0:3], 0 offset:304
	s_waitcnt vmcnt(2)
	v_fmac_f64_e32 v[96:97], v[100:101], v[102:103]
	ds_read_b128 v[100:103], v98 offset:672
	s_waitcnt vmcnt(0) lgkmcnt(0)
	v_fmac_f64_e32 v[96:97], v[104:105], v[100:101]
	buffer_load_dword v101, off, s[0:3], 0 offset:316
	buffer_load_dword v100, off, s[0:3], 0 offset:312
	buffer_load_dword v105, off, s[0:3], 0 offset:324
	buffer_load_dword v104, off, s[0:3], 0 offset:320
	s_waitcnt vmcnt(2)
	v_fmac_f64_e32 v[96:97], v[100:101], v[102:103]
	ds_read_b128 v[100:103], v98 offset:688
	s_waitcnt vmcnt(0) lgkmcnt(0)
	v_fmac_f64_e32 v[96:97], v[104:105], v[100:101]
	buffer_load_dword v101, off, s[0:3], 0 offset:332
	buffer_load_dword v100, off, s[0:3], 0 offset:328
	buffer_load_dword v105, off, s[0:3], 0 offset:340
	buffer_load_dword v104, off, s[0:3], 0 offset:336
	s_waitcnt vmcnt(2)
	v_fmac_f64_e32 v[96:97], v[100:101], v[102:103]
	ds_read_b128 v[100:103], v98 offset:704
	s_waitcnt vmcnt(0) lgkmcnt(0)
	v_fmac_f64_e32 v[96:97], v[104:105], v[100:101]
	buffer_load_dword v101, off, s[0:3], 0 offset:348
	buffer_load_dword v100, off, s[0:3], 0 offset:344
	s_waitcnt vmcnt(0)
	v_fmac_f64_e32 v[96:97], v[100:101], v[102:103]
	buffer_load_dword v103, off, s[0:3], 0 offset:356
	buffer_load_dword v102, off, s[0:3], 0 offset:352
	ds_read_b128 v[98:101], v98 offset:720
	s_waitcnt vmcnt(0) lgkmcnt(0)
	v_fmac_f64_e32 v[96:97], v[102:103], v[98:99]
	buffer_load_dword v99, off, s[0:3], 0 offset:364
	buffer_load_dword v98, off, s[0:3], 0 offset:360
	s_waitcnt vmcnt(0)
	v_fmac_f64_e32 v[96:97], v[98:99], v[100:101]
	v_add_f64 v[94:95], v[94:95], -v[96:97]
	buffer_store_dword v95, off, s[0:3], 0 offset:172
	buffer_store_dword v94, off, s[0:3], 0 offset:168
	s_and_saveexec_b64 s[4:5], vcc
	s_cbranch_execz .LBB45_243
; %bb.242:
	buffer_load_dword v94, off, s[0:3], 0 offset:160
	buffer_load_dword v95, off, s[0:3], 0 offset:164
	v_mov_b32_e32 v96, 0
	buffer_store_dword v96, off, s[0:3], 0 offset:160
	buffer_store_dword v96, off, s[0:3], 0 offset:164
	s_waitcnt vmcnt(2)
	ds_write_b64 v1, v[94:95]
.LBB45_243:
	s_or_b64 exec, exec, s[4:5]
	s_waitcnt lgkmcnt(0)
	; wave barrier
	s_waitcnt lgkmcnt(0)
	buffer_load_dword v94, off, s[0:3], 0 offset:160
	buffer_load_dword v95, off, s[0:3], 0 offset:164
	;; [unrolled: 1-line block ×16, first 2 shown]
	v_mov_b32_e32 v98, 0
	ds_read2_b64 v[100:103], v98 offset0:67 offset1:68
	v_cmp_lt_u32_e32 vcc, 19, v0
	s_waitcnt vmcnt(12) lgkmcnt(0)
	v_fma_f64 v[96:97], v[96:97], v[100:101], 0
	s_waitcnt vmcnt(10)
	v_fmac_f64_e32 v[96:97], v[104:105], v[102:103]
	ds_read2_b64 v[100:103], v98 offset0:69 offset1:70
	s_waitcnt vmcnt(8) lgkmcnt(0)
	v_fmac_f64_e32 v[96:97], v[106:107], v[100:101]
	s_waitcnt vmcnt(6)
	v_fmac_f64_e32 v[96:97], v[108:109], v[102:103]
	ds_read2_b64 v[100:103], v98 offset0:71 offset1:72
	s_waitcnt vmcnt(4) lgkmcnt(0)
	v_fmac_f64_e32 v[96:97], v[110:111], v[100:101]
	s_waitcnt vmcnt(2)
	v_fmac_f64_e32 v[96:97], v[112:113], v[102:103]
	ds_read2_b64 v[100:103], v98 offset0:73 offset1:74
	s_waitcnt vmcnt(0) lgkmcnt(0)
	v_fmac_f64_e32 v[96:97], v[114:115], v[100:101]
	buffer_load_dword v101, off, s[0:3], 0 offset:228
	buffer_load_dword v100, off, s[0:3], 0 offset:224
	buffer_load_dword v105, off, s[0:3], 0 offset:236
	buffer_load_dword v104, off, s[0:3], 0 offset:232
	s_waitcnt vmcnt(2)
	v_fmac_f64_e32 v[96:97], v[100:101], v[102:103]
	ds_read2_b64 v[100:103], v98 offset0:75 offset1:76
	s_waitcnt vmcnt(0) lgkmcnt(0)
	v_fmac_f64_e32 v[96:97], v[104:105], v[100:101]
	buffer_load_dword v101, off, s[0:3], 0 offset:244
	buffer_load_dword v100, off, s[0:3], 0 offset:240
	buffer_load_dword v105, off, s[0:3], 0 offset:252
	buffer_load_dword v104, off, s[0:3], 0 offset:248
	s_waitcnt vmcnt(2)
	v_fmac_f64_e32 v[96:97], v[100:101], v[102:103]
	ds_read2_b64 v[100:103], v98 offset0:77 offset1:78
	s_waitcnt vmcnt(0) lgkmcnt(0)
	v_fmac_f64_e32 v[96:97], v[104:105], v[100:101]
	;; [unrolled: 9-line block ×8, first 2 shown]
	buffer_load_dword v101, off, s[0:3], 0 offset:356
	buffer_load_dword v100, off, s[0:3], 0 offset:352
	s_waitcnt vmcnt(0)
	v_fmac_f64_e32 v[96:97], v[100:101], v[102:103]
	buffer_load_dword v101, off, s[0:3], 0 offset:364
	buffer_load_dword v100, off, s[0:3], 0 offset:360
	ds_read_b64 v[102:103], v98 offset:728
	s_waitcnt vmcnt(0) lgkmcnt(0)
	v_fmac_f64_e32 v[96:97], v[100:101], v[102:103]
	v_add_f64 v[94:95], v[94:95], -v[96:97]
	buffer_store_dword v95, off, s[0:3], 0 offset:164
	buffer_store_dword v94, off, s[0:3], 0 offset:160
	s_and_saveexec_b64 s[4:5], vcc
	s_cbranch_execz .LBB45_245
; %bb.244:
	buffer_load_dword v94, off, s[0:3], 0 offset:152
	buffer_load_dword v95, off, s[0:3], 0 offset:156
	s_waitcnt vmcnt(0)
	ds_write_b64 v1, v[94:95]
	buffer_store_dword v98, off, s[0:3], 0 offset:152
	buffer_store_dword v98, off, s[0:3], 0 offset:156
.LBB45_245:
	s_or_b64 exec, exec, s[4:5]
	s_waitcnt lgkmcnt(0)
	; wave barrier
	s_waitcnt lgkmcnt(0)
	buffer_load_dword v94, off, s[0:3], 0 offset:152
	buffer_load_dword v95, off, s[0:3], 0 offset:156
	;; [unrolled: 1-line block ×16, first 2 shown]
	ds_read_b128 v[100:103], v98 offset:528
	ds_read_b128 v[104:107], v98 offset:544
	;; [unrolled: 1-line block ×4, first 2 shown]
	v_cmp_lt_u32_e32 vcc, 18, v0
	s_waitcnt vmcnt(12) lgkmcnt(3)
	v_fma_f64 v[96:97], v[96:97], v[100:101], 0
	buffer_load_dword v101, off, s[0:3], 0 offset:220
	buffer_load_dword v100, off, s[0:3], 0 offset:216
	s_waitcnt vmcnt(12)
	v_fmac_f64_e32 v[96:97], v[116:117], v[102:103]
	s_waitcnt vmcnt(10) lgkmcnt(2)
	v_fmac_f64_e32 v[96:97], v[118:119], v[104:105]
	buffer_load_dword v105, off, s[0:3], 0 offset:228
	buffer_load_dword v104, off, s[0:3], 0 offset:224
	s_waitcnt vmcnt(10)
	v_fmac_f64_e32 v[96:97], v[120:121], v[106:107]
	s_waitcnt vmcnt(8) lgkmcnt(1)
	v_fmac_f64_e32 v[96:97], v[122:123], v[108:109]
	s_waitcnt vmcnt(6)
	v_fmac_f64_e32 v[96:97], v[124:125], v[110:111]
	s_waitcnt vmcnt(4) lgkmcnt(0)
	v_fmac_f64_e32 v[96:97], v[126:127], v[112:113]
	s_waitcnt vmcnt(2)
	v_fmac_f64_e32 v[96:97], v[100:101], v[114:115]
	ds_read_b128 v[100:103], v98 offset:592
	s_waitcnt vmcnt(0) lgkmcnt(0)
	v_fmac_f64_e32 v[96:97], v[104:105], v[100:101]
	buffer_load_dword v101, off, s[0:3], 0 offset:236
	buffer_load_dword v100, off, s[0:3], 0 offset:232
	buffer_load_dword v105, off, s[0:3], 0 offset:244
	buffer_load_dword v104, off, s[0:3], 0 offset:240
	s_waitcnt vmcnt(2)
	v_fmac_f64_e32 v[96:97], v[100:101], v[102:103]
	ds_read_b128 v[100:103], v98 offset:608
	s_waitcnt vmcnt(0) lgkmcnt(0)
	v_fmac_f64_e32 v[96:97], v[104:105], v[100:101]
	buffer_load_dword v101, off, s[0:3], 0 offset:252
	buffer_load_dword v100, off, s[0:3], 0 offset:248
	buffer_load_dword v105, off, s[0:3], 0 offset:260
	buffer_load_dword v104, off, s[0:3], 0 offset:256
	;; [unrolled: 9-line block ×7, first 2 shown]
	s_waitcnt vmcnt(2)
	v_fmac_f64_e32 v[96:97], v[100:101], v[102:103]
	ds_read_b128 v[100:103], v98 offset:704
	s_waitcnt vmcnt(0) lgkmcnt(0)
	v_fmac_f64_e32 v[96:97], v[104:105], v[100:101]
	buffer_load_dword v101, off, s[0:3], 0 offset:348
	buffer_load_dword v100, off, s[0:3], 0 offset:344
	s_waitcnt vmcnt(0)
	v_fmac_f64_e32 v[96:97], v[100:101], v[102:103]
	buffer_load_dword v103, off, s[0:3], 0 offset:356
	buffer_load_dword v102, off, s[0:3], 0 offset:352
	ds_read_b128 v[98:101], v98 offset:720
	s_waitcnt vmcnt(0) lgkmcnt(0)
	v_fmac_f64_e32 v[96:97], v[102:103], v[98:99]
	buffer_load_dword v99, off, s[0:3], 0 offset:364
	buffer_load_dword v98, off, s[0:3], 0 offset:360
	s_waitcnt vmcnt(0)
	v_fmac_f64_e32 v[96:97], v[98:99], v[100:101]
	v_add_f64 v[94:95], v[94:95], -v[96:97]
	buffer_store_dword v95, off, s[0:3], 0 offset:156
	buffer_store_dword v94, off, s[0:3], 0 offset:152
	s_and_saveexec_b64 s[4:5], vcc
	s_cbranch_execz .LBB45_247
; %bb.246:
	buffer_load_dword v94, off, s[0:3], 0 offset:144
	buffer_load_dword v95, off, s[0:3], 0 offset:148
	v_mov_b32_e32 v96, 0
	buffer_store_dword v96, off, s[0:3], 0 offset:144
	buffer_store_dword v96, off, s[0:3], 0 offset:148
	s_waitcnt vmcnt(2)
	ds_write_b64 v1, v[94:95]
.LBB45_247:
	s_or_b64 exec, exec, s[4:5]
	s_waitcnt lgkmcnt(0)
	; wave barrier
	s_waitcnt lgkmcnt(0)
	buffer_load_dword v94, off, s[0:3], 0 offset:144
	buffer_load_dword v95, off, s[0:3], 0 offset:148
	;; [unrolled: 1-line block ×16, first 2 shown]
	v_mov_b32_e32 v98, 0
	ds_read2_b64 v[100:103], v98 offset0:65 offset1:66
	v_cmp_lt_u32_e32 vcc, 17, v0
	s_waitcnt vmcnt(12) lgkmcnt(0)
	v_fma_f64 v[96:97], v[96:97], v[100:101], 0
	s_waitcnt vmcnt(10)
	v_fmac_f64_e32 v[96:97], v[104:105], v[102:103]
	ds_read2_b64 v[100:103], v98 offset0:67 offset1:68
	s_waitcnt vmcnt(8) lgkmcnt(0)
	v_fmac_f64_e32 v[96:97], v[106:107], v[100:101]
	s_waitcnt vmcnt(6)
	v_fmac_f64_e32 v[96:97], v[108:109], v[102:103]
	ds_read2_b64 v[100:103], v98 offset0:69 offset1:70
	s_waitcnt vmcnt(4) lgkmcnt(0)
	v_fmac_f64_e32 v[96:97], v[110:111], v[100:101]
	s_waitcnt vmcnt(2)
	v_fmac_f64_e32 v[96:97], v[112:113], v[102:103]
	ds_read2_b64 v[100:103], v98 offset0:71 offset1:72
	s_waitcnt vmcnt(0) lgkmcnt(0)
	v_fmac_f64_e32 v[96:97], v[114:115], v[100:101]
	buffer_load_dword v101, off, s[0:3], 0 offset:212
	buffer_load_dword v100, off, s[0:3], 0 offset:208
	buffer_load_dword v105, off, s[0:3], 0 offset:220
	buffer_load_dword v104, off, s[0:3], 0 offset:216
	s_waitcnt vmcnt(2)
	v_fmac_f64_e32 v[96:97], v[100:101], v[102:103]
	ds_read2_b64 v[100:103], v98 offset0:73 offset1:74
	s_waitcnt vmcnt(0) lgkmcnt(0)
	v_fmac_f64_e32 v[96:97], v[104:105], v[100:101]
	buffer_load_dword v101, off, s[0:3], 0 offset:228
	buffer_load_dword v100, off, s[0:3], 0 offset:224
	buffer_load_dword v105, off, s[0:3], 0 offset:236
	buffer_load_dword v104, off, s[0:3], 0 offset:232
	s_waitcnt vmcnt(2)
	v_fmac_f64_e32 v[96:97], v[100:101], v[102:103]
	ds_read2_b64 v[100:103], v98 offset0:75 offset1:76
	s_waitcnt vmcnt(0) lgkmcnt(0)
	v_fmac_f64_e32 v[96:97], v[104:105], v[100:101]
	;; [unrolled: 9-line block ×9, first 2 shown]
	buffer_load_dword v101, off, s[0:3], 0 offset:356
	buffer_load_dword v100, off, s[0:3], 0 offset:352
	s_waitcnt vmcnt(0)
	v_fmac_f64_e32 v[96:97], v[100:101], v[102:103]
	buffer_load_dword v101, off, s[0:3], 0 offset:364
	buffer_load_dword v100, off, s[0:3], 0 offset:360
	ds_read_b64 v[102:103], v98 offset:728
	s_waitcnt vmcnt(0) lgkmcnt(0)
	v_fmac_f64_e32 v[96:97], v[100:101], v[102:103]
	v_add_f64 v[94:95], v[94:95], -v[96:97]
	buffer_store_dword v95, off, s[0:3], 0 offset:148
	buffer_store_dword v94, off, s[0:3], 0 offset:144
	s_and_saveexec_b64 s[4:5], vcc
	s_cbranch_execz .LBB45_249
; %bb.248:
	buffer_load_dword v94, off, s[0:3], 0 offset:136
	buffer_load_dword v95, off, s[0:3], 0 offset:140
	s_waitcnt vmcnt(0)
	ds_write_b64 v1, v[94:95]
	buffer_store_dword v98, off, s[0:3], 0 offset:136
	buffer_store_dword v98, off, s[0:3], 0 offset:140
.LBB45_249:
	s_or_b64 exec, exec, s[4:5]
	s_waitcnt lgkmcnt(0)
	; wave barrier
	s_waitcnt lgkmcnt(0)
	buffer_load_dword v94, off, s[0:3], 0 offset:136
	buffer_load_dword v95, off, s[0:3], 0 offset:140
	;; [unrolled: 1-line block ×16, first 2 shown]
	ds_read_b128 v[100:103], v98 offset:512
	ds_read_b128 v[104:107], v98 offset:528
	;; [unrolled: 1-line block ×4, first 2 shown]
	v_cmp_lt_u32_e32 vcc, 16, v0
	s_waitcnt vmcnt(12) lgkmcnt(3)
	v_fma_f64 v[96:97], v[96:97], v[100:101], 0
	buffer_load_dword v101, off, s[0:3], 0 offset:204
	buffer_load_dword v100, off, s[0:3], 0 offset:200
	s_waitcnt vmcnt(12)
	v_fmac_f64_e32 v[96:97], v[116:117], v[102:103]
	s_waitcnt vmcnt(10) lgkmcnt(2)
	v_fmac_f64_e32 v[96:97], v[118:119], v[104:105]
	buffer_load_dword v105, off, s[0:3], 0 offset:212
	buffer_load_dword v104, off, s[0:3], 0 offset:208
	s_waitcnt vmcnt(10)
	v_fmac_f64_e32 v[96:97], v[120:121], v[106:107]
	s_waitcnt vmcnt(8) lgkmcnt(1)
	v_fmac_f64_e32 v[96:97], v[122:123], v[108:109]
	s_waitcnt vmcnt(6)
	v_fmac_f64_e32 v[96:97], v[124:125], v[110:111]
	s_waitcnt vmcnt(4) lgkmcnt(0)
	v_fmac_f64_e32 v[96:97], v[126:127], v[112:113]
	s_waitcnt vmcnt(2)
	v_fmac_f64_e32 v[96:97], v[100:101], v[114:115]
	ds_read_b128 v[100:103], v98 offset:576
	s_waitcnt vmcnt(0) lgkmcnt(0)
	v_fmac_f64_e32 v[96:97], v[104:105], v[100:101]
	buffer_load_dword v101, off, s[0:3], 0 offset:220
	buffer_load_dword v100, off, s[0:3], 0 offset:216
	buffer_load_dword v105, off, s[0:3], 0 offset:228
	buffer_load_dword v104, off, s[0:3], 0 offset:224
	s_waitcnt vmcnt(2)
	v_fmac_f64_e32 v[96:97], v[100:101], v[102:103]
	ds_read_b128 v[100:103], v98 offset:592
	s_waitcnt vmcnt(0) lgkmcnt(0)
	v_fmac_f64_e32 v[96:97], v[104:105], v[100:101]
	buffer_load_dword v101, off, s[0:3], 0 offset:236
	buffer_load_dword v100, off, s[0:3], 0 offset:232
	buffer_load_dword v105, off, s[0:3], 0 offset:244
	buffer_load_dword v104, off, s[0:3], 0 offset:240
	;; [unrolled: 9-line block ×8, first 2 shown]
	s_waitcnt vmcnt(2)
	v_fmac_f64_e32 v[96:97], v[100:101], v[102:103]
	ds_read_b128 v[100:103], v98 offset:704
	s_waitcnt vmcnt(0) lgkmcnt(0)
	v_fmac_f64_e32 v[96:97], v[104:105], v[100:101]
	buffer_load_dword v101, off, s[0:3], 0 offset:348
	buffer_load_dword v100, off, s[0:3], 0 offset:344
	s_waitcnt vmcnt(0)
	v_fmac_f64_e32 v[96:97], v[100:101], v[102:103]
	buffer_load_dword v103, off, s[0:3], 0 offset:356
	buffer_load_dword v102, off, s[0:3], 0 offset:352
	ds_read_b128 v[98:101], v98 offset:720
	s_waitcnt vmcnt(0) lgkmcnt(0)
	v_fmac_f64_e32 v[96:97], v[102:103], v[98:99]
	buffer_load_dword v99, off, s[0:3], 0 offset:364
	buffer_load_dword v98, off, s[0:3], 0 offset:360
	s_waitcnt vmcnt(0)
	v_fmac_f64_e32 v[96:97], v[98:99], v[100:101]
	v_add_f64 v[94:95], v[94:95], -v[96:97]
	buffer_store_dword v95, off, s[0:3], 0 offset:140
	buffer_store_dword v94, off, s[0:3], 0 offset:136
	s_and_saveexec_b64 s[4:5], vcc
	s_cbranch_execz .LBB45_251
; %bb.250:
	buffer_load_dword v94, off, s[0:3], 0 offset:128
	buffer_load_dword v95, off, s[0:3], 0 offset:132
	v_mov_b32_e32 v96, 0
	buffer_store_dword v96, off, s[0:3], 0 offset:128
	buffer_store_dword v96, off, s[0:3], 0 offset:132
	s_waitcnt vmcnt(2)
	ds_write_b64 v1, v[94:95]
.LBB45_251:
	s_or_b64 exec, exec, s[4:5]
	s_waitcnt lgkmcnt(0)
	; wave barrier
	s_waitcnt lgkmcnt(0)
	buffer_load_dword v94, off, s[0:3], 0 offset:128
	buffer_load_dword v95, off, s[0:3], 0 offset:132
	;; [unrolled: 1-line block ×16, first 2 shown]
	v_mov_b32_e32 v98, 0
	ds_read2_b64 v[100:103], v98 offset0:63 offset1:64
	v_cmp_lt_u32_e32 vcc, 15, v0
	s_waitcnt vmcnt(12) lgkmcnt(0)
	v_fma_f64 v[96:97], v[96:97], v[100:101], 0
	s_waitcnt vmcnt(10)
	v_fmac_f64_e32 v[96:97], v[104:105], v[102:103]
	ds_read2_b64 v[100:103], v98 offset0:65 offset1:66
	s_waitcnt vmcnt(8) lgkmcnt(0)
	v_fmac_f64_e32 v[96:97], v[106:107], v[100:101]
	s_waitcnt vmcnt(6)
	v_fmac_f64_e32 v[96:97], v[108:109], v[102:103]
	ds_read2_b64 v[100:103], v98 offset0:67 offset1:68
	s_waitcnt vmcnt(4) lgkmcnt(0)
	v_fmac_f64_e32 v[96:97], v[110:111], v[100:101]
	s_waitcnt vmcnt(2)
	v_fmac_f64_e32 v[96:97], v[112:113], v[102:103]
	ds_read2_b64 v[100:103], v98 offset0:69 offset1:70
	s_waitcnt vmcnt(0) lgkmcnt(0)
	v_fmac_f64_e32 v[96:97], v[114:115], v[100:101]
	buffer_load_dword v101, off, s[0:3], 0 offset:196
	buffer_load_dword v100, off, s[0:3], 0 offset:192
	buffer_load_dword v105, off, s[0:3], 0 offset:204
	buffer_load_dword v104, off, s[0:3], 0 offset:200
	s_waitcnt vmcnt(2)
	v_fmac_f64_e32 v[96:97], v[100:101], v[102:103]
	ds_read2_b64 v[100:103], v98 offset0:71 offset1:72
	s_waitcnt vmcnt(0) lgkmcnt(0)
	v_fmac_f64_e32 v[96:97], v[104:105], v[100:101]
	buffer_load_dword v101, off, s[0:3], 0 offset:212
	buffer_load_dword v100, off, s[0:3], 0 offset:208
	buffer_load_dword v105, off, s[0:3], 0 offset:220
	buffer_load_dword v104, off, s[0:3], 0 offset:216
	s_waitcnt vmcnt(2)
	v_fmac_f64_e32 v[96:97], v[100:101], v[102:103]
	ds_read2_b64 v[100:103], v98 offset0:73 offset1:74
	s_waitcnt vmcnt(0) lgkmcnt(0)
	v_fmac_f64_e32 v[96:97], v[104:105], v[100:101]
	;; [unrolled: 9-line block ×10, first 2 shown]
	buffer_load_dword v101, off, s[0:3], 0 offset:356
	buffer_load_dword v100, off, s[0:3], 0 offset:352
	s_waitcnt vmcnt(0)
	v_fmac_f64_e32 v[96:97], v[100:101], v[102:103]
	buffer_load_dword v101, off, s[0:3], 0 offset:364
	buffer_load_dword v100, off, s[0:3], 0 offset:360
	ds_read_b64 v[102:103], v98 offset:728
	s_waitcnt vmcnt(0) lgkmcnt(0)
	v_fmac_f64_e32 v[96:97], v[100:101], v[102:103]
	v_add_f64 v[94:95], v[94:95], -v[96:97]
	buffer_store_dword v95, off, s[0:3], 0 offset:132
	buffer_store_dword v94, off, s[0:3], 0 offset:128
	s_and_saveexec_b64 s[4:5], vcc
	s_cbranch_execz .LBB45_253
; %bb.252:
	buffer_load_dword v94, off, s[0:3], 0 offset:120
	buffer_load_dword v95, off, s[0:3], 0 offset:124
	s_waitcnt vmcnt(0)
	ds_write_b64 v1, v[94:95]
	buffer_store_dword v98, off, s[0:3], 0 offset:120
	buffer_store_dword v98, off, s[0:3], 0 offset:124
.LBB45_253:
	s_or_b64 exec, exec, s[4:5]
	s_waitcnt lgkmcnt(0)
	; wave barrier
	s_waitcnt lgkmcnt(0)
	buffer_load_dword v94, off, s[0:3], 0 offset:120
	buffer_load_dword v95, off, s[0:3], 0 offset:124
	;; [unrolled: 1-line block ×16, first 2 shown]
	ds_read_b128 v[100:103], v98 offset:496
	ds_read_b128 v[104:107], v98 offset:512
	;; [unrolled: 1-line block ×4, first 2 shown]
	v_cmp_lt_u32_e32 vcc, 14, v0
	s_waitcnt vmcnt(12) lgkmcnt(3)
	v_fma_f64 v[96:97], v[96:97], v[100:101], 0
	buffer_load_dword v101, off, s[0:3], 0 offset:188
	buffer_load_dword v100, off, s[0:3], 0 offset:184
	s_waitcnt vmcnt(12)
	v_fmac_f64_e32 v[96:97], v[116:117], v[102:103]
	s_waitcnt vmcnt(10) lgkmcnt(2)
	v_fmac_f64_e32 v[96:97], v[118:119], v[104:105]
	buffer_load_dword v105, off, s[0:3], 0 offset:196
	buffer_load_dword v104, off, s[0:3], 0 offset:192
	s_waitcnt vmcnt(10)
	v_fmac_f64_e32 v[96:97], v[120:121], v[106:107]
	s_waitcnt vmcnt(8) lgkmcnt(1)
	v_fmac_f64_e32 v[96:97], v[122:123], v[108:109]
	s_waitcnt vmcnt(6)
	v_fmac_f64_e32 v[96:97], v[124:125], v[110:111]
	s_waitcnt vmcnt(4) lgkmcnt(0)
	v_fmac_f64_e32 v[96:97], v[126:127], v[112:113]
	s_waitcnt vmcnt(2)
	v_fmac_f64_e32 v[96:97], v[100:101], v[114:115]
	ds_read_b128 v[100:103], v98 offset:560
	s_waitcnt vmcnt(0) lgkmcnt(0)
	v_fmac_f64_e32 v[96:97], v[104:105], v[100:101]
	buffer_load_dword v101, off, s[0:3], 0 offset:204
	buffer_load_dword v100, off, s[0:3], 0 offset:200
	buffer_load_dword v105, off, s[0:3], 0 offset:212
	buffer_load_dword v104, off, s[0:3], 0 offset:208
	s_waitcnt vmcnt(2)
	v_fmac_f64_e32 v[96:97], v[100:101], v[102:103]
	ds_read_b128 v[100:103], v98 offset:576
	s_waitcnt vmcnt(0) lgkmcnt(0)
	v_fmac_f64_e32 v[96:97], v[104:105], v[100:101]
	buffer_load_dword v101, off, s[0:3], 0 offset:220
	buffer_load_dword v100, off, s[0:3], 0 offset:216
	buffer_load_dword v105, off, s[0:3], 0 offset:228
	buffer_load_dword v104, off, s[0:3], 0 offset:224
	;; [unrolled: 9-line block ×9, first 2 shown]
	s_waitcnt vmcnt(2)
	v_fmac_f64_e32 v[96:97], v[100:101], v[102:103]
	ds_read_b128 v[100:103], v98 offset:704
	s_waitcnt vmcnt(0) lgkmcnt(0)
	v_fmac_f64_e32 v[96:97], v[104:105], v[100:101]
	buffer_load_dword v101, off, s[0:3], 0 offset:348
	buffer_load_dword v100, off, s[0:3], 0 offset:344
	s_waitcnt vmcnt(0)
	v_fmac_f64_e32 v[96:97], v[100:101], v[102:103]
	buffer_load_dword v103, off, s[0:3], 0 offset:356
	buffer_load_dword v102, off, s[0:3], 0 offset:352
	ds_read_b128 v[98:101], v98 offset:720
	s_waitcnt vmcnt(0) lgkmcnt(0)
	v_fmac_f64_e32 v[96:97], v[102:103], v[98:99]
	buffer_load_dword v99, off, s[0:3], 0 offset:364
	buffer_load_dword v98, off, s[0:3], 0 offset:360
	s_waitcnt vmcnt(0)
	v_fmac_f64_e32 v[96:97], v[98:99], v[100:101]
	v_add_f64 v[94:95], v[94:95], -v[96:97]
	buffer_store_dword v95, off, s[0:3], 0 offset:124
	buffer_store_dword v94, off, s[0:3], 0 offset:120
	s_and_saveexec_b64 s[4:5], vcc
	s_cbranch_execz .LBB45_255
; %bb.254:
	buffer_load_dword v94, off, s[0:3], 0 offset:112
	buffer_load_dword v95, off, s[0:3], 0 offset:116
	v_mov_b32_e32 v96, 0
	buffer_store_dword v96, off, s[0:3], 0 offset:112
	buffer_store_dword v96, off, s[0:3], 0 offset:116
	s_waitcnt vmcnt(2)
	ds_write_b64 v1, v[94:95]
.LBB45_255:
	s_or_b64 exec, exec, s[4:5]
	s_waitcnt lgkmcnt(0)
	; wave barrier
	s_waitcnt lgkmcnt(0)
	buffer_load_dword v94, off, s[0:3], 0 offset:112
	buffer_load_dword v95, off, s[0:3], 0 offset:116
	;; [unrolled: 1-line block ×16, first 2 shown]
	v_mov_b32_e32 v98, 0
	ds_read2_b64 v[100:103], v98 offset0:61 offset1:62
	v_cmp_lt_u32_e32 vcc, 13, v0
	s_waitcnt vmcnt(12) lgkmcnt(0)
	v_fma_f64 v[96:97], v[96:97], v[100:101], 0
	s_waitcnt vmcnt(10)
	v_fmac_f64_e32 v[96:97], v[104:105], v[102:103]
	ds_read2_b64 v[100:103], v98 offset0:63 offset1:64
	s_waitcnt vmcnt(8) lgkmcnt(0)
	v_fmac_f64_e32 v[96:97], v[106:107], v[100:101]
	s_waitcnt vmcnt(6)
	v_fmac_f64_e32 v[96:97], v[108:109], v[102:103]
	ds_read2_b64 v[100:103], v98 offset0:65 offset1:66
	s_waitcnt vmcnt(4) lgkmcnt(0)
	v_fmac_f64_e32 v[96:97], v[110:111], v[100:101]
	;; [unrolled: 5-line block ×3, first 2 shown]
	buffer_load_dword v101, off, s[0:3], 0 offset:180
	buffer_load_dword v100, off, s[0:3], 0 offset:176
	buffer_load_dword v105, off, s[0:3], 0 offset:188
	buffer_load_dword v104, off, s[0:3], 0 offset:184
	s_waitcnt vmcnt(2)
	v_fmac_f64_e32 v[96:97], v[100:101], v[102:103]
	ds_read2_b64 v[100:103], v98 offset0:69 offset1:70
	s_waitcnt vmcnt(0) lgkmcnt(0)
	v_fmac_f64_e32 v[96:97], v[104:105], v[100:101]
	buffer_load_dword v101, off, s[0:3], 0 offset:196
	buffer_load_dword v100, off, s[0:3], 0 offset:192
	buffer_load_dword v105, off, s[0:3], 0 offset:204
	buffer_load_dword v104, off, s[0:3], 0 offset:200
	s_waitcnt vmcnt(2)
	v_fmac_f64_e32 v[96:97], v[100:101], v[102:103]
	ds_read2_b64 v[100:103], v98 offset0:71 offset1:72
	s_waitcnt vmcnt(0) lgkmcnt(0)
	v_fmac_f64_e32 v[96:97], v[104:105], v[100:101]
	;; [unrolled: 9-line block ×11, first 2 shown]
	buffer_load_dword v101, off, s[0:3], 0 offset:356
	buffer_load_dword v100, off, s[0:3], 0 offset:352
	s_waitcnt vmcnt(0)
	v_fmac_f64_e32 v[96:97], v[100:101], v[102:103]
	buffer_load_dword v101, off, s[0:3], 0 offset:364
	buffer_load_dword v100, off, s[0:3], 0 offset:360
	ds_read_b64 v[102:103], v98 offset:728
	s_waitcnt vmcnt(0) lgkmcnt(0)
	v_fmac_f64_e32 v[96:97], v[100:101], v[102:103]
	v_add_f64 v[94:95], v[94:95], -v[96:97]
	buffer_store_dword v95, off, s[0:3], 0 offset:116
	buffer_store_dword v94, off, s[0:3], 0 offset:112
	s_and_saveexec_b64 s[4:5], vcc
	s_cbranch_execz .LBB45_257
; %bb.256:
	buffer_load_dword v94, off, s[0:3], 0 offset:104
	buffer_load_dword v95, off, s[0:3], 0 offset:108
	s_waitcnt vmcnt(0)
	ds_write_b64 v1, v[94:95]
	buffer_store_dword v98, off, s[0:3], 0 offset:104
	buffer_store_dword v98, off, s[0:3], 0 offset:108
.LBB45_257:
	s_or_b64 exec, exec, s[4:5]
	s_waitcnt lgkmcnt(0)
	; wave barrier
	s_waitcnt lgkmcnt(0)
	buffer_load_dword v94, off, s[0:3], 0 offset:104
	buffer_load_dword v95, off, s[0:3], 0 offset:108
	;; [unrolled: 1-line block ×16, first 2 shown]
	ds_read_b128 v[100:103], v98 offset:480
	ds_read_b128 v[104:107], v98 offset:496
	;; [unrolled: 1-line block ×4, first 2 shown]
	v_cmp_lt_u32_e32 vcc, 12, v0
	s_waitcnt vmcnt(12) lgkmcnt(3)
	v_fma_f64 v[96:97], v[96:97], v[100:101], 0
	buffer_load_dword v101, off, s[0:3], 0 offset:172
	buffer_load_dword v100, off, s[0:3], 0 offset:168
	s_waitcnt vmcnt(12)
	v_fmac_f64_e32 v[96:97], v[116:117], v[102:103]
	s_waitcnt vmcnt(10) lgkmcnt(2)
	v_fmac_f64_e32 v[96:97], v[118:119], v[104:105]
	buffer_load_dword v105, off, s[0:3], 0 offset:180
	buffer_load_dword v104, off, s[0:3], 0 offset:176
	s_waitcnt vmcnt(10)
	v_fmac_f64_e32 v[96:97], v[120:121], v[106:107]
	s_waitcnt vmcnt(8) lgkmcnt(1)
	v_fmac_f64_e32 v[96:97], v[122:123], v[108:109]
	s_waitcnt vmcnt(6)
	v_fmac_f64_e32 v[96:97], v[124:125], v[110:111]
	s_waitcnt vmcnt(4) lgkmcnt(0)
	v_fmac_f64_e32 v[96:97], v[126:127], v[112:113]
	s_waitcnt vmcnt(2)
	v_fmac_f64_e32 v[96:97], v[100:101], v[114:115]
	ds_read_b128 v[100:103], v98 offset:544
	s_waitcnt vmcnt(0) lgkmcnt(0)
	v_fmac_f64_e32 v[96:97], v[104:105], v[100:101]
	buffer_load_dword v101, off, s[0:3], 0 offset:188
	buffer_load_dword v100, off, s[0:3], 0 offset:184
	buffer_load_dword v105, off, s[0:3], 0 offset:196
	buffer_load_dword v104, off, s[0:3], 0 offset:192
	s_waitcnt vmcnt(2)
	v_fmac_f64_e32 v[96:97], v[100:101], v[102:103]
	ds_read_b128 v[100:103], v98 offset:560
	s_waitcnt vmcnt(0) lgkmcnt(0)
	v_fmac_f64_e32 v[96:97], v[104:105], v[100:101]
	buffer_load_dword v101, off, s[0:3], 0 offset:204
	buffer_load_dword v100, off, s[0:3], 0 offset:200
	buffer_load_dword v105, off, s[0:3], 0 offset:212
	buffer_load_dword v104, off, s[0:3], 0 offset:208
	s_waitcnt vmcnt(2)
	v_fmac_f64_e32 v[96:97], v[100:101], v[102:103]
	ds_read_b128 v[100:103], v98 offset:576
	s_waitcnt vmcnt(0) lgkmcnt(0)
	v_fmac_f64_e32 v[96:97], v[104:105], v[100:101]
	buffer_load_dword v101, off, s[0:3], 0 offset:220
	buffer_load_dword v100, off, s[0:3], 0 offset:216
	buffer_load_dword v105, off, s[0:3], 0 offset:228
	buffer_load_dword v104, off, s[0:3], 0 offset:224
	s_waitcnt vmcnt(2)
	v_fmac_f64_e32 v[96:97], v[100:101], v[102:103]
	ds_read_b128 v[100:103], v98 offset:592
	s_waitcnt vmcnt(0) lgkmcnt(0)
	v_fmac_f64_e32 v[96:97], v[104:105], v[100:101]
	buffer_load_dword v101, off, s[0:3], 0 offset:236
	buffer_load_dword v100, off, s[0:3], 0 offset:232
	buffer_load_dword v105, off, s[0:3], 0 offset:244
	buffer_load_dword v104, off, s[0:3], 0 offset:240
	s_waitcnt vmcnt(2)
	v_fmac_f64_e32 v[96:97], v[100:101], v[102:103]
	ds_read_b128 v[100:103], v98 offset:608
	s_waitcnt vmcnt(0) lgkmcnt(0)
	v_fmac_f64_e32 v[96:97], v[104:105], v[100:101]
	buffer_load_dword v101, off, s[0:3], 0 offset:252
	buffer_load_dword v100, off, s[0:3], 0 offset:248
	buffer_load_dword v105, off, s[0:3], 0 offset:260
	buffer_load_dword v104, off, s[0:3], 0 offset:256
	s_waitcnt vmcnt(2)
	v_fmac_f64_e32 v[96:97], v[100:101], v[102:103]
	ds_read_b128 v[100:103], v98 offset:624
	s_waitcnt vmcnt(0) lgkmcnt(0)
	v_fmac_f64_e32 v[96:97], v[104:105], v[100:101]
	buffer_load_dword v101, off, s[0:3], 0 offset:268
	buffer_load_dword v100, off, s[0:3], 0 offset:264
	buffer_load_dword v105, off, s[0:3], 0 offset:276
	buffer_load_dword v104, off, s[0:3], 0 offset:272
	s_waitcnt vmcnt(2)
	v_fmac_f64_e32 v[96:97], v[100:101], v[102:103]
	ds_read_b128 v[100:103], v98 offset:640
	s_waitcnt vmcnt(0) lgkmcnt(0)
	v_fmac_f64_e32 v[96:97], v[104:105], v[100:101]
	buffer_load_dword v101, off, s[0:3], 0 offset:284
	buffer_load_dword v100, off, s[0:3], 0 offset:280
	buffer_load_dword v105, off, s[0:3], 0 offset:292
	buffer_load_dword v104, off, s[0:3], 0 offset:288
	s_waitcnt vmcnt(2)
	v_fmac_f64_e32 v[96:97], v[100:101], v[102:103]
	ds_read_b128 v[100:103], v98 offset:656
	s_waitcnt vmcnt(0) lgkmcnt(0)
	v_fmac_f64_e32 v[96:97], v[104:105], v[100:101]
	buffer_load_dword v101, off, s[0:3], 0 offset:300
	buffer_load_dword v100, off, s[0:3], 0 offset:296
	buffer_load_dword v105, off, s[0:3], 0 offset:308
	buffer_load_dword v104, off, s[0:3], 0 offset:304
	s_waitcnt vmcnt(2)
	v_fmac_f64_e32 v[96:97], v[100:101], v[102:103]
	ds_read_b128 v[100:103], v98 offset:672
	s_waitcnt vmcnt(0) lgkmcnt(0)
	v_fmac_f64_e32 v[96:97], v[104:105], v[100:101]
	buffer_load_dword v101, off, s[0:3], 0 offset:316
	buffer_load_dword v100, off, s[0:3], 0 offset:312
	buffer_load_dword v105, off, s[0:3], 0 offset:324
	buffer_load_dword v104, off, s[0:3], 0 offset:320
	s_waitcnt vmcnt(2)
	v_fmac_f64_e32 v[96:97], v[100:101], v[102:103]
	ds_read_b128 v[100:103], v98 offset:688
	s_waitcnt vmcnt(0) lgkmcnt(0)
	v_fmac_f64_e32 v[96:97], v[104:105], v[100:101]
	buffer_load_dword v101, off, s[0:3], 0 offset:332
	buffer_load_dword v100, off, s[0:3], 0 offset:328
	buffer_load_dword v105, off, s[0:3], 0 offset:340
	buffer_load_dword v104, off, s[0:3], 0 offset:336
	s_waitcnt vmcnt(2)
	v_fmac_f64_e32 v[96:97], v[100:101], v[102:103]
	ds_read_b128 v[100:103], v98 offset:704
	s_waitcnt vmcnt(0) lgkmcnt(0)
	v_fmac_f64_e32 v[96:97], v[104:105], v[100:101]
	buffer_load_dword v101, off, s[0:3], 0 offset:348
	buffer_load_dword v100, off, s[0:3], 0 offset:344
	s_waitcnt vmcnt(0)
	v_fmac_f64_e32 v[96:97], v[100:101], v[102:103]
	buffer_load_dword v103, off, s[0:3], 0 offset:356
	buffer_load_dword v102, off, s[0:3], 0 offset:352
	ds_read_b128 v[98:101], v98 offset:720
	s_waitcnt vmcnt(0) lgkmcnt(0)
	v_fmac_f64_e32 v[96:97], v[102:103], v[98:99]
	buffer_load_dword v99, off, s[0:3], 0 offset:364
	buffer_load_dword v98, off, s[0:3], 0 offset:360
	s_waitcnt vmcnt(0)
	v_fmac_f64_e32 v[96:97], v[98:99], v[100:101]
	v_add_f64 v[94:95], v[94:95], -v[96:97]
	buffer_store_dword v95, off, s[0:3], 0 offset:108
	buffer_store_dword v94, off, s[0:3], 0 offset:104
	s_and_saveexec_b64 s[4:5], vcc
	s_cbranch_execz .LBB45_259
; %bb.258:
	buffer_load_dword v94, off, s[0:3], 0 offset:96
	buffer_load_dword v95, off, s[0:3], 0 offset:100
	v_mov_b32_e32 v96, 0
	buffer_store_dword v96, off, s[0:3], 0 offset:96
	buffer_store_dword v96, off, s[0:3], 0 offset:100
	s_waitcnt vmcnt(2)
	ds_write_b64 v1, v[94:95]
.LBB45_259:
	s_or_b64 exec, exec, s[4:5]
	s_waitcnt lgkmcnt(0)
	; wave barrier
	s_waitcnt lgkmcnt(0)
	buffer_load_dword v94, off, s[0:3], 0 offset:96
	buffer_load_dword v95, off, s[0:3], 0 offset:100
	;; [unrolled: 1-line block ×16, first 2 shown]
	v_mov_b32_e32 v98, 0
	ds_read2_b64 v[100:103], v98 offset0:59 offset1:60
	v_cmp_lt_u32_e32 vcc, 11, v0
	s_waitcnt vmcnt(12) lgkmcnt(0)
	v_fma_f64 v[96:97], v[96:97], v[100:101], 0
	s_waitcnt vmcnt(10)
	v_fmac_f64_e32 v[96:97], v[104:105], v[102:103]
	ds_read2_b64 v[100:103], v98 offset0:61 offset1:62
	s_waitcnt vmcnt(8) lgkmcnt(0)
	v_fmac_f64_e32 v[96:97], v[106:107], v[100:101]
	s_waitcnt vmcnt(6)
	v_fmac_f64_e32 v[96:97], v[108:109], v[102:103]
	ds_read2_b64 v[100:103], v98 offset0:63 offset1:64
	s_waitcnt vmcnt(4) lgkmcnt(0)
	v_fmac_f64_e32 v[96:97], v[110:111], v[100:101]
	;; [unrolled: 5-line block ×3, first 2 shown]
	buffer_load_dword v101, off, s[0:3], 0 offset:164
	buffer_load_dword v100, off, s[0:3], 0 offset:160
	buffer_load_dword v105, off, s[0:3], 0 offset:172
	buffer_load_dword v104, off, s[0:3], 0 offset:168
	s_waitcnt vmcnt(2)
	v_fmac_f64_e32 v[96:97], v[100:101], v[102:103]
	ds_read2_b64 v[100:103], v98 offset0:67 offset1:68
	s_waitcnt vmcnt(0) lgkmcnt(0)
	v_fmac_f64_e32 v[96:97], v[104:105], v[100:101]
	buffer_load_dword v101, off, s[0:3], 0 offset:180
	buffer_load_dword v100, off, s[0:3], 0 offset:176
	buffer_load_dword v105, off, s[0:3], 0 offset:188
	buffer_load_dword v104, off, s[0:3], 0 offset:184
	s_waitcnt vmcnt(2)
	v_fmac_f64_e32 v[96:97], v[100:101], v[102:103]
	ds_read2_b64 v[100:103], v98 offset0:69 offset1:70
	s_waitcnt vmcnt(0) lgkmcnt(0)
	v_fmac_f64_e32 v[96:97], v[104:105], v[100:101]
	;; [unrolled: 9-line block ×12, first 2 shown]
	buffer_load_dword v101, off, s[0:3], 0 offset:356
	buffer_load_dword v100, off, s[0:3], 0 offset:352
	s_waitcnt vmcnt(0)
	v_fmac_f64_e32 v[96:97], v[100:101], v[102:103]
	buffer_load_dword v101, off, s[0:3], 0 offset:364
	buffer_load_dword v100, off, s[0:3], 0 offset:360
	ds_read_b64 v[102:103], v98 offset:728
	s_waitcnt vmcnt(0) lgkmcnt(0)
	v_fmac_f64_e32 v[96:97], v[100:101], v[102:103]
	v_add_f64 v[94:95], v[94:95], -v[96:97]
	buffer_store_dword v95, off, s[0:3], 0 offset:100
	buffer_store_dword v94, off, s[0:3], 0 offset:96
	s_and_saveexec_b64 s[4:5], vcc
	s_cbranch_execz .LBB45_261
; %bb.260:
	buffer_load_dword v94, off, s[0:3], 0 offset:88
	buffer_load_dword v95, off, s[0:3], 0 offset:92
	s_waitcnt vmcnt(0)
	ds_write_b64 v1, v[94:95]
	buffer_store_dword v98, off, s[0:3], 0 offset:88
	buffer_store_dword v98, off, s[0:3], 0 offset:92
.LBB45_261:
	s_or_b64 exec, exec, s[4:5]
	s_waitcnt lgkmcnt(0)
	; wave barrier
	s_waitcnt lgkmcnt(0)
	buffer_load_dword v94, off, s[0:3], 0 offset:88
	buffer_load_dword v95, off, s[0:3], 0 offset:92
	buffer_load_dword v96, off, s[0:3], 0 offset:96
	buffer_load_dword v97, off, s[0:3], 0 offset:100
	buffer_load_dword v116, off, s[0:3], 0 offset:104
	buffer_load_dword v117, off, s[0:3], 0 offset:108
	buffer_load_dword v118, off, s[0:3], 0 offset:112
	buffer_load_dword v119, off, s[0:3], 0 offset:116
	buffer_load_dword v120, off, s[0:3], 0 offset:120
	buffer_load_dword v121, off, s[0:3], 0 offset:124
	buffer_load_dword v122, off, s[0:3], 0 offset:128
	buffer_load_dword v123, off, s[0:3], 0 offset:132
	buffer_load_dword v124, off, s[0:3], 0 offset:136
	buffer_load_dword v125, off, s[0:3], 0 offset:140
	buffer_load_dword v126, off, s[0:3], 0 offset:144
	buffer_load_dword v127, off, s[0:3], 0 offset:148
	ds_read_b128 v[100:103], v98 offset:464
	ds_read_b128 v[104:107], v98 offset:480
	;; [unrolled: 1-line block ×4, first 2 shown]
	v_cmp_lt_u32_e32 vcc, 10, v0
	s_waitcnt vmcnt(12) lgkmcnt(3)
	v_fma_f64 v[96:97], v[96:97], v[100:101], 0
	buffer_load_dword v101, off, s[0:3], 0 offset:156
	buffer_load_dword v100, off, s[0:3], 0 offset:152
	s_waitcnt vmcnt(12)
	v_fmac_f64_e32 v[96:97], v[116:117], v[102:103]
	s_waitcnt vmcnt(10) lgkmcnt(2)
	v_fmac_f64_e32 v[96:97], v[118:119], v[104:105]
	buffer_load_dword v105, off, s[0:3], 0 offset:164
	buffer_load_dword v104, off, s[0:3], 0 offset:160
	s_waitcnt vmcnt(10)
	v_fmac_f64_e32 v[96:97], v[120:121], v[106:107]
	s_waitcnt vmcnt(8) lgkmcnt(1)
	v_fmac_f64_e32 v[96:97], v[122:123], v[108:109]
	s_waitcnt vmcnt(6)
	v_fmac_f64_e32 v[96:97], v[124:125], v[110:111]
	s_waitcnt vmcnt(4) lgkmcnt(0)
	v_fmac_f64_e32 v[96:97], v[126:127], v[112:113]
	s_waitcnt vmcnt(2)
	v_fmac_f64_e32 v[96:97], v[100:101], v[114:115]
	ds_read_b128 v[100:103], v98 offset:528
	s_waitcnt vmcnt(0) lgkmcnt(0)
	v_fmac_f64_e32 v[96:97], v[104:105], v[100:101]
	buffer_load_dword v101, off, s[0:3], 0 offset:172
	buffer_load_dword v100, off, s[0:3], 0 offset:168
	buffer_load_dword v105, off, s[0:3], 0 offset:180
	buffer_load_dword v104, off, s[0:3], 0 offset:176
	s_waitcnt vmcnt(2)
	v_fmac_f64_e32 v[96:97], v[100:101], v[102:103]
	ds_read_b128 v[100:103], v98 offset:544
	s_waitcnt vmcnt(0) lgkmcnt(0)
	v_fmac_f64_e32 v[96:97], v[104:105], v[100:101]
	buffer_load_dword v101, off, s[0:3], 0 offset:188
	buffer_load_dword v100, off, s[0:3], 0 offset:184
	buffer_load_dword v105, off, s[0:3], 0 offset:196
	buffer_load_dword v104, off, s[0:3], 0 offset:192
	;; [unrolled: 9-line block ×11, first 2 shown]
	s_waitcnt vmcnt(2)
	v_fmac_f64_e32 v[96:97], v[100:101], v[102:103]
	ds_read_b128 v[100:103], v98 offset:704
	s_waitcnt vmcnt(0) lgkmcnt(0)
	v_fmac_f64_e32 v[96:97], v[104:105], v[100:101]
	buffer_load_dword v101, off, s[0:3], 0 offset:348
	buffer_load_dword v100, off, s[0:3], 0 offset:344
	s_waitcnt vmcnt(0)
	v_fmac_f64_e32 v[96:97], v[100:101], v[102:103]
	buffer_load_dword v103, off, s[0:3], 0 offset:356
	buffer_load_dword v102, off, s[0:3], 0 offset:352
	ds_read_b128 v[98:101], v98 offset:720
	s_waitcnt vmcnt(0) lgkmcnt(0)
	v_fmac_f64_e32 v[96:97], v[102:103], v[98:99]
	buffer_load_dword v99, off, s[0:3], 0 offset:364
	buffer_load_dword v98, off, s[0:3], 0 offset:360
	s_waitcnt vmcnt(0)
	v_fmac_f64_e32 v[96:97], v[98:99], v[100:101]
	v_add_f64 v[94:95], v[94:95], -v[96:97]
	buffer_store_dword v95, off, s[0:3], 0 offset:92
	buffer_store_dword v94, off, s[0:3], 0 offset:88
	s_and_saveexec_b64 s[4:5], vcc
	s_cbranch_execz .LBB45_263
; %bb.262:
	buffer_load_dword v94, off, s[0:3], 0 offset:80
	buffer_load_dword v95, off, s[0:3], 0 offset:84
	v_mov_b32_e32 v96, 0
	buffer_store_dword v96, off, s[0:3], 0 offset:80
	buffer_store_dword v96, off, s[0:3], 0 offset:84
	s_waitcnt vmcnt(2)
	ds_write_b64 v1, v[94:95]
.LBB45_263:
	s_or_b64 exec, exec, s[4:5]
	s_waitcnt lgkmcnt(0)
	; wave barrier
	s_waitcnt lgkmcnt(0)
	buffer_load_dword v94, off, s[0:3], 0 offset:80
	buffer_load_dword v95, off, s[0:3], 0 offset:84
	;; [unrolled: 1-line block ×16, first 2 shown]
	v_mov_b32_e32 v98, 0
	ds_read2_b64 v[100:103], v98 offset0:57 offset1:58
	v_cmp_lt_u32_e32 vcc, 9, v0
	s_waitcnt vmcnt(12) lgkmcnt(0)
	v_fma_f64 v[96:97], v[96:97], v[100:101], 0
	s_waitcnt vmcnt(10)
	v_fmac_f64_e32 v[96:97], v[104:105], v[102:103]
	ds_read2_b64 v[100:103], v98 offset0:59 offset1:60
	s_waitcnt vmcnt(8) lgkmcnt(0)
	v_fmac_f64_e32 v[96:97], v[106:107], v[100:101]
	s_waitcnt vmcnt(6)
	v_fmac_f64_e32 v[96:97], v[108:109], v[102:103]
	ds_read2_b64 v[100:103], v98 offset0:61 offset1:62
	s_waitcnt vmcnt(4) lgkmcnt(0)
	v_fmac_f64_e32 v[96:97], v[110:111], v[100:101]
	;; [unrolled: 5-line block ×3, first 2 shown]
	buffer_load_dword v101, off, s[0:3], 0 offset:148
	buffer_load_dword v100, off, s[0:3], 0 offset:144
	buffer_load_dword v105, off, s[0:3], 0 offset:156
	buffer_load_dword v104, off, s[0:3], 0 offset:152
	s_waitcnt vmcnt(2)
	v_fmac_f64_e32 v[96:97], v[100:101], v[102:103]
	ds_read2_b64 v[100:103], v98 offset0:65 offset1:66
	s_waitcnt vmcnt(0) lgkmcnt(0)
	v_fmac_f64_e32 v[96:97], v[104:105], v[100:101]
	buffer_load_dword v101, off, s[0:3], 0 offset:164
	buffer_load_dword v100, off, s[0:3], 0 offset:160
	buffer_load_dword v105, off, s[0:3], 0 offset:172
	buffer_load_dword v104, off, s[0:3], 0 offset:168
	s_waitcnt vmcnt(2)
	v_fmac_f64_e32 v[96:97], v[100:101], v[102:103]
	ds_read2_b64 v[100:103], v98 offset0:67 offset1:68
	s_waitcnt vmcnt(0) lgkmcnt(0)
	v_fmac_f64_e32 v[96:97], v[104:105], v[100:101]
	;; [unrolled: 9-line block ×13, first 2 shown]
	buffer_load_dword v101, off, s[0:3], 0 offset:356
	buffer_load_dword v100, off, s[0:3], 0 offset:352
	s_waitcnt vmcnt(0)
	v_fmac_f64_e32 v[96:97], v[100:101], v[102:103]
	buffer_load_dword v101, off, s[0:3], 0 offset:364
	buffer_load_dword v100, off, s[0:3], 0 offset:360
	ds_read_b64 v[102:103], v98 offset:728
	s_waitcnt vmcnt(0) lgkmcnt(0)
	v_fmac_f64_e32 v[96:97], v[100:101], v[102:103]
	v_add_f64 v[94:95], v[94:95], -v[96:97]
	buffer_store_dword v95, off, s[0:3], 0 offset:84
	buffer_store_dword v94, off, s[0:3], 0 offset:80
	s_and_saveexec_b64 s[4:5], vcc
	s_cbranch_execz .LBB45_265
; %bb.264:
	buffer_load_dword v94, off, s[0:3], 0 offset:72
	buffer_load_dword v95, off, s[0:3], 0 offset:76
	s_waitcnt vmcnt(0)
	ds_write_b64 v1, v[94:95]
	buffer_store_dword v98, off, s[0:3], 0 offset:72
	buffer_store_dword v98, off, s[0:3], 0 offset:76
.LBB45_265:
	s_or_b64 exec, exec, s[4:5]
	s_waitcnt lgkmcnt(0)
	; wave barrier
	s_waitcnt lgkmcnt(0)
	buffer_load_dword v94, off, s[0:3], 0 offset:72
	buffer_load_dword v95, off, s[0:3], 0 offset:76
	;; [unrolled: 1-line block ×16, first 2 shown]
	ds_read_b128 v[100:103], v98 offset:448
	ds_read_b128 v[104:107], v98 offset:464
	ds_read_b128 v[108:111], v98 offset:480
	ds_read_b128 v[112:115], v98 offset:496
	v_cmp_lt_u32_e32 vcc, 8, v0
	s_waitcnt vmcnt(12) lgkmcnt(3)
	v_fma_f64 v[96:97], v[96:97], v[100:101], 0
	buffer_load_dword v101, off, s[0:3], 0 offset:140
	buffer_load_dword v100, off, s[0:3], 0 offset:136
	s_waitcnt vmcnt(12)
	v_fmac_f64_e32 v[96:97], v[116:117], v[102:103]
	s_waitcnt vmcnt(10) lgkmcnt(2)
	v_fmac_f64_e32 v[96:97], v[118:119], v[104:105]
	buffer_load_dword v105, off, s[0:3], 0 offset:148
	buffer_load_dword v104, off, s[0:3], 0 offset:144
	s_waitcnt vmcnt(10)
	v_fmac_f64_e32 v[96:97], v[120:121], v[106:107]
	s_waitcnt vmcnt(8) lgkmcnt(1)
	v_fmac_f64_e32 v[96:97], v[122:123], v[108:109]
	s_waitcnt vmcnt(6)
	v_fmac_f64_e32 v[96:97], v[124:125], v[110:111]
	s_waitcnt vmcnt(4) lgkmcnt(0)
	v_fmac_f64_e32 v[96:97], v[126:127], v[112:113]
	s_waitcnt vmcnt(2)
	v_fmac_f64_e32 v[96:97], v[100:101], v[114:115]
	ds_read_b128 v[100:103], v98 offset:512
	s_waitcnt vmcnt(0) lgkmcnt(0)
	v_fmac_f64_e32 v[96:97], v[104:105], v[100:101]
	buffer_load_dword v101, off, s[0:3], 0 offset:156
	buffer_load_dword v100, off, s[0:3], 0 offset:152
	buffer_load_dword v105, off, s[0:3], 0 offset:164
	buffer_load_dword v104, off, s[0:3], 0 offset:160
	s_waitcnt vmcnt(2)
	v_fmac_f64_e32 v[96:97], v[100:101], v[102:103]
	ds_read_b128 v[100:103], v98 offset:528
	s_waitcnt vmcnt(0) lgkmcnt(0)
	v_fmac_f64_e32 v[96:97], v[104:105], v[100:101]
	buffer_load_dword v101, off, s[0:3], 0 offset:172
	buffer_load_dword v100, off, s[0:3], 0 offset:168
	buffer_load_dword v105, off, s[0:3], 0 offset:180
	buffer_load_dword v104, off, s[0:3], 0 offset:176
	;; [unrolled: 9-line block ×12, first 2 shown]
	s_waitcnt vmcnt(2)
	v_fmac_f64_e32 v[96:97], v[100:101], v[102:103]
	ds_read_b128 v[100:103], v98 offset:704
	s_waitcnt vmcnt(0) lgkmcnt(0)
	v_fmac_f64_e32 v[96:97], v[104:105], v[100:101]
	buffer_load_dword v101, off, s[0:3], 0 offset:348
	buffer_load_dword v100, off, s[0:3], 0 offset:344
	s_waitcnt vmcnt(0)
	v_fmac_f64_e32 v[96:97], v[100:101], v[102:103]
	buffer_load_dword v103, off, s[0:3], 0 offset:356
	buffer_load_dword v102, off, s[0:3], 0 offset:352
	ds_read_b128 v[98:101], v98 offset:720
	s_waitcnt vmcnt(0) lgkmcnt(0)
	v_fmac_f64_e32 v[96:97], v[102:103], v[98:99]
	buffer_load_dword v99, off, s[0:3], 0 offset:364
	buffer_load_dword v98, off, s[0:3], 0 offset:360
	s_waitcnt vmcnt(0)
	v_fmac_f64_e32 v[96:97], v[98:99], v[100:101]
	v_add_f64 v[94:95], v[94:95], -v[96:97]
	buffer_store_dword v95, off, s[0:3], 0 offset:76
	buffer_store_dword v94, off, s[0:3], 0 offset:72
	s_and_saveexec_b64 s[4:5], vcc
	s_cbranch_execz .LBB45_267
; %bb.266:
	buffer_load_dword v94, off, s[0:3], 0 offset:64
	buffer_load_dword v95, off, s[0:3], 0 offset:68
	v_mov_b32_e32 v96, 0
	buffer_store_dword v96, off, s[0:3], 0 offset:64
	buffer_store_dword v96, off, s[0:3], 0 offset:68
	s_waitcnt vmcnt(2)
	ds_write_b64 v1, v[94:95]
.LBB45_267:
	s_or_b64 exec, exec, s[4:5]
	s_waitcnt lgkmcnt(0)
	; wave barrier
	s_waitcnt lgkmcnt(0)
	buffer_load_dword v94, off, s[0:3], 0 offset:64
	buffer_load_dword v95, off, s[0:3], 0 offset:68
	;; [unrolled: 1-line block ×16, first 2 shown]
	v_mov_b32_e32 v98, 0
	ds_read2_b64 v[100:103], v98 offset0:55 offset1:56
	v_cmp_lt_u32_e32 vcc, 7, v0
	s_waitcnt vmcnt(12) lgkmcnt(0)
	v_fma_f64 v[96:97], v[96:97], v[100:101], 0
	s_waitcnt vmcnt(10)
	v_fmac_f64_e32 v[96:97], v[104:105], v[102:103]
	ds_read2_b64 v[100:103], v98 offset0:57 offset1:58
	s_waitcnt vmcnt(8) lgkmcnt(0)
	v_fmac_f64_e32 v[96:97], v[106:107], v[100:101]
	s_waitcnt vmcnt(6)
	v_fmac_f64_e32 v[96:97], v[108:109], v[102:103]
	ds_read2_b64 v[100:103], v98 offset0:59 offset1:60
	s_waitcnt vmcnt(4) lgkmcnt(0)
	v_fmac_f64_e32 v[96:97], v[110:111], v[100:101]
	;; [unrolled: 5-line block ×3, first 2 shown]
	buffer_load_dword v101, off, s[0:3], 0 offset:132
	buffer_load_dword v100, off, s[0:3], 0 offset:128
	buffer_load_dword v105, off, s[0:3], 0 offset:140
	buffer_load_dword v104, off, s[0:3], 0 offset:136
	s_waitcnt vmcnt(2)
	v_fmac_f64_e32 v[96:97], v[100:101], v[102:103]
	ds_read2_b64 v[100:103], v98 offset0:63 offset1:64
	s_waitcnt vmcnt(0) lgkmcnt(0)
	v_fmac_f64_e32 v[96:97], v[104:105], v[100:101]
	buffer_load_dword v101, off, s[0:3], 0 offset:148
	buffer_load_dword v100, off, s[0:3], 0 offset:144
	buffer_load_dword v105, off, s[0:3], 0 offset:156
	buffer_load_dword v104, off, s[0:3], 0 offset:152
	s_waitcnt vmcnt(2)
	v_fmac_f64_e32 v[96:97], v[100:101], v[102:103]
	ds_read2_b64 v[100:103], v98 offset0:65 offset1:66
	s_waitcnt vmcnt(0) lgkmcnt(0)
	v_fmac_f64_e32 v[96:97], v[104:105], v[100:101]
	;; [unrolled: 9-line block ×14, first 2 shown]
	buffer_load_dword v101, off, s[0:3], 0 offset:356
	buffer_load_dword v100, off, s[0:3], 0 offset:352
	s_waitcnt vmcnt(0)
	v_fmac_f64_e32 v[96:97], v[100:101], v[102:103]
	buffer_load_dword v101, off, s[0:3], 0 offset:364
	buffer_load_dword v100, off, s[0:3], 0 offset:360
	ds_read_b64 v[102:103], v98 offset:728
	s_waitcnt vmcnt(0) lgkmcnt(0)
	v_fmac_f64_e32 v[96:97], v[100:101], v[102:103]
	v_add_f64 v[94:95], v[94:95], -v[96:97]
	buffer_store_dword v95, off, s[0:3], 0 offset:68
	buffer_store_dword v94, off, s[0:3], 0 offset:64
	s_and_saveexec_b64 s[4:5], vcc
	s_cbranch_execz .LBB45_269
; %bb.268:
	buffer_load_dword v94, off, s[0:3], 0 offset:56
	buffer_load_dword v95, off, s[0:3], 0 offset:60
	s_waitcnt vmcnt(0)
	ds_write_b64 v1, v[94:95]
	buffer_store_dword v98, off, s[0:3], 0 offset:56
	buffer_store_dword v98, off, s[0:3], 0 offset:60
.LBB45_269:
	s_or_b64 exec, exec, s[4:5]
	s_waitcnt lgkmcnt(0)
	; wave barrier
	s_waitcnt lgkmcnt(0)
	buffer_load_dword v94, off, s[0:3], 0 offset:56
	buffer_load_dword v95, off, s[0:3], 0 offset:60
	;; [unrolled: 1-line block ×16, first 2 shown]
	ds_read_b128 v[100:103], v98 offset:432
	ds_read_b128 v[104:107], v98 offset:448
	;; [unrolled: 1-line block ×4, first 2 shown]
	v_cmp_lt_u32_e32 vcc, 6, v0
	s_waitcnt vmcnt(12) lgkmcnt(3)
	v_fma_f64 v[96:97], v[96:97], v[100:101], 0
	buffer_load_dword v101, off, s[0:3], 0 offset:124
	buffer_load_dword v100, off, s[0:3], 0 offset:120
	s_waitcnt vmcnt(12)
	v_fmac_f64_e32 v[96:97], v[116:117], v[102:103]
	s_waitcnt vmcnt(10) lgkmcnt(2)
	v_fmac_f64_e32 v[96:97], v[118:119], v[104:105]
	buffer_load_dword v105, off, s[0:3], 0 offset:132
	buffer_load_dword v104, off, s[0:3], 0 offset:128
	s_waitcnt vmcnt(10)
	v_fmac_f64_e32 v[96:97], v[120:121], v[106:107]
	s_waitcnt vmcnt(8) lgkmcnt(1)
	v_fmac_f64_e32 v[96:97], v[122:123], v[108:109]
	s_waitcnt vmcnt(6)
	v_fmac_f64_e32 v[96:97], v[124:125], v[110:111]
	s_waitcnt vmcnt(4) lgkmcnt(0)
	v_fmac_f64_e32 v[96:97], v[126:127], v[112:113]
	s_waitcnt vmcnt(2)
	v_fmac_f64_e32 v[96:97], v[100:101], v[114:115]
	ds_read_b128 v[100:103], v98 offset:496
	s_waitcnt vmcnt(0) lgkmcnt(0)
	v_fmac_f64_e32 v[96:97], v[104:105], v[100:101]
	buffer_load_dword v101, off, s[0:3], 0 offset:140
	buffer_load_dword v100, off, s[0:3], 0 offset:136
	buffer_load_dword v105, off, s[0:3], 0 offset:148
	buffer_load_dword v104, off, s[0:3], 0 offset:144
	s_waitcnt vmcnt(2)
	v_fmac_f64_e32 v[96:97], v[100:101], v[102:103]
	ds_read_b128 v[100:103], v98 offset:512
	s_waitcnt vmcnt(0) lgkmcnt(0)
	v_fmac_f64_e32 v[96:97], v[104:105], v[100:101]
	buffer_load_dword v101, off, s[0:3], 0 offset:156
	buffer_load_dword v100, off, s[0:3], 0 offset:152
	buffer_load_dword v105, off, s[0:3], 0 offset:164
	buffer_load_dword v104, off, s[0:3], 0 offset:160
	;; [unrolled: 9-line block ×13, first 2 shown]
	s_waitcnt vmcnt(2)
	v_fmac_f64_e32 v[96:97], v[100:101], v[102:103]
	ds_read_b128 v[100:103], v98 offset:704
	s_waitcnt vmcnt(0) lgkmcnt(0)
	v_fmac_f64_e32 v[96:97], v[104:105], v[100:101]
	buffer_load_dword v101, off, s[0:3], 0 offset:348
	buffer_load_dword v100, off, s[0:3], 0 offset:344
	s_waitcnt vmcnt(0)
	v_fmac_f64_e32 v[96:97], v[100:101], v[102:103]
	buffer_load_dword v103, off, s[0:3], 0 offset:356
	buffer_load_dword v102, off, s[0:3], 0 offset:352
	ds_read_b128 v[98:101], v98 offset:720
	s_waitcnt vmcnt(0) lgkmcnt(0)
	v_fmac_f64_e32 v[96:97], v[102:103], v[98:99]
	buffer_load_dword v99, off, s[0:3], 0 offset:364
	buffer_load_dword v98, off, s[0:3], 0 offset:360
	s_waitcnt vmcnt(0)
	v_fmac_f64_e32 v[96:97], v[98:99], v[100:101]
	v_add_f64 v[94:95], v[94:95], -v[96:97]
	buffer_store_dword v95, off, s[0:3], 0 offset:60
	buffer_store_dword v94, off, s[0:3], 0 offset:56
	s_and_saveexec_b64 s[4:5], vcc
	s_cbranch_execz .LBB45_271
; %bb.270:
	buffer_load_dword v94, off, s[0:3], 0 offset:48
	buffer_load_dword v95, off, s[0:3], 0 offset:52
	v_mov_b32_e32 v96, 0
	buffer_store_dword v96, off, s[0:3], 0 offset:48
	buffer_store_dword v96, off, s[0:3], 0 offset:52
	s_waitcnt vmcnt(2)
	ds_write_b64 v1, v[94:95]
.LBB45_271:
	s_or_b64 exec, exec, s[4:5]
	s_waitcnt lgkmcnt(0)
	; wave barrier
	s_waitcnt lgkmcnt(0)
	buffer_load_dword v94, off, s[0:3], 0 offset:48
	buffer_load_dword v95, off, s[0:3], 0 offset:52
	;; [unrolled: 1-line block ×16, first 2 shown]
	v_mov_b32_e32 v98, 0
	ds_read2_b64 v[100:103], v98 offset0:53 offset1:54
	v_cmp_lt_u32_e32 vcc, 5, v0
	s_waitcnt vmcnt(12) lgkmcnt(0)
	v_fma_f64 v[96:97], v[96:97], v[100:101], 0
	s_waitcnt vmcnt(10)
	v_fmac_f64_e32 v[96:97], v[104:105], v[102:103]
	ds_read2_b64 v[100:103], v98 offset0:55 offset1:56
	s_waitcnt vmcnt(8) lgkmcnt(0)
	v_fmac_f64_e32 v[96:97], v[106:107], v[100:101]
	s_waitcnt vmcnt(6)
	v_fmac_f64_e32 v[96:97], v[108:109], v[102:103]
	ds_read2_b64 v[100:103], v98 offset0:57 offset1:58
	s_waitcnt vmcnt(4) lgkmcnt(0)
	v_fmac_f64_e32 v[96:97], v[110:111], v[100:101]
	;; [unrolled: 5-line block ×3, first 2 shown]
	buffer_load_dword v101, off, s[0:3], 0 offset:116
	buffer_load_dword v100, off, s[0:3], 0 offset:112
	buffer_load_dword v105, off, s[0:3], 0 offset:124
	buffer_load_dword v104, off, s[0:3], 0 offset:120
	s_waitcnt vmcnt(2)
	v_fmac_f64_e32 v[96:97], v[100:101], v[102:103]
	ds_read2_b64 v[100:103], v98 offset0:61 offset1:62
	s_waitcnt vmcnt(0) lgkmcnt(0)
	v_fmac_f64_e32 v[96:97], v[104:105], v[100:101]
	buffer_load_dword v101, off, s[0:3], 0 offset:132
	buffer_load_dword v100, off, s[0:3], 0 offset:128
	buffer_load_dword v105, off, s[0:3], 0 offset:140
	buffer_load_dword v104, off, s[0:3], 0 offset:136
	s_waitcnt vmcnt(2)
	v_fmac_f64_e32 v[96:97], v[100:101], v[102:103]
	ds_read2_b64 v[100:103], v98 offset0:63 offset1:64
	s_waitcnt vmcnt(0) lgkmcnt(0)
	v_fmac_f64_e32 v[96:97], v[104:105], v[100:101]
	;; [unrolled: 9-line block ×15, first 2 shown]
	buffer_load_dword v101, off, s[0:3], 0 offset:356
	buffer_load_dword v100, off, s[0:3], 0 offset:352
	s_waitcnt vmcnt(0)
	v_fmac_f64_e32 v[96:97], v[100:101], v[102:103]
	buffer_load_dword v101, off, s[0:3], 0 offset:364
	buffer_load_dword v100, off, s[0:3], 0 offset:360
	ds_read_b64 v[102:103], v98 offset:728
	s_waitcnt vmcnt(0) lgkmcnt(0)
	v_fmac_f64_e32 v[96:97], v[100:101], v[102:103]
	v_add_f64 v[94:95], v[94:95], -v[96:97]
	buffer_store_dword v95, off, s[0:3], 0 offset:52
	buffer_store_dword v94, off, s[0:3], 0 offset:48
	s_and_saveexec_b64 s[4:5], vcc
	s_cbranch_execz .LBB45_273
; %bb.272:
	buffer_load_dword v94, off, s[0:3], 0 offset:40
	buffer_load_dword v95, off, s[0:3], 0 offset:44
	s_waitcnt vmcnt(0)
	ds_write_b64 v1, v[94:95]
	buffer_store_dword v98, off, s[0:3], 0 offset:40
	buffer_store_dword v98, off, s[0:3], 0 offset:44
.LBB45_273:
	s_or_b64 exec, exec, s[4:5]
	s_waitcnt lgkmcnt(0)
	; wave barrier
	s_waitcnt lgkmcnt(0)
	buffer_load_dword v94, off, s[0:3], 0 offset:40
	buffer_load_dword v95, off, s[0:3], 0 offset:44
	;; [unrolled: 1-line block ×16, first 2 shown]
	ds_read_b128 v[100:103], v98 offset:416
	ds_read_b128 v[104:107], v98 offset:432
	;; [unrolled: 1-line block ×4, first 2 shown]
	v_cmp_lt_u32_e32 vcc, 4, v0
	s_waitcnt vmcnt(12) lgkmcnt(3)
	v_fma_f64 v[96:97], v[96:97], v[100:101], 0
	buffer_load_dword v101, off, s[0:3], 0 offset:108
	buffer_load_dword v100, off, s[0:3], 0 offset:104
	s_waitcnt vmcnt(12)
	v_fmac_f64_e32 v[96:97], v[116:117], v[102:103]
	s_waitcnt vmcnt(10) lgkmcnt(2)
	v_fmac_f64_e32 v[96:97], v[118:119], v[104:105]
	buffer_load_dword v105, off, s[0:3], 0 offset:116
	buffer_load_dword v104, off, s[0:3], 0 offset:112
	s_waitcnt vmcnt(10)
	v_fmac_f64_e32 v[96:97], v[120:121], v[106:107]
	s_waitcnt vmcnt(8) lgkmcnt(1)
	v_fmac_f64_e32 v[96:97], v[122:123], v[108:109]
	s_waitcnt vmcnt(6)
	v_fmac_f64_e32 v[96:97], v[124:125], v[110:111]
	s_waitcnt vmcnt(4) lgkmcnt(0)
	v_fmac_f64_e32 v[96:97], v[126:127], v[112:113]
	s_waitcnt vmcnt(2)
	v_fmac_f64_e32 v[96:97], v[100:101], v[114:115]
	ds_read_b128 v[100:103], v98 offset:480
	s_waitcnt vmcnt(0) lgkmcnt(0)
	v_fmac_f64_e32 v[96:97], v[104:105], v[100:101]
	buffer_load_dword v101, off, s[0:3], 0 offset:124
	buffer_load_dword v100, off, s[0:3], 0 offset:120
	buffer_load_dword v105, off, s[0:3], 0 offset:132
	buffer_load_dword v104, off, s[0:3], 0 offset:128
	s_waitcnt vmcnt(2)
	v_fmac_f64_e32 v[96:97], v[100:101], v[102:103]
	ds_read_b128 v[100:103], v98 offset:496
	s_waitcnt vmcnt(0) lgkmcnt(0)
	v_fmac_f64_e32 v[96:97], v[104:105], v[100:101]
	buffer_load_dword v101, off, s[0:3], 0 offset:140
	buffer_load_dword v100, off, s[0:3], 0 offset:136
	buffer_load_dword v105, off, s[0:3], 0 offset:148
	buffer_load_dword v104, off, s[0:3], 0 offset:144
	;; [unrolled: 9-line block ×14, first 2 shown]
	s_waitcnt vmcnt(2)
	v_fmac_f64_e32 v[96:97], v[100:101], v[102:103]
	ds_read_b128 v[100:103], v98 offset:704
	s_waitcnt vmcnt(0) lgkmcnt(0)
	v_fmac_f64_e32 v[96:97], v[104:105], v[100:101]
	buffer_load_dword v101, off, s[0:3], 0 offset:348
	buffer_load_dword v100, off, s[0:3], 0 offset:344
	s_waitcnt vmcnt(0)
	v_fmac_f64_e32 v[96:97], v[100:101], v[102:103]
	buffer_load_dword v103, off, s[0:3], 0 offset:356
	buffer_load_dword v102, off, s[0:3], 0 offset:352
	ds_read_b128 v[98:101], v98 offset:720
	s_waitcnt vmcnt(0) lgkmcnt(0)
	v_fmac_f64_e32 v[96:97], v[102:103], v[98:99]
	buffer_load_dword v99, off, s[0:3], 0 offset:364
	buffer_load_dword v98, off, s[0:3], 0 offset:360
	s_waitcnt vmcnt(0)
	v_fmac_f64_e32 v[96:97], v[98:99], v[100:101]
	v_add_f64 v[94:95], v[94:95], -v[96:97]
	buffer_store_dword v95, off, s[0:3], 0 offset:44
	buffer_store_dword v94, off, s[0:3], 0 offset:40
	s_and_saveexec_b64 s[4:5], vcc
	s_cbranch_execz .LBB45_275
; %bb.274:
	buffer_load_dword v94, off, s[0:3], 0 offset:32
	buffer_load_dword v95, off, s[0:3], 0 offset:36
	v_mov_b32_e32 v96, 0
	buffer_store_dword v96, off, s[0:3], 0 offset:32
	buffer_store_dword v96, off, s[0:3], 0 offset:36
	s_waitcnt vmcnt(2)
	ds_write_b64 v1, v[94:95]
.LBB45_275:
	s_or_b64 exec, exec, s[4:5]
	s_waitcnt lgkmcnt(0)
	; wave barrier
	s_waitcnt lgkmcnt(0)
	buffer_load_dword v94, off, s[0:3], 0 offset:32
	buffer_load_dword v95, off, s[0:3], 0 offset:36
	;; [unrolled: 1-line block ×16, first 2 shown]
	v_mov_b32_e32 v98, 0
	ds_read2_b64 v[100:103], v98 offset0:51 offset1:52
	v_cmp_lt_u32_e32 vcc, 3, v0
	s_waitcnt vmcnt(12) lgkmcnt(0)
	v_fma_f64 v[96:97], v[96:97], v[100:101], 0
	s_waitcnt vmcnt(10)
	v_fmac_f64_e32 v[96:97], v[104:105], v[102:103]
	ds_read2_b64 v[100:103], v98 offset0:53 offset1:54
	s_waitcnt vmcnt(8) lgkmcnt(0)
	v_fmac_f64_e32 v[96:97], v[106:107], v[100:101]
	s_waitcnt vmcnt(6)
	v_fmac_f64_e32 v[96:97], v[108:109], v[102:103]
	ds_read2_b64 v[100:103], v98 offset0:55 offset1:56
	s_waitcnt vmcnt(4) lgkmcnt(0)
	v_fmac_f64_e32 v[96:97], v[110:111], v[100:101]
	;; [unrolled: 5-line block ×3, first 2 shown]
	buffer_load_dword v101, off, s[0:3], 0 offset:100
	buffer_load_dword v100, off, s[0:3], 0 offset:96
	buffer_load_dword v105, off, s[0:3], 0 offset:108
	buffer_load_dword v104, off, s[0:3], 0 offset:104
	s_waitcnt vmcnt(2)
	v_fmac_f64_e32 v[96:97], v[100:101], v[102:103]
	ds_read2_b64 v[100:103], v98 offset0:59 offset1:60
	s_waitcnt vmcnt(0) lgkmcnt(0)
	v_fmac_f64_e32 v[96:97], v[104:105], v[100:101]
	buffer_load_dword v101, off, s[0:3], 0 offset:116
	buffer_load_dword v100, off, s[0:3], 0 offset:112
	buffer_load_dword v105, off, s[0:3], 0 offset:124
	buffer_load_dword v104, off, s[0:3], 0 offset:120
	s_waitcnt vmcnt(2)
	v_fmac_f64_e32 v[96:97], v[100:101], v[102:103]
	ds_read2_b64 v[100:103], v98 offset0:61 offset1:62
	s_waitcnt vmcnt(0) lgkmcnt(0)
	v_fmac_f64_e32 v[96:97], v[104:105], v[100:101]
	;; [unrolled: 9-line block ×16, first 2 shown]
	buffer_load_dword v101, off, s[0:3], 0 offset:356
	buffer_load_dword v100, off, s[0:3], 0 offset:352
	s_waitcnt vmcnt(0)
	v_fmac_f64_e32 v[96:97], v[100:101], v[102:103]
	buffer_load_dword v101, off, s[0:3], 0 offset:364
	buffer_load_dword v100, off, s[0:3], 0 offset:360
	ds_read_b64 v[102:103], v98 offset:728
	s_waitcnt vmcnt(0) lgkmcnt(0)
	v_fmac_f64_e32 v[96:97], v[100:101], v[102:103]
	v_add_f64 v[94:95], v[94:95], -v[96:97]
	buffer_store_dword v95, off, s[0:3], 0 offset:36
	buffer_store_dword v94, off, s[0:3], 0 offset:32
	s_and_saveexec_b64 s[4:5], vcc
	s_cbranch_execz .LBB45_277
; %bb.276:
	buffer_load_dword v94, off, s[0:3], 0 offset:24
	buffer_load_dword v95, off, s[0:3], 0 offset:28
	s_waitcnt vmcnt(0)
	ds_write_b64 v1, v[94:95]
	buffer_store_dword v98, off, s[0:3], 0 offset:24
	buffer_store_dword v98, off, s[0:3], 0 offset:28
.LBB45_277:
	s_or_b64 exec, exec, s[4:5]
	s_waitcnt lgkmcnt(0)
	; wave barrier
	s_waitcnt lgkmcnt(0)
	buffer_load_dword v94, off, s[0:3], 0 offset:24
	buffer_load_dword v95, off, s[0:3], 0 offset:28
	;; [unrolled: 1-line block ×16, first 2 shown]
	ds_read_b128 v[100:103], v98 offset:400
	ds_read_b128 v[104:107], v98 offset:416
	;; [unrolled: 1-line block ×4, first 2 shown]
	v_cmp_lt_u32_e32 vcc, 2, v0
	s_waitcnt vmcnt(12) lgkmcnt(3)
	v_fma_f64 v[96:97], v[96:97], v[100:101], 0
	buffer_load_dword v101, off, s[0:3], 0 offset:92
	buffer_load_dword v100, off, s[0:3], 0 offset:88
	s_waitcnt vmcnt(12)
	v_fmac_f64_e32 v[96:97], v[116:117], v[102:103]
	s_waitcnt vmcnt(10) lgkmcnt(2)
	v_fmac_f64_e32 v[96:97], v[118:119], v[104:105]
	buffer_load_dword v105, off, s[0:3], 0 offset:100
	buffer_load_dword v104, off, s[0:3], 0 offset:96
	s_waitcnt vmcnt(10)
	v_fmac_f64_e32 v[96:97], v[120:121], v[106:107]
	s_waitcnt vmcnt(8) lgkmcnt(1)
	v_fmac_f64_e32 v[96:97], v[122:123], v[108:109]
	s_waitcnt vmcnt(6)
	v_fmac_f64_e32 v[96:97], v[124:125], v[110:111]
	s_waitcnt vmcnt(4) lgkmcnt(0)
	v_fmac_f64_e32 v[96:97], v[126:127], v[112:113]
	s_waitcnt vmcnt(2)
	v_fmac_f64_e32 v[96:97], v[100:101], v[114:115]
	ds_read_b128 v[100:103], v98 offset:464
	s_waitcnt vmcnt(0) lgkmcnt(0)
	v_fmac_f64_e32 v[96:97], v[104:105], v[100:101]
	buffer_load_dword v101, off, s[0:3], 0 offset:108
	buffer_load_dword v100, off, s[0:3], 0 offset:104
	buffer_load_dword v105, off, s[0:3], 0 offset:116
	buffer_load_dword v104, off, s[0:3], 0 offset:112
	s_waitcnt vmcnt(2)
	v_fmac_f64_e32 v[96:97], v[100:101], v[102:103]
	ds_read_b128 v[100:103], v98 offset:480
	s_waitcnt vmcnt(0) lgkmcnt(0)
	v_fmac_f64_e32 v[96:97], v[104:105], v[100:101]
	buffer_load_dword v101, off, s[0:3], 0 offset:124
	buffer_load_dword v100, off, s[0:3], 0 offset:120
	buffer_load_dword v105, off, s[0:3], 0 offset:132
	buffer_load_dword v104, off, s[0:3], 0 offset:128
	;; [unrolled: 9-line block ×15, first 2 shown]
	s_waitcnt vmcnt(2)
	v_fmac_f64_e32 v[96:97], v[100:101], v[102:103]
	ds_read_b128 v[100:103], v98 offset:704
	s_waitcnt vmcnt(0) lgkmcnt(0)
	v_fmac_f64_e32 v[96:97], v[104:105], v[100:101]
	buffer_load_dword v101, off, s[0:3], 0 offset:348
	buffer_load_dword v100, off, s[0:3], 0 offset:344
	s_waitcnt vmcnt(0)
	v_fmac_f64_e32 v[96:97], v[100:101], v[102:103]
	buffer_load_dword v103, off, s[0:3], 0 offset:356
	buffer_load_dword v102, off, s[0:3], 0 offset:352
	ds_read_b128 v[98:101], v98 offset:720
	s_waitcnt vmcnt(0) lgkmcnt(0)
	v_fmac_f64_e32 v[96:97], v[102:103], v[98:99]
	buffer_load_dword v99, off, s[0:3], 0 offset:364
	buffer_load_dword v98, off, s[0:3], 0 offset:360
	s_waitcnt vmcnt(0)
	v_fmac_f64_e32 v[96:97], v[98:99], v[100:101]
	v_add_f64 v[94:95], v[94:95], -v[96:97]
	buffer_store_dword v95, off, s[0:3], 0 offset:28
	buffer_store_dword v94, off, s[0:3], 0 offset:24
	s_and_saveexec_b64 s[4:5], vcc
	s_cbranch_execz .LBB45_279
; %bb.278:
	buffer_load_dword v94, off, s[0:3], 0 offset:16
	buffer_load_dword v95, off, s[0:3], 0 offset:20
	v_mov_b32_e32 v96, 0
	buffer_store_dword v96, off, s[0:3], 0 offset:16
	buffer_store_dword v96, off, s[0:3], 0 offset:20
	s_waitcnt vmcnt(2)
	ds_write_b64 v1, v[94:95]
.LBB45_279:
	s_or_b64 exec, exec, s[4:5]
	s_waitcnt lgkmcnt(0)
	; wave barrier
	s_waitcnt lgkmcnt(0)
	buffer_load_dword v94, off, s[0:3], 0 offset:16
	buffer_load_dword v95, off, s[0:3], 0 offset:20
	;; [unrolled: 1-line block ×16, first 2 shown]
	v_mov_b32_e32 v98, 0
	ds_read2_b64 v[100:103], v98 offset0:49 offset1:50
	v_cmp_lt_u32_e32 vcc, 1, v0
	s_waitcnt vmcnt(12) lgkmcnt(0)
	v_fma_f64 v[96:97], v[96:97], v[100:101], 0
	s_waitcnt vmcnt(10)
	v_fmac_f64_e32 v[96:97], v[104:105], v[102:103]
	ds_read2_b64 v[100:103], v98 offset0:51 offset1:52
	s_waitcnt vmcnt(8) lgkmcnt(0)
	v_fmac_f64_e32 v[96:97], v[106:107], v[100:101]
	s_waitcnt vmcnt(6)
	v_fmac_f64_e32 v[96:97], v[108:109], v[102:103]
	ds_read2_b64 v[100:103], v98 offset0:53 offset1:54
	s_waitcnt vmcnt(4) lgkmcnt(0)
	v_fmac_f64_e32 v[96:97], v[110:111], v[100:101]
	;; [unrolled: 5-line block ×3, first 2 shown]
	buffer_load_dword v101, off, s[0:3], 0 offset:84
	buffer_load_dword v100, off, s[0:3], 0 offset:80
	buffer_load_dword v105, off, s[0:3], 0 offset:92
	buffer_load_dword v104, off, s[0:3], 0 offset:88
	s_waitcnt vmcnt(2)
	v_fmac_f64_e32 v[96:97], v[100:101], v[102:103]
	ds_read2_b64 v[100:103], v98 offset0:57 offset1:58
	s_waitcnt vmcnt(0) lgkmcnt(0)
	v_fmac_f64_e32 v[96:97], v[104:105], v[100:101]
	buffer_load_dword v101, off, s[0:3], 0 offset:100
	buffer_load_dword v100, off, s[0:3], 0 offset:96
	buffer_load_dword v105, off, s[0:3], 0 offset:108
	buffer_load_dword v104, off, s[0:3], 0 offset:104
	s_waitcnt vmcnt(2)
	v_fmac_f64_e32 v[96:97], v[100:101], v[102:103]
	ds_read2_b64 v[100:103], v98 offset0:59 offset1:60
	s_waitcnt vmcnt(0) lgkmcnt(0)
	v_fmac_f64_e32 v[96:97], v[104:105], v[100:101]
	;; [unrolled: 9-line block ×17, first 2 shown]
	buffer_load_dword v101, off, s[0:3], 0 offset:356
	buffer_load_dword v100, off, s[0:3], 0 offset:352
	s_waitcnt vmcnt(0)
	v_fmac_f64_e32 v[96:97], v[100:101], v[102:103]
	buffer_load_dword v101, off, s[0:3], 0 offset:364
	buffer_load_dword v100, off, s[0:3], 0 offset:360
	ds_read_b64 v[102:103], v98 offset:728
	s_waitcnt vmcnt(0) lgkmcnt(0)
	v_fmac_f64_e32 v[96:97], v[100:101], v[102:103]
	v_add_f64 v[94:95], v[94:95], -v[96:97]
	buffer_store_dword v95, off, s[0:3], 0 offset:20
	buffer_store_dword v94, off, s[0:3], 0 offset:16
	s_and_saveexec_b64 s[4:5], vcc
	s_cbranch_execz .LBB45_281
; %bb.280:
	buffer_load_dword v94, off, s[0:3], 0 offset:8
	buffer_load_dword v95, off, s[0:3], 0 offset:12
	s_waitcnt vmcnt(0)
	ds_write_b64 v1, v[94:95]
	buffer_store_dword v98, off, s[0:3], 0 offset:8
	buffer_store_dword v98, off, s[0:3], 0 offset:12
.LBB45_281:
	s_or_b64 exec, exec, s[4:5]
	s_waitcnt lgkmcnt(0)
	; wave barrier
	s_waitcnt lgkmcnt(0)
	buffer_load_dword v94, off, s[0:3], 0 offset:8
	buffer_load_dword v95, off, s[0:3], 0 offset:12
	;; [unrolled: 1-line block ×16, first 2 shown]
	ds_read_b128 v[100:103], v98 offset:384
	ds_read_b128 v[104:107], v98 offset:400
	;; [unrolled: 1-line block ×4, first 2 shown]
	v_cmp_ne_u32_e32 vcc, 0, v0
	s_waitcnt vmcnt(12) lgkmcnt(3)
	v_fma_f64 v[96:97], v[96:97], v[100:101], 0
	buffer_load_dword v101, off, s[0:3], 0 offset:76
	buffer_load_dword v100, off, s[0:3], 0 offset:72
	s_waitcnt vmcnt(12)
	v_fmac_f64_e32 v[96:97], v[116:117], v[102:103]
	s_waitcnt vmcnt(10) lgkmcnt(2)
	v_fmac_f64_e32 v[96:97], v[118:119], v[104:105]
	buffer_load_dword v105, off, s[0:3], 0 offset:84
	buffer_load_dword v104, off, s[0:3], 0 offset:80
	s_waitcnt vmcnt(10)
	v_fmac_f64_e32 v[96:97], v[120:121], v[106:107]
	s_waitcnt vmcnt(8) lgkmcnt(1)
	v_fmac_f64_e32 v[96:97], v[122:123], v[108:109]
	s_waitcnt vmcnt(6)
	v_fmac_f64_e32 v[96:97], v[124:125], v[110:111]
	s_waitcnt vmcnt(4) lgkmcnt(0)
	v_fmac_f64_e32 v[96:97], v[126:127], v[112:113]
	s_waitcnt vmcnt(2)
	v_fmac_f64_e32 v[96:97], v[100:101], v[114:115]
	ds_read_b128 v[100:103], v98 offset:448
	s_waitcnt vmcnt(0) lgkmcnt(0)
	v_fmac_f64_e32 v[96:97], v[104:105], v[100:101]
	buffer_load_dword v101, off, s[0:3], 0 offset:92
	buffer_load_dword v100, off, s[0:3], 0 offset:88
	buffer_load_dword v105, off, s[0:3], 0 offset:100
	buffer_load_dword v104, off, s[0:3], 0 offset:96
	s_waitcnt vmcnt(2)
	v_fmac_f64_e32 v[96:97], v[100:101], v[102:103]
	ds_read_b128 v[100:103], v98 offset:464
	s_waitcnt vmcnt(0) lgkmcnt(0)
	v_fmac_f64_e32 v[96:97], v[104:105], v[100:101]
	buffer_load_dword v101, off, s[0:3], 0 offset:108
	buffer_load_dword v100, off, s[0:3], 0 offset:104
	buffer_load_dword v105, off, s[0:3], 0 offset:116
	buffer_load_dword v104, off, s[0:3], 0 offset:112
	;; [unrolled: 9-line block ×16, first 2 shown]
	s_waitcnt vmcnt(2)
	v_fmac_f64_e32 v[96:97], v[100:101], v[102:103]
	ds_read_b128 v[100:103], v98 offset:704
	s_waitcnt vmcnt(0) lgkmcnt(0)
	v_fmac_f64_e32 v[96:97], v[104:105], v[100:101]
	buffer_load_dword v101, off, s[0:3], 0 offset:348
	buffer_load_dword v100, off, s[0:3], 0 offset:344
	s_waitcnt vmcnt(0)
	v_fmac_f64_e32 v[96:97], v[100:101], v[102:103]
	buffer_load_dword v103, off, s[0:3], 0 offset:356
	buffer_load_dword v102, off, s[0:3], 0 offset:352
	ds_read_b128 v[98:101], v98 offset:720
	s_waitcnt vmcnt(0) lgkmcnt(0)
	v_fmac_f64_e32 v[96:97], v[102:103], v[98:99]
	buffer_load_dword v99, off, s[0:3], 0 offset:364
	buffer_load_dword v98, off, s[0:3], 0 offset:360
	s_waitcnt vmcnt(0)
	v_fmac_f64_e32 v[96:97], v[98:99], v[100:101]
	v_add_f64 v[94:95], v[94:95], -v[96:97]
	buffer_store_dword v95, off, s[0:3], 0 offset:12
	buffer_store_dword v94, off, s[0:3], 0 offset:8
	s_and_saveexec_b64 s[4:5], vcc
	s_cbranch_execz .LBB45_283
; %bb.282:
	buffer_load_dword v94, off, s[0:3], 0
	buffer_load_dword v95, off, s[0:3], 0 offset:4
	v_mov_b32_e32 v0, 0
	buffer_store_dword v0, off, s[0:3], 0
	buffer_store_dword v0, off, s[0:3], 0 offset:4
	s_waitcnt vmcnt(2)
	ds_write_b64 v1, v[94:95]
.LBB45_283:
	s_or_b64 exec, exec, s[4:5]
	s_waitcnt lgkmcnt(0)
	; wave barrier
	s_waitcnt lgkmcnt(0)
	buffer_load_dword v0, off, s[0:3], 0
	buffer_load_dword v1, off, s[0:3], 0 offset:4
	buffer_load_dword v100, off, s[0:3], 0 offset:8
	;; [unrolled: 1-line block ×15, first 2 shown]
	v_mov_b32_e32 v98, 0
	ds_read2_b64 v[94:97], v98 offset0:47 offset1:48
	s_and_b64 vcc, exec, s[20:21]
	s_waitcnt vmcnt(12) lgkmcnt(0)
	v_fma_f64 v[94:95], v[100:101], v[94:95], 0
	s_waitcnt vmcnt(10)
	v_fmac_f64_e32 v[94:95], v[102:103], v[96:97]
	ds_read2_b64 v[100:103], v98 offset0:49 offset1:50
	s_waitcnt vmcnt(8) lgkmcnt(0)
	v_fmac_f64_e32 v[94:95], v[104:105], v[100:101]
	s_waitcnt vmcnt(6)
	v_fmac_f64_e32 v[94:95], v[106:107], v[102:103]
	ds_read2_b64 v[100:103], v98 offset0:51 offset1:52
	s_waitcnt vmcnt(4) lgkmcnt(0)
	v_fmac_f64_e32 v[94:95], v[108:109], v[100:101]
	s_waitcnt vmcnt(2)
	v_fmac_f64_e32 v[94:95], v[110:111], v[102:103]
	ds_read2_b64 v[100:103], v98 offset0:53 offset1:54
	buffer_load_dword v97, off, s[0:3], 0 offset:68
	buffer_load_dword v96, off, s[0:3], 0 offset:64
	s_waitcnt vmcnt(2) lgkmcnt(0)
	v_fmac_f64_e32 v[94:95], v[112:113], v[100:101]
	s_waitcnt vmcnt(0)
	v_fmac_f64_e32 v[94:95], v[96:97], v[102:103]
	buffer_load_dword v97, off, s[0:3], 0 offset:76
	buffer_load_dword v96, off, s[0:3], 0 offset:72
	ds_read2_b64 v[100:103], v98 offset0:55 offset1:56
	s_waitcnt vmcnt(0) lgkmcnt(0)
	v_fmac_f64_e32 v[94:95], v[96:97], v[100:101]
	buffer_load_dword v97, off, s[0:3], 0 offset:84
	buffer_load_dword v96, off, s[0:3], 0 offset:80
	s_waitcnt vmcnt(0)
	v_fmac_f64_e32 v[94:95], v[96:97], v[102:103]
	buffer_load_dword v97, off, s[0:3], 0 offset:92
	buffer_load_dword v96, off, s[0:3], 0 offset:88
	ds_read2_b64 v[100:103], v98 offset0:57 offset1:58
	s_waitcnt vmcnt(0) lgkmcnt(0)
	v_fmac_f64_e32 v[94:95], v[96:97], v[100:101]
	buffer_load_dword v97, off, s[0:3], 0 offset:100
	buffer_load_dword v96, off, s[0:3], 0 offset:96
	;; [unrolled: 9-line block ×18, first 2 shown]
	buffer_load_dword v101, off, s[0:3], 0 offset:364
	buffer_load_dword v100, off, s[0:3], 0 offset:360
	ds_read_b64 v[98:99], v98 offset:728
	s_waitcnt vmcnt(2)
	v_fmac_f64_e32 v[94:95], v[96:97], v[102:103]
	s_waitcnt vmcnt(0) lgkmcnt(0)
	v_fmac_f64_e32 v[94:95], v[100:101], v[98:99]
	v_add_f64 v[0:1], v[0:1], -v[94:95]
	buffer_store_dword v1, off, s[0:3], 0 offset:4
	buffer_store_dword v0, off, s[0:3], 0
	s_cbranch_vccz .LBB45_375
; %bb.284:
	v_pk_mov_b32 v[0:1], s[10:11], s[10:11] op_sel:[0,1]
	flat_load_dword v0, v[0:1] offset:176
	s_waitcnt vmcnt(0) lgkmcnt(0)
	v_add_u32_e32 v0, -1, v0
	v_cmp_ne_u32_e32 vcc, 44, v0
	s_and_saveexec_b64 s[4:5], vcc
	s_cbranch_execz .LBB45_286
; %bb.285:
	v_mov_b32_e32 v1, 0
	v_lshl_add_u32 v0, v0, 3, v1
	buffer_load_dword v1, v0, s[0:3], 0 offen offset:4
	buffer_load_dword v94, v0, s[0:3], 0 offen
	s_waitcnt vmcnt(1)
	buffer_store_dword v1, off, s[0:3], 0 offset:356
	s_waitcnt vmcnt(1)
	buffer_store_dword v94, off, s[0:3], 0 offset:352
	buffer_store_dword v97, v0, s[0:3], 0 offen offset:4
	buffer_store_dword v96, v0, s[0:3], 0 offen
.LBB45_286:
	s_or_b64 exec, exec, s[4:5]
	v_pk_mov_b32 v[0:1], s[10:11], s[10:11] op_sel:[0,1]
	flat_load_dword v0, v[0:1] offset:172
	s_waitcnt vmcnt(0) lgkmcnt(0)
	v_add_u32_e32 v0, -1, v0
	v_cmp_ne_u32_e32 vcc, 43, v0
	s_and_saveexec_b64 s[4:5], vcc
	s_cbranch_execz .LBB45_288
; %bb.287:
	v_mov_b32_e32 v1, 0
	v_lshl_add_u32 v0, v0, 3, v1
	buffer_load_dword v1, v0, s[0:3], 0 offen
	buffer_load_dword v94, v0, s[0:3], 0 offen offset:4
	buffer_load_dword v95, off, s[0:3], 0 offset:344
	buffer_load_dword v96, off, s[0:3], 0 offset:348
	s_waitcnt vmcnt(3)
	buffer_store_dword v1, off, s[0:3], 0 offset:344
	s_waitcnt vmcnt(3)
	buffer_store_dword v94, off, s[0:3], 0 offset:348
	s_waitcnt vmcnt(3)
	buffer_store_dword v95, v0, s[0:3], 0 offen
	s_waitcnt vmcnt(3)
	buffer_store_dword v96, v0, s[0:3], 0 offen offset:4
.LBB45_288:
	s_or_b64 exec, exec, s[4:5]
	v_pk_mov_b32 v[0:1], s[10:11], s[10:11] op_sel:[0,1]
	flat_load_dword v0, v[0:1] offset:168
	s_waitcnt vmcnt(0) lgkmcnt(0)
	v_add_u32_e32 v0, -1, v0
	v_cmp_ne_u32_e32 vcc, 42, v0
	s_and_saveexec_b64 s[4:5], vcc
	s_cbranch_execz .LBB45_290
; %bb.289:
	v_mov_b32_e32 v1, 0
	v_lshl_add_u32 v0, v0, 3, v1
	buffer_load_dword v1, v0, s[0:3], 0 offen
	buffer_load_dword v94, v0, s[0:3], 0 offen offset:4
	buffer_load_dword v95, off, s[0:3], 0 offset:340
	buffer_load_dword v96, off, s[0:3], 0 offset:336
	s_waitcnt vmcnt(3)
	buffer_store_dword v1, off, s[0:3], 0 offset:336
	s_waitcnt vmcnt(3)
	buffer_store_dword v94, off, s[0:3], 0 offset:340
	s_waitcnt vmcnt(3)
	buffer_store_dword v95, v0, s[0:3], 0 offen offset:4
	s_waitcnt vmcnt(3)
	buffer_store_dword v96, v0, s[0:3], 0 offen
.LBB45_290:
	s_or_b64 exec, exec, s[4:5]
	v_pk_mov_b32 v[0:1], s[10:11], s[10:11] op_sel:[0,1]
	flat_load_dword v0, v[0:1] offset:164
	s_waitcnt vmcnt(0) lgkmcnt(0)
	v_add_u32_e32 v0, -1, v0
	v_cmp_ne_u32_e32 vcc, 41, v0
	s_and_saveexec_b64 s[4:5], vcc
	s_cbranch_execz .LBB45_292
; %bb.291:
	v_mov_b32_e32 v1, 0
	v_lshl_add_u32 v0, v0, 3, v1
	buffer_load_dword v1, v0, s[0:3], 0 offen
	buffer_load_dword v94, v0, s[0:3], 0 offen offset:4
	buffer_load_dword v95, off, s[0:3], 0 offset:328
	buffer_load_dword v96, off, s[0:3], 0 offset:332
	s_waitcnt vmcnt(3)
	buffer_store_dword v1, off, s[0:3], 0 offset:328
	s_waitcnt vmcnt(3)
	buffer_store_dword v94, off, s[0:3], 0 offset:332
	s_waitcnt vmcnt(3)
	buffer_store_dword v95, v0, s[0:3], 0 offen
	s_waitcnt vmcnt(3)
	buffer_store_dword v96, v0, s[0:3], 0 offen offset:4
.LBB45_292:
	s_or_b64 exec, exec, s[4:5]
	v_pk_mov_b32 v[0:1], s[10:11], s[10:11] op_sel:[0,1]
	flat_load_dword v0, v[0:1] offset:160
	s_waitcnt vmcnt(0) lgkmcnt(0)
	v_add_u32_e32 v0, -1, v0
	v_cmp_ne_u32_e32 vcc, 40, v0
	s_and_saveexec_b64 s[4:5], vcc
	s_cbranch_execz .LBB45_294
; %bb.293:
	v_mov_b32_e32 v1, 0
	v_lshl_add_u32 v0, v0, 3, v1
	buffer_load_dword v1, v0, s[0:3], 0 offen
	buffer_load_dword v94, v0, s[0:3], 0 offen offset:4
	buffer_load_dword v95, off, s[0:3], 0 offset:324
	buffer_load_dword v96, off, s[0:3], 0 offset:320
	s_waitcnt vmcnt(3)
	buffer_store_dword v1, off, s[0:3], 0 offset:320
	s_waitcnt vmcnt(3)
	buffer_store_dword v94, off, s[0:3], 0 offset:324
	s_waitcnt vmcnt(3)
	buffer_store_dword v95, v0, s[0:3], 0 offen offset:4
	s_waitcnt vmcnt(3)
	buffer_store_dword v96, v0, s[0:3], 0 offen
.LBB45_294:
	;; [unrolled: 48-line block ×21, first 2 shown]
	s_or_b64 exec, exec, s[4:5]
	v_pk_mov_b32 v[0:1], s[10:11], s[10:11] op_sel:[0,1]
	flat_load_dword v0, v[0:1] offset:4
	s_waitcnt vmcnt(0) lgkmcnt(0)
	v_add_u32_e32 v0, -1, v0
	v_cmp_ne_u32_e32 vcc, 1, v0
	s_and_saveexec_b64 s[4:5], vcc
	s_cbranch_execz .LBB45_372
; %bb.371:
	v_mov_b32_e32 v1, 0
	v_lshl_add_u32 v0, v0, 3, v1
	buffer_load_dword v1, v0, s[0:3], 0 offen
	buffer_load_dword v94, v0, s[0:3], 0 offen offset:4
	buffer_load_dword v95, off, s[0:3], 0 offset:8
	buffer_load_dword v96, off, s[0:3], 0 offset:12
	s_waitcnt vmcnt(3)
	buffer_store_dword v1, off, s[0:3], 0 offset:8
	s_waitcnt vmcnt(3)
	buffer_store_dword v94, off, s[0:3], 0 offset:12
	s_waitcnt vmcnt(3)
	buffer_store_dword v95, v0, s[0:3], 0 offen
	s_waitcnt vmcnt(3)
	buffer_store_dword v96, v0, s[0:3], 0 offen offset:4
.LBB45_372:
	s_or_b64 exec, exec, s[4:5]
	v_pk_mov_b32 v[0:1], s[10:11], s[10:11] op_sel:[0,1]
	flat_load_dword v94, v[0:1]
	s_nop 0
	buffer_load_dword v0, off, s[0:3], 0
	buffer_load_dword v1, off, s[0:3], 0 offset:4
	s_waitcnt vmcnt(0) lgkmcnt(0)
	v_add_u32_e32 v94, -1, v94
	v_cmp_ne_u32_e32 vcc, 0, v94
	s_and_saveexec_b64 s[4:5], vcc
	s_cbranch_execz .LBB45_374
; %bb.373:
	v_mov_b32_e32 v95, 0
	v_lshl_add_u32 v94, v94, 3, v95
	buffer_load_dword v95, v94, s[0:3], 0 offen offset:4
	buffer_load_dword v96, v94, s[0:3], 0 offen
	s_waitcnt vmcnt(1)
	buffer_store_dword v95, off, s[0:3], 0 offset:4
	s_waitcnt vmcnt(1)
	buffer_store_dword v96, off, s[0:3], 0
	buffer_store_dword v1, v94, s[0:3], 0 offen offset:4
	buffer_store_dword v0, v94, s[0:3], 0 offen
	buffer_load_dword v0, off, s[0:3], 0
	s_nop 0
	buffer_load_dword v1, off, s[0:3], 0 offset:4
.LBB45_374:
	s_or_b64 exec, exec, s[4:5]
.LBB45_375:
	s_waitcnt vmcnt(0)
	global_store_dwordx2 v[92:93], v[0:1], off
	buffer_load_dword v0, off, s[0:3], 0 offset:8
	s_nop 0
	buffer_load_dword v1, off, s[0:3], 0 offset:12
	buffer_load_dword v92, off, s[0:3], 0 offset:16
	;; [unrolled: 1-line block ×15, first 2 shown]
	s_waitcnt vmcnt(14)
	global_store_dwordx2 v[90:91], v[0:1], off
	s_waitcnt vmcnt(13)
	global_store_dwordx2 v[2:3], v[92:93], off
	;; [unrolled: 2-line block ×8, first 2 shown]
	buffer_load_dword v0, off, s[0:3], 0 offset:72
	buffer_load_dword v1, off, s[0:3], 0 offset:76
	s_waitcnt vmcnt(0)
	global_store_dwordx2 v[14:15], v[0:1], off
	buffer_load_dword v0, off, s[0:3], 0 offset:80
	s_nop 0
	buffer_load_dword v1, off, s[0:3], 0 offset:84
	s_waitcnt vmcnt(0)
	global_store_dwordx2 v[16:17], v[0:1], off
	buffer_load_dword v0, off, s[0:3], 0 offset:88
	s_nop 0
	;; [unrolled: 5-line block ×36, first 2 shown]
	buffer_load_dword v1, off, s[0:3], 0 offset:364
	s_waitcnt vmcnt(0)
	global_store_dwordx2 v[78:79], v[0:1], off
	s_endpgm
	.section	.rodata,"a",@progbits
	.p2align	6, 0x0
	.amdhsa_kernel _ZN9rocsolver6v33100L18getri_kernel_smallILi46EdPdEEvT1_iilPiilS4_bb
		.amdhsa_group_segment_fixed_size 744
		.amdhsa_private_segment_fixed_size 384
		.amdhsa_kernarg_size 60
		.amdhsa_user_sgpr_count 8
		.amdhsa_user_sgpr_private_segment_buffer 1
		.amdhsa_user_sgpr_dispatch_ptr 0
		.amdhsa_user_sgpr_queue_ptr 0
		.amdhsa_user_sgpr_kernarg_segment_ptr 1
		.amdhsa_user_sgpr_dispatch_id 0
		.amdhsa_user_sgpr_flat_scratch_init 1
		.amdhsa_user_sgpr_kernarg_preload_length 0
		.amdhsa_user_sgpr_kernarg_preload_offset 0
		.amdhsa_user_sgpr_private_segment_size 0
		.amdhsa_uses_dynamic_stack 0
		.amdhsa_system_sgpr_private_segment_wavefront_offset 1
		.amdhsa_system_sgpr_workgroup_id_x 1
		.amdhsa_system_sgpr_workgroup_id_y 0
		.amdhsa_system_sgpr_workgroup_id_z 0
		.amdhsa_system_sgpr_workgroup_info 0
		.amdhsa_system_vgpr_workitem_id 0
		.amdhsa_next_free_vgpr 166
		.amdhsa_next_free_sgpr 23
		.amdhsa_accum_offset 168
		.amdhsa_reserve_vcc 1
		.amdhsa_reserve_flat_scratch 1
		.amdhsa_float_round_mode_32 0
		.amdhsa_float_round_mode_16_64 0
		.amdhsa_float_denorm_mode_32 3
		.amdhsa_float_denorm_mode_16_64 3
		.amdhsa_dx10_clamp 1
		.amdhsa_ieee_mode 1
		.amdhsa_fp16_overflow 0
		.amdhsa_tg_split 0
		.amdhsa_exception_fp_ieee_invalid_op 0
		.amdhsa_exception_fp_denorm_src 0
		.amdhsa_exception_fp_ieee_div_zero 0
		.amdhsa_exception_fp_ieee_overflow 0
		.amdhsa_exception_fp_ieee_underflow 0
		.amdhsa_exception_fp_ieee_inexact 0
		.amdhsa_exception_int_div_zero 0
	.end_amdhsa_kernel
	.section	.text._ZN9rocsolver6v33100L18getri_kernel_smallILi46EdPdEEvT1_iilPiilS4_bb,"axG",@progbits,_ZN9rocsolver6v33100L18getri_kernel_smallILi46EdPdEEvT1_iilPiilS4_bb,comdat
.Lfunc_end45:
	.size	_ZN9rocsolver6v33100L18getri_kernel_smallILi46EdPdEEvT1_iilPiilS4_bb, .Lfunc_end45-_ZN9rocsolver6v33100L18getri_kernel_smallILi46EdPdEEvT1_iilPiilS4_bb
                                        ; -- End function
	.section	.AMDGPU.csdata,"",@progbits
; Kernel info:
; codeLenInByte = 53120
; NumSgprs: 29
; NumVgprs: 166
; NumAgprs: 0
; TotalNumVgprs: 166
; ScratchSize: 384
; MemoryBound: 1
; FloatMode: 240
; IeeeMode: 1
; LDSByteSize: 744 bytes/workgroup (compile time only)
; SGPRBlocks: 3
; VGPRBlocks: 20
; NumSGPRsForWavesPerEU: 29
; NumVGPRsForWavesPerEU: 166
; AccumOffset: 168
; Occupancy: 3
; WaveLimiterHint : 1
; COMPUTE_PGM_RSRC2:SCRATCH_EN: 1
; COMPUTE_PGM_RSRC2:USER_SGPR: 8
; COMPUTE_PGM_RSRC2:TRAP_HANDLER: 0
; COMPUTE_PGM_RSRC2:TGID_X_EN: 1
; COMPUTE_PGM_RSRC2:TGID_Y_EN: 0
; COMPUTE_PGM_RSRC2:TGID_Z_EN: 0
; COMPUTE_PGM_RSRC2:TIDIG_COMP_CNT: 0
; COMPUTE_PGM_RSRC3_GFX90A:ACCUM_OFFSET: 41
; COMPUTE_PGM_RSRC3_GFX90A:TG_SPLIT: 0
	.section	.text._ZN9rocsolver6v33100L18getri_kernel_smallILi47EdPdEEvT1_iilPiilS4_bb,"axG",@progbits,_ZN9rocsolver6v33100L18getri_kernel_smallILi47EdPdEEvT1_iilPiilS4_bb,comdat
	.globl	_ZN9rocsolver6v33100L18getri_kernel_smallILi47EdPdEEvT1_iilPiilS4_bb ; -- Begin function _ZN9rocsolver6v33100L18getri_kernel_smallILi47EdPdEEvT1_iilPiilS4_bb
	.p2align	8
	.type	_ZN9rocsolver6v33100L18getri_kernel_smallILi47EdPdEEvT1_iilPiilS4_bb,@function
_ZN9rocsolver6v33100L18getri_kernel_smallILi47EdPdEEvT1_iilPiilS4_bb: ; @_ZN9rocsolver6v33100L18getri_kernel_smallILi47EdPdEEvT1_iilPiilS4_bb
; %bb.0:
	s_add_u32 flat_scratch_lo, s6, s9
	s_addc_u32 flat_scratch_hi, s7, 0
	s_add_u32 s0, s0, s9
	s_addc_u32 s1, s1, 0
	v_cmp_gt_u32_e32 vcc, 47, v0
	s_and_saveexec_b64 s[6:7], vcc
	s_cbranch_execz .LBB46_196
; %bb.1:
	s_load_dword s22, s[4:5], 0x38
	s_load_dwordx4 s[16:19], s[4:5], 0x10
	s_load_dwordx4 s[12:15], s[4:5], 0x28
                                        ; implicit-def: $sgpr10_sgpr11
	s_waitcnt lgkmcnt(0)
	s_bitcmp1_b32 s22, 8
	s_cselect_b64 s[20:21], -1, 0
	s_ashr_i32 s9, s8, 31
	s_bfe_u32 s6, s22, 0x10008
	s_cmp_eq_u32 s6, 0
	s_cbranch_scc1 .LBB46_3
; %bb.2:
	s_load_dword s6, s[4:5], 0x20
	s_mul_i32 s7, s8, s13
	s_mul_hi_u32 s10, s8, s12
	s_mul_i32 s11, s9, s12
	s_add_i32 s10, s10, s7
	s_add_i32 s11, s10, s11
	s_mul_i32 s10, s8, s12
	s_waitcnt lgkmcnt(0)
	s_ashr_i32 s7, s6, 31
	s_lshl_b64 s[10:11], s[10:11], 2
	s_add_u32 s10, s18, s10
	s_addc_u32 s11, s19, s11
	s_lshl_b64 s[6:7], s[6:7], 2
	s_add_u32 s10, s10, s6
	s_addc_u32 s11, s11, s7
.LBB46_3:
	s_load_dwordx4 s[4:7], s[4:5], 0x0
	s_mul_i32 s12, s8, s17
	s_mul_hi_u32 s13, s8, s16
	s_add_i32 s17, s13, s12
	s_waitcnt lgkmcnt(0)
	s_ashr_i32 s13, s6, 31
	s_mov_b32 s12, s6
	s_mul_i32 s6, s9, s16
	s_add_i32 s17, s17, s6
	s_mul_i32 s16, s8, s16
	s_lshl_b64 s[16:17], s[16:17], 3
	s_add_u32 s6, s4, s16
	s_addc_u32 s16, s5, s17
	s_lshl_b64 s[4:5], s[12:13], 3
	s_add_u32 s4, s6, s4
	s_addc_u32 s5, s16, s5
	s_add_i32 s6, s7, s7
	v_add_u32_e32 v4, s6, v0
	v_ashrrev_i32_e32 v5, 31, v4
	v_lshlrev_b64 v[2:3], 3, v[4:5]
	v_add_u32_e32 v6, s7, v4
	v_mov_b32_e32 v1, s5
	v_add_co_u32_e32 v2, vcc, s4, v2
	v_ashrrev_i32_e32 v7, 31, v6
	v_addc_co_u32_e32 v3, vcc, v1, v3, vcc
	v_lshlrev_b64 v[4:5], 3, v[6:7]
	v_add_u32_e32 v8, s7, v6
	v_add_co_u32_e32 v4, vcc, s4, v4
	v_ashrrev_i32_e32 v9, 31, v8
	v_addc_co_u32_e32 v5, vcc, v1, v5, vcc
	v_lshlrev_b64 v[6:7], 3, v[8:9]
	v_add_u32_e32 v10, s7, v8
	;; [unrolled: 5-line block ×5, first 2 shown]
	v_add_co_u32_e32 v12, vcc, s4, v12
	v_ashrrev_i32_e32 v15, 31, v14
	v_addc_co_u32_e32 v13, vcc, v1, v13, vcc
	v_lshlrev_b64 v[16:17], 3, v[14:15]
	v_add_co_u32_e32 v18, vcc, s4, v16
	v_add_u32_e32 v16, s7, v14
	v_addc_co_u32_e32 v19, vcc, v1, v17, vcc
	v_ashrrev_i32_e32 v17, 31, v16
	v_lshlrev_b64 v[14:15], 3, v[16:17]
	v_add_u32_e32 v20, s7, v16
	v_add_co_u32_e32 v14, vcc, s4, v14
	v_ashrrev_i32_e32 v21, 31, v20
	v_addc_co_u32_e32 v15, vcc, v1, v15, vcc
	v_lshlrev_b64 v[16:17], 3, v[20:21]
	v_add_u32_e32 v22, s7, v20
	v_add_co_u32_e32 v16, vcc, s4, v16
	v_ashrrev_i32_e32 v23, 31, v22
	v_addc_co_u32_e32 v17, vcc, v1, v17, vcc
	;; [unrolled: 5-line block ×30, first 2 shown]
	v_lshlrev_b64 v[76:77], 3, v[78:79]
	v_add_co_u32_e32 v76, vcc, s4, v76
	v_addc_co_u32_e32 v77, vcc, v1, v77, vcc
	v_lshlrev_b32_e32 v1, 3, v0
	global_load_dwordx2 v[96:97], v1, s[4:5]
	global_load_dwordx2 v[100:101], v[2:3], off
	global_load_dwordx2 v[102:103], v[4:5], off
	;; [unrolled: 1-line block ×3, first 2 shown]
	v_mov_b32_e32 v79, s5
	v_add_co_u32_e32 v94, vcc, s4, v1
	s_ashr_i32 s13, s7, 31
	s_mov_b32 s12, s7
	v_addc_co_u32_e32 v95, vcc, 0, v79, vcc
	s_lshl_b64 s[12:13], s[12:13], 3
	v_mov_b32_e32 v79, s13
	v_add_co_u32_e32 v92, vcc, s12, v94
	v_addc_co_u32_e32 v93, vcc, v95, v79, vcc
	global_load_dwordx2 v[98:99], v[92:93], off
	global_load_dwordx2 v[106:107], v[8:9], off
	;; [unrolled: 1-line block ×9, first 2 shown]
	v_add_u32_e32 v78, s7, v78
	v_ashrrev_i32_e32 v79, 31, v78
	v_lshlrev_b64 v[80:81], 3, v[78:79]
	v_add_u32_e32 v78, s7, v78
	v_mov_b32_e32 v82, s5
	v_add_co_u32_e32 v80, vcc, s4, v80
	v_ashrrev_i32_e32 v79, 31, v78
	v_addc_co_u32_e32 v81, vcc, v82, v81, vcc
	v_lshlrev_b64 v[82:83], 3, v[78:79]
	v_add_u32_e32 v78, s7, v78
	v_mov_b32_e32 v84, s5
	v_add_co_u32_e32 v82, vcc, s4, v82
	v_ashrrev_i32_e32 v79, 31, v78
	v_addc_co_u32_e32 v83, vcc, v84, v83, vcc
	;; [unrolled: 6-line block ×6, first 2 shown]
	global_load_dwordx2 v[122:123], v[24:25], off
	v_lshlrev_b64 v[78:79], 3, v[78:79]
	v_mov_b32_e32 v132, s5
	v_add_co_u32_e32 v78, vcc, s4, v78
	global_load_dwordx2 v[124:125], v[26:27], off
	global_load_dwordx2 v[126:127], v[28:29], off
	;; [unrolled: 1-line block ×4, first 2 shown]
	v_addc_co_u32_e32 v79, vcc, v132, v79, vcc
	global_load_dwordx2 v[132:133], v[34:35], off
	global_load_dwordx2 v[134:135], v[78:79], off
	;; [unrolled: 1-line block ×16, first 2 shown]
	s_bitcmp0_b32 s22, 0
	s_waitcnt vmcnt(33)
	buffer_store_dword v97, off, s[0:3], 0 offset:4
	buffer_store_dword v96, off, s[0:3], 0
	global_load_dwordx2 v[96:97], v[40:41], off
	s_mov_b64 s[6:7], -1
	s_waitcnt vmcnt(32)
	buffer_store_dword v99, off, s[0:3], 0 offset:12
	buffer_store_dword v98, off, s[0:3], 0 offset:8
	global_load_dwordx2 v[98:99], v[44:45], off
	s_nop 0
	buffer_store_dword v101, off, s[0:3], 0 offset:20
	buffer_store_dword v100, off, s[0:3], 0 offset:16
	global_load_dwordx2 v[100:101], v[48:49], off
	s_nop 0
	;; [unrolled: 4-line block ×3, first 2 shown]
	buffer_store_dword v105, off, s[0:3], 0 offset:36
	buffer_store_dword v104, off, s[0:3], 0 offset:32
	global_load_dwordx2 v[104:105], v[56:57], off
	s_waitcnt vmcnt(43)
	buffer_store_dword v107, off, s[0:3], 0 offset:44
	buffer_store_dword v106, off, s[0:3], 0 offset:40
	global_load_dwordx2 v[106:107], v[60:61], off
	s_waitcnt vmcnt(45)
	;; [unrolled: 4-line block ×4, first 2 shown]
	buffer_store_dword v113, off, s[0:3], 0 offset:68
	buffer_store_dword v112, off, s[0:3], 0 offset:64
	global_load_dwordx2 v[112:113], v[72:73], off
	s_nop 0
	buffer_store_dword v114, off, s[0:3], 0 offset:72
	buffer_store_dword v115, off, s[0:3], 0 offset:76
	global_load_dwordx2 v[114:115], v[76:77], off
	s_nop 0
	buffer_store_dword v116, off, s[0:3], 0 offset:80
	buffer_store_dword v117, off, s[0:3], 0 offset:84
	global_load_dwordx2 v[116:117], v[82:83], off
	s_waitcnt vmcnt(55)
	buffer_store_dword v118, off, s[0:3], 0 offset:88
	buffer_store_dword v119, off, s[0:3], 0 offset:92
	global_load_dwordx2 v[118:119], v[86:87], off
	s_waitcnt vmcnt(57)
	;; [unrolled: 4-line block ×3, first 2 shown]
	buffer_store_dword v122, off, s[0:3], 0 offset:104
	buffer_store_dword v123, off, s[0:3], 0 offset:108
	s_waitcnt vmcnt(60)
	buffer_store_dword v125, off, s[0:3], 0 offset:116
	buffer_store_dword v124, off, s[0:3], 0 offset:112
	s_waitcnt vmcnt(61)
	;; [unrolled: 3-line block ×4, first 2 shown]
	buffer_store_dword v130, off, s[0:3], 0 offset:136
	buffer_store_dword v131, off, s[0:3], 0 offset:140
	buffer_store_dword v132, off, s[0:3], 0 offset:144
	buffer_store_dword v133, off, s[0:3], 0 offset:148
	s_waitcnt vmcnt(62)
	buffer_store_dword v137, off, s[0:3], 0 offset:156
	buffer_store_dword v136, off, s[0:3], 0 offset:152
	buffer_store_dword v139, off, s[0:3], 0 offset:164
	buffer_store_dword v138, off, s[0:3], 0 offset:160
	s_waitcnt vmcnt(52)
	buffer_store_dword v96, off, s[0:3], 0 offset:168
	buffer_store_dword v97, off, s[0:3], 0 offset:172
	buffer_store_dword v140, off, s[0:3], 0 offset:176
	buffer_store_dword v141, off, s[0:3], 0 offset:180
	s_waitcnt vmcnt(53)
	buffer_store_dword v98, off, s[0:3], 0 offset:184
	buffer_store_dword v99, off, s[0:3], 0 offset:188
	buffer_store_dword v142, off, s[0:3], 0 offset:192
	buffer_store_dword v143, off, s[0:3], 0 offset:196
	s_waitcnt vmcnt(54)
	buffer_store_dword v101, off, s[0:3], 0 offset:204
	buffer_store_dword v100, off, s[0:3], 0 offset:200
	buffer_store_dword v145, off, s[0:3], 0 offset:212
	buffer_store_dword v144, off, s[0:3], 0 offset:208
	s_waitcnt vmcnt(55)
	buffer_store_dword v102, off, s[0:3], 0 offset:216
	buffer_store_dword v103, off, s[0:3], 0 offset:220
	buffer_store_dword v146, off, s[0:3], 0 offset:224
	buffer_store_dword v147, off, s[0:3], 0 offset:228
	s_waitcnt vmcnt(56)
	buffer_store_dword v104, off, s[0:3], 0 offset:232
	buffer_store_dword v105, off, s[0:3], 0 offset:236
	buffer_store_dword v148, off, s[0:3], 0 offset:240
	buffer_store_dword v149, off, s[0:3], 0 offset:244
	s_waitcnt vmcnt(57)
	buffer_store_dword v107, off, s[0:3], 0 offset:252
	buffer_store_dword v106, off, s[0:3], 0 offset:248
	buffer_store_dword v151, off, s[0:3], 0 offset:260
	buffer_store_dword v150, off, s[0:3], 0 offset:256
	s_waitcnt vmcnt(58)
	buffer_store_dword v108, off, s[0:3], 0 offset:264
	buffer_store_dword v109, off, s[0:3], 0 offset:268
	buffer_store_dword v152, off, s[0:3], 0 offset:272
	buffer_store_dword v153, off, s[0:3], 0 offset:276
	s_waitcnt vmcnt(59)
	buffer_store_dword v110, off, s[0:3], 0 offset:280
	buffer_store_dword v111, off, s[0:3], 0 offset:284
	buffer_store_dword v154, off, s[0:3], 0 offset:288
	buffer_store_dword v155, off, s[0:3], 0 offset:292
	s_waitcnt vmcnt(60)
	buffer_store_dword v113, off, s[0:3], 0 offset:300
	buffer_store_dword v112, off, s[0:3], 0 offset:296
	buffer_store_dword v157, off, s[0:3], 0 offset:308
	buffer_store_dword v156, off, s[0:3], 0 offset:304
	s_waitcnt vmcnt(61)
	buffer_store_dword v114, off, s[0:3], 0 offset:312
	buffer_store_dword v115, off, s[0:3], 0 offset:316
	buffer_store_dword v158, off, s[0:3], 0 offset:320
	buffer_store_dword v159, off, s[0:3], 0 offset:324
	s_waitcnt vmcnt(62)
	buffer_store_dword v116, off, s[0:3], 0 offset:328
	buffer_store_dword v117, off, s[0:3], 0 offset:332
	buffer_store_dword v160, off, s[0:3], 0 offset:336
	buffer_store_dword v161, off, s[0:3], 0 offset:340
	s_waitcnt vmcnt(62)
	buffer_store_dword v119, off, s[0:3], 0 offset:348
	buffer_store_dword v118, off, s[0:3], 0 offset:344
	buffer_store_dword v163, off, s[0:3], 0 offset:356
	buffer_store_dword v162, off, s[0:3], 0 offset:352
	s_waitcnt vmcnt(62)
	buffer_store_dword v120, off, s[0:3], 0 offset:360
	buffer_store_dword v121, off, s[0:3], 0 offset:364
	;; [unrolled: 1-line block ×4, first 2 shown]
	s_cbranch_scc1 .LBB46_194
; %bb.4:
	v_cmp_eq_u32_e64 s[4:5], 0, v0
	s_and_saveexec_b64 s[6:7], s[4:5]
	s_cbranch_execz .LBB46_6
; %bb.5:
	v_mov_b32_e32 v96, 0
	ds_write_b32 v96, v96 offset:376
.LBB46_6:
	s_or_b64 exec, exec, s[6:7]
	v_mov_b32_e32 v96, 0
	v_lshl_add_u32 v96, v0, 3, v96
	s_waitcnt lgkmcnt(0)
	; wave barrier
	s_waitcnt lgkmcnt(0)
	buffer_load_dword v98, v96, s[0:3], 0 offen
	buffer_load_dword v99, v96, s[0:3], 0 offen offset:4
	s_waitcnt vmcnt(0)
	v_cmp_eq_f64_e32 vcc, 0, v[98:99]
	s_and_saveexec_b64 s[12:13], vcc
	s_cbranch_execz .LBB46_10
; %bb.7:
	v_mov_b32_e32 v97, 0
	ds_read_b32 v99, v97 offset:376
	v_add_u32_e32 v98, 1, v0
	s_waitcnt lgkmcnt(0)
	v_readfirstlane_b32 s6, v99
	s_cmp_eq_u32 s6, 0
	s_cselect_b64 s[16:17], -1, 0
	v_cmp_gt_i32_e32 vcc, s6, v98
	s_or_b64 s[16:17], s[16:17], vcc
	s_and_b64 exec, exec, s[16:17]
	s_cbranch_execz .LBB46_10
; %bb.8:
	s_mov_b64 s[16:17], 0
	v_mov_b32_e32 v99, s6
.LBB46_9:                               ; =>This Inner Loop Header: Depth=1
	ds_cmpst_rtn_b32 v99, v97, v99, v98 offset:376
	s_waitcnt lgkmcnt(0)
	v_cmp_ne_u32_e32 vcc, 0, v99
	v_cmp_le_i32_e64 s[6:7], v99, v98
	s_and_b64 s[6:7], vcc, s[6:7]
	s_and_b64 s[6:7], exec, s[6:7]
	s_or_b64 s[16:17], s[6:7], s[16:17]
	s_andn2_b64 exec, exec, s[16:17]
	s_cbranch_execnz .LBB46_9
.LBB46_10:
	s_or_b64 exec, exec, s[12:13]
	v_mov_b32_e32 v98, 0
	s_waitcnt lgkmcnt(0)
	; wave barrier
	ds_read_b32 v97, v98 offset:376
	s_and_saveexec_b64 s[6:7], s[4:5]
	s_cbranch_execz .LBB46_12
; %bb.11:
	s_lshl_b64 s[12:13], s[8:9], 2
	s_add_u32 s12, s14, s12
	s_addc_u32 s13, s15, s13
	s_waitcnt lgkmcnt(0)
	global_store_dword v98, v97, s[12:13]
.LBB46_12:
	s_or_b64 exec, exec, s[6:7]
	s_waitcnt lgkmcnt(0)
	v_cmp_ne_u32_e32 vcc, 0, v97
	s_mov_b64 s[6:7], 0
	s_cbranch_vccnz .LBB46_194
; %bb.13:
	buffer_load_dword v98, v96, s[0:3], 0 offen
	buffer_load_dword v99, v96, s[0:3], 0 offen offset:4
	s_waitcnt vmcnt(0)
	v_div_scale_f64 v[100:101], s[6:7], v[98:99], v[98:99], 1.0
	v_rcp_f64_e32 v[102:103], v[100:101]
	v_div_scale_f64 v[104:105], vcc, 1.0, v[98:99], 1.0
	v_fma_f64 v[106:107], -v[100:101], v[102:103], 1.0
	v_fmac_f64_e32 v[102:103], v[102:103], v[106:107]
	v_fma_f64 v[106:107], -v[100:101], v[102:103], 1.0
	v_fmac_f64_e32 v[102:103], v[102:103], v[106:107]
	v_mul_f64 v[106:107], v[104:105], v[102:103]
	v_fma_f64 v[100:101], -v[100:101], v[106:107], v[104:105]
	v_div_fmas_f64 v[100:101], v[100:101], v[102:103], v[106:107]
	v_div_fixup_f64 v[100:101], v[100:101], v[98:99], 1.0
	buffer_store_dword v101, v96, s[0:3], 0 offen offset:4
	buffer_store_dword v100, v96, s[0:3], 0 offen
	buffer_load_dword v103, off, s[0:3], 0 offset:12
	buffer_load_dword v102, off, s[0:3], 0 offset:8
	v_add_u32_e32 v98, 0x180, v1
	v_xor_b32_e32 v101, 0x80000000, v101
	s_waitcnt vmcnt(0)
	ds_write2_b64 v1, v[100:101], v[102:103] offset1:48
	s_waitcnt lgkmcnt(0)
	; wave barrier
	s_waitcnt lgkmcnt(0)
	s_and_saveexec_b64 s[6:7], s[4:5]
	s_cbranch_execz .LBB46_15
; %bb.14:
	buffer_load_dword v100, v96, s[0:3], 0 offen
	buffer_load_dword v101, v96, s[0:3], 0 offen offset:4
	v_mov_b32_e32 v97, 0
	ds_read_b64 v[102:103], v98
	ds_read_b64 v[104:105], v97 offset:8
	s_waitcnt vmcnt(0) lgkmcnt(1)
	v_fma_f64 v[100:101], v[100:101], v[102:103], 0
	s_waitcnt lgkmcnt(0)
	v_mul_f64 v[100:101], v[100:101], v[104:105]
	buffer_store_dword v100, off, s[0:3], 0 offset:8
	buffer_store_dword v101, off, s[0:3], 0 offset:12
.LBB46_15:
	s_or_b64 exec, exec, s[6:7]
	s_waitcnt lgkmcnt(0)
	; wave barrier
	buffer_load_dword v100, off, s[0:3], 0 offset:16
	buffer_load_dword v101, off, s[0:3], 0 offset:20
	v_cmp_gt_u32_e32 vcc, 2, v0
	s_waitcnt vmcnt(0)
	ds_write_b64 v98, v[100:101]
	s_waitcnt lgkmcnt(0)
	; wave barrier
	s_waitcnt lgkmcnt(0)
	s_and_saveexec_b64 s[6:7], vcc
	s_cbranch_execz .LBB46_17
; %bb.16:
	buffer_load_dword v97, v96, s[0:3], 0 offen offset:4
	buffer_load_dword v104, off, s[0:3], 0 offset:8
	s_nop 0
	buffer_load_dword v96, v96, s[0:3], 0 offen
	s_nop 0
	buffer_load_dword v105, off, s[0:3], 0 offset:12
	ds_read_b64 v[106:107], v98
	v_mov_b32_e32 v99, 0
	ds_read2_b64 v[100:103], v99 offset0:2 offset1:49
	s_waitcnt vmcnt(1) lgkmcnt(1)
	v_fma_f64 v[96:97], v[96:97], v[106:107], 0
	s_waitcnt vmcnt(0) lgkmcnt(0)
	v_fma_f64 v[102:103], v[104:105], v[102:103], v[96:97]
	v_cndmask_b32_e64 v97, v97, v103, s[4:5]
	v_cndmask_b32_e64 v96, v96, v102, s[4:5]
	v_mul_f64 v[96:97], v[96:97], v[100:101]
	buffer_store_dword v97, off, s[0:3], 0 offset:20
	buffer_store_dword v96, off, s[0:3], 0 offset:16
.LBB46_17:
	s_or_b64 exec, exec, s[6:7]
	s_waitcnt lgkmcnt(0)
	; wave barrier
	buffer_load_dword v96, off, s[0:3], 0 offset:24
	buffer_load_dword v97, off, s[0:3], 0 offset:28
	v_cmp_gt_u32_e32 vcc, 3, v0
	v_add_u32_e32 v99, -1, v0
	s_waitcnt vmcnt(0)
	ds_write_b64 v98, v[96:97]
	s_waitcnt lgkmcnt(0)
	; wave barrier
	s_waitcnt lgkmcnt(0)
	s_and_saveexec_b64 s[4:5], vcc
	s_cbranch_execz .LBB46_21
; %bb.18:
	v_add_u32_e32 v100, -1, v0
	v_add_u32_e32 v101, 0x180, v1
	v_add_u32_e32 v102, 0, v1
	s_mov_b64 s[6:7], 0
	v_pk_mov_b32 v[96:97], 0, 0
.LBB46_19:                              ; =>This Inner Loop Header: Depth=1
	buffer_load_dword v104, v102, s[0:3], 0 offen
	buffer_load_dword v105, v102, s[0:3], 0 offen offset:4
	ds_read_b64 v[106:107], v101
	v_add_u32_e32 v100, 1, v100
	v_cmp_lt_u32_e32 vcc, 1, v100
	v_add_u32_e32 v101, 8, v101
	v_add_u32_e32 v102, 8, v102
	s_or_b64 s[6:7], vcc, s[6:7]
	s_waitcnt vmcnt(0) lgkmcnt(0)
	v_fmac_f64_e32 v[96:97], v[104:105], v[106:107]
	s_andn2_b64 exec, exec, s[6:7]
	s_cbranch_execnz .LBB46_19
; %bb.20:
	s_or_b64 exec, exec, s[6:7]
	v_mov_b32_e32 v100, 0
	ds_read_b64 v[100:101], v100 offset:24
	s_waitcnt lgkmcnt(0)
	v_mul_f64 v[96:97], v[96:97], v[100:101]
	buffer_store_dword v97, off, s[0:3], 0 offset:28
	buffer_store_dword v96, off, s[0:3], 0 offset:24
.LBB46_21:
	s_or_b64 exec, exec, s[4:5]
	s_waitcnt lgkmcnt(0)
	; wave barrier
	buffer_load_dword v96, off, s[0:3], 0 offset:32
	buffer_load_dword v97, off, s[0:3], 0 offset:36
	v_cmp_gt_u32_e32 vcc, 4, v0
	s_waitcnt vmcnt(0)
	ds_write_b64 v98, v[96:97]
	s_waitcnt lgkmcnt(0)
	; wave barrier
	s_waitcnt lgkmcnt(0)
	s_and_saveexec_b64 s[4:5], vcc
	s_cbranch_execz .LBB46_25
; %bb.22:
	v_add_u32_e32 v100, -1, v0
	v_add_u32_e32 v101, 0x180, v1
	v_add_u32_e32 v102, 0, v1
	s_mov_b64 s[6:7], 0
	v_pk_mov_b32 v[96:97], 0, 0
.LBB46_23:                              ; =>This Inner Loop Header: Depth=1
	buffer_load_dword v104, v102, s[0:3], 0 offen
	buffer_load_dword v105, v102, s[0:3], 0 offen offset:4
	ds_read_b64 v[106:107], v101
	v_add_u32_e32 v100, 1, v100
	v_cmp_lt_u32_e32 vcc, 2, v100
	v_add_u32_e32 v101, 8, v101
	v_add_u32_e32 v102, 8, v102
	s_or_b64 s[6:7], vcc, s[6:7]
	s_waitcnt vmcnt(0) lgkmcnt(0)
	v_fmac_f64_e32 v[96:97], v[104:105], v[106:107]
	s_andn2_b64 exec, exec, s[6:7]
	s_cbranch_execnz .LBB46_23
; %bb.24:
	s_or_b64 exec, exec, s[6:7]
	v_mov_b32_e32 v100, 0
	ds_read_b64 v[100:101], v100 offset:32
	s_waitcnt lgkmcnt(0)
	v_mul_f64 v[96:97], v[96:97], v[100:101]
	buffer_store_dword v97, off, s[0:3], 0 offset:36
	buffer_store_dword v96, off, s[0:3], 0 offset:32
.LBB46_25:
	s_or_b64 exec, exec, s[4:5]
	s_waitcnt lgkmcnt(0)
	; wave barrier
	buffer_load_dword v96, off, s[0:3], 0 offset:40
	buffer_load_dword v97, off, s[0:3], 0 offset:44
	v_cmp_gt_u32_e32 vcc, 5, v0
	;; [unrolled: 41-line block ×21, first 2 shown]
	s_waitcnt vmcnt(0)
	ds_write_b64 v98, v[96:97]
	s_waitcnt lgkmcnt(0)
	; wave barrier
	s_waitcnt lgkmcnt(0)
	s_and_saveexec_b64 s[4:5], vcc
	s_cbranch_execz .LBB46_105
; %bb.102:
	v_add_u32_e32 v100, -1, v0
	v_add_u32_e32 v101, 0x180, v1
	v_add_u32_e32 v102, 0, v1
	s_mov_b64 s[6:7], 0
	v_pk_mov_b32 v[96:97], 0, 0
.LBB46_103:                             ; =>This Inner Loop Header: Depth=1
	buffer_load_dword v104, v102, s[0:3], 0 offen
	buffer_load_dword v105, v102, s[0:3], 0 offen offset:4
	ds_read_b64 v[106:107], v101
	v_add_u32_e32 v100, 1, v100
	v_cmp_lt_u32_e32 vcc, 22, v100
	v_add_u32_e32 v101, 8, v101
	v_add_u32_e32 v102, 8, v102
	s_or_b64 s[6:7], vcc, s[6:7]
	s_waitcnt vmcnt(0) lgkmcnt(0)
	v_fmac_f64_e32 v[96:97], v[104:105], v[106:107]
	s_andn2_b64 exec, exec, s[6:7]
	s_cbranch_execnz .LBB46_103
; %bb.104:
	s_or_b64 exec, exec, s[6:7]
	v_mov_b32_e32 v100, 0
	ds_read_b64 v[100:101], v100 offset:192
	s_waitcnt lgkmcnt(0)
	v_mul_f64 v[96:97], v[96:97], v[100:101]
	buffer_store_dword v97, off, s[0:3], 0 offset:196
	buffer_store_dword v96, off, s[0:3], 0 offset:192
.LBB46_105:
	s_or_b64 exec, exec, s[4:5]
	s_waitcnt lgkmcnt(0)
	; wave barrier
	buffer_load_dword v96, off, s[0:3], 0 offset:200
	buffer_load_dword v97, off, s[0:3], 0 offset:204
	v_cmp_gt_u32_e32 vcc, 25, v0
	s_waitcnt vmcnt(0)
	ds_write_b64 v98, v[96:97]
	s_waitcnt lgkmcnt(0)
	; wave barrier
	s_waitcnt lgkmcnt(0)
	s_and_saveexec_b64 s[4:5], vcc
	s_cbranch_execz .LBB46_109
; %bb.106:
	v_add_u32_e32 v100, -1, v0
	v_add_u32_e32 v101, 0x180, v1
	v_add_u32_e32 v102, 0, v1
	s_mov_b64 s[6:7], 0
	v_pk_mov_b32 v[96:97], 0, 0
.LBB46_107:                             ; =>This Inner Loop Header: Depth=1
	buffer_load_dword v104, v102, s[0:3], 0 offen
	buffer_load_dword v105, v102, s[0:3], 0 offen offset:4
	ds_read_b64 v[106:107], v101
	v_add_u32_e32 v100, 1, v100
	v_cmp_lt_u32_e32 vcc, 23, v100
	v_add_u32_e32 v101, 8, v101
	v_add_u32_e32 v102, 8, v102
	s_or_b64 s[6:7], vcc, s[6:7]
	s_waitcnt vmcnt(0) lgkmcnt(0)
	v_fmac_f64_e32 v[96:97], v[104:105], v[106:107]
	s_andn2_b64 exec, exec, s[6:7]
	s_cbranch_execnz .LBB46_107
; %bb.108:
	s_or_b64 exec, exec, s[6:7]
	v_mov_b32_e32 v100, 0
	ds_read_b64 v[100:101], v100 offset:200
	s_waitcnt lgkmcnt(0)
	v_mul_f64 v[96:97], v[96:97], v[100:101]
	buffer_store_dword v97, off, s[0:3], 0 offset:204
	buffer_store_dword v96, off, s[0:3], 0 offset:200
.LBB46_109:
	s_or_b64 exec, exec, s[4:5]
	s_waitcnt lgkmcnt(0)
	; wave barrier
	buffer_load_dword v96, off, s[0:3], 0 offset:208
	buffer_load_dword v97, off, s[0:3], 0 offset:212
	v_cmp_gt_u32_e32 vcc, 26, v0
	;; [unrolled: 41-line block ×21, first 2 shown]
	s_waitcnt vmcnt(0)
	ds_write_b64 v98, v[96:97]
	s_waitcnt lgkmcnt(0)
	; wave barrier
	s_waitcnt lgkmcnt(0)
	s_and_saveexec_b64 s[4:5], vcc
	s_cbranch_execz .LBB46_189
; %bb.186:
	v_add_u32_e32 v100, -1, v0
	v_add_u32_e32 v101, 0x180, v1
	v_add_u32_e32 v102, 0, v1
	s_mov_b64 s[6:7], 0
	v_pk_mov_b32 v[96:97], 0, 0
.LBB46_187:                             ; =>This Inner Loop Header: Depth=1
	buffer_load_dword v104, v102, s[0:3], 0 offen
	buffer_load_dword v105, v102, s[0:3], 0 offen offset:4
	ds_read_b64 v[106:107], v101
	v_add_u32_e32 v100, 1, v100
	v_cmp_lt_u32_e32 vcc, 43, v100
	v_add_u32_e32 v101, 8, v101
	v_add_u32_e32 v102, 8, v102
	s_or_b64 s[6:7], vcc, s[6:7]
	s_waitcnt vmcnt(0) lgkmcnt(0)
	v_fmac_f64_e32 v[96:97], v[104:105], v[106:107]
	s_andn2_b64 exec, exec, s[6:7]
	s_cbranch_execnz .LBB46_187
; %bb.188:
	s_or_b64 exec, exec, s[6:7]
	v_mov_b32_e32 v100, 0
	ds_read_b64 v[100:101], v100 offset:360
	s_waitcnt lgkmcnt(0)
	v_mul_f64 v[96:97], v[96:97], v[100:101]
	buffer_store_dword v97, off, s[0:3], 0 offset:364
	buffer_store_dword v96, off, s[0:3], 0 offset:360
.LBB46_189:
	s_or_b64 exec, exec, s[4:5]
	s_waitcnt lgkmcnt(0)
	; wave barrier
	buffer_load_dword v96, off, s[0:3], 0 offset:368
	buffer_load_dword v97, off, s[0:3], 0 offset:372
	v_cmp_ne_u32_e32 vcc, 46, v0
	s_waitcnt vmcnt(0)
	ds_write_b64 v98, v[96:97]
	s_waitcnt lgkmcnt(0)
	; wave barrier
	s_waitcnt lgkmcnt(0)
	s_and_saveexec_b64 s[4:5], vcc
	s_cbranch_execz .LBB46_193
; %bb.190:
	v_add_u32_e32 v98, 0x180, v1
	v_add_u32_e32 v1, 0, v1
	s_mov_b64 s[6:7], 0
	v_pk_mov_b32 v[96:97], 0, 0
.LBB46_191:                             ; =>This Inner Loop Header: Depth=1
	buffer_load_dword v100, v1, s[0:3], 0 offen
	buffer_load_dword v101, v1, s[0:3], 0 offen offset:4
	ds_read_b64 v[102:103], v98
	v_add_u32_e32 v99, 1, v99
	v_cmp_lt_u32_e32 vcc, 44, v99
	v_add_u32_e32 v98, 8, v98
	v_add_u32_e32 v1, 8, v1
	s_or_b64 s[6:7], vcc, s[6:7]
	s_waitcnt vmcnt(0) lgkmcnt(0)
	v_fmac_f64_e32 v[96:97], v[100:101], v[102:103]
	s_andn2_b64 exec, exec, s[6:7]
	s_cbranch_execnz .LBB46_191
; %bb.192:
	s_or_b64 exec, exec, s[6:7]
	v_mov_b32_e32 v1, 0
	ds_read_b64 v[98:99], v1 offset:368
	s_waitcnt lgkmcnt(0)
	v_mul_f64 v[96:97], v[96:97], v[98:99]
	buffer_store_dword v97, off, s[0:3], 0 offset:372
	buffer_store_dword v96, off, s[0:3], 0 offset:368
.LBB46_193:
	s_or_b64 exec, exec, s[4:5]
	s_mov_b64 s[6:7], -1
	s_waitcnt lgkmcnt(0)
	; wave barrier
.LBB46_194:
	s_and_b64 vcc, exec, s[6:7]
	s_cbranch_vccz .LBB46_196
; %bb.195:
	s_lshl_b64 s[4:5], s[8:9], 2
	s_add_u32 s4, s14, s4
	s_addc_u32 s5, s15, s5
	v_mov_b32_e32 v1, 0
	global_load_dword v1, v1, s[4:5]
	s_waitcnt vmcnt(0)
	v_cmp_ne_u32_e32 vcc, 0, v1
	s_cbranch_vccz .LBB46_197
.LBB46_196:
	s_endpgm
.LBB46_197:
	v_mov_b32_e32 v1, 0x180
	v_lshl_add_u32 v1, v0, 3, v1
	v_cmp_eq_u32_e32 vcc, 46, v0
	s_and_saveexec_b64 s[4:5], vcc
	s_cbranch_execz .LBB46_199
; %bb.198:
	buffer_load_dword v96, off, s[0:3], 0 offset:360
	buffer_load_dword v97, off, s[0:3], 0 offset:364
	v_mov_b32_e32 v98, 0
	buffer_store_dword v98, off, s[0:3], 0 offset:360
	buffer_store_dword v98, off, s[0:3], 0 offset:364
	s_waitcnt vmcnt(2)
	ds_write_b64 v1, v[96:97]
.LBB46_199:
	s_or_b64 exec, exec, s[4:5]
	s_waitcnt lgkmcnt(0)
	; wave barrier
	s_waitcnt lgkmcnt(0)
	buffer_load_dword v98, off, s[0:3], 0 offset:368
	buffer_load_dword v99, off, s[0:3], 0 offset:372
	;; [unrolled: 1-line block ×4, first 2 shown]
	v_mov_b32_e32 v96, 0
	ds_read_b64 v[102:103], v96 offset:752
	v_cmp_lt_u32_e32 vcc, 44, v0
	s_waitcnt vmcnt(2) lgkmcnt(0)
	v_fma_f64 v[98:99], v[98:99], v[102:103], 0
	s_waitcnt vmcnt(0)
	v_add_f64 v[98:99], v[100:101], -v[98:99]
	buffer_store_dword v98, off, s[0:3], 0 offset:360
	buffer_store_dword v99, off, s[0:3], 0 offset:364
	s_and_saveexec_b64 s[4:5], vcc
	s_cbranch_execz .LBB46_201
; %bb.200:
	buffer_load_dword v98, off, s[0:3], 0 offset:352
	buffer_load_dword v99, off, s[0:3], 0 offset:356
	s_waitcnt vmcnt(0)
	ds_write_b64 v1, v[98:99]
	buffer_store_dword v96, off, s[0:3], 0 offset:352
	buffer_store_dword v96, off, s[0:3], 0 offset:356
.LBB46_201:
	s_or_b64 exec, exec, s[4:5]
	s_waitcnt lgkmcnt(0)
	; wave barrier
	s_waitcnt lgkmcnt(0)
	buffer_load_dword v100, off, s[0:3], 0 offset:360
	buffer_load_dword v101, off, s[0:3], 0 offset:364
	;; [unrolled: 1-line block ×6, first 2 shown]
	ds_read2_b64 v[96:99], v96 offset0:93 offset1:94
	v_cmp_lt_u32_e32 vcc, 43, v0
	s_waitcnt vmcnt(4) lgkmcnt(0)
	v_fma_f64 v[96:97], v[100:101], v[96:97], 0
	s_waitcnt vmcnt(2)
	v_fmac_f64_e32 v[96:97], v[102:103], v[98:99]
	s_waitcnt vmcnt(0)
	v_add_f64 v[96:97], v[104:105], -v[96:97]
	buffer_store_dword v96, off, s[0:3], 0 offset:352
	buffer_store_dword v97, off, s[0:3], 0 offset:356
	s_and_saveexec_b64 s[4:5], vcc
	s_cbranch_execz .LBB46_203
; %bb.202:
	buffer_load_dword v96, off, s[0:3], 0 offset:344
	buffer_load_dword v97, off, s[0:3], 0 offset:348
	v_mov_b32_e32 v98, 0
	buffer_store_dword v98, off, s[0:3], 0 offset:344
	buffer_store_dword v98, off, s[0:3], 0 offset:348
	s_waitcnt vmcnt(2)
	ds_write_b64 v1, v[96:97]
.LBB46_203:
	s_or_b64 exec, exec, s[4:5]
	s_waitcnt lgkmcnt(0)
	; wave barrier
	s_waitcnt lgkmcnt(0)
	buffer_load_dword v102, off, s[0:3], 0 offset:352
	buffer_load_dword v103, off, s[0:3], 0 offset:356
	buffer_load_dword v104, off, s[0:3], 0 offset:360
	buffer_load_dword v105, off, s[0:3], 0 offset:364
	buffer_load_dword v106, off, s[0:3], 0 offset:368
	buffer_load_dword v107, off, s[0:3], 0 offset:372
	buffer_load_dword v108, off, s[0:3], 0 offset:344
	buffer_load_dword v109, off, s[0:3], 0 offset:348
	v_mov_b32_e32 v96, 0
	ds_read_b128 v[98:101], v96 offset:736
	ds_read_b64 v[110:111], v96 offset:752
	v_cmp_lt_u32_e32 vcc, 42, v0
	s_waitcnt vmcnt(6) lgkmcnt(1)
	v_fma_f64 v[98:99], v[102:103], v[98:99], 0
	s_waitcnt vmcnt(4)
	v_fmac_f64_e32 v[98:99], v[104:105], v[100:101]
	s_waitcnt vmcnt(2) lgkmcnt(0)
	v_fmac_f64_e32 v[98:99], v[106:107], v[110:111]
	s_waitcnt vmcnt(0)
	v_add_f64 v[98:99], v[108:109], -v[98:99]
	buffer_store_dword v98, off, s[0:3], 0 offset:344
	buffer_store_dword v99, off, s[0:3], 0 offset:348
	s_and_saveexec_b64 s[4:5], vcc
	s_cbranch_execz .LBB46_205
; %bb.204:
	buffer_load_dword v98, off, s[0:3], 0 offset:336
	buffer_load_dword v99, off, s[0:3], 0 offset:340
	s_waitcnt vmcnt(0)
	ds_write_b64 v1, v[98:99]
	buffer_store_dword v96, off, s[0:3], 0 offset:336
	buffer_store_dword v96, off, s[0:3], 0 offset:340
.LBB46_205:
	s_or_b64 exec, exec, s[4:5]
	s_waitcnt lgkmcnt(0)
	; wave barrier
	s_waitcnt lgkmcnt(0)
	buffer_load_dword v106, off, s[0:3], 0 offset:344
	buffer_load_dword v107, off, s[0:3], 0 offset:348
	;; [unrolled: 1-line block ×10, first 2 shown]
	ds_read2_b64 v[98:101], v96 offset0:91 offset1:92
	ds_read2_b64 v[102:105], v96 offset0:93 offset1:94
	v_cmp_lt_u32_e32 vcc, 41, v0
	s_waitcnt vmcnt(8) lgkmcnt(1)
	v_fma_f64 v[96:97], v[106:107], v[98:99], 0
	s_waitcnt vmcnt(6)
	v_fmac_f64_e32 v[96:97], v[108:109], v[100:101]
	s_waitcnt vmcnt(4) lgkmcnt(0)
	v_fmac_f64_e32 v[96:97], v[110:111], v[102:103]
	s_waitcnt vmcnt(2)
	v_fmac_f64_e32 v[96:97], v[112:113], v[104:105]
	s_waitcnt vmcnt(0)
	v_add_f64 v[96:97], v[114:115], -v[96:97]
	buffer_store_dword v96, off, s[0:3], 0 offset:336
	buffer_store_dword v97, off, s[0:3], 0 offset:340
	s_and_saveexec_b64 s[4:5], vcc
	s_cbranch_execz .LBB46_207
; %bb.206:
	buffer_load_dword v96, off, s[0:3], 0 offset:328
	buffer_load_dword v97, off, s[0:3], 0 offset:332
	v_mov_b32_e32 v98, 0
	buffer_store_dword v98, off, s[0:3], 0 offset:328
	buffer_store_dword v98, off, s[0:3], 0 offset:332
	s_waitcnt vmcnt(2)
	ds_write_b64 v1, v[96:97]
.LBB46_207:
	s_or_b64 exec, exec, s[4:5]
	s_waitcnt lgkmcnt(0)
	; wave barrier
	s_waitcnt lgkmcnt(0)
	buffer_load_dword v106, off, s[0:3], 0 offset:336
	buffer_load_dword v107, off, s[0:3], 0 offset:340
	buffer_load_dword v108, off, s[0:3], 0 offset:344
	buffer_load_dword v109, off, s[0:3], 0 offset:348
	buffer_load_dword v110, off, s[0:3], 0 offset:352
	buffer_load_dword v111, off, s[0:3], 0 offset:356
	buffer_load_dword v112, off, s[0:3], 0 offset:360
	buffer_load_dword v113, off, s[0:3], 0 offset:364
	buffer_load_dword v114, off, s[0:3], 0 offset:368
	buffer_load_dword v115, off, s[0:3], 0 offset:372
	buffer_load_dword v116, off, s[0:3], 0 offset:328
	buffer_load_dword v117, off, s[0:3], 0 offset:332
	v_mov_b32_e32 v96, 0
	ds_read_b128 v[98:101], v96 offset:720
	ds_read_b128 v[102:105], v96 offset:736
	ds_read_b64 v[118:119], v96 offset:752
	v_cmp_lt_u32_e32 vcc, 40, v0
	s_waitcnt vmcnt(10) lgkmcnt(2)
	v_fma_f64 v[98:99], v[106:107], v[98:99], 0
	s_waitcnt vmcnt(8)
	v_fmac_f64_e32 v[98:99], v[108:109], v[100:101]
	s_waitcnt vmcnt(6) lgkmcnt(1)
	v_fmac_f64_e32 v[98:99], v[110:111], v[102:103]
	s_waitcnt vmcnt(4)
	v_fmac_f64_e32 v[98:99], v[112:113], v[104:105]
	s_waitcnt vmcnt(2) lgkmcnt(0)
	v_fmac_f64_e32 v[98:99], v[114:115], v[118:119]
	s_waitcnt vmcnt(0)
	v_add_f64 v[98:99], v[116:117], -v[98:99]
	buffer_store_dword v98, off, s[0:3], 0 offset:328
	buffer_store_dword v99, off, s[0:3], 0 offset:332
	s_and_saveexec_b64 s[4:5], vcc
	s_cbranch_execz .LBB46_209
; %bb.208:
	buffer_load_dword v98, off, s[0:3], 0 offset:320
	buffer_load_dword v99, off, s[0:3], 0 offset:324
	s_waitcnt vmcnt(0)
	ds_write_b64 v1, v[98:99]
	buffer_store_dword v96, off, s[0:3], 0 offset:320
	buffer_store_dword v96, off, s[0:3], 0 offset:324
.LBB46_209:
	s_or_b64 exec, exec, s[4:5]
	s_waitcnt lgkmcnt(0)
	; wave barrier
	s_waitcnt lgkmcnt(0)
	buffer_load_dword v110, off, s[0:3], 0 offset:328
	buffer_load_dword v111, off, s[0:3], 0 offset:332
	;; [unrolled: 1-line block ×14, first 2 shown]
	ds_read2_b64 v[98:101], v96 offset0:89 offset1:90
	ds_read2_b64 v[102:105], v96 offset0:91 offset1:92
	;; [unrolled: 1-line block ×3, first 2 shown]
	v_cmp_lt_u32_e32 vcc, 39, v0
	s_waitcnt vmcnt(12) lgkmcnt(2)
	v_fma_f64 v[96:97], v[110:111], v[98:99], 0
	s_waitcnt vmcnt(10)
	v_fmac_f64_e32 v[96:97], v[112:113], v[100:101]
	s_waitcnt vmcnt(8) lgkmcnt(1)
	v_fmac_f64_e32 v[96:97], v[114:115], v[102:103]
	s_waitcnt vmcnt(6)
	v_fmac_f64_e32 v[96:97], v[116:117], v[104:105]
	s_waitcnt vmcnt(4) lgkmcnt(0)
	v_fmac_f64_e32 v[96:97], v[118:119], v[106:107]
	s_waitcnt vmcnt(2)
	v_fmac_f64_e32 v[96:97], v[120:121], v[108:109]
	s_waitcnt vmcnt(0)
	v_add_f64 v[96:97], v[122:123], -v[96:97]
	buffer_store_dword v96, off, s[0:3], 0 offset:320
	buffer_store_dword v97, off, s[0:3], 0 offset:324
	s_and_saveexec_b64 s[4:5], vcc
	s_cbranch_execz .LBB46_211
; %bb.210:
	buffer_load_dword v96, off, s[0:3], 0 offset:312
	buffer_load_dword v97, off, s[0:3], 0 offset:316
	v_mov_b32_e32 v98, 0
	buffer_store_dword v98, off, s[0:3], 0 offset:312
	buffer_store_dword v98, off, s[0:3], 0 offset:316
	s_waitcnt vmcnt(2)
	ds_write_b64 v1, v[96:97]
.LBB46_211:
	s_or_b64 exec, exec, s[4:5]
	s_waitcnt lgkmcnt(0)
	; wave barrier
	s_waitcnt lgkmcnt(0)
	buffer_load_dword v110, off, s[0:3], 0 offset:320
	buffer_load_dword v111, off, s[0:3], 0 offset:324
	buffer_load_dword v112, off, s[0:3], 0 offset:328
	buffer_load_dword v113, off, s[0:3], 0 offset:332
	buffer_load_dword v114, off, s[0:3], 0 offset:336
	buffer_load_dword v115, off, s[0:3], 0 offset:340
	buffer_load_dword v116, off, s[0:3], 0 offset:344
	buffer_load_dword v117, off, s[0:3], 0 offset:348
	buffer_load_dword v118, off, s[0:3], 0 offset:352
	buffer_load_dword v119, off, s[0:3], 0 offset:356
	buffer_load_dword v120, off, s[0:3], 0 offset:360
	buffer_load_dword v121, off, s[0:3], 0 offset:364
	buffer_load_dword v122, off, s[0:3], 0 offset:368
	buffer_load_dword v123, off, s[0:3], 0 offset:372
	buffer_load_dword v124, off, s[0:3], 0 offset:312
	buffer_load_dword v125, off, s[0:3], 0 offset:316
	v_mov_b32_e32 v96, 0
	ds_read_b128 v[98:101], v96 offset:704
	ds_read_b128 v[102:105], v96 offset:720
	;; [unrolled: 1-line block ×3, first 2 shown]
	ds_read_b64 v[126:127], v96 offset:752
	v_cmp_lt_u32_e32 vcc, 38, v0
	s_waitcnt vmcnt(14) lgkmcnt(3)
	v_fma_f64 v[98:99], v[110:111], v[98:99], 0
	s_waitcnt vmcnt(12)
	v_fmac_f64_e32 v[98:99], v[112:113], v[100:101]
	s_waitcnt vmcnt(10) lgkmcnt(2)
	v_fmac_f64_e32 v[98:99], v[114:115], v[102:103]
	s_waitcnt vmcnt(8)
	v_fmac_f64_e32 v[98:99], v[116:117], v[104:105]
	s_waitcnt vmcnt(6) lgkmcnt(1)
	v_fmac_f64_e32 v[98:99], v[118:119], v[106:107]
	;; [unrolled: 4-line block ×3, first 2 shown]
	s_waitcnt vmcnt(0)
	v_add_f64 v[98:99], v[124:125], -v[98:99]
	buffer_store_dword v98, off, s[0:3], 0 offset:312
	buffer_store_dword v99, off, s[0:3], 0 offset:316
	s_and_saveexec_b64 s[4:5], vcc
	s_cbranch_execz .LBB46_213
; %bb.212:
	buffer_load_dword v98, off, s[0:3], 0 offset:304
	buffer_load_dword v99, off, s[0:3], 0 offset:308
	s_waitcnt vmcnt(0)
	ds_write_b64 v1, v[98:99]
	buffer_store_dword v96, off, s[0:3], 0 offset:304
	buffer_store_dword v96, off, s[0:3], 0 offset:308
.LBB46_213:
	s_or_b64 exec, exec, s[4:5]
	s_waitcnt lgkmcnt(0)
	; wave barrier
	s_waitcnt lgkmcnt(0)
	buffer_load_dword v114, off, s[0:3], 0 offset:312
	buffer_load_dword v115, off, s[0:3], 0 offset:316
	;; [unrolled: 1-line block ×18, first 2 shown]
	ds_read2_b64 v[98:101], v96 offset0:87 offset1:88
	ds_read2_b64 v[102:105], v96 offset0:89 offset1:90
	;; [unrolled: 1-line block ×4, first 2 shown]
	v_cmp_lt_u32_e32 vcc, 37, v0
	s_waitcnt vmcnt(16) lgkmcnt(3)
	v_fma_f64 v[96:97], v[114:115], v[98:99], 0
	s_waitcnt vmcnt(14)
	v_fmac_f64_e32 v[96:97], v[116:117], v[100:101]
	s_waitcnt vmcnt(12) lgkmcnt(2)
	v_fmac_f64_e32 v[96:97], v[118:119], v[102:103]
	s_waitcnt vmcnt(10)
	v_fmac_f64_e32 v[96:97], v[120:121], v[104:105]
	s_waitcnt vmcnt(8) lgkmcnt(1)
	v_fmac_f64_e32 v[96:97], v[122:123], v[106:107]
	;; [unrolled: 4-line block ×3, first 2 shown]
	s_waitcnt vmcnt(2)
	v_fmac_f64_e32 v[96:97], v[128:129], v[112:113]
	s_waitcnt vmcnt(0)
	v_add_f64 v[96:97], v[130:131], -v[96:97]
	buffer_store_dword v96, off, s[0:3], 0 offset:304
	buffer_store_dword v97, off, s[0:3], 0 offset:308
	s_and_saveexec_b64 s[4:5], vcc
	s_cbranch_execz .LBB46_215
; %bb.214:
	buffer_load_dword v96, off, s[0:3], 0 offset:296
	buffer_load_dword v97, off, s[0:3], 0 offset:300
	v_mov_b32_e32 v98, 0
	buffer_store_dword v98, off, s[0:3], 0 offset:296
	buffer_store_dword v98, off, s[0:3], 0 offset:300
	s_waitcnt vmcnt(2)
	ds_write_b64 v1, v[96:97]
.LBB46_215:
	s_or_b64 exec, exec, s[4:5]
	s_waitcnt lgkmcnt(0)
	; wave barrier
	s_waitcnt lgkmcnt(0)
	buffer_load_dword v114, off, s[0:3], 0 offset:304
	buffer_load_dword v115, off, s[0:3], 0 offset:308
	;; [unrolled: 1-line block ×20, first 2 shown]
	v_mov_b32_e32 v96, 0
	ds_read_b128 v[98:101], v96 offset:688
	ds_read_b128 v[102:105], v96 offset:704
	;; [unrolled: 1-line block ×4, first 2 shown]
	ds_read_b64 v[134:135], v96 offset:752
	v_cmp_lt_u32_e32 vcc, 36, v0
	s_waitcnt vmcnt(18) lgkmcnt(4)
	v_fma_f64 v[98:99], v[114:115], v[98:99], 0
	s_waitcnt vmcnt(16)
	v_fmac_f64_e32 v[98:99], v[116:117], v[100:101]
	s_waitcnt vmcnt(14) lgkmcnt(3)
	v_fmac_f64_e32 v[98:99], v[118:119], v[102:103]
	s_waitcnt vmcnt(12)
	v_fmac_f64_e32 v[98:99], v[120:121], v[104:105]
	s_waitcnt vmcnt(10) lgkmcnt(2)
	v_fmac_f64_e32 v[98:99], v[122:123], v[106:107]
	;; [unrolled: 4-line block ×3, first 2 shown]
	s_waitcnt vmcnt(2)
	v_fmac_f64_e32 v[98:99], v[130:131], v[112:113]
	s_waitcnt lgkmcnt(0)
	v_fmac_f64_e32 v[98:99], v[128:129], v[134:135]
	s_waitcnt vmcnt(0)
	v_add_f64 v[98:99], v[132:133], -v[98:99]
	buffer_store_dword v98, off, s[0:3], 0 offset:296
	buffer_store_dword v99, off, s[0:3], 0 offset:300
	s_and_saveexec_b64 s[4:5], vcc
	s_cbranch_execz .LBB46_217
; %bb.216:
	buffer_load_dword v98, off, s[0:3], 0 offset:288
	buffer_load_dword v99, off, s[0:3], 0 offset:292
	s_waitcnt vmcnt(0)
	ds_write_b64 v1, v[98:99]
	buffer_store_dword v96, off, s[0:3], 0 offset:288
	buffer_store_dword v96, off, s[0:3], 0 offset:292
.LBB46_217:
	s_or_b64 exec, exec, s[4:5]
	s_waitcnt lgkmcnt(0)
	; wave barrier
	s_waitcnt lgkmcnt(0)
	buffer_load_dword v118, off, s[0:3], 0 offset:296
	buffer_load_dword v119, off, s[0:3], 0 offset:300
	;; [unrolled: 1-line block ×22, first 2 shown]
	ds_read2_b64 v[98:101], v96 offset0:85 offset1:86
	ds_read2_b64 v[102:105], v96 offset0:87 offset1:88
	;; [unrolled: 1-line block ×5, first 2 shown]
	v_cmp_lt_u32_e32 vcc, 35, v0
	s_waitcnt vmcnt(20) lgkmcnt(4)
	v_fma_f64 v[96:97], v[118:119], v[98:99], 0
	s_waitcnt vmcnt(18)
	v_fmac_f64_e32 v[96:97], v[120:121], v[100:101]
	s_waitcnt vmcnt(16) lgkmcnt(3)
	v_fmac_f64_e32 v[96:97], v[122:123], v[102:103]
	s_waitcnt vmcnt(14)
	v_fmac_f64_e32 v[96:97], v[124:125], v[104:105]
	s_waitcnt vmcnt(12) lgkmcnt(2)
	v_fmac_f64_e32 v[96:97], v[126:127], v[106:107]
	s_waitcnt vmcnt(10)
	v_fmac_f64_e32 v[96:97], v[128:129], v[108:109]
	s_waitcnt vmcnt(8) lgkmcnt(1)
	v_fmac_f64_e32 v[96:97], v[130:131], v[110:111]
	s_waitcnt vmcnt(3)
	v_fmac_f64_e32 v[96:97], v[136:137], v[112:113]
	s_waitcnt lgkmcnt(0)
	v_fmac_f64_e32 v[96:97], v[134:135], v[114:115]
	s_waitcnt vmcnt(2)
	v_fmac_f64_e32 v[96:97], v[132:133], v[116:117]
	s_waitcnt vmcnt(0)
	v_add_f64 v[96:97], v[138:139], -v[96:97]
	buffer_store_dword v96, off, s[0:3], 0 offset:288
	buffer_store_dword v97, off, s[0:3], 0 offset:292
	s_and_saveexec_b64 s[4:5], vcc
	s_cbranch_execz .LBB46_219
; %bb.218:
	buffer_load_dword v96, off, s[0:3], 0 offset:280
	buffer_load_dword v97, off, s[0:3], 0 offset:284
	v_mov_b32_e32 v98, 0
	buffer_store_dword v98, off, s[0:3], 0 offset:280
	buffer_store_dword v98, off, s[0:3], 0 offset:284
	s_waitcnt vmcnt(2)
	ds_write_b64 v1, v[96:97]
.LBB46_219:
	s_or_b64 exec, exec, s[4:5]
	s_waitcnt lgkmcnt(0)
	; wave barrier
	s_waitcnt lgkmcnt(0)
	buffer_load_dword v118, off, s[0:3], 0 offset:288
	buffer_load_dword v119, off, s[0:3], 0 offset:292
	;; [unrolled: 1-line block ×24, first 2 shown]
	v_mov_b32_e32 v96, 0
	ds_read_b128 v[98:101], v96 offset:672
	ds_read_b128 v[102:105], v96 offset:688
	ds_read_b128 v[106:109], v96 offset:704
	ds_read_b128 v[110:113], v96 offset:720
	ds_read_b128 v[114:117], v96 offset:736
	ds_read_b64 v[142:143], v96 offset:752
	v_cmp_lt_u32_e32 vcc, 34, v0
	s_waitcnt vmcnt(22) lgkmcnt(5)
	v_fma_f64 v[98:99], v[118:119], v[98:99], 0
	s_waitcnt vmcnt(20)
	v_fmac_f64_e32 v[98:99], v[120:121], v[100:101]
	s_waitcnt vmcnt(18) lgkmcnt(4)
	v_fmac_f64_e32 v[98:99], v[122:123], v[102:103]
	s_waitcnt vmcnt(16)
	v_fmac_f64_e32 v[98:99], v[124:125], v[104:105]
	s_waitcnt vmcnt(14) lgkmcnt(3)
	v_fmac_f64_e32 v[98:99], v[126:127], v[106:107]
	;; [unrolled: 4-line block ×3, first 2 shown]
	s_waitcnt vmcnt(4)
	v_fmac_f64_e32 v[98:99], v[138:139], v[112:113]
	s_waitcnt lgkmcnt(1)
	v_fmac_f64_e32 v[98:99], v[136:137], v[114:115]
	s_waitcnt vmcnt(3)
	v_fmac_f64_e32 v[98:99], v[134:135], v[116:117]
	s_waitcnt vmcnt(2) lgkmcnt(0)
	v_fmac_f64_e32 v[98:99], v[132:133], v[142:143]
	s_waitcnt vmcnt(0)
	v_add_f64 v[98:99], v[140:141], -v[98:99]
	buffer_store_dword v99, off, s[0:3], 0 offset:284
	buffer_store_dword v98, off, s[0:3], 0 offset:280
	s_and_saveexec_b64 s[4:5], vcc
	s_cbranch_execz .LBB46_221
; %bb.220:
	buffer_load_dword v98, off, s[0:3], 0 offset:272
	buffer_load_dword v99, off, s[0:3], 0 offset:276
	s_waitcnt vmcnt(0)
	ds_write_b64 v1, v[98:99]
	buffer_store_dword v96, off, s[0:3], 0 offset:272
	buffer_store_dword v96, off, s[0:3], 0 offset:276
.LBB46_221:
	s_or_b64 exec, exec, s[4:5]
	s_waitcnt lgkmcnt(0)
	; wave barrier
	s_waitcnt lgkmcnt(0)
	buffer_load_dword v122, off, s[0:3], 0 offset:280
	buffer_load_dword v123, off, s[0:3], 0 offset:284
	;; [unrolled: 1-line block ×26, first 2 shown]
	ds_read2_b64 v[98:101], v96 offset0:83 offset1:84
	ds_read2_b64 v[102:105], v96 offset0:85 offset1:86
	;; [unrolled: 1-line block ×6, first 2 shown]
	v_cmp_lt_u32_e32 vcc, 33, v0
	s_waitcnt vmcnt(24) lgkmcnt(5)
	v_fma_f64 v[96:97], v[122:123], v[98:99], 0
	s_waitcnt vmcnt(22)
	v_fmac_f64_e32 v[96:97], v[124:125], v[100:101]
	s_waitcnt vmcnt(20) lgkmcnt(4)
	v_fmac_f64_e32 v[96:97], v[126:127], v[102:103]
	s_waitcnt vmcnt(18)
	v_fmac_f64_e32 v[96:97], v[128:129], v[104:105]
	s_waitcnt vmcnt(16) lgkmcnt(3)
	v_fmac_f64_e32 v[96:97], v[130:131], v[106:107]
	;; [unrolled: 4-line block ×3, first 2 shown]
	s_waitcnt vmcnt(5)
	v_fmac_f64_e32 v[96:97], v[142:143], v[112:113]
	s_waitcnt lgkmcnt(1)
	v_fmac_f64_e32 v[96:97], v[140:141], v[114:115]
	v_fmac_f64_e32 v[96:97], v[138:139], v[116:117]
	s_waitcnt vmcnt(4) lgkmcnt(0)
	v_fmac_f64_e32 v[96:97], v[136:137], v[118:119]
	s_waitcnt vmcnt(2)
	v_fmac_f64_e32 v[96:97], v[144:145], v[120:121]
	s_waitcnt vmcnt(0)
	v_add_f64 v[96:97], v[146:147], -v[96:97]
	buffer_store_dword v97, off, s[0:3], 0 offset:276
	buffer_store_dword v96, off, s[0:3], 0 offset:272
	s_and_saveexec_b64 s[4:5], vcc
	s_cbranch_execz .LBB46_223
; %bb.222:
	buffer_load_dword v96, off, s[0:3], 0 offset:264
	buffer_load_dword v97, off, s[0:3], 0 offset:268
	v_mov_b32_e32 v98, 0
	buffer_store_dword v98, off, s[0:3], 0 offset:264
	buffer_store_dword v98, off, s[0:3], 0 offset:268
	s_waitcnt vmcnt(2)
	ds_write_b64 v1, v[96:97]
.LBB46_223:
	s_or_b64 exec, exec, s[4:5]
	s_waitcnt lgkmcnt(0)
	; wave barrier
	s_waitcnt lgkmcnt(0)
	buffer_load_dword v122, off, s[0:3], 0 offset:272
	buffer_load_dword v123, off, s[0:3], 0 offset:276
	;; [unrolled: 1-line block ×28, first 2 shown]
	v_mov_b32_e32 v96, 0
	ds_read_b128 v[98:101], v96 offset:656
	ds_read_b128 v[102:105], v96 offset:672
	;; [unrolled: 1-line block ×6, first 2 shown]
	ds_read_b64 v[150:151], v96 offset:752
	v_cmp_lt_u32_e32 vcc, 32, v0
	s_waitcnt vmcnt(26) lgkmcnt(6)
	v_fma_f64 v[98:99], v[122:123], v[98:99], 0
	s_waitcnt vmcnt(24)
	v_fmac_f64_e32 v[98:99], v[124:125], v[100:101]
	s_waitcnt vmcnt(22) lgkmcnt(5)
	v_fmac_f64_e32 v[98:99], v[126:127], v[102:103]
	s_waitcnt vmcnt(20)
	v_fmac_f64_e32 v[98:99], v[128:129], v[104:105]
	s_waitcnt vmcnt(18) lgkmcnt(4)
	v_fmac_f64_e32 v[98:99], v[130:131], v[106:107]
	;; [unrolled: 4-line block ×3, first 2 shown]
	s_waitcnt vmcnt(6)
	v_fmac_f64_e32 v[98:99], v[142:143], v[112:113]
	s_waitcnt lgkmcnt(2)
	v_fmac_f64_e32 v[98:99], v[140:141], v[114:115]
	v_fmac_f64_e32 v[98:99], v[138:139], v[116:117]
	s_waitcnt lgkmcnt(1)
	v_fmac_f64_e32 v[98:99], v[136:137], v[118:119]
	s_waitcnt vmcnt(2)
	v_fmac_f64_e32 v[98:99], v[146:147], v[120:121]
	s_waitcnt lgkmcnt(0)
	v_fmac_f64_e32 v[98:99], v[144:145], v[150:151]
	s_waitcnt vmcnt(0)
	v_add_f64 v[98:99], v[148:149], -v[98:99]
	buffer_store_dword v99, off, s[0:3], 0 offset:268
	buffer_store_dword v98, off, s[0:3], 0 offset:264
	s_and_saveexec_b64 s[4:5], vcc
	s_cbranch_execz .LBB46_225
; %bb.224:
	buffer_load_dword v98, off, s[0:3], 0 offset:256
	buffer_load_dword v99, off, s[0:3], 0 offset:260
	s_waitcnt vmcnt(0)
	ds_write_b64 v1, v[98:99]
	buffer_store_dword v96, off, s[0:3], 0 offset:256
	buffer_store_dword v96, off, s[0:3], 0 offset:260
.LBB46_225:
	s_or_b64 exec, exec, s[4:5]
	s_waitcnt lgkmcnt(0)
	; wave barrier
	s_waitcnt lgkmcnt(0)
	buffer_load_dword v126, off, s[0:3], 0 offset:264
	buffer_load_dword v127, off, s[0:3], 0 offset:268
	;; [unrolled: 1-line block ×30, first 2 shown]
	ds_read2_b64 v[98:101], v96 offset0:81 offset1:82
	ds_read2_b64 v[102:105], v96 offset0:83 offset1:84
	;; [unrolled: 1-line block ×7, first 2 shown]
	v_cmp_lt_u32_e32 vcc, 31, v0
	s_waitcnt vmcnt(28) lgkmcnt(6)
	v_fma_f64 v[96:97], v[126:127], v[98:99], 0
	s_waitcnt vmcnt(26)
	v_fmac_f64_e32 v[96:97], v[128:129], v[100:101]
	s_waitcnt vmcnt(24) lgkmcnt(5)
	v_fmac_f64_e32 v[96:97], v[130:131], v[102:103]
	s_waitcnt vmcnt(22)
	v_fmac_f64_e32 v[96:97], v[132:133], v[104:105]
	s_waitcnt vmcnt(20) lgkmcnt(4)
	v_fmac_f64_e32 v[96:97], v[134:135], v[106:107]
	s_waitcnt vmcnt(18)
	v_fmac_f64_e32 v[96:97], v[136:137], v[108:109]
	s_waitcnt vmcnt(16) lgkmcnt(3)
	v_fmac_f64_e32 v[96:97], v[138:139], v[110:111]
	s_waitcnt vmcnt(8)
	v_fmac_f64_e32 v[96:97], v[146:147], v[112:113]
	s_waitcnt lgkmcnt(2)
	v_fmac_f64_e32 v[96:97], v[144:145], v[114:115]
	v_fmac_f64_e32 v[96:97], v[142:143], v[116:117]
	s_waitcnt lgkmcnt(1)
	v_fmac_f64_e32 v[96:97], v[140:141], v[118:119]
	s_waitcnt vmcnt(3)
	v_fmac_f64_e32 v[96:97], v[152:153], v[120:121]
	s_waitcnt lgkmcnt(0)
	v_fmac_f64_e32 v[96:97], v[150:151], v[122:123]
	s_waitcnt vmcnt(2)
	v_fmac_f64_e32 v[96:97], v[148:149], v[124:125]
	s_waitcnt vmcnt(0)
	v_add_f64 v[96:97], v[154:155], -v[96:97]
	buffer_store_dword v97, off, s[0:3], 0 offset:260
	buffer_store_dword v96, off, s[0:3], 0 offset:256
	s_and_saveexec_b64 s[4:5], vcc
	s_cbranch_execz .LBB46_227
; %bb.226:
	buffer_load_dword v96, off, s[0:3], 0 offset:248
	buffer_load_dword v97, off, s[0:3], 0 offset:252
	v_mov_b32_e32 v98, 0
	buffer_store_dword v98, off, s[0:3], 0 offset:248
	buffer_store_dword v98, off, s[0:3], 0 offset:252
	s_waitcnt vmcnt(2)
	ds_write_b64 v1, v[96:97]
.LBB46_227:
	s_or_b64 exec, exec, s[4:5]
	s_waitcnt lgkmcnt(0)
	; wave barrier
	s_waitcnt lgkmcnt(0)
	buffer_load_dword v126, off, s[0:3], 0 offset:256
	buffer_load_dword v127, off, s[0:3], 0 offset:260
	;; [unrolled: 1-line block ×32, first 2 shown]
	v_mov_b32_e32 v96, 0
	ds_read_b128 v[98:101], v96 offset:640
	ds_read_b128 v[102:105], v96 offset:656
	;; [unrolled: 1-line block ×7, first 2 shown]
	ds_read_b64 v[158:159], v96 offset:752
	v_cmp_lt_u32_e32 vcc, 30, v0
	s_waitcnt vmcnt(30) lgkmcnt(7)
	v_fma_f64 v[98:99], v[126:127], v[98:99], 0
	s_waitcnt vmcnt(28)
	v_fmac_f64_e32 v[98:99], v[128:129], v[100:101]
	s_waitcnt vmcnt(26) lgkmcnt(6)
	v_fmac_f64_e32 v[98:99], v[130:131], v[102:103]
	s_waitcnt vmcnt(24)
	v_fmac_f64_e32 v[98:99], v[132:133], v[104:105]
	s_waitcnt vmcnt(22) lgkmcnt(5)
	v_fmac_f64_e32 v[98:99], v[134:135], v[106:107]
	;; [unrolled: 4-line block ×3, first 2 shown]
	s_waitcnt vmcnt(10)
	v_fmac_f64_e32 v[98:99], v[146:147], v[112:113]
	s_waitcnt lgkmcnt(3)
	v_fmac_f64_e32 v[98:99], v[144:145], v[114:115]
	v_fmac_f64_e32 v[98:99], v[142:143], v[116:117]
	s_waitcnt lgkmcnt(2)
	v_fmac_f64_e32 v[98:99], v[140:141], v[118:119]
	s_waitcnt vmcnt(4)
	v_fmac_f64_e32 v[98:99], v[154:155], v[120:121]
	s_waitcnt lgkmcnt(1)
	v_fmac_f64_e32 v[98:99], v[152:153], v[122:123]
	s_waitcnt vmcnt(3)
	v_fmac_f64_e32 v[98:99], v[150:151], v[124:125]
	s_waitcnt vmcnt(2) lgkmcnt(0)
	v_fmac_f64_e32 v[98:99], v[148:149], v[158:159]
	s_waitcnt vmcnt(0)
	v_add_f64 v[98:99], v[156:157], -v[98:99]
	buffer_store_dword v99, off, s[0:3], 0 offset:252
	buffer_store_dword v98, off, s[0:3], 0 offset:248
	s_and_saveexec_b64 s[4:5], vcc
	s_cbranch_execz .LBB46_229
; %bb.228:
	buffer_load_dword v98, off, s[0:3], 0 offset:240
	buffer_load_dword v99, off, s[0:3], 0 offset:244
	s_waitcnt vmcnt(0)
	ds_write_b64 v1, v[98:99]
	buffer_store_dword v96, off, s[0:3], 0 offset:240
	buffer_store_dword v96, off, s[0:3], 0 offset:244
.LBB46_229:
	s_or_b64 exec, exec, s[4:5]
	s_waitcnt lgkmcnt(0)
	; wave barrier
	s_waitcnt lgkmcnt(0)
	buffer_load_dword v130, off, s[0:3], 0 offset:248
	buffer_load_dword v131, off, s[0:3], 0 offset:252
	;; [unrolled: 1-line block ×34, first 2 shown]
	ds_read2_b64 v[98:101], v96 offset0:79 offset1:80
	ds_read2_b64 v[102:105], v96 offset0:81 offset1:82
	;; [unrolled: 1-line block ×8, first 2 shown]
	v_cmp_lt_u32_e32 vcc, 29, v0
	s_waitcnt vmcnt(32) lgkmcnt(7)
	v_fma_f64 v[96:97], v[130:131], v[98:99], 0
	s_waitcnt vmcnt(30)
	v_fmac_f64_e32 v[96:97], v[132:133], v[100:101]
	s_waitcnt vmcnt(28) lgkmcnt(6)
	v_fmac_f64_e32 v[96:97], v[134:135], v[102:103]
	s_waitcnt vmcnt(26)
	v_fmac_f64_e32 v[96:97], v[136:137], v[104:105]
	s_waitcnt vmcnt(24) lgkmcnt(5)
	v_fmac_f64_e32 v[96:97], v[138:139], v[106:107]
	;; [unrolled: 4-line block ×3, first 2 shown]
	s_waitcnt vmcnt(12)
	v_fmac_f64_e32 v[96:97], v[150:151], v[112:113]
	s_waitcnt lgkmcnt(3)
	v_fmac_f64_e32 v[96:97], v[148:149], v[114:115]
	v_fmac_f64_e32 v[96:97], v[146:147], v[116:117]
	s_waitcnt lgkmcnt(2)
	v_fmac_f64_e32 v[96:97], v[144:145], v[118:119]
	s_waitcnt vmcnt(5)
	v_fmac_f64_e32 v[96:97], v[158:159], v[120:121]
	s_waitcnt lgkmcnt(1)
	v_fmac_f64_e32 v[96:97], v[156:157], v[122:123]
	v_fmac_f64_e32 v[96:97], v[154:155], v[124:125]
	s_waitcnt vmcnt(4) lgkmcnt(0)
	v_fmac_f64_e32 v[96:97], v[152:153], v[126:127]
	s_waitcnt vmcnt(2)
	v_fmac_f64_e32 v[96:97], v[160:161], v[128:129]
	s_waitcnt vmcnt(0)
	v_add_f64 v[96:97], v[162:163], -v[96:97]
	buffer_store_dword v97, off, s[0:3], 0 offset:244
	buffer_store_dword v96, off, s[0:3], 0 offset:240
	s_and_saveexec_b64 s[4:5], vcc
	s_cbranch_execz .LBB46_231
; %bb.230:
	buffer_load_dword v96, off, s[0:3], 0 offset:232
	buffer_load_dword v97, off, s[0:3], 0 offset:236
	v_mov_b32_e32 v98, 0
	buffer_store_dword v98, off, s[0:3], 0 offset:232
	buffer_store_dword v98, off, s[0:3], 0 offset:236
	s_waitcnt vmcnt(2)
	ds_write_b64 v1, v[96:97]
.LBB46_231:
	s_or_b64 exec, exec, s[4:5]
	s_waitcnt lgkmcnt(0)
	; wave barrier
	s_waitcnt lgkmcnt(0)
	buffer_load_dword v96, off, s[0:3], 0 offset:232
	buffer_load_dword v97, off, s[0:3], 0 offset:236
	buffer_load_dword v98, off, s[0:3], 0 offset:240
	buffer_load_dword v99, off, s[0:3], 0 offset:244
	buffer_load_dword v118, off, s[0:3], 0 offset:248
	buffer_load_dword v119, off, s[0:3], 0 offset:252
	buffer_load_dword v120, off, s[0:3], 0 offset:256
	buffer_load_dword v121, off, s[0:3], 0 offset:260
	buffer_load_dword v122, off, s[0:3], 0 offset:264
	buffer_load_dword v123, off, s[0:3], 0 offset:268
	buffer_load_dword v124, off, s[0:3], 0 offset:272
	buffer_load_dword v125, off, s[0:3], 0 offset:276
	buffer_load_dword v126, off, s[0:3], 0 offset:280
	buffer_load_dword v127, off, s[0:3], 0 offset:284
	buffer_load_dword v128, off, s[0:3], 0 offset:288
	buffer_load_dword v129, off, s[0:3], 0 offset:292
	v_mov_b32_e32 v100, 0
	ds_read_b128 v[102:105], v100 offset:624
	ds_read_b128 v[106:109], v100 offset:640
	;; [unrolled: 1-line block ×4, first 2 shown]
	v_cmp_lt_u32_e32 vcc, 28, v0
	s_waitcnt vmcnt(12) lgkmcnt(3)
	v_fma_f64 v[98:99], v[98:99], v[102:103], 0
	buffer_load_dword v103, off, s[0:3], 0 offset:300
	buffer_load_dword v102, off, s[0:3], 0 offset:296
	s_waitcnt vmcnt(12)
	v_fmac_f64_e32 v[98:99], v[118:119], v[104:105]
	s_waitcnt vmcnt(10) lgkmcnt(2)
	v_fmac_f64_e32 v[98:99], v[120:121], v[106:107]
	buffer_load_dword v107, off, s[0:3], 0 offset:308
	buffer_load_dword v106, off, s[0:3], 0 offset:304
	s_waitcnt vmcnt(10)
	v_fmac_f64_e32 v[98:99], v[122:123], v[108:109]
	s_waitcnt vmcnt(8) lgkmcnt(1)
	v_fmac_f64_e32 v[98:99], v[124:125], v[110:111]
	s_waitcnt vmcnt(6)
	v_fmac_f64_e32 v[98:99], v[126:127], v[112:113]
	s_waitcnt vmcnt(4) lgkmcnt(0)
	v_fmac_f64_e32 v[98:99], v[128:129], v[114:115]
	s_waitcnt vmcnt(2)
	v_fmac_f64_e32 v[98:99], v[102:103], v[116:117]
	ds_read_b128 v[102:105], v100 offset:688
	s_waitcnt vmcnt(0) lgkmcnt(0)
	v_fmac_f64_e32 v[98:99], v[106:107], v[102:103]
	buffer_load_dword v103, off, s[0:3], 0 offset:316
	buffer_load_dword v102, off, s[0:3], 0 offset:312
	buffer_load_dword v107, off, s[0:3], 0 offset:324
	buffer_load_dword v106, off, s[0:3], 0 offset:320
	s_waitcnt vmcnt(2)
	v_fmac_f64_e32 v[98:99], v[102:103], v[104:105]
	ds_read_b128 v[102:105], v100 offset:704
	s_waitcnt vmcnt(0) lgkmcnt(0)
	v_fmac_f64_e32 v[98:99], v[106:107], v[102:103]
	buffer_load_dword v103, off, s[0:3], 0 offset:332
	buffer_load_dword v102, off, s[0:3], 0 offset:328
	buffer_load_dword v107, off, s[0:3], 0 offset:340
	buffer_load_dword v106, off, s[0:3], 0 offset:336
	;; [unrolled: 9-line block ×3, first 2 shown]
	s_waitcnt vmcnt(2)
	v_fmac_f64_e32 v[98:99], v[102:103], v[104:105]
	ds_read_b128 v[102:105], v100 offset:736
	s_waitcnt vmcnt(0) lgkmcnt(0)
	v_fmac_f64_e32 v[98:99], v[106:107], v[102:103]
	buffer_load_dword v103, off, s[0:3], 0 offset:364
	buffer_load_dword v102, off, s[0:3], 0 offset:360
	s_waitcnt vmcnt(0)
	v_fmac_f64_e32 v[98:99], v[102:103], v[104:105]
	buffer_load_dword v103, off, s[0:3], 0 offset:372
	buffer_load_dword v102, off, s[0:3], 0 offset:368
	ds_read_b64 v[104:105], v100 offset:752
	s_waitcnt vmcnt(0) lgkmcnt(0)
	v_fmac_f64_e32 v[98:99], v[102:103], v[104:105]
	v_add_f64 v[96:97], v[96:97], -v[98:99]
	buffer_store_dword v97, off, s[0:3], 0 offset:236
	buffer_store_dword v96, off, s[0:3], 0 offset:232
	s_and_saveexec_b64 s[4:5], vcc
	s_cbranch_execz .LBB46_233
; %bb.232:
	buffer_load_dword v96, off, s[0:3], 0 offset:224
	buffer_load_dword v97, off, s[0:3], 0 offset:228
	s_waitcnt vmcnt(0)
	ds_write_b64 v1, v[96:97]
	buffer_store_dword v100, off, s[0:3], 0 offset:224
	buffer_store_dword v100, off, s[0:3], 0 offset:228
.LBB46_233:
	s_or_b64 exec, exec, s[4:5]
	s_waitcnt lgkmcnt(0)
	; wave barrier
	s_waitcnt lgkmcnt(0)
	buffer_load_dword v96, off, s[0:3], 0 offset:224
	buffer_load_dword v97, off, s[0:3], 0 offset:228
	;; [unrolled: 1-line block ×16, first 2 shown]
	ds_read2_b64 v[102:105], v100 offset0:77 offset1:78
	v_cmp_lt_u32_e32 vcc, 27, v0
	s_waitcnt vmcnt(12) lgkmcnt(0)
	v_fma_f64 v[98:99], v[98:99], v[102:103], 0
	s_waitcnt vmcnt(10)
	v_fmac_f64_e32 v[98:99], v[106:107], v[104:105]
	ds_read2_b64 v[102:105], v100 offset0:79 offset1:80
	s_waitcnt vmcnt(8) lgkmcnt(0)
	v_fmac_f64_e32 v[98:99], v[108:109], v[102:103]
	s_waitcnt vmcnt(6)
	v_fmac_f64_e32 v[98:99], v[110:111], v[104:105]
	ds_read2_b64 v[102:105], v100 offset0:81 offset1:82
	s_waitcnt vmcnt(4) lgkmcnt(0)
	v_fmac_f64_e32 v[98:99], v[112:113], v[102:103]
	;; [unrolled: 5-line block ×3, first 2 shown]
	buffer_load_dword v103, off, s[0:3], 0 offset:292
	buffer_load_dword v102, off, s[0:3], 0 offset:288
	buffer_load_dword v107, off, s[0:3], 0 offset:300
	buffer_load_dword v106, off, s[0:3], 0 offset:296
	s_waitcnt vmcnt(2)
	v_fmac_f64_e32 v[98:99], v[102:103], v[104:105]
	ds_read2_b64 v[102:105], v100 offset0:85 offset1:86
	s_waitcnt vmcnt(0) lgkmcnt(0)
	v_fmac_f64_e32 v[98:99], v[106:107], v[102:103]
	buffer_load_dword v103, off, s[0:3], 0 offset:308
	buffer_load_dword v102, off, s[0:3], 0 offset:304
	buffer_load_dword v107, off, s[0:3], 0 offset:316
	buffer_load_dword v106, off, s[0:3], 0 offset:312
	s_waitcnt vmcnt(2)
	v_fmac_f64_e32 v[98:99], v[102:103], v[104:105]
	ds_read2_b64 v[102:105], v100 offset0:87 offset1:88
	s_waitcnt vmcnt(0) lgkmcnt(0)
	v_fmac_f64_e32 v[98:99], v[106:107], v[102:103]
	;; [unrolled: 9-line block ×4, first 2 shown]
	buffer_load_dword v103, off, s[0:3], 0 offset:356
	buffer_load_dword v102, off, s[0:3], 0 offset:352
	s_waitcnt vmcnt(0)
	v_fmac_f64_e32 v[98:99], v[102:103], v[104:105]
	buffer_load_dword v105, off, s[0:3], 0 offset:364
	buffer_load_dword v104, off, s[0:3], 0 offset:360
	ds_read2_b64 v[100:103], v100 offset0:93 offset1:94
	s_waitcnt vmcnt(0) lgkmcnt(0)
	v_fmac_f64_e32 v[98:99], v[104:105], v[100:101]
	buffer_load_dword v101, off, s[0:3], 0 offset:372
	buffer_load_dword v100, off, s[0:3], 0 offset:368
	s_waitcnt vmcnt(0)
	v_fmac_f64_e32 v[98:99], v[100:101], v[102:103]
	v_add_f64 v[96:97], v[96:97], -v[98:99]
	buffer_store_dword v97, off, s[0:3], 0 offset:228
	buffer_store_dword v96, off, s[0:3], 0 offset:224
	s_and_saveexec_b64 s[4:5], vcc
	s_cbranch_execz .LBB46_235
; %bb.234:
	buffer_load_dword v96, off, s[0:3], 0 offset:216
	buffer_load_dword v97, off, s[0:3], 0 offset:220
	v_mov_b32_e32 v98, 0
	buffer_store_dword v98, off, s[0:3], 0 offset:216
	buffer_store_dword v98, off, s[0:3], 0 offset:220
	s_waitcnt vmcnt(2)
	ds_write_b64 v1, v[96:97]
.LBB46_235:
	s_or_b64 exec, exec, s[4:5]
	s_waitcnt lgkmcnt(0)
	; wave barrier
	s_waitcnt lgkmcnt(0)
	buffer_load_dword v96, off, s[0:3], 0 offset:216
	buffer_load_dword v97, off, s[0:3], 0 offset:220
	;; [unrolled: 1-line block ×16, first 2 shown]
	v_mov_b32_e32 v100, 0
	ds_read_b128 v[102:105], v100 offset:608
	ds_read_b128 v[106:109], v100 offset:624
	;; [unrolled: 1-line block ×4, first 2 shown]
	v_cmp_lt_u32_e32 vcc, 26, v0
	s_waitcnt vmcnt(12) lgkmcnt(3)
	v_fma_f64 v[98:99], v[98:99], v[102:103], 0
	buffer_load_dword v103, off, s[0:3], 0 offset:284
	buffer_load_dword v102, off, s[0:3], 0 offset:280
	s_waitcnt vmcnt(12)
	v_fmac_f64_e32 v[98:99], v[118:119], v[104:105]
	s_waitcnt vmcnt(10) lgkmcnt(2)
	v_fmac_f64_e32 v[98:99], v[120:121], v[106:107]
	buffer_load_dword v107, off, s[0:3], 0 offset:292
	buffer_load_dword v106, off, s[0:3], 0 offset:288
	s_waitcnt vmcnt(10)
	v_fmac_f64_e32 v[98:99], v[122:123], v[108:109]
	s_waitcnt vmcnt(8) lgkmcnt(1)
	v_fmac_f64_e32 v[98:99], v[124:125], v[110:111]
	s_waitcnt vmcnt(6)
	v_fmac_f64_e32 v[98:99], v[126:127], v[112:113]
	s_waitcnt vmcnt(4) lgkmcnt(0)
	v_fmac_f64_e32 v[98:99], v[128:129], v[114:115]
	s_waitcnt vmcnt(2)
	v_fmac_f64_e32 v[98:99], v[102:103], v[116:117]
	ds_read_b128 v[102:105], v100 offset:672
	s_waitcnt vmcnt(0) lgkmcnt(0)
	v_fmac_f64_e32 v[98:99], v[106:107], v[102:103]
	buffer_load_dword v103, off, s[0:3], 0 offset:300
	buffer_load_dword v102, off, s[0:3], 0 offset:296
	buffer_load_dword v107, off, s[0:3], 0 offset:308
	buffer_load_dword v106, off, s[0:3], 0 offset:304
	s_waitcnt vmcnt(2)
	v_fmac_f64_e32 v[98:99], v[102:103], v[104:105]
	ds_read_b128 v[102:105], v100 offset:688
	s_waitcnt vmcnt(0) lgkmcnt(0)
	v_fmac_f64_e32 v[98:99], v[106:107], v[102:103]
	buffer_load_dword v103, off, s[0:3], 0 offset:316
	buffer_load_dword v102, off, s[0:3], 0 offset:312
	buffer_load_dword v107, off, s[0:3], 0 offset:324
	buffer_load_dword v106, off, s[0:3], 0 offset:320
	;; [unrolled: 9-line block ×4, first 2 shown]
	s_waitcnt vmcnt(2)
	v_fmac_f64_e32 v[98:99], v[102:103], v[104:105]
	ds_read_b128 v[102:105], v100 offset:736
	s_waitcnt vmcnt(0) lgkmcnt(0)
	v_fmac_f64_e32 v[98:99], v[106:107], v[102:103]
	buffer_load_dword v103, off, s[0:3], 0 offset:364
	buffer_load_dword v102, off, s[0:3], 0 offset:360
	s_waitcnt vmcnt(0)
	v_fmac_f64_e32 v[98:99], v[102:103], v[104:105]
	buffer_load_dword v103, off, s[0:3], 0 offset:372
	buffer_load_dword v102, off, s[0:3], 0 offset:368
	ds_read_b64 v[104:105], v100 offset:752
	s_waitcnt vmcnt(0) lgkmcnt(0)
	v_fmac_f64_e32 v[98:99], v[102:103], v[104:105]
	v_add_f64 v[96:97], v[96:97], -v[98:99]
	buffer_store_dword v97, off, s[0:3], 0 offset:220
	buffer_store_dword v96, off, s[0:3], 0 offset:216
	s_and_saveexec_b64 s[4:5], vcc
	s_cbranch_execz .LBB46_237
; %bb.236:
	buffer_load_dword v96, off, s[0:3], 0 offset:208
	buffer_load_dword v97, off, s[0:3], 0 offset:212
	s_waitcnt vmcnt(0)
	ds_write_b64 v1, v[96:97]
	buffer_store_dword v100, off, s[0:3], 0 offset:208
	buffer_store_dword v100, off, s[0:3], 0 offset:212
.LBB46_237:
	s_or_b64 exec, exec, s[4:5]
	s_waitcnt lgkmcnt(0)
	; wave barrier
	s_waitcnt lgkmcnt(0)
	buffer_load_dword v96, off, s[0:3], 0 offset:208
	buffer_load_dword v97, off, s[0:3], 0 offset:212
	;; [unrolled: 1-line block ×16, first 2 shown]
	ds_read2_b64 v[102:105], v100 offset0:75 offset1:76
	v_cmp_lt_u32_e32 vcc, 25, v0
	s_waitcnt vmcnt(12) lgkmcnt(0)
	v_fma_f64 v[98:99], v[98:99], v[102:103], 0
	s_waitcnt vmcnt(10)
	v_fmac_f64_e32 v[98:99], v[106:107], v[104:105]
	ds_read2_b64 v[102:105], v100 offset0:77 offset1:78
	s_waitcnt vmcnt(8) lgkmcnt(0)
	v_fmac_f64_e32 v[98:99], v[108:109], v[102:103]
	s_waitcnt vmcnt(6)
	v_fmac_f64_e32 v[98:99], v[110:111], v[104:105]
	ds_read2_b64 v[102:105], v100 offset0:79 offset1:80
	s_waitcnt vmcnt(4) lgkmcnt(0)
	v_fmac_f64_e32 v[98:99], v[112:113], v[102:103]
	;; [unrolled: 5-line block ×3, first 2 shown]
	buffer_load_dword v103, off, s[0:3], 0 offset:276
	buffer_load_dword v102, off, s[0:3], 0 offset:272
	buffer_load_dword v107, off, s[0:3], 0 offset:284
	buffer_load_dword v106, off, s[0:3], 0 offset:280
	s_waitcnt vmcnt(2)
	v_fmac_f64_e32 v[98:99], v[102:103], v[104:105]
	ds_read2_b64 v[102:105], v100 offset0:83 offset1:84
	s_waitcnt vmcnt(0) lgkmcnt(0)
	v_fmac_f64_e32 v[98:99], v[106:107], v[102:103]
	buffer_load_dword v103, off, s[0:3], 0 offset:292
	buffer_load_dword v102, off, s[0:3], 0 offset:288
	buffer_load_dword v107, off, s[0:3], 0 offset:300
	buffer_load_dword v106, off, s[0:3], 0 offset:296
	s_waitcnt vmcnt(2)
	v_fmac_f64_e32 v[98:99], v[102:103], v[104:105]
	ds_read2_b64 v[102:105], v100 offset0:85 offset1:86
	s_waitcnt vmcnt(0) lgkmcnt(0)
	v_fmac_f64_e32 v[98:99], v[106:107], v[102:103]
	;; [unrolled: 9-line block ×5, first 2 shown]
	buffer_load_dword v103, off, s[0:3], 0 offset:356
	buffer_load_dword v102, off, s[0:3], 0 offset:352
	s_waitcnt vmcnt(0)
	v_fmac_f64_e32 v[98:99], v[102:103], v[104:105]
	buffer_load_dword v105, off, s[0:3], 0 offset:364
	buffer_load_dword v104, off, s[0:3], 0 offset:360
	ds_read2_b64 v[100:103], v100 offset0:93 offset1:94
	s_waitcnt vmcnt(0) lgkmcnt(0)
	v_fmac_f64_e32 v[98:99], v[104:105], v[100:101]
	buffer_load_dword v101, off, s[0:3], 0 offset:372
	buffer_load_dword v100, off, s[0:3], 0 offset:368
	s_waitcnt vmcnt(0)
	v_fmac_f64_e32 v[98:99], v[100:101], v[102:103]
	v_add_f64 v[96:97], v[96:97], -v[98:99]
	buffer_store_dword v97, off, s[0:3], 0 offset:212
	buffer_store_dword v96, off, s[0:3], 0 offset:208
	s_and_saveexec_b64 s[4:5], vcc
	s_cbranch_execz .LBB46_239
; %bb.238:
	buffer_load_dword v96, off, s[0:3], 0 offset:200
	buffer_load_dword v97, off, s[0:3], 0 offset:204
	v_mov_b32_e32 v98, 0
	buffer_store_dword v98, off, s[0:3], 0 offset:200
	buffer_store_dword v98, off, s[0:3], 0 offset:204
	s_waitcnt vmcnt(2)
	ds_write_b64 v1, v[96:97]
.LBB46_239:
	s_or_b64 exec, exec, s[4:5]
	s_waitcnt lgkmcnt(0)
	; wave barrier
	s_waitcnt lgkmcnt(0)
	buffer_load_dword v96, off, s[0:3], 0 offset:200
	buffer_load_dword v97, off, s[0:3], 0 offset:204
	;; [unrolled: 1-line block ×16, first 2 shown]
	v_mov_b32_e32 v100, 0
	ds_read_b128 v[102:105], v100 offset:592
	ds_read_b128 v[106:109], v100 offset:608
	;; [unrolled: 1-line block ×4, first 2 shown]
	v_cmp_lt_u32_e32 vcc, 24, v0
	s_waitcnt vmcnt(12) lgkmcnt(3)
	v_fma_f64 v[98:99], v[98:99], v[102:103], 0
	buffer_load_dword v103, off, s[0:3], 0 offset:268
	buffer_load_dword v102, off, s[0:3], 0 offset:264
	s_waitcnt vmcnt(12)
	v_fmac_f64_e32 v[98:99], v[118:119], v[104:105]
	s_waitcnt vmcnt(10) lgkmcnt(2)
	v_fmac_f64_e32 v[98:99], v[120:121], v[106:107]
	buffer_load_dword v107, off, s[0:3], 0 offset:276
	buffer_load_dword v106, off, s[0:3], 0 offset:272
	s_waitcnt vmcnt(10)
	v_fmac_f64_e32 v[98:99], v[122:123], v[108:109]
	s_waitcnt vmcnt(8) lgkmcnt(1)
	v_fmac_f64_e32 v[98:99], v[124:125], v[110:111]
	s_waitcnt vmcnt(6)
	v_fmac_f64_e32 v[98:99], v[126:127], v[112:113]
	s_waitcnt vmcnt(4) lgkmcnt(0)
	v_fmac_f64_e32 v[98:99], v[128:129], v[114:115]
	s_waitcnt vmcnt(2)
	v_fmac_f64_e32 v[98:99], v[102:103], v[116:117]
	ds_read_b128 v[102:105], v100 offset:656
	s_waitcnt vmcnt(0) lgkmcnt(0)
	v_fmac_f64_e32 v[98:99], v[106:107], v[102:103]
	buffer_load_dword v103, off, s[0:3], 0 offset:284
	buffer_load_dword v102, off, s[0:3], 0 offset:280
	buffer_load_dword v107, off, s[0:3], 0 offset:292
	buffer_load_dword v106, off, s[0:3], 0 offset:288
	s_waitcnt vmcnt(2)
	v_fmac_f64_e32 v[98:99], v[102:103], v[104:105]
	ds_read_b128 v[102:105], v100 offset:672
	s_waitcnt vmcnt(0) lgkmcnt(0)
	v_fmac_f64_e32 v[98:99], v[106:107], v[102:103]
	buffer_load_dword v103, off, s[0:3], 0 offset:300
	buffer_load_dword v102, off, s[0:3], 0 offset:296
	buffer_load_dword v107, off, s[0:3], 0 offset:308
	buffer_load_dword v106, off, s[0:3], 0 offset:304
	;; [unrolled: 9-line block ×5, first 2 shown]
	s_waitcnt vmcnt(2)
	v_fmac_f64_e32 v[98:99], v[102:103], v[104:105]
	ds_read_b128 v[102:105], v100 offset:736
	s_waitcnt vmcnt(0) lgkmcnt(0)
	v_fmac_f64_e32 v[98:99], v[106:107], v[102:103]
	buffer_load_dword v103, off, s[0:3], 0 offset:364
	buffer_load_dword v102, off, s[0:3], 0 offset:360
	s_waitcnt vmcnt(0)
	v_fmac_f64_e32 v[98:99], v[102:103], v[104:105]
	buffer_load_dword v103, off, s[0:3], 0 offset:372
	buffer_load_dword v102, off, s[0:3], 0 offset:368
	ds_read_b64 v[104:105], v100 offset:752
	s_waitcnt vmcnt(0) lgkmcnt(0)
	v_fmac_f64_e32 v[98:99], v[102:103], v[104:105]
	v_add_f64 v[96:97], v[96:97], -v[98:99]
	buffer_store_dword v97, off, s[0:3], 0 offset:204
	buffer_store_dword v96, off, s[0:3], 0 offset:200
	s_and_saveexec_b64 s[4:5], vcc
	s_cbranch_execz .LBB46_241
; %bb.240:
	buffer_load_dword v96, off, s[0:3], 0 offset:192
	buffer_load_dword v97, off, s[0:3], 0 offset:196
	s_waitcnt vmcnt(0)
	ds_write_b64 v1, v[96:97]
	buffer_store_dword v100, off, s[0:3], 0 offset:192
	buffer_store_dword v100, off, s[0:3], 0 offset:196
.LBB46_241:
	s_or_b64 exec, exec, s[4:5]
	s_waitcnt lgkmcnt(0)
	; wave barrier
	s_waitcnt lgkmcnt(0)
	buffer_load_dword v96, off, s[0:3], 0 offset:192
	buffer_load_dword v97, off, s[0:3], 0 offset:196
	;; [unrolled: 1-line block ×16, first 2 shown]
	ds_read2_b64 v[102:105], v100 offset0:73 offset1:74
	v_cmp_lt_u32_e32 vcc, 23, v0
	s_waitcnt vmcnt(12) lgkmcnt(0)
	v_fma_f64 v[98:99], v[98:99], v[102:103], 0
	s_waitcnt vmcnt(10)
	v_fmac_f64_e32 v[98:99], v[106:107], v[104:105]
	ds_read2_b64 v[102:105], v100 offset0:75 offset1:76
	s_waitcnt vmcnt(8) lgkmcnt(0)
	v_fmac_f64_e32 v[98:99], v[108:109], v[102:103]
	s_waitcnt vmcnt(6)
	v_fmac_f64_e32 v[98:99], v[110:111], v[104:105]
	ds_read2_b64 v[102:105], v100 offset0:77 offset1:78
	s_waitcnt vmcnt(4) lgkmcnt(0)
	v_fmac_f64_e32 v[98:99], v[112:113], v[102:103]
	;; [unrolled: 5-line block ×3, first 2 shown]
	buffer_load_dword v103, off, s[0:3], 0 offset:260
	buffer_load_dword v102, off, s[0:3], 0 offset:256
	buffer_load_dword v107, off, s[0:3], 0 offset:268
	buffer_load_dword v106, off, s[0:3], 0 offset:264
	s_waitcnt vmcnt(2)
	v_fmac_f64_e32 v[98:99], v[102:103], v[104:105]
	ds_read2_b64 v[102:105], v100 offset0:81 offset1:82
	s_waitcnt vmcnt(0) lgkmcnt(0)
	v_fmac_f64_e32 v[98:99], v[106:107], v[102:103]
	buffer_load_dword v103, off, s[0:3], 0 offset:276
	buffer_load_dword v102, off, s[0:3], 0 offset:272
	buffer_load_dword v107, off, s[0:3], 0 offset:284
	buffer_load_dword v106, off, s[0:3], 0 offset:280
	s_waitcnt vmcnt(2)
	v_fmac_f64_e32 v[98:99], v[102:103], v[104:105]
	ds_read2_b64 v[102:105], v100 offset0:83 offset1:84
	s_waitcnt vmcnt(0) lgkmcnt(0)
	v_fmac_f64_e32 v[98:99], v[106:107], v[102:103]
	;; [unrolled: 9-line block ×6, first 2 shown]
	buffer_load_dword v103, off, s[0:3], 0 offset:356
	buffer_load_dword v102, off, s[0:3], 0 offset:352
	s_waitcnt vmcnt(0)
	v_fmac_f64_e32 v[98:99], v[102:103], v[104:105]
	buffer_load_dword v105, off, s[0:3], 0 offset:364
	buffer_load_dword v104, off, s[0:3], 0 offset:360
	ds_read2_b64 v[100:103], v100 offset0:93 offset1:94
	s_waitcnt vmcnt(0) lgkmcnt(0)
	v_fmac_f64_e32 v[98:99], v[104:105], v[100:101]
	buffer_load_dword v101, off, s[0:3], 0 offset:372
	buffer_load_dword v100, off, s[0:3], 0 offset:368
	s_waitcnt vmcnt(0)
	v_fmac_f64_e32 v[98:99], v[100:101], v[102:103]
	v_add_f64 v[96:97], v[96:97], -v[98:99]
	buffer_store_dword v97, off, s[0:3], 0 offset:196
	buffer_store_dword v96, off, s[0:3], 0 offset:192
	s_and_saveexec_b64 s[4:5], vcc
	s_cbranch_execz .LBB46_243
; %bb.242:
	buffer_load_dword v96, off, s[0:3], 0 offset:184
	buffer_load_dword v97, off, s[0:3], 0 offset:188
	v_mov_b32_e32 v98, 0
	buffer_store_dword v98, off, s[0:3], 0 offset:184
	buffer_store_dword v98, off, s[0:3], 0 offset:188
	s_waitcnt vmcnt(2)
	ds_write_b64 v1, v[96:97]
.LBB46_243:
	s_or_b64 exec, exec, s[4:5]
	s_waitcnt lgkmcnt(0)
	; wave barrier
	s_waitcnt lgkmcnt(0)
	buffer_load_dword v96, off, s[0:3], 0 offset:184
	buffer_load_dword v97, off, s[0:3], 0 offset:188
	;; [unrolled: 1-line block ×16, first 2 shown]
	v_mov_b32_e32 v100, 0
	ds_read_b128 v[102:105], v100 offset:576
	ds_read_b128 v[106:109], v100 offset:592
	;; [unrolled: 1-line block ×4, first 2 shown]
	v_cmp_lt_u32_e32 vcc, 22, v0
	s_waitcnt vmcnt(12) lgkmcnt(3)
	v_fma_f64 v[98:99], v[98:99], v[102:103], 0
	buffer_load_dword v103, off, s[0:3], 0 offset:252
	buffer_load_dword v102, off, s[0:3], 0 offset:248
	s_waitcnt vmcnt(12)
	v_fmac_f64_e32 v[98:99], v[118:119], v[104:105]
	s_waitcnt vmcnt(10) lgkmcnt(2)
	v_fmac_f64_e32 v[98:99], v[120:121], v[106:107]
	buffer_load_dword v107, off, s[0:3], 0 offset:260
	buffer_load_dword v106, off, s[0:3], 0 offset:256
	s_waitcnt vmcnt(10)
	v_fmac_f64_e32 v[98:99], v[122:123], v[108:109]
	s_waitcnt vmcnt(8) lgkmcnt(1)
	v_fmac_f64_e32 v[98:99], v[124:125], v[110:111]
	s_waitcnt vmcnt(6)
	v_fmac_f64_e32 v[98:99], v[126:127], v[112:113]
	s_waitcnt vmcnt(4) lgkmcnt(0)
	v_fmac_f64_e32 v[98:99], v[128:129], v[114:115]
	s_waitcnt vmcnt(2)
	v_fmac_f64_e32 v[98:99], v[102:103], v[116:117]
	ds_read_b128 v[102:105], v100 offset:640
	s_waitcnt vmcnt(0) lgkmcnt(0)
	v_fmac_f64_e32 v[98:99], v[106:107], v[102:103]
	buffer_load_dword v103, off, s[0:3], 0 offset:268
	buffer_load_dword v102, off, s[0:3], 0 offset:264
	buffer_load_dword v107, off, s[0:3], 0 offset:276
	buffer_load_dword v106, off, s[0:3], 0 offset:272
	s_waitcnt vmcnt(2)
	v_fmac_f64_e32 v[98:99], v[102:103], v[104:105]
	ds_read_b128 v[102:105], v100 offset:656
	s_waitcnt vmcnt(0) lgkmcnt(0)
	v_fmac_f64_e32 v[98:99], v[106:107], v[102:103]
	buffer_load_dword v103, off, s[0:3], 0 offset:284
	buffer_load_dword v102, off, s[0:3], 0 offset:280
	buffer_load_dword v107, off, s[0:3], 0 offset:292
	buffer_load_dword v106, off, s[0:3], 0 offset:288
	;; [unrolled: 9-line block ×6, first 2 shown]
	s_waitcnt vmcnt(2)
	v_fmac_f64_e32 v[98:99], v[102:103], v[104:105]
	ds_read_b128 v[102:105], v100 offset:736
	s_waitcnt vmcnt(0) lgkmcnt(0)
	v_fmac_f64_e32 v[98:99], v[106:107], v[102:103]
	buffer_load_dword v103, off, s[0:3], 0 offset:364
	buffer_load_dword v102, off, s[0:3], 0 offset:360
	s_waitcnt vmcnt(0)
	v_fmac_f64_e32 v[98:99], v[102:103], v[104:105]
	buffer_load_dword v103, off, s[0:3], 0 offset:372
	buffer_load_dword v102, off, s[0:3], 0 offset:368
	ds_read_b64 v[104:105], v100 offset:752
	s_waitcnt vmcnt(0) lgkmcnt(0)
	v_fmac_f64_e32 v[98:99], v[102:103], v[104:105]
	v_add_f64 v[96:97], v[96:97], -v[98:99]
	buffer_store_dword v97, off, s[0:3], 0 offset:188
	buffer_store_dword v96, off, s[0:3], 0 offset:184
	s_and_saveexec_b64 s[4:5], vcc
	s_cbranch_execz .LBB46_245
; %bb.244:
	buffer_load_dword v96, off, s[0:3], 0 offset:176
	buffer_load_dword v97, off, s[0:3], 0 offset:180
	s_waitcnt vmcnt(0)
	ds_write_b64 v1, v[96:97]
	buffer_store_dword v100, off, s[0:3], 0 offset:176
	buffer_store_dword v100, off, s[0:3], 0 offset:180
.LBB46_245:
	s_or_b64 exec, exec, s[4:5]
	s_waitcnt lgkmcnt(0)
	; wave barrier
	s_waitcnt lgkmcnt(0)
	buffer_load_dword v96, off, s[0:3], 0 offset:176
	buffer_load_dword v97, off, s[0:3], 0 offset:180
	;; [unrolled: 1-line block ×16, first 2 shown]
	ds_read2_b64 v[102:105], v100 offset0:71 offset1:72
	v_cmp_lt_u32_e32 vcc, 21, v0
	s_waitcnt vmcnt(12) lgkmcnt(0)
	v_fma_f64 v[98:99], v[98:99], v[102:103], 0
	s_waitcnt vmcnt(10)
	v_fmac_f64_e32 v[98:99], v[106:107], v[104:105]
	ds_read2_b64 v[102:105], v100 offset0:73 offset1:74
	s_waitcnt vmcnt(8) lgkmcnt(0)
	v_fmac_f64_e32 v[98:99], v[108:109], v[102:103]
	s_waitcnt vmcnt(6)
	v_fmac_f64_e32 v[98:99], v[110:111], v[104:105]
	ds_read2_b64 v[102:105], v100 offset0:75 offset1:76
	s_waitcnt vmcnt(4) lgkmcnt(0)
	v_fmac_f64_e32 v[98:99], v[112:113], v[102:103]
	s_waitcnt vmcnt(2)
	v_fmac_f64_e32 v[98:99], v[114:115], v[104:105]
	ds_read2_b64 v[102:105], v100 offset0:77 offset1:78
	s_waitcnt vmcnt(0) lgkmcnt(0)
	v_fmac_f64_e32 v[98:99], v[116:117], v[102:103]
	buffer_load_dword v103, off, s[0:3], 0 offset:244
	buffer_load_dword v102, off, s[0:3], 0 offset:240
	buffer_load_dword v107, off, s[0:3], 0 offset:252
	buffer_load_dword v106, off, s[0:3], 0 offset:248
	s_waitcnt vmcnt(2)
	v_fmac_f64_e32 v[98:99], v[102:103], v[104:105]
	ds_read2_b64 v[102:105], v100 offset0:79 offset1:80
	s_waitcnt vmcnt(0) lgkmcnt(0)
	v_fmac_f64_e32 v[98:99], v[106:107], v[102:103]
	buffer_load_dword v103, off, s[0:3], 0 offset:260
	buffer_load_dword v102, off, s[0:3], 0 offset:256
	buffer_load_dword v107, off, s[0:3], 0 offset:268
	buffer_load_dword v106, off, s[0:3], 0 offset:264
	s_waitcnt vmcnt(2)
	v_fmac_f64_e32 v[98:99], v[102:103], v[104:105]
	ds_read2_b64 v[102:105], v100 offset0:81 offset1:82
	s_waitcnt vmcnt(0) lgkmcnt(0)
	v_fmac_f64_e32 v[98:99], v[106:107], v[102:103]
	;; [unrolled: 9-line block ×7, first 2 shown]
	buffer_load_dword v103, off, s[0:3], 0 offset:356
	buffer_load_dword v102, off, s[0:3], 0 offset:352
	s_waitcnt vmcnt(0)
	v_fmac_f64_e32 v[98:99], v[102:103], v[104:105]
	buffer_load_dword v105, off, s[0:3], 0 offset:364
	buffer_load_dword v104, off, s[0:3], 0 offset:360
	ds_read2_b64 v[100:103], v100 offset0:93 offset1:94
	s_waitcnt vmcnt(0) lgkmcnt(0)
	v_fmac_f64_e32 v[98:99], v[104:105], v[100:101]
	buffer_load_dword v101, off, s[0:3], 0 offset:372
	buffer_load_dword v100, off, s[0:3], 0 offset:368
	s_waitcnt vmcnt(0)
	v_fmac_f64_e32 v[98:99], v[100:101], v[102:103]
	v_add_f64 v[96:97], v[96:97], -v[98:99]
	buffer_store_dword v97, off, s[0:3], 0 offset:180
	buffer_store_dword v96, off, s[0:3], 0 offset:176
	s_and_saveexec_b64 s[4:5], vcc
	s_cbranch_execz .LBB46_247
; %bb.246:
	buffer_load_dword v96, off, s[0:3], 0 offset:168
	buffer_load_dword v97, off, s[0:3], 0 offset:172
	v_mov_b32_e32 v98, 0
	buffer_store_dword v98, off, s[0:3], 0 offset:168
	buffer_store_dword v98, off, s[0:3], 0 offset:172
	s_waitcnt vmcnt(2)
	ds_write_b64 v1, v[96:97]
.LBB46_247:
	s_or_b64 exec, exec, s[4:5]
	s_waitcnt lgkmcnt(0)
	; wave barrier
	s_waitcnt lgkmcnt(0)
	buffer_load_dword v96, off, s[0:3], 0 offset:168
	buffer_load_dword v97, off, s[0:3], 0 offset:172
	;; [unrolled: 1-line block ×16, first 2 shown]
	v_mov_b32_e32 v100, 0
	ds_read_b128 v[102:105], v100 offset:560
	ds_read_b128 v[106:109], v100 offset:576
	;; [unrolled: 1-line block ×4, first 2 shown]
	v_cmp_lt_u32_e32 vcc, 20, v0
	s_waitcnt vmcnt(12) lgkmcnt(3)
	v_fma_f64 v[98:99], v[98:99], v[102:103], 0
	buffer_load_dword v103, off, s[0:3], 0 offset:236
	buffer_load_dword v102, off, s[0:3], 0 offset:232
	s_waitcnt vmcnt(12)
	v_fmac_f64_e32 v[98:99], v[118:119], v[104:105]
	s_waitcnt vmcnt(10) lgkmcnt(2)
	v_fmac_f64_e32 v[98:99], v[120:121], v[106:107]
	buffer_load_dword v107, off, s[0:3], 0 offset:244
	buffer_load_dword v106, off, s[0:3], 0 offset:240
	s_waitcnt vmcnt(10)
	v_fmac_f64_e32 v[98:99], v[122:123], v[108:109]
	s_waitcnt vmcnt(8) lgkmcnt(1)
	v_fmac_f64_e32 v[98:99], v[124:125], v[110:111]
	s_waitcnt vmcnt(6)
	v_fmac_f64_e32 v[98:99], v[126:127], v[112:113]
	s_waitcnt vmcnt(4) lgkmcnt(0)
	v_fmac_f64_e32 v[98:99], v[128:129], v[114:115]
	s_waitcnt vmcnt(2)
	v_fmac_f64_e32 v[98:99], v[102:103], v[116:117]
	ds_read_b128 v[102:105], v100 offset:624
	s_waitcnt vmcnt(0) lgkmcnt(0)
	v_fmac_f64_e32 v[98:99], v[106:107], v[102:103]
	buffer_load_dword v103, off, s[0:3], 0 offset:252
	buffer_load_dword v102, off, s[0:3], 0 offset:248
	buffer_load_dword v107, off, s[0:3], 0 offset:260
	buffer_load_dword v106, off, s[0:3], 0 offset:256
	s_waitcnt vmcnt(2)
	v_fmac_f64_e32 v[98:99], v[102:103], v[104:105]
	ds_read_b128 v[102:105], v100 offset:640
	s_waitcnt vmcnt(0) lgkmcnt(0)
	v_fmac_f64_e32 v[98:99], v[106:107], v[102:103]
	buffer_load_dword v103, off, s[0:3], 0 offset:268
	buffer_load_dword v102, off, s[0:3], 0 offset:264
	buffer_load_dword v107, off, s[0:3], 0 offset:276
	buffer_load_dword v106, off, s[0:3], 0 offset:272
	;; [unrolled: 9-line block ×7, first 2 shown]
	s_waitcnt vmcnt(2)
	v_fmac_f64_e32 v[98:99], v[102:103], v[104:105]
	ds_read_b128 v[102:105], v100 offset:736
	s_waitcnt vmcnt(0) lgkmcnt(0)
	v_fmac_f64_e32 v[98:99], v[106:107], v[102:103]
	buffer_load_dword v103, off, s[0:3], 0 offset:364
	buffer_load_dword v102, off, s[0:3], 0 offset:360
	s_waitcnt vmcnt(0)
	v_fmac_f64_e32 v[98:99], v[102:103], v[104:105]
	buffer_load_dword v103, off, s[0:3], 0 offset:372
	buffer_load_dword v102, off, s[0:3], 0 offset:368
	ds_read_b64 v[104:105], v100 offset:752
	s_waitcnt vmcnt(0) lgkmcnt(0)
	v_fmac_f64_e32 v[98:99], v[102:103], v[104:105]
	v_add_f64 v[96:97], v[96:97], -v[98:99]
	buffer_store_dword v97, off, s[0:3], 0 offset:172
	buffer_store_dword v96, off, s[0:3], 0 offset:168
	s_and_saveexec_b64 s[4:5], vcc
	s_cbranch_execz .LBB46_249
; %bb.248:
	buffer_load_dword v96, off, s[0:3], 0 offset:160
	buffer_load_dword v97, off, s[0:3], 0 offset:164
	s_waitcnt vmcnt(0)
	ds_write_b64 v1, v[96:97]
	buffer_store_dword v100, off, s[0:3], 0 offset:160
	buffer_store_dword v100, off, s[0:3], 0 offset:164
.LBB46_249:
	s_or_b64 exec, exec, s[4:5]
	s_waitcnt lgkmcnt(0)
	; wave barrier
	s_waitcnt lgkmcnt(0)
	buffer_load_dword v96, off, s[0:3], 0 offset:160
	buffer_load_dword v97, off, s[0:3], 0 offset:164
	;; [unrolled: 1-line block ×16, first 2 shown]
	ds_read2_b64 v[102:105], v100 offset0:69 offset1:70
	v_cmp_lt_u32_e32 vcc, 19, v0
	s_waitcnt vmcnt(12) lgkmcnt(0)
	v_fma_f64 v[98:99], v[98:99], v[102:103], 0
	s_waitcnt vmcnt(10)
	v_fmac_f64_e32 v[98:99], v[106:107], v[104:105]
	ds_read2_b64 v[102:105], v100 offset0:71 offset1:72
	s_waitcnt vmcnt(8) lgkmcnt(0)
	v_fmac_f64_e32 v[98:99], v[108:109], v[102:103]
	s_waitcnt vmcnt(6)
	v_fmac_f64_e32 v[98:99], v[110:111], v[104:105]
	ds_read2_b64 v[102:105], v100 offset0:73 offset1:74
	s_waitcnt vmcnt(4) lgkmcnt(0)
	v_fmac_f64_e32 v[98:99], v[112:113], v[102:103]
	;; [unrolled: 5-line block ×3, first 2 shown]
	buffer_load_dword v103, off, s[0:3], 0 offset:228
	buffer_load_dword v102, off, s[0:3], 0 offset:224
	buffer_load_dword v107, off, s[0:3], 0 offset:236
	buffer_load_dword v106, off, s[0:3], 0 offset:232
	s_waitcnt vmcnt(2)
	v_fmac_f64_e32 v[98:99], v[102:103], v[104:105]
	ds_read2_b64 v[102:105], v100 offset0:77 offset1:78
	s_waitcnt vmcnt(0) lgkmcnt(0)
	v_fmac_f64_e32 v[98:99], v[106:107], v[102:103]
	buffer_load_dword v103, off, s[0:3], 0 offset:244
	buffer_load_dword v102, off, s[0:3], 0 offset:240
	buffer_load_dword v107, off, s[0:3], 0 offset:252
	buffer_load_dword v106, off, s[0:3], 0 offset:248
	s_waitcnt vmcnt(2)
	v_fmac_f64_e32 v[98:99], v[102:103], v[104:105]
	ds_read2_b64 v[102:105], v100 offset0:79 offset1:80
	s_waitcnt vmcnt(0) lgkmcnt(0)
	v_fmac_f64_e32 v[98:99], v[106:107], v[102:103]
	;; [unrolled: 9-line block ×8, first 2 shown]
	buffer_load_dword v103, off, s[0:3], 0 offset:356
	buffer_load_dword v102, off, s[0:3], 0 offset:352
	s_waitcnt vmcnt(0)
	v_fmac_f64_e32 v[98:99], v[102:103], v[104:105]
	buffer_load_dword v105, off, s[0:3], 0 offset:364
	buffer_load_dword v104, off, s[0:3], 0 offset:360
	ds_read2_b64 v[100:103], v100 offset0:93 offset1:94
	s_waitcnt vmcnt(0) lgkmcnt(0)
	v_fmac_f64_e32 v[98:99], v[104:105], v[100:101]
	buffer_load_dword v101, off, s[0:3], 0 offset:372
	buffer_load_dword v100, off, s[0:3], 0 offset:368
	s_waitcnt vmcnt(0)
	v_fmac_f64_e32 v[98:99], v[100:101], v[102:103]
	v_add_f64 v[96:97], v[96:97], -v[98:99]
	buffer_store_dword v97, off, s[0:3], 0 offset:164
	buffer_store_dword v96, off, s[0:3], 0 offset:160
	s_and_saveexec_b64 s[4:5], vcc
	s_cbranch_execz .LBB46_251
; %bb.250:
	buffer_load_dword v96, off, s[0:3], 0 offset:152
	buffer_load_dword v97, off, s[0:3], 0 offset:156
	v_mov_b32_e32 v98, 0
	buffer_store_dword v98, off, s[0:3], 0 offset:152
	buffer_store_dword v98, off, s[0:3], 0 offset:156
	s_waitcnt vmcnt(2)
	ds_write_b64 v1, v[96:97]
.LBB46_251:
	s_or_b64 exec, exec, s[4:5]
	s_waitcnt lgkmcnt(0)
	; wave barrier
	s_waitcnt lgkmcnt(0)
	buffer_load_dword v96, off, s[0:3], 0 offset:152
	buffer_load_dword v97, off, s[0:3], 0 offset:156
	;; [unrolled: 1-line block ×16, first 2 shown]
	v_mov_b32_e32 v100, 0
	ds_read_b128 v[102:105], v100 offset:544
	ds_read_b128 v[106:109], v100 offset:560
	;; [unrolled: 1-line block ×4, first 2 shown]
	v_cmp_lt_u32_e32 vcc, 18, v0
	s_waitcnt vmcnt(12) lgkmcnt(3)
	v_fma_f64 v[98:99], v[98:99], v[102:103], 0
	buffer_load_dword v103, off, s[0:3], 0 offset:220
	buffer_load_dword v102, off, s[0:3], 0 offset:216
	s_waitcnt vmcnt(12)
	v_fmac_f64_e32 v[98:99], v[118:119], v[104:105]
	s_waitcnt vmcnt(10) lgkmcnt(2)
	v_fmac_f64_e32 v[98:99], v[120:121], v[106:107]
	buffer_load_dword v107, off, s[0:3], 0 offset:228
	buffer_load_dword v106, off, s[0:3], 0 offset:224
	s_waitcnt vmcnt(10)
	v_fmac_f64_e32 v[98:99], v[122:123], v[108:109]
	s_waitcnt vmcnt(8) lgkmcnt(1)
	v_fmac_f64_e32 v[98:99], v[124:125], v[110:111]
	s_waitcnt vmcnt(6)
	v_fmac_f64_e32 v[98:99], v[126:127], v[112:113]
	s_waitcnt vmcnt(4) lgkmcnt(0)
	v_fmac_f64_e32 v[98:99], v[128:129], v[114:115]
	s_waitcnt vmcnt(2)
	v_fmac_f64_e32 v[98:99], v[102:103], v[116:117]
	ds_read_b128 v[102:105], v100 offset:608
	s_waitcnt vmcnt(0) lgkmcnt(0)
	v_fmac_f64_e32 v[98:99], v[106:107], v[102:103]
	buffer_load_dword v103, off, s[0:3], 0 offset:236
	buffer_load_dword v102, off, s[0:3], 0 offset:232
	buffer_load_dword v107, off, s[0:3], 0 offset:244
	buffer_load_dword v106, off, s[0:3], 0 offset:240
	s_waitcnt vmcnt(2)
	v_fmac_f64_e32 v[98:99], v[102:103], v[104:105]
	ds_read_b128 v[102:105], v100 offset:624
	s_waitcnt vmcnt(0) lgkmcnt(0)
	v_fmac_f64_e32 v[98:99], v[106:107], v[102:103]
	buffer_load_dword v103, off, s[0:3], 0 offset:252
	buffer_load_dword v102, off, s[0:3], 0 offset:248
	buffer_load_dword v107, off, s[0:3], 0 offset:260
	buffer_load_dword v106, off, s[0:3], 0 offset:256
	;; [unrolled: 9-line block ×8, first 2 shown]
	s_waitcnt vmcnt(2)
	v_fmac_f64_e32 v[98:99], v[102:103], v[104:105]
	ds_read_b128 v[102:105], v100 offset:736
	s_waitcnt vmcnt(0) lgkmcnt(0)
	v_fmac_f64_e32 v[98:99], v[106:107], v[102:103]
	buffer_load_dword v103, off, s[0:3], 0 offset:364
	buffer_load_dword v102, off, s[0:3], 0 offset:360
	s_waitcnt vmcnt(0)
	v_fmac_f64_e32 v[98:99], v[102:103], v[104:105]
	buffer_load_dword v103, off, s[0:3], 0 offset:372
	buffer_load_dword v102, off, s[0:3], 0 offset:368
	ds_read_b64 v[104:105], v100 offset:752
	s_waitcnt vmcnt(0) lgkmcnt(0)
	v_fmac_f64_e32 v[98:99], v[102:103], v[104:105]
	v_add_f64 v[96:97], v[96:97], -v[98:99]
	buffer_store_dword v97, off, s[0:3], 0 offset:156
	buffer_store_dword v96, off, s[0:3], 0 offset:152
	s_and_saveexec_b64 s[4:5], vcc
	s_cbranch_execz .LBB46_253
; %bb.252:
	buffer_load_dword v96, off, s[0:3], 0 offset:144
	buffer_load_dword v97, off, s[0:3], 0 offset:148
	s_waitcnt vmcnt(0)
	ds_write_b64 v1, v[96:97]
	buffer_store_dword v100, off, s[0:3], 0 offset:144
	buffer_store_dword v100, off, s[0:3], 0 offset:148
.LBB46_253:
	s_or_b64 exec, exec, s[4:5]
	s_waitcnt lgkmcnt(0)
	; wave barrier
	s_waitcnt lgkmcnt(0)
	buffer_load_dword v96, off, s[0:3], 0 offset:144
	buffer_load_dword v97, off, s[0:3], 0 offset:148
	;; [unrolled: 1-line block ×16, first 2 shown]
	ds_read2_b64 v[102:105], v100 offset0:67 offset1:68
	v_cmp_lt_u32_e32 vcc, 17, v0
	s_waitcnt vmcnt(12) lgkmcnt(0)
	v_fma_f64 v[98:99], v[98:99], v[102:103], 0
	s_waitcnt vmcnt(10)
	v_fmac_f64_e32 v[98:99], v[106:107], v[104:105]
	ds_read2_b64 v[102:105], v100 offset0:69 offset1:70
	s_waitcnt vmcnt(8) lgkmcnt(0)
	v_fmac_f64_e32 v[98:99], v[108:109], v[102:103]
	s_waitcnt vmcnt(6)
	v_fmac_f64_e32 v[98:99], v[110:111], v[104:105]
	ds_read2_b64 v[102:105], v100 offset0:71 offset1:72
	s_waitcnt vmcnt(4) lgkmcnt(0)
	v_fmac_f64_e32 v[98:99], v[112:113], v[102:103]
	s_waitcnt vmcnt(2)
	v_fmac_f64_e32 v[98:99], v[114:115], v[104:105]
	ds_read2_b64 v[102:105], v100 offset0:73 offset1:74
	s_waitcnt vmcnt(0) lgkmcnt(0)
	v_fmac_f64_e32 v[98:99], v[116:117], v[102:103]
	buffer_load_dword v103, off, s[0:3], 0 offset:212
	buffer_load_dword v102, off, s[0:3], 0 offset:208
	buffer_load_dword v107, off, s[0:3], 0 offset:220
	buffer_load_dword v106, off, s[0:3], 0 offset:216
	s_waitcnt vmcnt(2)
	v_fmac_f64_e32 v[98:99], v[102:103], v[104:105]
	ds_read2_b64 v[102:105], v100 offset0:75 offset1:76
	s_waitcnt vmcnt(0) lgkmcnt(0)
	v_fmac_f64_e32 v[98:99], v[106:107], v[102:103]
	buffer_load_dword v103, off, s[0:3], 0 offset:228
	buffer_load_dword v102, off, s[0:3], 0 offset:224
	buffer_load_dword v107, off, s[0:3], 0 offset:236
	buffer_load_dword v106, off, s[0:3], 0 offset:232
	s_waitcnt vmcnt(2)
	v_fmac_f64_e32 v[98:99], v[102:103], v[104:105]
	ds_read2_b64 v[102:105], v100 offset0:77 offset1:78
	s_waitcnt vmcnt(0) lgkmcnt(0)
	v_fmac_f64_e32 v[98:99], v[106:107], v[102:103]
	buffer_load_dword v103, off, s[0:3], 0 offset:244
	buffer_load_dword v102, off, s[0:3], 0 offset:240
	buffer_load_dword v107, off, s[0:3], 0 offset:252
	buffer_load_dword v106, off, s[0:3], 0 offset:248
	s_waitcnt vmcnt(2)
	v_fmac_f64_e32 v[98:99], v[102:103], v[104:105]
	ds_read2_b64 v[102:105], v100 offset0:79 offset1:80
	s_waitcnt vmcnt(0) lgkmcnt(0)
	v_fmac_f64_e32 v[98:99], v[106:107], v[102:103]
	buffer_load_dword v103, off, s[0:3], 0 offset:260
	buffer_load_dword v102, off, s[0:3], 0 offset:256
	buffer_load_dword v107, off, s[0:3], 0 offset:268
	buffer_load_dword v106, off, s[0:3], 0 offset:264
	s_waitcnt vmcnt(2)
	v_fmac_f64_e32 v[98:99], v[102:103], v[104:105]
	ds_read2_b64 v[102:105], v100 offset0:81 offset1:82
	s_waitcnt vmcnt(0) lgkmcnt(0)
	v_fmac_f64_e32 v[98:99], v[106:107], v[102:103]
	buffer_load_dword v103, off, s[0:3], 0 offset:276
	buffer_load_dword v102, off, s[0:3], 0 offset:272
	buffer_load_dword v107, off, s[0:3], 0 offset:284
	buffer_load_dword v106, off, s[0:3], 0 offset:280
	s_waitcnt vmcnt(2)
	v_fmac_f64_e32 v[98:99], v[102:103], v[104:105]
	ds_read2_b64 v[102:105], v100 offset0:83 offset1:84
	s_waitcnt vmcnt(0) lgkmcnt(0)
	v_fmac_f64_e32 v[98:99], v[106:107], v[102:103]
	buffer_load_dword v103, off, s[0:3], 0 offset:292
	buffer_load_dword v102, off, s[0:3], 0 offset:288
	buffer_load_dword v107, off, s[0:3], 0 offset:300
	buffer_load_dword v106, off, s[0:3], 0 offset:296
	s_waitcnt vmcnt(2)
	v_fmac_f64_e32 v[98:99], v[102:103], v[104:105]
	ds_read2_b64 v[102:105], v100 offset0:85 offset1:86
	s_waitcnt vmcnt(0) lgkmcnt(0)
	v_fmac_f64_e32 v[98:99], v[106:107], v[102:103]
	buffer_load_dword v103, off, s[0:3], 0 offset:308
	buffer_load_dword v102, off, s[0:3], 0 offset:304
	buffer_load_dword v107, off, s[0:3], 0 offset:316
	buffer_load_dword v106, off, s[0:3], 0 offset:312
	s_waitcnt vmcnt(2)
	v_fmac_f64_e32 v[98:99], v[102:103], v[104:105]
	ds_read2_b64 v[102:105], v100 offset0:87 offset1:88
	s_waitcnt vmcnt(0) lgkmcnt(0)
	v_fmac_f64_e32 v[98:99], v[106:107], v[102:103]
	buffer_load_dword v103, off, s[0:3], 0 offset:324
	buffer_load_dword v102, off, s[0:3], 0 offset:320
	buffer_load_dword v107, off, s[0:3], 0 offset:332
	buffer_load_dword v106, off, s[0:3], 0 offset:328
	s_waitcnt vmcnt(2)
	v_fmac_f64_e32 v[98:99], v[102:103], v[104:105]
	ds_read2_b64 v[102:105], v100 offset0:89 offset1:90
	s_waitcnt vmcnt(0) lgkmcnt(0)
	v_fmac_f64_e32 v[98:99], v[106:107], v[102:103]
	buffer_load_dword v103, off, s[0:3], 0 offset:340
	buffer_load_dword v102, off, s[0:3], 0 offset:336
	buffer_load_dword v107, off, s[0:3], 0 offset:348
	buffer_load_dword v106, off, s[0:3], 0 offset:344
	s_waitcnt vmcnt(2)
	v_fmac_f64_e32 v[98:99], v[102:103], v[104:105]
	ds_read2_b64 v[102:105], v100 offset0:91 offset1:92
	s_waitcnt vmcnt(0) lgkmcnt(0)
	v_fmac_f64_e32 v[98:99], v[106:107], v[102:103]
	buffer_load_dword v103, off, s[0:3], 0 offset:356
	buffer_load_dword v102, off, s[0:3], 0 offset:352
	s_waitcnt vmcnt(0)
	v_fmac_f64_e32 v[98:99], v[102:103], v[104:105]
	buffer_load_dword v105, off, s[0:3], 0 offset:364
	buffer_load_dword v104, off, s[0:3], 0 offset:360
	ds_read2_b64 v[100:103], v100 offset0:93 offset1:94
	s_waitcnt vmcnt(0) lgkmcnt(0)
	v_fmac_f64_e32 v[98:99], v[104:105], v[100:101]
	buffer_load_dword v101, off, s[0:3], 0 offset:372
	buffer_load_dword v100, off, s[0:3], 0 offset:368
	s_waitcnt vmcnt(0)
	v_fmac_f64_e32 v[98:99], v[100:101], v[102:103]
	v_add_f64 v[96:97], v[96:97], -v[98:99]
	buffer_store_dword v97, off, s[0:3], 0 offset:148
	buffer_store_dword v96, off, s[0:3], 0 offset:144
	s_and_saveexec_b64 s[4:5], vcc
	s_cbranch_execz .LBB46_255
; %bb.254:
	buffer_load_dword v96, off, s[0:3], 0 offset:136
	buffer_load_dword v97, off, s[0:3], 0 offset:140
	v_mov_b32_e32 v98, 0
	buffer_store_dword v98, off, s[0:3], 0 offset:136
	buffer_store_dword v98, off, s[0:3], 0 offset:140
	s_waitcnt vmcnt(2)
	ds_write_b64 v1, v[96:97]
.LBB46_255:
	s_or_b64 exec, exec, s[4:5]
	s_waitcnt lgkmcnt(0)
	; wave barrier
	s_waitcnt lgkmcnt(0)
	buffer_load_dword v96, off, s[0:3], 0 offset:136
	buffer_load_dword v97, off, s[0:3], 0 offset:140
	;; [unrolled: 1-line block ×16, first 2 shown]
	v_mov_b32_e32 v100, 0
	ds_read_b128 v[102:105], v100 offset:528
	ds_read_b128 v[106:109], v100 offset:544
	;; [unrolled: 1-line block ×4, first 2 shown]
	v_cmp_lt_u32_e32 vcc, 16, v0
	s_waitcnt vmcnt(12) lgkmcnt(3)
	v_fma_f64 v[98:99], v[98:99], v[102:103], 0
	buffer_load_dword v103, off, s[0:3], 0 offset:204
	buffer_load_dword v102, off, s[0:3], 0 offset:200
	s_waitcnt vmcnt(12)
	v_fmac_f64_e32 v[98:99], v[118:119], v[104:105]
	s_waitcnt vmcnt(10) lgkmcnt(2)
	v_fmac_f64_e32 v[98:99], v[120:121], v[106:107]
	buffer_load_dword v107, off, s[0:3], 0 offset:212
	buffer_load_dword v106, off, s[0:3], 0 offset:208
	s_waitcnt vmcnt(10)
	v_fmac_f64_e32 v[98:99], v[122:123], v[108:109]
	s_waitcnt vmcnt(8) lgkmcnt(1)
	v_fmac_f64_e32 v[98:99], v[124:125], v[110:111]
	s_waitcnt vmcnt(6)
	v_fmac_f64_e32 v[98:99], v[126:127], v[112:113]
	s_waitcnt vmcnt(4) lgkmcnt(0)
	v_fmac_f64_e32 v[98:99], v[128:129], v[114:115]
	s_waitcnt vmcnt(2)
	v_fmac_f64_e32 v[98:99], v[102:103], v[116:117]
	ds_read_b128 v[102:105], v100 offset:592
	s_waitcnt vmcnt(0) lgkmcnt(0)
	v_fmac_f64_e32 v[98:99], v[106:107], v[102:103]
	buffer_load_dword v103, off, s[0:3], 0 offset:220
	buffer_load_dword v102, off, s[0:3], 0 offset:216
	buffer_load_dword v107, off, s[0:3], 0 offset:228
	buffer_load_dword v106, off, s[0:3], 0 offset:224
	s_waitcnt vmcnt(2)
	v_fmac_f64_e32 v[98:99], v[102:103], v[104:105]
	ds_read_b128 v[102:105], v100 offset:608
	s_waitcnt vmcnt(0) lgkmcnt(0)
	v_fmac_f64_e32 v[98:99], v[106:107], v[102:103]
	buffer_load_dword v103, off, s[0:3], 0 offset:236
	buffer_load_dword v102, off, s[0:3], 0 offset:232
	buffer_load_dword v107, off, s[0:3], 0 offset:244
	buffer_load_dword v106, off, s[0:3], 0 offset:240
	;; [unrolled: 9-line block ×9, first 2 shown]
	s_waitcnt vmcnt(2)
	v_fmac_f64_e32 v[98:99], v[102:103], v[104:105]
	ds_read_b128 v[102:105], v100 offset:736
	s_waitcnt vmcnt(0) lgkmcnt(0)
	v_fmac_f64_e32 v[98:99], v[106:107], v[102:103]
	buffer_load_dword v103, off, s[0:3], 0 offset:364
	buffer_load_dword v102, off, s[0:3], 0 offset:360
	s_waitcnt vmcnt(0)
	v_fmac_f64_e32 v[98:99], v[102:103], v[104:105]
	buffer_load_dword v103, off, s[0:3], 0 offset:372
	buffer_load_dword v102, off, s[0:3], 0 offset:368
	ds_read_b64 v[104:105], v100 offset:752
	s_waitcnt vmcnt(0) lgkmcnt(0)
	v_fmac_f64_e32 v[98:99], v[102:103], v[104:105]
	v_add_f64 v[96:97], v[96:97], -v[98:99]
	buffer_store_dword v97, off, s[0:3], 0 offset:140
	buffer_store_dword v96, off, s[0:3], 0 offset:136
	s_and_saveexec_b64 s[4:5], vcc
	s_cbranch_execz .LBB46_257
; %bb.256:
	buffer_load_dword v96, off, s[0:3], 0 offset:128
	buffer_load_dword v97, off, s[0:3], 0 offset:132
	s_waitcnt vmcnt(0)
	ds_write_b64 v1, v[96:97]
	buffer_store_dword v100, off, s[0:3], 0 offset:128
	buffer_store_dword v100, off, s[0:3], 0 offset:132
.LBB46_257:
	s_or_b64 exec, exec, s[4:5]
	s_waitcnt lgkmcnt(0)
	; wave barrier
	s_waitcnt lgkmcnt(0)
	buffer_load_dword v96, off, s[0:3], 0 offset:128
	buffer_load_dword v97, off, s[0:3], 0 offset:132
	;; [unrolled: 1-line block ×16, first 2 shown]
	ds_read2_b64 v[102:105], v100 offset0:65 offset1:66
	v_cmp_lt_u32_e32 vcc, 15, v0
	s_waitcnt vmcnt(12) lgkmcnt(0)
	v_fma_f64 v[98:99], v[98:99], v[102:103], 0
	s_waitcnt vmcnt(10)
	v_fmac_f64_e32 v[98:99], v[106:107], v[104:105]
	ds_read2_b64 v[102:105], v100 offset0:67 offset1:68
	s_waitcnt vmcnt(8) lgkmcnt(0)
	v_fmac_f64_e32 v[98:99], v[108:109], v[102:103]
	s_waitcnt vmcnt(6)
	v_fmac_f64_e32 v[98:99], v[110:111], v[104:105]
	ds_read2_b64 v[102:105], v100 offset0:69 offset1:70
	s_waitcnt vmcnt(4) lgkmcnt(0)
	v_fmac_f64_e32 v[98:99], v[112:113], v[102:103]
	;; [unrolled: 5-line block ×3, first 2 shown]
	buffer_load_dword v103, off, s[0:3], 0 offset:196
	buffer_load_dword v102, off, s[0:3], 0 offset:192
	buffer_load_dword v107, off, s[0:3], 0 offset:204
	buffer_load_dword v106, off, s[0:3], 0 offset:200
	s_waitcnt vmcnt(2)
	v_fmac_f64_e32 v[98:99], v[102:103], v[104:105]
	ds_read2_b64 v[102:105], v100 offset0:73 offset1:74
	s_waitcnt vmcnt(0) lgkmcnt(0)
	v_fmac_f64_e32 v[98:99], v[106:107], v[102:103]
	buffer_load_dword v103, off, s[0:3], 0 offset:212
	buffer_load_dword v102, off, s[0:3], 0 offset:208
	buffer_load_dword v107, off, s[0:3], 0 offset:220
	buffer_load_dword v106, off, s[0:3], 0 offset:216
	s_waitcnt vmcnt(2)
	v_fmac_f64_e32 v[98:99], v[102:103], v[104:105]
	ds_read2_b64 v[102:105], v100 offset0:75 offset1:76
	s_waitcnt vmcnt(0) lgkmcnt(0)
	v_fmac_f64_e32 v[98:99], v[106:107], v[102:103]
	;; [unrolled: 9-line block ×10, first 2 shown]
	buffer_load_dword v103, off, s[0:3], 0 offset:356
	buffer_load_dword v102, off, s[0:3], 0 offset:352
	s_waitcnt vmcnt(0)
	v_fmac_f64_e32 v[98:99], v[102:103], v[104:105]
	buffer_load_dword v105, off, s[0:3], 0 offset:364
	buffer_load_dword v104, off, s[0:3], 0 offset:360
	ds_read2_b64 v[100:103], v100 offset0:93 offset1:94
	s_waitcnt vmcnt(0) lgkmcnt(0)
	v_fmac_f64_e32 v[98:99], v[104:105], v[100:101]
	buffer_load_dword v101, off, s[0:3], 0 offset:372
	buffer_load_dword v100, off, s[0:3], 0 offset:368
	s_waitcnt vmcnt(0)
	v_fmac_f64_e32 v[98:99], v[100:101], v[102:103]
	v_add_f64 v[96:97], v[96:97], -v[98:99]
	buffer_store_dword v97, off, s[0:3], 0 offset:132
	buffer_store_dword v96, off, s[0:3], 0 offset:128
	s_and_saveexec_b64 s[4:5], vcc
	s_cbranch_execz .LBB46_259
; %bb.258:
	buffer_load_dword v96, off, s[0:3], 0 offset:120
	buffer_load_dword v97, off, s[0:3], 0 offset:124
	v_mov_b32_e32 v98, 0
	buffer_store_dword v98, off, s[0:3], 0 offset:120
	buffer_store_dword v98, off, s[0:3], 0 offset:124
	s_waitcnt vmcnt(2)
	ds_write_b64 v1, v[96:97]
.LBB46_259:
	s_or_b64 exec, exec, s[4:5]
	s_waitcnt lgkmcnt(0)
	; wave barrier
	s_waitcnt lgkmcnt(0)
	buffer_load_dword v96, off, s[0:3], 0 offset:120
	buffer_load_dword v97, off, s[0:3], 0 offset:124
	buffer_load_dword v98, off, s[0:3], 0 offset:128
	buffer_load_dword v99, off, s[0:3], 0 offset:132
	buffer_load_dword v118, off, s[0:3], 0 offset:136
	buffer_load_dword v119, off, s[0:3], 0 offset:140
	buffer_load_dword v120, off, s[0:3], 0 offset:144
	buffer_load_dword v121, off, s[0:3], 0 offset:148
	buffer_load_dword v122, off, s[0:3], 0 offset:152
	buffer_load_dword v123, off, s[0:3], 0 offset:156
	buffer_load_dword v124, off, s[0:3], 0 offset:160
	buffer_load_dword v125, off, s[0:3], 0 offset:164
	buffer_load_dword v126, off, s[0:3], 0 offset:168
	buffer_load_dword v127, off, s[0:3], 0 offset:172
	buffer_load_dword v128, off, s[0:3], 0 offset:176
	buffer_load_dword v129, off, s[0:3], 0 offset:180
	v_mov_b32_e32 v100, 0
	ds_read_b128 v[102:105], v100 offset:512
	ds_read_b128 v[106:109], v100 offset:528
	;; [unrolled: 1-line block ×4, first 2 shown]
	v_cmp_lt_u32_e32 vcc, 14, v0
	s_waitcnt vmcnt(12) lgkmcnt(3)
	v_fma_f64 v[98:99], v[98:99], v[102:103], 0
	buffer_load_dword v103, off, s[0:3], 0 offset:188
	buffer_load_dword v102, off, s[0:3], 0 offset:184
	s_waitcnt vmcnt(12)
	v_fmac_f64_e32 v[98:99], v[118:119], v[104:105]
	s_waitcnt vmcnt(10) lgkmcnt(2)
	v_fmac_f64_e32 v[98:99], v[120:121], v[106:107]
	buffer_load_dword v107, off, s[0:3], 0 offset:196
	buffer_load_dword v106, off, s[0:3], 0 offset:192
	s_waitcnt vmcnt(10)
	v_fmac_f64_e32 v[98:99], v[122:123], v[108:109]
	s_waitcnt vmcnt(8) lgkmcnt(1)
	v_fmac_f64_e32 v[98:99], v[124:125], v[110:111]
	s_waitcnt vmcnt(6)
	v_fmac_f64_e32 v[98:99], v[126:127], v[112:113]
	s_waitcnt vmcnt(4) lgkmcnt(0)
	v_fmac_f64_e32 v[98:99], v[128:129], v[114:115]
	s_waitcnt vmcnt(2)
	v_fmac_f64_e32 v[98:99], v[102:103], v[116:117]
	ds_read_b128 v[102:105], v100 offset:576
	s_waitcnt vmcnt(0) lgkmcnt(0)
	v_fmac_f64_e32 v[98:99], v[106:107], v[102:103]
	buffer_load_dword v103, off, s[0:3], 0 offset:204
	buffer_load_dword v102, off, s[0:3], 0 offset:200
	buffer_load_dword v107, off, s[0:3], 0 offset:212
	buffer_load_dword v106, off, s[0:3], 0 offset:208
	s_waitcnt vmcnt(2)
	v_fmac_f64_e32 v[98:99], v[102:103], v[104:105]
	ds_read_b128 v[102:105], v100 offset:592
	s_waitcnt vmcnt(0) lgkmcnt(0)
	v_fmac_f64_e32 v[98:99], v[106:107], v[102:103]
	buffer_load_dword v103, off, s[0:3], 0 offset:220
	buffer_load_dword v102, off, s[0:3], 0 offset:216
	buffer_load_dword v107, off, s[0:3], 0 offset:228
	buffer_load_dword v106, off, s[0:3], 0 offset:224
	;; [unrolled: 9-line block ×10, first 2 shown]
	s_waitcnt vmcnt(2)
	v_fmac_f64_e32 v[98:99], v[102:103], v[104:105]
	ds_read_b128 v[102:105], v100 offset:736
	s_waitcnt vmcnt(0) lgkmcnt(0)
	v_fmac_f64_e32 v[98:99], v[106:107], v[102:103]
	buffer_load_dword v103, off, s[0:3], 0 offset:364
	buffer_load_dword v102, off, s[0:3], 0 offset:360
	s_waitcnt vmcnt(0)
	v_fmac_f64_e32 v[98:99], v[102:103], v[104:105]
	buffer_load_dword v103, off, s[0:3], 0 offset:372
	buffer_load_dword v102, off, s[0:3], 0 offset:368
	ds_read_b64 v[104:105], v100 offset:752
	s_waitcnt vmcnt(0) lgkmcnt(0)
	v_fmac_f64_e32 v[98:99], v[102:103], v[104:105]
	v_add_f64 v[96:97], v[96:97], -v[98:99]
	buffer_store_dword v97, off, s[0:3], 0 offset:124
	buffer_store_dword v96, off, s[0:3], 0 offset:120
	s_and_saveexec_b64 s[4:5], vcc
	s_cbranch_execz .LBB46_261
; %bb.260:
	buffer_load_dword v96, off, s[0:3], 0 offset:112
	buffer_load_dword v97, off, s[0:3], 0 offset:116
	s_waitcnt vmcnt(0)
	ds_write_b64 v1, v[96:97]
	buffer_store_dword v100, off, s[0:3], 0 offset:112
	buffer_store_dword v100, off, s[0:3], 0 offset:116
.LBB46_261:
	s_or_b64 exec, exec, s[4:5]
	s_waitcnt lgkmcnt(0)
	; wave barrier
	s_waitcnt lgkmcnt(0)
	buffer_load_dword v96, off, s[0:3], 0 offset:112
	buffer_load_dword v97, off, s[0:3], 0 offset:116
	;; [unrolled: 1-line block ×16, first 2 shown]
	ds_read2_b64 v[102:105], v100 offset0:63 offset1:64
	v_cmp_lt_u32_e32 vcc, 13, v0
	s_waitcnt vmcnt(12) lgkmcnt(0)
	v_fma_f64 v[98:99], v[98:99], v[102:103], 0
	s_waitcnt vmcnt(10)
	v_fmac_f64_e32 v[98:99], v[106:107], v[104:105]
	ds_read2_b64 v[102:105], v100 offset0:65 offset1:66
	s_waitcnt vmcnt(8) lgkmcnt(0)
	v_fmac_f64_e32 v[98:99], v[108:109], v[102:103]
	s_waitcnt vmcnt(6)
	v_fmac_f64_e32 v[98:99], v[110:111], v[104:105]
	ds_read2_b64 v[102:105], v100 offset0:67 offset1:68
	s_waitcnt vmcnt(4) lgkmcnt(0)
	v_fmac_f64_e32 v[98:99], v[112:113], v[102:103]
	;; [unrolled: 5-line block ×3, first 2 shown]
	buffer_load_dword v103, off, s[0:3], 0 offset:180
	buffer_load_dword v102, off, s[0:3], 0 offset:176
	buffer_load_dword v107, off, s[0:3], 0 offset:188
	buffer_load_dword v106, off, s[0:3], 0 offset:184
	s_waitcnt vmcnt(2)
	v_fmac_f64_e32 v[98:99], v[102:103], v[104:105]
	ds_read2_b64 v[102:105], v100 offset0:71 offset1:72
	s_waitcnt vmcnt(0) lgkmcnt(0)
	v_fmac_f64_e32 v[98:99], v[106:107], v[102:103]
	buffer_load_dword v103, off, s[0:3], 0 offset:196
	buffer_load_dword v102, off, s[0:3], 0 offset:192
	buffer_load_dword v107, off, s[0:3], 0 offset:204
	buffer_load_dword v106, off, s[0:3], 0 offset:200
	s_waitcnt vmcnt(2)
	v_fmac_f64_e32 v[98:99], v[102:103], v[104:105]
	ds_read2_b64 v[102:105], v100 offset0:73 offset1:74
	s_waitcnt vmcnt(0) lgkmcnt(0)
	v_fmac_f64_e32 v[98:99], v[106:107], v[102:103]
	;; [unrolled: 9-line block ×11, first 2 shown]
	buffer_load_dword v103, off, s[0:3], 0 offset:356
	buffer_load_dword v102, off, s[0:3], 0 offset:352
	s_waitcnt vmcnt(0)
	v_fmac_f64_e32 v[98:99], v[102:103], v[104:105]
	buffer_load_dword v105, off, s[0:3], 0 offset:364
	buffer_load_dword v104, off, s[0:3], 0 offset:360
	ds_read2_b64 v[100:103], v100 offset0:93 offset1:94
	s_waitcnt vmcnt(0) lgkmcnt(0)
	v_fmac_f64_e32 v[98:99], v[104:105], v[100:101]
	buffer_load_dword v101, off, s[0:3], 0 offset:372
	buffer_load_dword v100, off, s[0:3], 0 offset:368
	s_waitcnt vmcnt(0)
	v_fmac_f64_e32 v[98:99], v[100:101], v[102:103]
	v_add_f64 v[96:97], v[96:97], -v[98:99]
	buffer_store_dword v97, off, s[0:3], 0 offset:116
	buffer_store_dword v96, off, s[0:3], 0 offset:112
	s_and_saveexec_b64 s[4:5], vcc
	s_cbranch_execz .LBB46_263
; %bb.262:
	buffer_load_dword v96, off, s[0:3], 0 offset:104
	buffer_load_dword v97, off, s[0:3], 0 offset:108
	v_mov_b32_e32 v98, 0
	buffer_store_dword v98, off, s[0:3], 0 offset:104
	buffer_store_dword v98, off, s[0:3], 0 offset:108
	s_waitcnt vmcnt(2)
	ds_write_b64 v1, v[96:97]
.LBB46_263:
	s_or_b64 exec, exec, s[4:5]
	s_waitcnt lgkmcnt(0)
	; wave barrier
	s_waitcnt lgkmcnt(0)
	buffer_load_dword v96, off, s[0:3], 0 offset:104
	buffer_load_dword v97, off, s[0:3], 0 offset:108
	;; [unrolled: 1-line block ×16, first 2 shown]
	v_mov_b32_e32 v100, 0
	ds_read_b128 v[102:105], v100 offset:496
	ds_read_b128 v[106:109], v100 offset:512
	;; [unrolled: 1-line block ×4, first 2 shown]
	v_cmp_lt_u32_e32 vcc, 12, v0
	s_waitcnt vmcnt(12) lgkmcnt(3)
	v_fma_f64 v[98:99], v[98:99], v[102:103], 0
	buffer_load_dword v103, off, s[0:3], 0 offset:172
	buffer_load_dword v102, off, s[0:3], 0 offset:168
	s_waitcnt vmcnt(12)
	v_fmac_f64_e32 v[98:99], v[118:119], v[104:105]
	s_waitcnt vmcnt(10) lgkmcnt(2)
	v_fmac_f64_e32 v[98:99], v[120:121], v[106:107]
	buffer_load_dword v107, off, s[0:3], 0 offset:180
	buffer_load_dword v106, off, s[0:3], 0 offset:176
	s_waitcnt vmcnt(10)
	v_fmac_f64_e32 v[98:99], v[122:123], v[108:109]
	s_waitcnt vmcnt(8) lgkmcnt(1)
	v_fmac_f64_e32 v[98:99], v[124:125], v[110:111]
	s_waitcnt vmcnt(6)
	v_fmac_f64_e32 v[98:99], v[126:127], v[112:113]
	s_waitcnt vmcnt(4) lgkmcnt(0)
	v_fmac_f64_e32 v[98:99], v[128:129], v[114:115]
	s_waitcnt vmcnt(2)
	v_fmac_f64_e32 v[98:99], v[102:103], v[116:117]
	ds_read_b128 v[102:105], v100 offset:560
	s_waitcnt vmcnt(0) lgkmcnt(0)
	v_fmac_f64_e32 v[98:99], v[106:107], v[102:103]
	buffer_load_dword v103, off, s[0:3], 0 offset:188
	buffer_load_dword v102, off, s[0:3], 0 offset:184
	buffer_load_dword v107, off, s[0:3], 0 offset:196
	buffer_load_dword v106, off, s[0:3], 0 offset:192
	s_waitcnt vmcnt(2)
	v_fmac_f64_e32 v[98:99], v[102:103], v[104:105]
	ds_read_b128 v[102:105], v100 offset:576
	s_waitcnt vmcnt(0) lgkmcnt(0)
	v_fmac_f64_e32 v[98:99], v[106:107], v[102:103]
	buffer_load_dword v103, off, s[0:3], 0 offset:204
	buffer_load_dword v102, off, s[0:3], 0 offset:200
	buffer_load_dword v107, off, s[0:3], 0 offset:212
	buffer_load_dword v106, off, s[0:3], 0 offset:208
	;; [unrolled: 9-line block ×11, first 2 shown]
	s_waitcnt vmcnt(2)
	v_fmac_f64_e32 v[98:99], v[102:103], v[104:105]
	ds_read_b128 v[102:105], v100 offset:736
	s_waitcnt vmcnt(0) lgkmcnt(0)
	v_fmac_f64_e32 v[98:99], v[106:107], v[102:103]
	buffer_load_dword v103, off, s[0:3], 0 offset:364
	buffer_load_dword v102, off, s[0:3], 0 offset:360
	s_waitcnt vmcnt(0)
	v_fmac_f64_e32 v[98:99], v[102:103], v[104:105]
	buffer_load_dword v103, off, s[0:3], 0 offset:372
	buffer_load_dword v102, off, s[0:3], 0 offset:368
	ds_read_b64 v[104:105], v100 offset:752
	s_waitcnt vmcnt(0) lgkmcnt(0)
	v_fmac_f64_e32 v[98:99], v[102:103], v[104:105]
	v_add_f64 v[96:97], v[96:97], -v[98:99]
	buffer_store_dword v97, off, s[0:3], 0 offset:108
	buffer_store_dword v96, off, s[0:3], 0 offset:104
	s_and_saveexec_b64 s[4:5], vcc
	s_cbranch_execz .LBB46_265
; %bb.264:
	buffer_load_dword v96, off, s[0:3], 0 offset:96
	buffer_load_dword v97, off, s[0:3], 0 offset:100
	s_waitcnt vmcnt(0)
	ds_write_b64 v1, v[96:97]
	buffer_store_dword v100, off, s[0:3], 0 offset:96
	buffer_store_dword v100, off, s[0:3], 0 offset:100
.LBB46_265:
	s_or_b64 exec, exec, s[4:5]
	s_waitcnt lgkmcnt(0)
	; wave barrier
	s_waitcnt lgkmcnt(0)
	buffer_load_dword v96, off, s[0:3], 0 offset:96
	buffer_load_dword v97, off, s[0:3], 0 offset:100
	;; [unrolled: 1-line block ×16, first 2 shown]
	ds_read2_b64 v[102:105], v100 offset0:61 offset1:62
	v_cmp_lt_u32_e32 vcc, 11, v0
	s_waitcnt vmcnt(12) lgkmcnt(0)
	v_fma_f64 v[98:99], v[98:99], v[102:103], 0
	s_waitcnt vmcnt(10)
	v_fmac_f64_e32 v[98:99], v[106:107], v[104:105]
	ds_read2_b64 v[102:105], v100 offset0:63 offset1:64
	s_waitcnt vmcnt(8) lgkmcnt(0)
	v_fmac_f64_e32 v[98:99], v[108:109], v[102:103]
	s_waitcnt vmcnt(6)
	v_fmac_f64_e32 v[98:99], v[110:111], v[104:105]
	ds_read2_b64 v[102:105], v100 offset0:65 offset1:66
	s_waitcnt vmcnt(4) lgkmcnt(0)
	v_fmac_f64_e32 v[98:99], v[112:113], v[102:103]
	;; [unrolled: 5-line block ×3, first 2 shown]
	buffer_load_dword v103, off, s[0:3], 0 offset:164
	buffer_load_dword v102, off, s[0:3], 0 offset:160
	buffer_load_dword v107, off, s[0:3], 0 offset:172
	buffer_load_dword v106, off, s[0:3], 0 offset:168
	s_waitcnt vmcnt(2)
	v_fmac_f64_e32 v[98:99], v[102:103], v[104:105]
	ds_read2_b64 v[102:105], v100 offset0:69 offset1:70
	s_waitcnt vmcnt(0) lgkmcnt(0)
	v_fmac_f64_e32 v[98:99], v[106:107], v[102:103]
	buffer_load_dword v103, off, s[0:3], 0 offset:180
	buffer_load_dword v102, off, s[0:3], 0 offset:176
	buffer_load_dword v107, off, s[0:3], 0 offset:188
	buffer_load_dword v106, off, s[0:3], 0 offset:184
	s_waitcnt vmcnt(2)
	v_fmac_f64_e32 v[98:99], v[102:103], v[104:105]
	ds_read2_b64 v[102:105], v100 offset0:71 offset1:72
	s_waitcnt vmcnt(0) lgkmcnt(0)
	v_fmac_f64_e32 v[98:99], v[106:107], v[102:103]
	;; [unrolled: 9-line block ×12, first 2 shown]
	buffer_load_dword v103, off, s[0:3], 0 offset:356
	buffer_load_dword v102, off, s[0:3], 0 offset:352
	s_waitcnt vmcnt(0)
	v_fmac_f64_e32 v[98:99], v[102:103], v[104:105]
	buffer_load_dword v105, off, s[0:3], 0 offset:364
	buffer_load_dword v104, off, s[0:3], 0 offset:360
	ds_read2_b64 v[100:103], v100 offset0:93 offset1:94
	s_waitcnt vmcnt(0) lgkmcnt(0)
	v_fmac_f64_e32 v[98:99], v[104:105], v[100:101]
	buffer_load_dword v101, off, s[0:3], 0 offset:372
	buffer_load_dword v100, off, s[0:3], 0 offset:368
	s_waitcnt vmcnt(0)
	v_fmac_f64_e32 v[98:99], v[100:101], v[102:103]
	v_add_f64 v[96:97], v[96:97], -v[98:99]
	buffer_store_dword v97, off, s[0:3], 0 offset:100
	buffer_store_dword v96, off, s[0:3], 0 offset:96
	s_and_saveexec_b64 s[4:5], vcc
	s_cbranch_execz .LBB46_267
; %bb.266:
	buffer_load_dword v96, off, s[0:3], 0 offset:88
	buffer_load_dword v97, off, s[0:3], 0 offset:92
	v_mov_b32_e32 v98, 0
	buffer_store_dword v98, off, s[0:3], 0 offset:88
	buffer_store_dword v98, off, s[0:3], 0 offset:92
	s_waitcnt vmcnt(2)
	ds_write_b64 v1, v[96:97]
.LBB46_267:
	s_or_b64 exec, exec, s[4:5]
	s_waitcnt lgkmcnt(0)
	; wave barrier
	s_waitcnt lgkmcnt(0)
	buffer_load_dword v96, off, s[0:3], 0 offset:88
	buffer_load_dword v97, off, s[0:3], 0 offset:92
	;; [unrolled: 1-line block ×16, first 2 shown]
	v_mov_b32_e32 v100, 0
	ds_read_b128 v[102:105], v100 offset:480
	ds_read_b128 v[106:109], v100 offset:496
	;; [unrolled: 1-line block ×4, first 2 shown]
	v_cmp_lt_u32_e32 vcc, 10, v0
	s_waitcnt vmcnt(12) lgkmcnt(3)
	v_fma_f64 v[98:99], v[98:99], v[102:103], 0
	buffer_load_dword v103, off, s[0:3], 0 offset:156
	buffer_load_dword v102, off, s[0:3], 0 offset:152
	s_waitcnt vmcnt(12)
	v_fmac_f64_e32 v[98:99], v[118:119], v[104:105]
	s_waitcnt vmcnt(10) lgkmcnt(2)
	v_fmac_f64_e32 v[98:99], v[120:121], v[106:107]
	buffer_load_dword v107, off, s[0:3], 0 offset:164
	buffer_load_dword v106, off, s[0:3], 0 offset:160
	s_waitcnt vmcnt(10)
	v_fmac_f64_e32 v[98:99], v[122:123], v[108:109]
	s_waitcnt vmcnt(8) lgkmcnt(1)
	v_fmac_f64_e32 v[98:99], v[124:125], v[110:111]
	s_waitcnt vmcnt(6)
	v_fmac_f64_e32 v[98:99], v[126:127], v[112:113]
	s_waitcnt vmcnt(4) lgkmcnt(0)
	v_fmac_f64_e32 v[98:99], v[128:129], v[114:115]
	s_waitcnt vmcnt(2)
	v_fmac_f64_e32 v[98:99], v[102:103], v[116:117]
	ds_read_b128 v[102:105], v100 offset:544
	s_waitcnt vmcnt(0) lgkmcnt(0)
	v_fmac_f64_e32 v[98:99], v[106:107], v[102:103]
	buffer_load_dword v103, off, s[0:3], 0 offset:172
	buffer_load_dword v102, off, s[0:3], 0 offset:168
	buffer_load_dword v107, off, s[0:3], 0 offset:180
	buffer_load_dword v106, off, s[0:3], 0 offset:176
	s_waitcnt vmcnt(2)
	v_fmac_f64_e32 v[98:99], v[102:103], v[104:105]
	ds_read_b128 v[102:105], v100 offset:560
	s_waitcnt vmcnt(0) lgkmcnt(0)
	v_fmac_f64_e32 v[98:99], v[106:107], v[102:103]
	buffer_load_dword v103, off, s[0:3], 0 offset:188
	buffer_load_dword v102, off, s[0:3], 0 offset:184
	buffer_load_dword v107, off, s[0:3], 0 offset:196
	buffer_load_dword v106, off, s[0:3], 0 offset:192
	;; [unrolled: 9-line block ×12, first 2 shown]
	s_waitcnt vmcnt(2)
	v_fmac_f64_e32 v[98:99], v[102:103], v[104:105]
	ds_read_b128 v[102:105], v100 offset:736
	s_waitcnt vmcnt(0) lgkmcnt(0)
	v_fmac_f64_e32 v[98:99], v[106:107], v[102:103]
	buffer_load_dword v103, off, s[0:3], 0 offset:364
	buffer_load_dword v102, off, s[0:3], 0 offset:360
	s_waitcnt vmcnt(0)
	v_fmac_f64_e32 v[98:99], v[102:103], v[104:105]
	buffer_load_dword v103, off, s[0:3], 0 offset:372
	buffer_load_dword v102, off, s[0:3], 0 offset:368
	ds_read_b64 v[104:105], v100 offset:752
	s_waitcnt vmcnt(0) lgkmcnt(0)
	v_fmac_f64_e32 v[98:99], v[102:103], v[104:105]
	v_add_f64 v[96:97], v[96:97], -v[98:99]
	buffer_store_dword v97, off, s[0:3], 0 offset:92
	buffer_store_dword v96, off, s[0:3], 0 offset:88
	s_and_saveexec_b64 s[4:5], vcc
	s_cbranch_execz .LBB46_269
; %bb.268:
	buffer_load_dword v96, off, s[0:3], 0 offset:80
	buffer_load_dword v97, off, s[0:3], 0 offset:84
	s_waitcnt vmcnt(0)
	ds_write_b64 v1, v[96:97]
	buffer_store_dword v100, off, s[0:3], 0 offset:80
	buffer_store_dword v100, off, s[0:3], 0 offset:84
.LBB46_269:
	s_or_b64 exec, exec, s[4:5]
	s_waitcnt lgkmcnt(0)
	; wave barrier
	s_waitcnt lgkmcnt(0)
	buffer_load_dword v96, off, s[0:3], 0 offset:80
	buffer_load_dword v97, off, s[0:3], 0 offset:84
	;; [unrolled: 1-line block ×16, first 2 shown]
	ds_read2_b64 v[102:105], v100 offset0:59 offset1:60
	v_cmp_lt_u32_e32 vcc, 9, v0
	s_waitcnt vmcnt(12) lgkmcnt(0)
	v_fma_f64 v[98:99], v[98:99], v[102:103], 0
	s_waitcnt vmcnt(10)
	v_fmac_f64_e32 v[98:99], v[106:107], v[104:105]
	ds_read2_b64 v[102:105], v100 offset0:61 offset1:62
	s_waitcnt vmcnt(8) lgkmcnt(0)
	v_fmac_f64_e32 v[98:99], v[108:109], v[102:103]
	s_waitcnt vmcnt(6)
	v_fmac_f64_e32 v[98:99], v[110:111], v[104:105]
	ds_read2_b64 v[102:105], v100 offset0:63 offset1:64
	s_waitcnt vmcnt(4) lgkmcnt(0)
	v_fmac_f64_e32 v[98:99], v[112:113], v[102:103]
	;; [unrolled: 5-line block ×3, first 2 shown]
	buffer_load_dword v103, off, s[0:3], 0 offset:148
	buffer_load_dword v102, off, s[0:3], 0 offset:144
	buffer_load_dword v107, off, s[0:3], 0 offset:156
	buffer_load_dword v106, off, s[0:3], 0 offset:152
	s_waitcnt vmcnt(2)
	v_fmac_f64_e32 v[98:99], v[102:103], v[104:105]
	ds_read2_b64 v[102:105], v100 offset0:67 offset1:68
	s_waitcnt vmcnt(0) lgkmcnt(0)
	v_fmac_f64_e32 v[98:99], v[106:107], v[102:103]
	buffer_load_dword v103, off, s[0:3], 0 offset:164
	buffer_load_dword v102, off, s[0:3], 0 offset:160
	buffer_load_dword v107, off, s[0:3], 0 offset:172
	buffer_load_dword v106, off, s[0:3], 0 offset:168
	s_waitcnt vmcnt(2)
	v_fmac_f64_e32 v[98:99], v[102:103], v[104:105]
	ds_read2_b64 v[102:105], v100 offset0:69 offset1:70
	s_waitcnt vmcnt(0) lgkmcnt(0)
	v_fmac_f64_e32 v[98:99], v[106:107], v[102:103]
	;; [unrolled: 9-line block ×13, first 2 shown]
	buffer_load_dword v103, off, s[0:3], 0 offset:356
	buffer_load_dword v102, off, s[0:3], 0 offset:352
	s_waitcnt vmcnt(0)
	v_fmac_f64_e32 v[98:99], v[102:103], v[104:105]
	buffer_load_dword v105, off, s[0:3], 0 offset:364
	buffer_load_dword v104, off, s[0:3], 0 offset:360
	ds_read2_b64 v[100:103], v100 offset0:93 offset1:94
	s_waitcnt vmcnt(0) lgkmcnt(0)
	v_fmac_f64_e32 v[98:99], v[104:105], v[100:101]
	buffer_load_dword v101, off, s[0:3], 0 offset:372
	buffer_load_dword v100, off, s[0:3], 0 offset:368
	s_waitcnt vmcnt(0)
	v_fmac_f64_e32 v[98:99], v[100:101], v[102:103]
	v_add_f64 v[96:97], v[96:97], -v[98:99]
	buffer_store_dword v97, off, s[0:3], 0 offset:84
	buffer_store_dword v96, off, s[0:3], 0 offset:80
	s_and_saveexec_b64 s[4:5], vcc
	s_cbranch_execz .LBB46_271
; %bb.270:
	buffer_load_dword v96, off, s[0:3], 0 offset:72
	buffer_load_dword v97, off, s[0:3], 0 offset:76
	v_mov_b32_e32 v98, 0
	buffer_store_dword v98, off, s[0:3], 0 offset:72
	buffer_store_dword v98, off, s[0:3], 0 offset:76
	s_waitcnt vmcnt(2)
	ds_write_b64 v1, v[96:97]
.LBB46_271:
	s_or_b64 exec, exec, s[4:5]
	s_waitcnt lgkmcnt(0)
	; wave barrier
	s_waitcnt lgkmcnt(0)
	buffer_load_dword v96, off, s[0:3], 0 offset:72
	buffer_load_dword v97, off, s[0:3], 0 offset:76
	;; [unrolled: 1-line block ×16, first 2 shown]
	v_mov_b32_e32 v100, 0
	ds_read_b128 v[102:105], v100 offset:464
	ds_read_b128 v[106:109], v100 offset:480
	;; [unrolled: 1-line block ×4, first 2 shown]
	v_cmp_lt_u32_e32 vcc, 8, v0
	s_waitcnt vmcnt(12) lgkmcnt(3)
	v_fma_f64 v[98:99], v[98:99], v[102:103], 0
	buffer_load_dword v103, off, s[0:3], 0 offset:140
	buffer_load_dword v102, off, s[0:3], 0 offset:136
	s_waitcnt vmcnt(12)
	v_fmac_f64_e32 v[98:99], v[118:119], v[104:105]
	s_waitcnt vmcnt(10) lgkmcnt(2)
	v_fmac_f64_e32 v[98:99], v[120:121], v[106:107]
	buffer_load_dword v107, off, s[0:3], 0 offset:148
	buffer_load_dword v106, off, s[0:3], 0 offset:144
	s_waitcnt vmcnt(10)
	v_fmac_f64_e32 v[98:99], v[122:123], v[108:109]
	s_waitcnt vmcnt(8) lgkmcnt(1)
	v_fmac_f64_e32 v[98:99], v[124:125], v[110:111]
	s_waitcnt vmcnt(6)
	v_fmac_f64_e32 v[98:99], v[126:127], v[112:113]
	s_waitcnt vmcnt(4) lgkmcnt(0)
	v_fmac_f64_e32 v[98:99], v[128:129], v[114:115]
	s_waitcnt vmcnt(2)
	v_fmac_f64_e32 v[98:99], v[102:103], v[116:117]
	ds_read_b128 v[102:105], v100 offset:528
	s_waitcnt vmcnt(0) lgkmcnt(0)
	v_fmac_f64_e32 v[98:99], v[106:107], v[102:103]
	buffer_load_dword v103, off, s[0:3], 0 offset:156
	buffer_load_dword v102, off, s[0:3], 0 offset:152
	buffer_load_dword v107, off, s[0:3], 0 offset:164
	buffer_load_dword v106, off, s[0:3], 0 offset:160
	s_waitcnt vmcnt(2)
	v_fmac_f64_e32 v[98:99], v[102:103], v[104:105]
	ds_read_b128 v[102:105], v100 offset:544
	s_waitcnt vmcnt(0) lgkmcnt(0)
	v_fmac_f64_e32 v[98:99], v[106:107], v[102:103]
	buffer_load_dword v103, off, s[0:3], 0 offset:172
	buffer_load_dword v102, off, s[0:3], 0 offset:168
	buffer_load_dword v107, off, s[0:3], 0 offset:180
	buffer_load_dword v106, off, s[0:3], 0 offset:176
	s_waitcnt vmcnt(2)
	v_fmac_f64_e32 v[98:99], v[102:103], v[104:105]
	ds_read_b128 v[102:105], v100 offset:560
	s_waitcnt vmcnt(0) lgkmcnt(0)
	v_fmac_f64_e32 v[98:99], v[106:107], v[102:103]
	buffer_load_dword v103, off, s[0:3], 0 offset:188
	buffer_load_dword v102, off, s[0:3], 0 offset:184
	buffer_load_dword v107, off, s[0:3], 0 offset:196
	buffer_load_dword v106, off, s[0:3], 0 offset:192
	s_waitcnt vmcnt(2)
	v_fmac_f64_e32 v[98:99], v[102:103], v[104:105]
	ds_read_b128 v[102:105], v100 offset:576
	s_waitcnt vmcnt(0) lgkmcnt(0)
	v_fmac_f64_e32 v[98:99], v[106:107], v[102:103]
	buffer_load_dword v103, off, s[0:3], 0 offset:204
	buffer_load_dword v102, off, s[0:3], 0 offset:200
	buffer_load_dword v107, off, s[0:3], 0 offset:212
	buffer_load_dword v106, off, s[0:3], 0 offset:208
	s_waitcnt vmcnt(2)
	v_fmac_f64_e32 v[98:99], v[102:103], v[104:105]
	ds_read_b128 v[102:105], v100 offset:592
	s_waitcnt vmcnt(0) lgkmcnt(0)
	v_fmac_f64_e32 v[98:99], v[106:107], v[102:103]
	buffer_load_dword v103, off, s[0:3], 0 offset:220
	buffer_load_dword v102, off, s[0:3], 0 offset:216
	buffer_load_dword v107, off, s[0:3], 0 offset:228
	buffer_load_dword v106, off, s[0:3], 0 offset:224
	s_waitcnt vmcnt(2)
	v_fmac_f64_e32 v[98:99], v[102:103], v[104:105]
	ds_read_b128 v[102:105], v100 offset:608
	s_waitcnt vmcnt(0) lgkmcnt(0)
	v_fmac_f64_e32 v[98:99], v[106:107], v[102:103]
	buffer_load_dword v103, off, s[0:3], 0 offset:236
	buffer_load_dword v102, off, s[0:3], 0 offset:232
	buffer_load_dword v107, off, s[0:3], 0 offset:244
	buffer_load_dword v106, off, s[0:3], 0 offset:240
	s_waitcnt vmcnt(2)
	v_fmac_f64_e32 v[98:99], v[102:103], v[104:105]
	ds_read_b128 v[102:105], v100 offset:624
	s_waitcnt vmcnt(0) lgkmcnt(0)
	v_fmac_f64_e32 v[98:99], v[106:107], v[102:103]
	buffer_load_dword v103, off, s[0:3], 0 offset:252
	buffer_load_dword v102, off, s[0:3], 0 offset:248
	buffer_load_dword v107, off, s[0:3], 0 offset:260
	buffer_load_dword v106, off, s[0:3], 0 offset:256
	s_waitcnt vmcnt(2)
	v_fmac_f64_e32 v[98:99], v[102:103], v[104:105]
	ds_read_b128 v[102:105], v100 offset:640
	s_waitcnt vmcnt(0) lgkmcnt(0)
	v_fmac_f64_e32 v[98:99], v[106:107], v[102:103]
	buffer_load_dword v103, off, s[0:3], 0 offset:268
	buffer_load_dword v102, off, s[0:3], 0 offset:264
	buffer_load_dword v107, off, s[0:3], 0 offset:276
	buffer_load_dword v106, off, s[0:3], 0 offset:272
	s_waitcnt vmcnt(2)
	v_fmac_f64_e32 v[98:99], v[102:103], v[104:105]
	ds_read_b128 v[102:105], v100 offset:656
	s_waitcnt vmcnt(0) lgkmcnt(0)
	v_fmac_f64_e32 v[98:99], v[106:107], v[102:103]
	buffer_load_dword v103, off, s[0:3], 0 offset:284
	buffer_load_dword v102, off, s[0:3], 0 offset:280
	buffer_load_dword v107, off, s[0:3], 0 offset:292
	buffer_load_dword v106, off, s[0:3], 0 offset:288
	s_waitcnt vmcnt(2)
	v_fmac_f64_e32 v[98:99], v[102:103], v[104:105]
	ds_read_b128 v[102:105], v100 offset:672
	s_waitcnt vmcnt(0) lgkmcnt(0)
	v_fmac_f64_e32 v[98:99], v[106:107], v[102:103]
	buffer_load_dword v103, off, s[0:3], 0 offset:300
	buffer_load_dword v102, off, s[0:3], 0 offset:296
	buffer_load_dword v107, off, s[0:3], 0 offset:308
	buffer_load_dword v106, off, s[0:3], 0 offset:304
	s_waitcnt vmcnt(2)
	v_fmac_f64_e32 v[98:99], v[102:103], v[104:105]
	ds_read_b128 v[102:105], v100 offset:688
	s_waitcnt vmcnt(0) lgkmcnt(0)
	v_fmac_f64_e32 v[98:99], v[106:107], v[102:103]
	buffer_load_dword v103, off, s[0:3], 0 offset:316
	buffer_load_dword v102, off, s[0:3], 0 offset:312
	buffer_load_dword v107, off, s[0:3], 0 offset:324
	buffer_load_dword v106, off, s[0:3], 0 offset:320
	s_waitcnt vmcnt(2)
	v_fmac_f64_e32 v[98:99], v[102:103], v[104:105]
	ds_read_b128 v[102:105], v100 offset:704
	s_waitcnt vmcnt(0) lgkmcnt(0)
	v_fmac_f64_e32 v[98:99], v[106:107], v[102:103]
	buffer_load_dword v103, off, s[0:3], 0 offset:332
	buffer_load_dword v102, off, s[0:3], 0 offset:328
	buffer_load_dword v107, off, s[0:3], 0 offset:340
	buffer_load_dword v106, off, s[0:3], 0 offset:336
	s_waitcnt vmcnt(2)
	v_fmac_f64_e32 v[98:99], v[102:103], v[104:105]
	ds_read_b128 v[102:105], v100 offset:720
	s_waitcnt vmcnt(0) lgkmcnt(0)
	v_fmac_f64_e32 v[98:99], v[106:107], v[102:103]
	buffer_load_dword v103, off, s[0:3], 0 offset:348
	buffer_load_dword v102, off, s[0:3], 0 offset:344
	buffer_load_dword v107, off, s[0:3], 0 offset:356
	buffer_load_dword v106, off, s[0:3], 0 offset:352
	s_waitcnt vmcnt(2)
	v_fmac_f64_e32 v[98:99], v[102:103], v[104:105]
	ds_read_b128 v[102:105], v100 offset:736
	s_waitcnt vmcnt(0) lgkmcnt(0)
	v_fmac_f64_e32 v[98:99], v[106:107], v[102:103]
	buffer_load_dword v103, off, s[0:3], 0 offset:364
	buffer_load_dword v102, off, s[0:3], 0 offset:360
	s_waitcnt vmcnt(0)
	v_fmac_f64_e32 v[98:99], v[102:103], v[104:105]
	buffer_load_dword v103, off, s[0:3], 0 offset:372
	buffer_load_dword v102, off, s[0:3], 0 offset:368
	ds_read_b64 v[104:105], v100 offset:752
	s_waitcnt vmcnt(0) lgkmcnt(0)
	v_fmac_f64_e32 v[98:99], v[102:103], v[104:105]
	v_add_f64 v[96:97], v[96:97], -v[98:99]
	buffer_store_dword v97, off, s[0:3], 0 offset:76
	buffer_store_dword v96, off, s[0:3], 0 offset:72
	s_and_saveexec_b64 s[4:5], vcc
	s_cbranch_execz .LBB46_273
; %bb.272:
	buffer_load_dword v96, off, s[0:3], 0 offset:64
	buffer_load_dword v97, off, s[0:3], 0 offset:68
	s_waitcnt vmcnt(0)
	ds_write_b64 v1, v[96:97]
	buffer_store_dword v100, off, s[0:3], 0 offset:64
	buffer_store_dword v100, off, s[0:3], 0 offset:68
.LBB46_273:
	s_or_b64 exec, exec, s[4:5]
	s_waitcnt lgkmcnt(0)
	; wave barrier
	s_waitcnt lgkmcnt(0)
	buffer_load_dword v96, off, s[0:3], 0 offset:64
	buffer_load_dword v97, off, s[0:3], 0 offset:68
	;; [unrolled: 1-line block ×16, first 2 shown]
	ds_read2_b64 v[102:105], v100 offset0:57 offset1:58
	v_cmp_lt_u32_e32 vcc, 7, v0
	s_waitcnt vmcnt(12) lgkmcnt(0)
	v_fma_f64 v[98:99], v[98:99], v[102:103], 0
	s_waitcnt vmcnt(10)
	v_fmac_f64_e32 v[98:99], v[106:107], v[104:105]
	ds_read2_b64 v[102:105], v100 offset0:59 offset1:60
	s_waitcnt vmcnt(8) lgkmcnt(0)
	v_fmac_f64_e32 v[98:99], v[108:109], v[102:103]
	s_waitcnt vmcnt(6)
	v_fmac_f64_e32 v[98:99], v[110:111], v[104:105]
	ds_read2_b64 v[102:105], v100 offset0:61 offset1:62
	s_waitcnt vmcnt(4) lgkmcnt(0)
	v_fmac_f64_e32 v[98:99], v[112:113], v[102:103]
	;; [unrolled: 5-line block ×3, first 2 shown]
	buffer_load_dword v103, off, s[0:3], 0 offset:132
	buffer_load_dword v102, off, s[0:3], 0 offset:128
	buffer_load_dword v107, off, s[0:3], 0 offset:140
	buffer_load_dword v106, off, s[0:3], 0 offset:136
	s_waitcnt vmcnt(2)
	v_fmac_f64_e32 v[98:99], v[102:103], v[104:105]
	ds_read2_b64 v[102:105], v100 offset0:65 offset1:66
	s_waitcnt vmcnt(0) lgkmcnt(0)
	v_fmac_f64_e32 v[98:99], v[106:107], v[102:103]
	buffer_load_dword v103, off, s[0:3], 0 offset:148
	buffer_load_dword v102, off, s[0:3], 0 offset:144
	buffer_load_dword v107, off, s[0:3], 0 offset:156
	buffer_load_dword v106, off, s[0:3], 0 offset:152
	s_waitcnt vmcnt(2)
	v_fmac_f64_e32 v[98:99], v[102:103], v[104:105]
	ds_read2_b64 v[102:105], v100 offset0:67 offset1:68
	s_waitcnt vmcnt(0) lgkmcnt(0)
	v_fmac_f64_e32 v[98:99], v[106:107], v[102:103]
	;; [unrolled: 9-line block ×14, first 2 shown]
	buffer_load_dword v103, off, s[0:3], 0 offset:356
	buffer_load_dword v102, off, s[0:3], 0 offset:352
	s_waitcnt vmcnt(0)
	v_fmac_f64_e32 v[98:99], v[102:103], v[104:105]
	buffer_load_dword v105, off, s[0:3], 0 offset:364
	buffer_load_dword v104, off, s[0:3], 0 offset:360
	ds_read2_b64 v[100:103], v100 offset0:93 offset1:94
	s_waitcnt vmcnt(0) lgkmcnt(0)
	v_fmac_f64_e32 v[98:99], v[104:105], v[100:101]
	buffer_load_dword v101, off, s[0:3], 0 offset:372
	buffer_load_dword v100, off, s[0:3], 0 offset:368
	s_waitcnt vmcnt(0)
	v_fmac_f64_e32 v[98:99], v[100:101], v[102:103]
	v_add_f64 v[96:97], v[96:97], -v[98:99]
	buffer_store_dword v97, off, s[0:3], 0 offset:68
	buffer_store_dword v96, off, s[0:3], 0 offset:64
	s_and_saveexec_b64 s[4:5], vcc
	s_cbranch_execz .LBB46_275
; %bb.274:
	buffer_load_dword v96, off, s[0:3], 0 offset:56
	buffer_load_dword v97, off, s[0:3], 0 offset:60
	v_mov_b32_e32 v98, 0
	buffer_store_dword v98, off, s[0:3], 0 offset:56
	buffer_store_dword v98, off, s[0:3], 0 offset:60
	s_waitcnt vmcnt(2)
	ds_write_b64 v1, v[96:97]
.LBB46_275:
	s_or_b64 exec, exec, s[4:5]
	s_waitcnt lgkmcnt(0)
	; wave barrier
	s_waitcnt lgkmcnt(0)
	buffer_load_dword v96, off, s[0:3], 0 offset:56
	buffer_load_dword v97, off, s[0:3], 0 offset:60
	;; [unrolled: 1-line block ×16, first 2 shown]
	v_mov_b32_e32 v100, 0
	ds_read_b128 v[102:105], v100 offset:448
	ds_read_b128 v[106:109], v100 offset:464
	;; [unrolled: 1-line block ×4, first 2 shown]
	v_cmp_lt_u32_e32 vcc, 6, v0
	s_waitcnt vmcnt(12) lgkmcnt(3)
	v_fma_f64 v[98:99], v[98:99], v[102:103], 0
	buffer_load_dword v103, off, s[0:3], 0 offset:124
	buffer_load_dword v102, off, s[0:3], 0 offset:120
	s_waitcnt vmcnt(12)
	v_fmac_f64_e32 v[98:99], v[118:119], v[104:105]
	s_waitcnt vmcnt(10) lgkmcnt(2)
	v_fmac_f64_e32 v[98:99], v[120:121], v[106:107]
	buffer_load_dword v107, off, s[0:3], 0 offset:132
	buffer_load_dword v106, off, s[0:3], 0 offset:128
	s_waitcnt vmcnt(10)
	v_fmac_f64_e32 v[98:99], v[122:123], v[108:109]
	s_waitcnt vmcnt(8) lgkmcnt(1)
	v_fmac_f64_e32 v[98:99], v[124:125], v[110:111]
	s_waitcnt vmcnt(6)
	v_fmac_f64_e32 v[98:99], v[126:127], v[112:113]
	s_waitcnt vmcnt(4) lgkmcnt(0)
	v_fmac_f64_e32 v[98:99], v[128:129], v[114:115]
	s_waitcnt vmcnt(2)
	v_fmac_f64_e32 v[98:99], v[102:103], v[116:117]
	ds_read_b128 v[102:105], v100 offset:512
	s_waitcnt vmcnt(0) lgkmcnt(0)
	v_fmac_f64_e32 v[98:99], v[106:107], v[102:103]
	buffer_load_dword v103, off, s[0:3], 0 offset:140
	buffer_load_dword v102, off, s[0:3], 0 offset:136
	buffer_load_dword v107, off, s[0:3], 0 offset:148
	buffer_load_dword v106, off, s[0:3], 0 offset:144
	s_waitcnt vmcnt(2)
	v_fmac_f64_e32 v[98:99], v[102:103], v[104:105]
	ds_read_b128 v[102:105], v100 offset:528
	s_waitcnt vmcnt(0) lgkmcnt(0)
	v_fmac_f64_e32 v[98:99], v[106:107], v[102:103]
	buffer_load_dword v103, off, s[0:3], 0 offset:156
	buffer_load_dword v102, off, s[0:3], 0 offset:152
	buffer_load_dword v107, off, s[0:3], 0 offset:164
	buffer_load_dword v106, off, s[0:3], 0 offset:160
	;; [unrolled: 9-line block ×14, first 2 shown]
	s_waitcnt vmcnt(2)
	v_fmac_f64_e32 v[98:99], v[102:103], v[104:105]
	ds_read_b128 v[102:105], v100 offset:736
	s_waitcnt vmcnt(0) lgkmcnt(0)
	v_fmac_f64_e32 v[98:99], v[106:107], v[102:103]
	buffer_load_dword v103, off, s[0:3], 0 offset:364
	buffer_load_dword v102, off, s[0:3], 0 offset:360
	s_waitcnt vmcnt(0)
	v_fmac_f64_e32 v[98:99], v[102:103], v[104:105]
	buffer_load_dword v103, off, s[0:3], 0 offset:372
	buffer_load_dword v102, off, s[0:3], 0 offset:368
	ds_read_b64 v[104:105], v100 offset:752
	s_waitcnt vmcnt(0) lgkmcnt(0)
	v_fmac_f64_e32 v[98:99], v[102:103], v[104:105]
	v_add_f64 v[96:97], v[96:97], -v[98:99]
	buffer_store_dword v97, off, s[0:3], 0 offset:60
	buffer_store_dword v96, off, s[0:3], 0 offset:56
	s_and_saveexec_b64 s[4:5], vcc
	s_cbranch_execz .LBB46_277
; %bb.276:
	buffer_load_dword v96, off, s[0:3], 0 offset:48
	buffer_load_dword v97, off, s[0:3], 0 offset:52
	s_waitcnt vmcnt(0)
	ds_write_b64 v1, v[96:97]
	buffer_store_dword v100, off, s[0:3], 0 offset:48
	buffer_store_dword v100, off, s[0:3], 0 offset:52
.LBB46_277:
	s_or_b64 exec, exec, s[4:5]
	s_waitcnt lgkmcnt(0)
	; wave barrier
	s_waitcnt lgkmcnt(0)
	buffer_load_dword v96, off, s[0:3], 0 offset:48
	buffer_load_dword v97, off, s[0:3], 0 offset:52
	;; [unrolled: 1-line block ×16, first 2 shown]
	ds_read2_b64 v[102:105], v100 offset0:55 offset1:56
	v_cmp_lt_u32_e32 vcc, 5, v0
	s_waitcnt vmcnt(12) lgkmcnt(0)
	v_fma_f64 v[98:99], v[98:99], v[102:103], 0
	s_waitcnt vmcnt(10)
	v_fmac_f64_e32 v[98:99], v[106:107], v[104:105]
	ds_read2_b64 v[102:105], v100 offset0:57 offset1:58
	s_waitcnt vmcnt(8) lgkmcnt(0)
	v_fmac_f64_e32 v[98:99], v[108:109], v[102:103]
	s_waitcnt vmcnt(6)
	v_fmac_f64_e32 v[98:99], v[110:111], v[104:105]
	ds_read2_b64 v[102:105], v100 offset0:59 offset1:60
	s_waitcnt vmcnt(4) lgkmcnt(0)
	v_fmac_f64_e32 v[98:99], v[112:113], v[102:103]
	;; [unrolled: 5-line block ×3, first 2 shown]
	buffer_load_dword v103, off, s[0:3], 0 offset:116
	buffer_load_dword v102, off, s[0:3], 0 offset:112
	buffer_load_dword v107, off, s[0:3], 0 offset:124
	buffer_load_dword v106, off, s[0:3], 0 offset:120
	s_waitcnt vmcnt(2)
	v_fmac_f64_e32 v[98:99], v[102:103], v[104:105]
	ds_read2_b64 v[102:105], v100 offset0:63 offset1:64
	s_waitcnt vmcnt(0) lgkmcnt(0)
	v_fmac_f64_e32 v[98:99], v[106:107], v[102:103]
	buffer_load_dword v103, off, s[0:3], 0 offset:132
	buffer_load_dword v102, off, s[0:3], 0 offset:128
	buffer_load_dword v107, off, s[0:3], 0 offset:140
	buffer_load_dword v106, off, s[0:3], 0 offset:136
	s_waitcnt vmcnt(2)
	v_fmac_f64_e32 v[98:99], v[102:103], v[104:105]
	ds_read2_b64 v[102:105], v100 offset0:65 offset1:66
	s_waitcnt vmcnt(0) lgkmcnt(0)
	v_fmac_f64_e32 v[98:99], v[106:107], v[102:103]
	;; [unrolled: 9-line block ×15, first 2 shown]
	buffer_load_dword v103, off, s[0:3], 0 offset:356
	buffer_load_dword v102, off, s[0:3], 0 offset:352
	s_waitcnt vmcnt(0)
	v_fmac_f64_e32 v[98:99], v[102:103], v[104:105]
	buffer_load_dword v105, off, s[0:3], 0 offset:364
	buffer_load_dword v104, off, s[0:3], 0 offset:360
	ds_read2_b64 v[100:103], v100 offset0:93 offset1:94
	s_waitcnt vmcnt(0) lgkmcnt(0)
	v_fmac_f64_e32 v[98:99], v[104:105], v[100:101]
	buffer_load_dword v101, off, s[0:3], 0 offset:372
	buffer_load_dword v100, off, s[0:3], 0 offset:368
	s_waitcnt vmcnt(0)
	v_fmac_f64_e32 v[98:99], v[100:101], v[102:103]
	v_add_f64 v[96:97], v[96:97], -v[98:99]
	buffer_store_dword v97, off, s[0:3], 0 offset:52
	buffer_store_dword v96, off, s[0:3], 0 offset:48
	s_and_saveexec_b64 s[4:5], vcc
	s_cbranch_execz .LBB46_279
; %bb.278:
	buffer_load_dword v96, off, s[0:3], 0 offset:40
	buffer_load_dword v97, off, s[0:3], 0 offset:44
	v_mov_b32_e32 v98, 0
	buffer_store_dword v98, off, s[0:3], 0 offset:40
	buffer_store_dword v98, off, s[0:3], 0 offset:44
	s_waitcnt vmcnt(2)
	ds_write_b64 v1, v[96:97]
.LBB46_279:
	s_or_b64 exec, exec, s[4:5]
	s_waitcnt lgkmcnt(0)
	; wave barrier
	s_waitcnt lgkmcnt(0)
	buffer_load_dword v96, off, s[0:3], 0 offset:40
	buffer_load_dword v97, off, s[0:3], 0 offset:44
	buffer_load_dword v98, off, s[0:3], 0 offset:48
	buffer_load_dword v99, off, s[0:3], 0 offset:52
	buffer_load_dword v118, off, s[0:3], 0 offset:56
	buffer_load_dword v119, off, s[0:3], 0 offset:60
	buffer_load_dword v120, off, s[0:3], 0 offset:64
	buffer_load_dword v121, off, s[0:3], 0 offset:68
	buffer_load_dword v122, off, s[0:3], 0 offset:72
	buffer_load_dword v123, off, s[0:3], 0 offset:76
	buffer_load_dword v124, off, s[0:3], 0 offset:80
	buffer_load_dword v125, off, s[0:3], 0 offset:84
	buffer_load_dword v126, off, s[0:3], 0 offset:88
	buffer_load_dword v127, off, s[0:3], 0 offset:92
	buffer_load_dword v128, off, s[0:3], 0 offset:96
	buffer_load_dword v129, off, s[0:3], 0 offset:100
	v_mov_b32_e32 v100, 0
	ds_read_b128 v[102:105], v100 offset:432
	ds_read_b128 v[106:109], v100 offset:448
	ds_read_b128 v[110:113], v100 offset:464
	ds_read_b128 v[114:117], v100 offset:480
	v_cmp_lt_u32_e32 vcc, 4, v0
	s_waitcnt vmcnt(12) lgkmcnt(3)
	v_fma_f64 v[98:99], v[98:99], v[102:103], 0
	buffer_load_dword v103, off, s[0:3], 0 offset:108
	buffer_load_dword v102, off, s[0:3], 0 offset:104
	s_waitcnt vmcnt(12)
	v_fmac_f64_e32 v[98:99], v[118:119], v[104:105]
	s_waitcnt vmcnt(10) lgkmcnt(2)
	v_fmac_f64_e32 v[98:99], v[120:121], v[106:107]
	buffer_load_dword v107, off, s[0:3], 0 offset:116
	buffer_load_dword v106, off, s[0:3], 0 offset:112
	s_waitcnt vmcnt(10)
	v_fmac_f64_e32 v[98:99], v[122:123], v[108:109]
	s_waitcnt vmcnt(8) lgkmcnt(1)
	v_fmac_f64_e32 v[98:99], v[124:125], v[110:111]
	s_waitcnt vmcnt(6)
	v_fmac_f64_e32 v[98:99], v[126:127], v[112:113]
	s_waitcnt vmcnt(4) lgkmcnt(0)
	v_fmac_f64_e32 v[98:99], v[128:129], v[114:115]
	s_waitcnt vmcnt(2)
	v_fmac_f64_e32 v[98:99], v[102:103], v[116:117]
	ds_read_b128 v[102:105], v100 offset:496
	s_waitcnt vmcnt(0) lgkmcnt(0)
	v_fmac_f64_e32 v[98:99], v[106:107], v[102:103]
	buffer_load_dword v103, off, s[0:3], 0 offset:124
	buffer_load_dword v102, off, s[0:3], 0 offset:120
	buffer_load_dword v107, off, s[0:3], 0 offset:132
	buffer_load_dword v106, off, s[0:3], 0 offset:128
	s_waitcnt vmcnt(2)
	v_fmac_f64_e32 v[98:99], v[102:103], v[104:105]
	ds_read_b128 v[102:105], v100 offset:512
	s_waitcnt vmcnt(0) lgkmcnt(0)
	v_fmac_f64_e32 v[98:99], v[106:107], v[102:103]
	buffer_load_dword v103, off, s[0:3], 0 offset:140
	buffer_load_dword v102, off, s[0:3], 0 offset:136
	buffer_load_dword v107, off, s[0:3], 0 offset:148
	buffer_load_dword v106, off, s[0:3], 0 offset:144
	;; [unrolled: 9-line block ×15, first 2 shown]
	s_waitcnt vmcnt(2)
	v_fmac_f64_e32 v[98:99], v[102:103], v[104:105]
	ds_read_b128 v[102:105], v100 offset:736
	s_waitcnt vmcnt(0) lgkmcnt(0)
	v_fmac_f64_e32 v[98:99], v[106:107], v[102:103]
	buffer_load_dword v103, off, s[0:3], 0 offset:364
	buffer_load_dword v102, off, s[0:3], 0 offset:360
	s_waitcnt vmcnt(0)
	v_fmac_f64_e32 v[98:99], v[102:103], v[104:105]
	buffer_load_dword v103, off, s[0:3], 0 offset:372
	buffer_load_dword v102, off, s[0:3], 0 offset:368
	ds_read_b64 v[104:105], v100 offset:752
	s_waitcnt vmcnt(0) lgkmcnt(0)
	v_fmac_f64_e32 v[98:99], v[102:103], v[104:105]
	v_add_f64 v[96:97], v[96:97], -v[98:99]
	buffer_store_dword v97, off, s[0:3], 0 offset:44
	buffer_store_dword v96, off, s[0:3], 0 offset:40
	s_and_saveexec_b64 s[4:5], vcc
	s_cbranch_execz .LBB46_281
; %bb.280:
	buffer_load_dword v96, off, s[0:3], 0 offset:32
	buffer_load_dword v97, off, s[0:3], 0 offset:36
	s_waitcnt vmcnt(0)
	ds_write_b64 v1, v[96:97]
	buffer_store_dword v100, off, s[0:3], 0 offset:32
	buffer_store_dword v100, off, s[0:3], 0 offset:36
.LBB46_281:
	s_or_b64 exec, exec, s[4:5]
	s_waitcnt lgkmcnt(0)
	; wave barrier
	s_waitcnt lgkmcnt(0)
	buffer_load_dword v96, off, s[0:3], 0 offset:32
	buffer_load_dword v97, off, s[0:3], 0 offset:36
	;; [unrolled: 1-line block ×16, first 2 shown]
	ds_read2_b64 v[102:105], v100 offset0:53 offset1:54
	v_cmp_lt_u32_e32 vcc, 3, v0
	s_waitcnt vmcnt(12) lgkmcnt(0)
	v_fma_f64 v[98:99], v[98:99], v[102:103], 0
	s_waitcnt vmcnt(10)
	v_fmac_f64_e32 v[98:99], v[106:107], v[104:105]
	ds_read2_b64 v[102:105], v100 offset0:55 offset1:56
	s_waitcnt vmcnt(8) lgkmcnt(0)
	v_fmac_f64_e32 v[98:99], v[108:109], v[102:103]
	s_waitcnt vmcnt(6)
	v_fmac_f64_e32 v[98:99], v[110:111], v[104:105]
	ds_read2_b64 v[102:105], v100 offset0:57 offset1:58
	s_waitcnt vmcnt(4) lgkmcnt(0)
	v_fmac_f64_e32 v[98:99], v[112:113], v[102:103]
	;; [unrolled: 5-line block ×3, first 2 shown]
	buffer_load_dword v103, off, s[0:3], 0 offset:100
	buffer_load_dword v102, off, s[0:3], 0 offset:96
	buffer_load_dword v107, off, s[0:3], 0 offset:108
	buffer_load_dword v106, off, s[0:3], 0 offset:104
	s_waitcnt vmcnt(2)
	v_fmac_f64_e32 v[98:99], v[102:103], v[104:105]
	ds_read2_b64 v[102:105], v100 offset0:61 offset1:62
	s_waitcnt vmcnt(0) lgkmcnt(0)
	v_fmac_f64_e32 v[98:99], v[106:107], v[102:103]
	buffer_load_dword v103, off, s[0:3], 0 offset:116
	buffer_load_dword v102, off, s[0:3], 0 offset:112
	buffer_load_dword v107, off, s[0:3], 0 offset:124
	buffer_load_dword v106, off, s[0:3], 0 offset:120
	s_waitcnt vmcnt(2)
	v_fmac_f64_e32 v[98:99], v[102:103], v[104:105]
	ds_read2_b64 v[102:105], v100 offset0:63 offset1:64
	s_waitcnt vmcnt(0) lgkmcnt(0)
	v_fmac_f64_e32 v[98:99], v[106:107], v[102:103]
	;; [unrolled: 9-line block ×16, first 2 shown]
	buffer_load_dword v103, off, s[0:3], 0 offset:356
	buffer_load_dword v102, off, s[0:3], 0 offset:352
	s_waitcnt vmcnt(0)
	v_fmac_f64_e32 v[98:99], v[102:103], v[104:105]
	buffer_load_dword v105, off, s[0:3], 0 offset:364
	buffer_load_dword v104, off, s[0:3], 0 offset:360
	ds_read2_b64 v[100:103], v100 offset0:93 offset1:94
	s_waitcnt vmcnt(0) lgkmcnt(0)
	v_fmac_f64_e32 v[98:99], v[104:105], v[100:101]
	buffer_load_dword v101, off, s[0:3], 0 offset:372
	buffer_load_dword v100, off, s[0:3], 0 offset:368
	s_waitcnt vmcnt(0)
	v_fmac_f64_e32 v[98:99], v[100:101], v[102:103]
	v_add_f64 v[96:97], v[96:97], -v[98:99]
	buffer_store_dword v97, off, s[0:3], 0 offset:36
	buffer_store_dword v96, off, s[0:3], 0 offset:32
	s_and_saveexec_b64 s[4:5], vcc
	s_cbranch_execz .LBB46_283
; %bb.282:
	buffer_load_dword v96, off, s[0:3], 0 offset:24
	buffer_load_dword v97, off, s[0:3], 0 offset:28
	v_mov_b32_e32 v98, 0
	buffer_store_dword v98, off, s[0:3], 0 offset:24
	buffer_store_dword v98, off, s[0:3], 0 offset:28
	s_waitcnt vmcnt(2)
	ds_write_b64 v1, v[96:97]
.LBB46_283:
	s_or_b64 exec, exec, s[4:5]
	s_waitcnt lgkmcnt(0)
	; wave barrier
	s_waitcnt lgkmcnt(0)
	buffer_load_dword v96, off, s[0:3], 0 offset:24
	buffer_load_dword v97, off, s[0:3], 0 offset:28
	;; [unrolled: 1-line block ×16, first 2 shown]
	v_mov_b32_e32 v100, 0
	ds_read_b128 v[102:105], v100 offset:416
	ds_read_b128 v[106:109], v100 offset:432
	;; [unrolled: 1-line block ×4, first 2 shown]
	v_cmp_lt_u32_e32 vcc, 2, v0
	s_waitcnt vmcnt(12) lgkmcnt(3)
	v_fma_f64 v[98:99], v[98:99], v[102:103], 0
	buffer_load_dword v103, off, s[0:3], 0 offset:92
	buffer_load_dword v102, off, s[0:3], 0 offset:88
	s_waitcnt vmcnt(12)
	v_fmac_f64_e32 v[98:99], v[118:119], v[104:105]
	s_waitcnt vmcnt(10) lgkmcnt(2)
	v_fmac_f64_e32 v[98:99], v[120:121], v[106:107]
	buffer_load_dword v107, off, s[0:3], 0 offset:100
	buffer_load_dword v106, off, s[0:3], 0 offset:96
	s_waitcnt vmcnt(10)
	v_fmac_f64_e32 v[98:99], v[122:123], v[108:109]
	s_waitcnt vmcnt(8) lgkmcnt(1)
	v_fmac_f64_e32 v[98:99], v[124:125], v[110:111]
	s_waitcnt vmcnt(6)
	v_fmac_f64_e32 v[98:99], v[126:127], v[112:113]
	s_waitcnt vmcnt(4) lgkmcnt(0)
	v_fmac_f64_e32 v[98:99], v[128:129], v[114:115]
	s_waitcnt vmcnt(2)
	v_fmac_f64_e32 v[98:99], v[102:103], v[116:117]
	ds_read_b128 v[102:105], v100 offset:480
	s_waitcnt vmcnt(0) lgkmcnt(0)
	v_fmac_f64_e32 v[98:99], v[106:107], v[102:103]
	buffer_load_dword v103, off, s[0:3], 0 offset:108
	buffer_load_dword v102, off, s[0:3], 0 offset:104
	buffer_load_dword v107, off, s[0:3], 0 offset:116
	buffer_load_dword v106, off, s[0:3], 0 offset:112
	s_waitcnt vmcnt(2)
	v_fmac_f64_e32 v[98:99], v[102:103], v[104:105]
	ds_read_b128 v[102:105], v100 offset:496
	s_waitcnt vmcnt(0) lgkmcnt(0)
	v_fmac_f64_e32 v[98:99], v[106:107], v[102:103]
	buffer_load_dword v103, off, s[0:3], 0 offset:124
	buffer_load_dword v102, off, s[0:3], 0 offset:120
	buffer_load_dword v107, off, s[0:3], 0 offset:132
	buffer_load_dword v106, off, s[0:3], 0 offset:128
	s_waitcnt vmcnt(2)
	v_fmac_f64_e32 v[98:99], v[102:103], v[104:105]
	ds_read_b128 v[102:105], v100 offset:512
	s_waitcnt vmcnt(0) lgkmcnt(0)
	v_fmac_f64_e32 v[98:99], v[106:107], v[102:103]
	buffer_load_dword v103, off, s[0:3], 0 offset:140
	buffer_load_dword v102, off, s[0:3], 0 offset:136
	buffer_load_dword v107, off, s[0:3], 0 offset:148
	buffer_load_dword v106, off, s[0:3], 0 offset:144
	s_waitcnt vmcnt(2)
	v_fmac_f64_e32 v[98:99], v[102:103], v[104:105]
	ds_read_b128 v[102:105], v100 offset:528
	s_waitcnt vmcnt(0) lgkmcnt(0)
	v_fmac_f64_e32 v[98:99], v[106:107], v[102:103]
	buffer_load_dword v103, off, s[0:3], 0 offset:156
	buffer_load_dword v102, off, s[0:3], 0 offset:152
	buffer_load_dword v107, off, s[0:3], 0 offset:164
	buffer_load_dword v106, off, s[0:3], 0 offset:160
	s_waitcnt vmcnt(2)
	v_fmac_f64_e32 v[98:99], v[102:103], v[104:105]
	ds_read_b128 v[102:105], v100 offset:544
	s_waitcnt vmcnt(0) lgkmcnt(0)
	v_fmac_f64_e32 v[98:99], v[106:107], v[102:103]
	buffer_load_dword v103, off, s[0:3], 0 offset:172
	buffer_load_dword v102, off, s[0:3], 0 offset:168
	buffer_load_dword v107, off, s[0:3], 0 offset:180
	buffer_load_dword v106, off, s[0:3], 0 offset:176
	s_waitcnt vmcnt(2)
	v_fmac_f64_e32 v[98:99], v[102:103], v[104:105]
	ds_read_b128 v[102:105], v100 offset:560
	s_waitcnt vmcnt(0) lgkmcnt(0)
	v_fmac_f64_e32 v[98:99], v[106:107], v[102:103]
	buffer_load_dword v103, off, s[0:3], 0 offset:188
	buffer_load_dword v102, off, s[0:3], 0 offset:184
	buffer_load_dword v107, off, s[0:3], 0 offset:196
	buffer_load_dword v106, off, s[0:3], 0 offset:192
	s_waitcnt vmcnt(2)
	v_fmac_f64_e32 v[98:99], v[102:103], v[104:105]
	ds_read_b128 v[102:105], v100 offset:576
	s_waitcnt vmcnt(0) lgkmcnt(0)
	v_fmac_f64_e32 v[98:99], v[106:107], v[102:103]
	buffer_load_dword v103, off, s[0:3], 0 offset:204
	buffer_load_dword v102, off, s[0:3], 0 offset:200
	buffer_load_dword v107, off, s[0:3], 0 offset:212
	buffer_load_dword v106, off, s[0:3], 0 offset:208
	s_waitcnt vmcnt(2)
	v_fmac_f64_e32 v[98:99], v[102:103], v[104:105]
	ds_read_b128 v[102:105], v100 offset:592
	s_waitcnt vmcnt(0) lgkmcnt(0)
	v_fmac_f64_e32 v[98:99], v[106:107], v[102:103]
	buffer_load_dword v103, off, s[0:3], 0 offset:220
	buffer_load_dword v102, off, s[0:3], 0 offset:216
	buffer_load_dword v107, off, s[0:3], 0 offset:228
	buffer_load_dword v106, off, s[0:3], 0 offset:224
	s_waitcnt vmcnt(2)
	v_fmac_f64_e32 v[98:99], v[102:103], v[104:105]
	ds_read_b128 v[102:105], v100 offset:608
	s_waitcnt vmcnt(0) lgkmcnt(0)
	v_fmac_f64_e32 v[98:99], v[106:107], v[102:103]
	buffer_load_dword v103, off, s[0:3], 0 offset:236
	buffer_load_dword v102, off, s[0:3], 0 offset:232
	buffer_load_dword v107, off, s[0:3], 0 offset:244
	buffer_load_dword v106, off, s[0:3], 0 offset:240
	s_waitcnt vmcnt(2)
	v_fmac_f64_e32 v[98:99], v[102:103], v[104:105]
	ds_read_b128 v[102:105], v100 offset:624
	s_waitcnt vmcnt(0) lgkmcnt(0)
	v_fmac_f64_e32 v[98:99], v[106:107], v[102:103]
	buffer_load_dword v103, off, s[0:3], 0 offset:252
	buffer_load_dword v102, off, s[0:3], 0 offset:248
	buffer_load_dword v107, off, s[0:3], 0 offset:260
	buffer_load_dword v106, off, s[0:3], 0 offset:256
	s_waitcnt vmcnt(2)
	v_fmac_f64_e32 v[98:99], v[102:103], v[104:105]
	ds_read_b128 v[102:105], v100 offset:640
	s_waitcnt vmcnt(0) lgkmcnt(0)
	v_fmac_f64_e32 v[98:99], v[106:107], v[102:103]
	buffer_load_dword v103, off, s[0:3], 0 offset:268
	buffer_load_dword v102, off, s[0:3], 0 offset:264
	buffer_load_dword v107, off, s[0:3], 0 offset:276
	buffer_load_dword v106, off, s[0:3], 0 offset:272
	s_waitcnt vmcnt(2)
	v_fmac_f64_e32 v[98:99], v[102:103], v[104:105]
	ds_read_b128 v[102:105], v100 offset:656
	s_waitcnt vmcnt(0) lgkmcnt(0)
	v_fmac_f64_e32 v[98:99], v[106:107], v[102:103]
	buffer_load_dword v103, off, s[0:3], 0 offset:284
	buffer_load_dword v102, off, s[0:3], 0 offset:280
	buffer_load_dword v107, off, s[0:3], 0 offset:292
	buffer_load_dword v106, off, s[0:3], 0 offset:288
	s_waitcnt vmcnt(2)
	v_fmac_f64_e32 v[98:99], v[102:103], v[104:105]
	ds_read_b128 v[102:105], v100 offset:672
	s_waitcnt vmcnt(0) lgkmcnt(0)
	v_fmac_f64_e32 v[98:99], v[106:107], v[102:103]
	buffer_load_dword v103, off, s[0:3], 0 offset:300
	buffer_load_dword v102, off, s[0:3], 0 offset:296
	buffer_load_dword v107, off, s[0:3], 0 offset:308
	buffer_load_dword v106, off, s[0:3], 0 offset:304
	s_waitcnt vmcnt(2)
	v_fmac_f64_e32 v[98:99], v[102:103], v[104:105]
	ds_read_b128 v[102:105], v100 offset:688
	s_waitcnt vmcnt(0) lgkmcnt(0)
	v_fmac_f64_e32 v[98:99], v[106:107], v[102:103]
	buffer_load_dword v103, off, s[0:3], 0 offset:316
	buffer_load_dword v102, off, s[0:3], 0 offset:312
	buffer_load_dword v107, off, s[0:3], 0 offset:324
	buffer_load_dword v106, off, s[0:3], 0 offset:320
	s_waitcnt vmcnt(2)
	v_fmac_f64_e32 v[98:99], v[102:103], v[104:105]
	ds_read_b128 v[102:105], v100 offset:704
	s_waitcnt vmcnt(0) lgkmcnt(0)
	v_fmac_f64_e32 v[98:99], v[106:107], v[102:103]
	buffer_load_dword v103, off, s[0:3], 0 offset:332
	buffer_load_dword v102, off, s[0:3], 0 offset:328
	buffer_load_dword v107, off, s[0:3], 0 offset:340
	buffer_load_dword v106, off, s[0:3], 0 offset:336
	s_waitcnt vmcnt(2)
	v_fmac_f64_e32 v[98:99], v[102:103], v[104:105]
	ds_read_b128 v[102:105], v100 offset:720
	s_waitcnt vmcnt(0) lgkmcnt(0)
	v_fmac_f64_e32 v[98:99], v[106:107], v[102:103]
	buffer_load_dword v103, off, s[0:3], 0 offset:348
	buffer_load_dword v102, off, s[0:3], 0 offset:344
	buffer_load_dword v107, off, s[0:3], 0 offset:356
	buffer_load_dword v106, off, s[0:3], 0 offset:352
	s_waitcnt vmcnt(2)
	v_fmac_f64_e32 v[98:99], v[102:103], v[104:105]
	ds_read_b128 v[102:105], v100 offset:736
	s_waitcnt vmcnt(0) lgkmcnt(0)
	v_fmac_f64_e32 v[98:99], v[106:107], v[102:103]
	buffer_load_dword v103, off, s[0:3], 0 offset:364
	buffer_load_dword v102, off, s[0:3], 0 offset:360
	s_waitcnt vmcnt(0)
	v_fmac_f64_e32 v[98:99], v[102:103], v[104:105]
	buffer_load_dword v103, off, s[0:3], 0 offset:372
	buffer_load_dword v102, off, s[0:3], 0 offset:368
	ds_read_b64 v[104:105], v100 offset:752
	s_waitcnt vmcnt(0) lgkmcnt(0)
	v_fmac_f64_e32 v[98:99], v[102:103], v[104:105]
	v_add_f64 v[96:97], v[96:97], -v[98:99]
	buffer_store_dword v97, off, s[0:3], 0 offset:28
	buffer_store_dword v96, off, s[0:3], 0 offset:24
	s_and_saveexec_b64 s[4:5], vcc
	s_cbranch_execz .LBB46_285
; %bb.284:
	buffer_load_dword v96, off, s[0:3], 0 offset:16
	buffer_load_dword v97, off, s[0:3], 0 offset:20
	s_waitcnt vmcnt(0)
	ds_write_b64 v1, v[96:97]
	buffer_store_dword v100, off, s[0:3], 0 offset:16
	buffer_store_dword v100, off, s[0:3], 0 offset:20
.LBB46_285:
	s_or_b64 exec, exec, s[4:5]
	s_waitcnt lgkmcnt(0)
	; wave barrier
	s_waitcnt lgkmcnt(0)
	buffer_load_dword v96, off, s[0:3], 0 offset:16
	buffer_load_dword v97, off, s[0:3], 0 offset:20
	;; [unrolled: 1-line block ×16, first 2 shown]
	ds_read2_b64 v[102:105], v100 offset0:51 offset1:52
	v_cmp_lt_u32_e32 vcc, 1, v0
	s_waitcnt vmcnt(12) lgkmcnt(0)
	v_fma_f64 v[98:99], v[98:99], v[102:103], 0
	s_waitcnt vmcnt(10)
	v_fmac_f64_e32 v[98:99], v[106:107], v[104:105]
	ds_read2_b64 v[102:105], v100 offset0:53 offset1:54
	s_waitcnt vmcnt(8) lgkmcnt(0)
	v_fmac_f64_e32 v[98:99], v[108:109], v[102:103]
	s_waitcnt vmcnt(6)
	v_fmac_f64_e32 v[98:99], v[110:111], v[104:105]
	ds_read2_b64 v[102:105], v100 offset0:55 offset1:56
	s_waitcnt vmcnt(4) lgkmcnt(0)
	v_fmac_f64_e32 v[98:99], v[112:113], v[102:103]
	;; [unrolled: 5-line block ×3, first 2 shown]
	buffer_load_dword v103, off, s[0:3], 0 offset:84
	buffer_load_dword v102, off, s[0:3], 0 offset:80
	buffer_load_dword v107, off, s[0:3], 0 offset:92
	buffer_load_dword v106, off, s[0:3], 0 offset:88
	s_waitcnt vmcnt(2)
	v_fmac_f64_e32 v[98:99], v[102:103], v[104:105]
	ds_read2_b64 v[102:105], v100 offset0:59 offset1:60
	s_waitcnt vmcnt(0) lgkmcnt(0)
	v_fmac_f64_e32 v[98:99], v[106:107], v[102:103]
	buffer_load_dword v103, off, s[0:3], 0 offset:100
	buffer_load_dword v102, off, s[0:3], 0 offset:96
	buffer_load_dword v107, off, s[0:3], 0 offset:108
	buffer_load_dword v106, off, s[0:3], 0 offset:104
	s_waitcnt vmcnt(2)
	v_fmac_f64_e32 v[98:99], v[102:103], v[104:105]
	ds_read2_b64 v[102:105], v100 offset0:61 offset1:62
	s_waitcnt vmcnt(0) lgkmcnt(0)
	v_fmac_f64_e32 v[98:99], v[106:107], v[102:103]
	;; [unrolled: 9-line block ×17, first 2 shown]
	buffer_load_dword v103, off, s[0:3], 0 offset:356
	buffer_load_dword v102, off, s[0:3], 0 offset:352
	s_waitcnt vmcnt(0)
	v_fmac_f64_e32 v[98:99], v[102:103], v[104:105]
	buffer_load_dword v105, off, s[0:3], 0 offset:364
	buffer_load_dword v104, off, s[0:3], 0 offset:360
	ds_read2_b64 v[100:103], v100 offset0:93 offset1:94
	s_waitcnt vmcnt(0) lgkmcnt(0)
	v_fmac_f64_e32 v[98:99], v[104:105], v[100:101]
	buffer_load_dword v101, off, s[0:3], 0 offset:372
	buffer_load_dword v100, off, s[0:3], 0 offset:368
	s_waitcnt vmcnt(0)
	v_fmac_f64_e32 v[98:99], v[100:101], v[102:103]
	v_add_f64 v[96:97], v[96:97], -v[98:99]
	buffer_store_dword v97, off, s[0:3], 0 offset:20
	buffer_store_dword v96, off, s[0:3], 0 offset:16
	s_and_saveexec_b64 s[4:5], vcc
	s_cbranch_execz .LBB46_287
; %bb.286:
	buffer_load_dword v96, off, s[0:3], 0 offset:8
	buffer_load_dword v97, off, s[0:3], 0 offset:12
	v_mov_b32_e32 v98, 0
	buffer_store_dword v98, off, s[0:3], 0 offset:8
	buffer_store_dword v98, off, s[0:3], 0 offset:12
	s_waitcnt vmcnt(2)
	ds_write_b64 v1, v[96:97]
.LBB46_287:
	s_or_b64 exec, exec, s[4:5]
	s_waitcnt lgkmcnt(0)
	; wave barrier
	s_waitcnt lgkmcnt(0)
	buffer_load_dword v96, off, s[0:3], 0 offset:8
	buffer_load_dword v97, off, s[0:3], 0 offset:12
	;; [unrolled: 1-line block ×16, first 2 shown]
	v_mov_b32_e32 v100, 0
	ds_read_b128 v[102:105], v100 offset:400
	ds_read_b128 v[106:109], v100 offset:416
	;; [unrolled: 1-line block ×4, first 2 shown]
	v_cmp_ne_u32_e32 vcc, 0, v0
	s_waitcnt vmcnt(12) lgkmcnt(3)
	v_fma_f64 v[98:99], v[98:99], v[102:103], 0
	buffer_load_dword v103, off, s[0:3], 0 offset:76
	buffer_load_dword v102, off, s[0:3], 0 offset:72
	s_waitcnt vmcnt(12)
	v_fmac_f64_e32 v[98:99], v[118:119], v[104:105]
	s_waitcnt vmcnt(10) lgkmcnt(2)
	v_fmac_f64_e32 v[98:99], v[120:121], v[106:107]
	buffer_load_dword v107, off, s[0:3], 0 offset:84
	buffer_load_dword v106, off, s[0:3], 0 offset:80
	s_waitcnt vmcnt(10)
	v_fmac_f64_e32 v[98:99], v[122:123], v[108:109]
	s_waitcnt vmcnt(8) lgkmcnt(1)
	v_fmac_f64_e32 v[98:99], v[124:125], v[110:111]
	s_waitcnt vmcnt(6)
	v_fmac_f64_e32 v[98:99], v[126:127], v[112:113]
	s_waitcnt vmcnt(4) lgkmcnt(0)
	v_fmac_f64_e32 v[98:99], v[128:129], v[114:115]
	s_waitcnt vmcnt(2)
	v_fmac_f64_e32 v[98:99], v[102:103], v[116:117]
	ds_read_b128 v[102:105], v100 offset:464
	s_waitcnt vmcnt(0) lgkmcnt(0)
	v_fmac_f64_e32 v[98:99], v[106:107], v[102:103]
	buffer_load_dword v103, off, s[0:3], 0 offset:92
	buffer_load_dword v102, off, s[0:3], 0 offset:88
	buffer_load_dword v107, off, s[0:3], 0 offset:100
	buffer_load_dword v106, off, s[0:3], 0 offset:96
	s_waitcnt vmcnt(2)
	v_fmac_f64_e32 v[98:99], v[102:103], v[104:105]
	ds_read_b128 v[102:105], v100 offset:480
	s_waitcnt vmcnt(0) lgkmcnt(0)
	v_fmac_f64_e32 v[98:99], v[106:107], v[102:103]
	buffer_load_dword v103, off, s[0:3], 0 offset:108
	buffer_load_dword v102, off, s[0:3], 0 offset:104
	buffer_load_dword v107, off, s[0:3], 0 offset:116
	buffer_load_dword v106, off, s[0:3], 0 offset:112
	;; [unrolled: 9-line block ×17, first 2 shown]
	s_waitcnt vmcnt(2)
	v_fmac_f64_e32 v[98:99], v[102:103], v[104:105]
	ds_read_b128 v[102:105], v100 offset:736
	s_waitcnt vmcnt(0) lgkmcnt(0)
	v_fmac_f64_e32 v[98:99], v[106:107], v[102:103]
	buffer_load_dword v103, off, s[0:3], 0 offset:364
	buffer_load_dword v102, off, s[0:3], 0 offset:360
	s_waitcnt vmcnt(0)
	v_fmac_f64_e32 v[98:99], v[102:103], v[104:105]
	buffer_load_dword v103, off, s[0:3], 0 offset:372
	buffer_load_dword v102, off, s[0:3], 0 offset:368
	ds_read_b64 v[104:105], v100 offset:752
	s_waitcnt vmcnt(0) lgkmcnt(0)
	v_fmac_f64_e32 v[98:99], v[102:103], v[104:105]
	v_add_f64 v[96:97], v[96:97], -v[98:99]
	buffer_store_dword v97, off, s[0:3], 0 offset:12
	buffer_store_dword v96, off, s[0:3], 0 offset:8
	s_and_saveexec_b64 s[4:5], vcc
	s_cbranch_execz .LBB46_289
; %bb.288:
	buffer_load_dword v96, off, s[0:3], 0
	buffer_load_dword v97, off, s[0:3], 0 offset:4
	s_waitcnt vmcnt(0)
	ds_write_b64 v1, v[96:97]
	buffer_store_dword v100, off, s[0:3], 0
	buffer_store_dword v100, off, s[0:3], 0 offset:4
.LBB46_289:
	s_or_b64 exec, exec, s[4:5]
	s_waitcnt lgkmcnt(0)
	; wave barrier
	s_waitcnt lgkmcnt(0)
	buffer_load_dword v0, off, s[0:3], 0
	buffer_load_dword v1, off, s[0:3], 0 offset:4
	buffer_load_dword v102, off, s[0:3], 0 offset:8
	buffer_load_dword v103, off, s[0:3], 0 offset:12
	buffer_load_dword v104, off, s[0:3], 0 offset:16
	buffer_load_dword v105, off, s[0:3], 0 offset:20
	buffer_load_dword v106, off, s[0:3], 0 offset:24
	buffer_load_dword v107, off, s[0:3], 0 offset:28
	buffer_load_dword v108, off, s[0:3], 0 offset:32
	buffer_load_dword v109, off, s[0:3], 0 offset:36
	buffer_load_dword v110, off, s[0:3], 0 offset:40
	buffer_load_dword v111, off, s[0:3], 0 offset:44
	buffer_load_dword v112, off, s[0:3], 0 offset:48
	buffer_load_dword v113, off, s[0:3], 0 offset:52
	buffer_load_dword v114, off, s[0:3], 0 offset:56
	buffer_load_dword v115, off, s[0:3], 0 offset:60
	ds_read2_b64 v[96:99], v100 offset0:49 offset1:50
	s_and_b64 vcc, exec, s[20:21]
	s_waitcnt vmcnt(12) lgkmcnt(0)
	v_fma_f64 v[96:97], v[102:103], v[96:97], 0
	s_waitcnt vmcnt(10)
	v_fmac_f64_e32 v[96:97], v[104:105], v[98:99]
	ds_read2_b64 v[102:105], v100 offset0:51 offset1:52
	s_waitcnt vmcnt(8) lgkmcnt(0)
	v_fmac_f64_e32 v[96:97], v[106:107], v[102:103]
	s_waitcnt vmcnt(6)
	v_fmac_f64_e32 v[96:97], v[108:109], v[104:105]
	ds_read2_b64 v[102:105], v100 offset0:53 offset1:54
	s_waitcnt vmcnt(4) lgkmcnt(0)
	v_fmac_f64_e32 v[96:97], v[110:111], v[102:103]
	s_waitcnt vmcnt(2)
	v_fmac_f64_e32 v[96:97], v[112:113], v[104:105]
	ds_read2_b64 v[102:105], v100 offset0:55 offset1:56
	buffer_load_dword v99, off, s[0:3], 0 offset:68
	buffer_load_dword v98, off, s[0:3], 0 offset:64
	s_waitcnt vmcnt(2) lgkmcnt(0)
	v_fmac_f64_e32 v[96:97], v[114:115], v[102:103]
	s_waitcnt vmcnt(0)
	v_fmac_f64_e32 v[96:97], v[98:99], v[104:105]
	buffer_load_dword v99, off, s[0:3], 0 offset:76
	buffer_load_dword v98, off, s[0:3], 0 offset:72
	ds_read2_b64 v[102:105], v100 offset0:57 offset1:58
	s_waitcnt vmcnt(0) lgkmcnt(0)
	v_fmac_f64_e32 v[96:97], v[98:99], v[102:103]
	buffer_load_dword v99, off, s[0:3], 0 offset:84
	buffer_load_dword v98, off, s[0:3], 0 offset:80
	s_waitcnt vmcnt(0)
	v_fmac_f64_e32 v[96:97], v[98:99], v[104:105]
	buffer_load_dword v99, off, s[0:3], 0 offset:92
	buffer_load_dword v98, off, s[0:3], 0 offset:88
	ds_read2_b64 v[102:105], v100 offset0:59 offset1:60
	s_waitcnt vmcnt(0) lgkmcnt(0)
	v_fmac_f64_e32 v[96:97], v[98:99], v[102:103]
	buffer_load_dword v99, off, s[0:3], 0 offset:100
	buffer_load_dword v98, off, s[0:3], 0 offset:96
	;; [unrolled: 9-line block ×19, first 2 shown]
	s_waitcnt vmcnt(0)
	v_fmac_f64_e32 v[96:97], v[100:101], v[102:103]
	v_add_f64 v[0:1], v[0:1], -v[96:97]
	buffer_store_dword v1, off, s[0:3], 0 offset:4
	buffer_store_dword v0, off, s[0:3], 0
	s_cbranch_vccz .LBB46_383
; %bb.290:
	v_pk_mov_b32 v[0:1], s[10:11], s[10:11] op_sel:[0,1]
	flat_load_dword v0, v[0:1] offset:180
	s_waitcnt vmcnt(0) lgkmcnt(0)
	v_add_u32_e32 v0, -1, v0
	v_cmp_ne_u32_e32 vcc, 45, v0
	s_and_saveexec_b64 s[4:5], vcc
	s_cbranch_execz .LBB46_292
; %bb.291:
	v_mov_b32_e32 v1, 0
	v_lshl_add_u32 v0, v0, 3, v1
	buffer_load_dword v1, v0, s[0:3], 0 offen
	buffer_load_dword v96, v0, s[0:3], 0 offen offset:4
	s_waitcnt vmcnt(1)
	buffer_store_dword v1, off, s[0:3], 0 offset:360
	s_waitcnt vmcnt(1)
	buffer_store_dword v96, off, s[0:3], 0 offset:364
	buffer_store_dword v98, v0, s[0:3], 0 offen
	buffer_store_dword v99, v0, s[0:3], 0 offen offset:4
.LBB46_292:
	s_or_b64 exec, exec, s[4:5]
	v_pk_mov_b32 v[0:1], s[10:11], s[10:11] op_sel:[0,1]
	flat_load_dword v0, v[0:1] offset:176
	s_waitcnt vmcnt(0) lgkmcnt(0)
	v_add_u32_e32 v0, -1, v0
	v_cmp_ne_u32_e32 vcc, 44, v0
	s_and_saveexec_b64 s[4:5], vcc
	s_cbranch_execz .LBB46_294
; %bb.293:
	v_mov_b32_e32 v1, 0
	v_lshl_add_u32 v0, v0, 3, v1
	buffer_load_dword v1, v0, s[0:3], 0 offen
	buffer_load_dword v96, v0, s[0:3], 0 offen offset:4
	buffer_load_dword v97, off, s[0:3], 0 offset:356
	buffer_load_dword v98, off, s[0:3], 0 offset:352
	s_waitcnt vmcnt(3)
	buffer_store_dword v1, off, s[0:3], 0 offset:352
	s_waitcnt vmcnt(3)
	buffer_store_dword v96, off, s[0:3], 0 offset:356
	s_waitcnt vmcnt(3)
	buffer_store_dword v97, v0, s[0:3], 0 offen offset:4
	s_waitcnt vmcnt(3)
	buffer_store_dword v98, v0, s[0:3], 0 offen
.LBB46_294:
	s_or_b64 exec, exec, s[4:5]
	v_pk_mov_b32 v[0:1], s[10:11], s[10:11] op_sel:[0,1]
	flat_load_dword v0, v[0:1] offset:172
	s_waitcnt vmcnt(0) lgkmcnt(0)
	v_add_u32_e32 v0, -1, v0
	v_cmp_ne_u32_e32 vcc, 43, v0
	s_and_saveexec_b64 s[4:5], vcc
	s_cbranch_execz .LBB46_296
; %bb.295:
	v_mov_b32_e32 v1, 0
	v_lshl_add_u32 v0, v0, 3, v1
	buffer_load_dword v1, v0, s[0:3], 0 offen
	buffer_load_dword v96, v0, s[0:3], 0 offen offset:4
	buffer_load_dword v97, off, s[0:3], 0 offset:344
	buffer_load_dword v98, off, s[0:3], 0 offset:348
	s_waitcnt vmcnt(3)
	buffer_store_dword v1, off, s[0:3], 0 offset:344
	s_waitcnt vmcnt(3)
	buffer_store_dword v96, off, s[0:3], 0 offset:348
	s_waitcnt vmcnt(3)
	buffer_store_dword v97, v0, s[0:3], 0 offen
	s_waitcnt vmcnt(3)
	buffer_store_dword v98, v0, s[0:3], 0 offen offset:4
.LBB46_296:
	s_or_b64 exec, exec, s[4:5]
	v_pk_mov_b32 v[0:1], s[10:11], s[10:11] op_sel:[0,1]
	flat_load_dword v0, v[0:1] offset:168
	s_waitcnt vmcnt(0) lgkmcnt(0)
	v_add_u32_e32 v0, -1, v0
	v_cmp_ne_u32_e32 vcc, 42, v0
	s_and_saveexec_b64 s[4:5], vcc
	s_cbranch_execz .LBB46_298
; %bb.297:
	v_mov_b32_e32 v1, 0
	v_lshl_add_u32 v0, v0, 3, v1
	buffer_load_dword v1, v0, s[0:3], 0 offen
	buffer_load_dword v96, v0, s[0:3], 0 offen offset:4
	buffer_load_dword v97, off, s[0:3], 0 offset:340
	buffer_load_dword v98, off, s[0:3], 0 offset:336
	s_waitcnt vmcnt(3)
	buffer_store_dword v1, off, s[0:3], 0 offset:336
	s_waitcnt vmcnt(3)
	buffer_store_dword v96, off, s[0:3], 0 offset:340
	s_waitcnt vmcnt(3)
	buffer_store_dword v97, v0, s[0:3], 0 offen offset:4
	s_waitcnt vmcnt(3)
	buffer_store_dword v98, v0, s[0:3], 0 offen
.LBB46_298:
	s_or_b64 exec, exec, s[4:5]
	v_pk_mov_b32 v[0:1], s[10:11], s[10:11] op_sel:[0,1]
	flat_load_dword v0, v[0:1] offset:164
	s_waitcnt vmcnt(0) lgkmcnt(0)
	v_add_u32_e32 v0, -1, v0
	v_cmp_ne_u32_e32 vcc, 41, v0
	s_and_saveexec_b64 s[4:5], vcc
	s_cbranch_execz .LBB46_300
; %bb.299:
	v_mov_b32_e32 v1, 0
	v_lshl_add_u32 v0, v0, 3, v1
	buffer_load_dword v1, v0, s[0:3], 0 offen
	buffer_load_dword v96, v0, s[0:3], 0 offen offset:4
	buffer_load_dword v97, off, s[0:3], 0 offset:328
	buffer_load_dword v98, off, s[0:3], 0 offset:332
	s_waitcnt vmcnt(3)
	buffer_store_dword v1, off, s[0:3], 0 offset:328
	s_waitcnt vmcnt(3)
	buffer_store_dword v96, off, s[0:3], 0 offset:332
	s_waitcnt vmcnt(3)
	buffer_store_dword v97, v0, s[0:3], 0 offen
	s_waitcnt vmcnt(3)
	buffer_store_dword v98, v0, s[0:3], 0 offen offset:4
.LBB46_300:
	s_or_b64 exec, exec, s[4:5]
	v_pk_mov_b32 v[0:1], s[10:11], s[10:11] op_sel:[0,1]
	flat_load_dword v0, v[0:1] offset:160
	s_waitcnt vmcnt(0) lgkmcnt(0)
	v_add_u32_e32 v0, -1, v0
	v_cmp_ne_u32_e32 vcc, 40, v0
	s_and_saveexec_b64 s[4:5], vcc
	s_cbranch_execz .LBB46_302
; %bb.301:
	v_mov_b32_e32 v1, 0
	v_lshl_add_u32 v0, v0, 3, v1
	buffer_load_dword v1, v0, s[0:3], 0 offen
	buffer_load_dword v96, v0, s[0:3], 0 offen offset:4
	buffer_load_dword v97, off, s[0:3], 0 offset:324
	buffer_load_dword v98, off, s[0:3], 0 offset:320
	s_waitcnt vmcnt(3)
	buffer_store_dword v1, off, s[0:3], 0 offset:320
	s_waitcnt vmcnt(3)
	buffer_store_dword v96, off, s[0:3], 0 offset:324
	s_waitcnt vmcnt(3)
	buffer_store_dword v97, v0, s[0:3], 0 offen offset:4
	s_waitcnt vmcnt(3)
	buffer_store_dword v98, v0, s[0:3], 0 offen
.LBB46_302:
	s_or_b64 exec, exec, s[4:5]
	v_pk_mov_b32 v[0:1], s[10:11], s[10:11] op_sel:[0,1]
	flat_load_dword v0, v[0:1] offset:156
	s_waitcnt vmcnt(0) lgkmcnt(0)
	v_add_u32_e32 v0, -1, v0
	v_cmp_ne_u32_e32 vcc, 39, v0
	s_and_saveexec_b64 s[4:5], vcc
	s_cbranch_execz .LBB46_304
; %bb.303:
	v_mov_b32_e32 v1, 0
	v_lshl_add_u32 v0, v0, 3, v1
	buffer_load_dword v1, v0, s[0:3], 0 offen
	buffer_load_dword v96, v0, s[0:3], 0 offen offset:4
	buffer_load_dword v97, off, s[0:3], 0 offset:312
	buffer_load_dword v98, off, s[0:3], 0 offset:316
	s_waitcnt vmcnt(3)
	buffer_store_dword v1, off, s[0:3], 0 offset:312
	s_waitcnt vmcnt(3)
	buffer_store_dword v96, off, s[0:3], 0 offset:316
	s_waitcnt vmcnt(3)
	buffer_store_dword v97, v0, s[0:3], 0 offen
	s_waitcnt vmcnt(3)
	buffer_store_dword v98, v0, s[0:3], 0 offen offset:4
.LBB46_304:
	s_or_b64 exec, exec, s[4:5]
	v_pk_mov_b32 v[0:1], s[10:11], s[10:11] op_sel:[0,1]
	flat_load_dword v0, v[0:1] offset:152
	s_waitcnt vmcnt(0) lgkmcnt(0)
	v_add_u32_e32 v0, -1, v0
	v_cmp_ne_u32_e32 vcc, 38, v0
	s_and_saveexec_b64 s[4:5], vcc
	s_cbranch_execz .LBB46_306
; %bb.305:
	v_mov_b32_e32 v1, 0
	v_lshl_add_u32 v0, v0, 3, v1
	buffer_load_dword v1, v0, s[0:3], 0 offen
	buffer_load_dword v96, v0, s[0:3], 0 offen offset:4
	buffer_load_dword v97, off, s[0:3], 0 offset:308
	buffer_load_dword v98, off, s[0:3], 0 offset:304
	s_waitcnt vmcnt(3)
	buffer_store_dword v1, off, s[0:3], 0 offset:304
	s_waitcnt vmcnt(3)
	buffer_store_dword v96, off, s[0:3], 0 offset:308
	s_waitcnt vmcnt(3)
	buffer_store_dword v97, v0, s[0:3], 0 offen offset:4
	s_waitcnt vmcnt(3)
	buffer_store_dword v98, v0, s[0:3], 0 offen
.LBB46_306:
	s_or_b64 exec, exec, s[4:5]
	v_pk_mov_b32 v[0:1], s[10:11], s[10:11] op_sel:[0,1]
	flat_load_dword v0, v[0:1] offset:148
	s_waitcnt vmcnt(0) lgkmcnt(0)
	v_add_u32_e32 v0, -1, v0
	v_cmp_ne_u32_e32 vcc, 37, v0
	s_and_saveexec_b64 s[4:5], vcc
	s_cbranch_execz .LBB46_308
; %bb.307:
	v_mov_b32_e32 v1, 0
	v_lshl_add_u32 v0, v0, 3, v1
	buffer_load_dword v1, v0, s[0:3], 0 offen
	buffer_load_dword v96, v0, s[0:3], 0 offen offset:4
	buffer_load_dword v97, off, s[0:3], 0 offset:296
	buffer_load_dword v98, off, s[0:3], 0 offset:300
	s_waitcnt vmcnt(3)
	buffer_store_dword v1, off, s[0:3], 0 offset:296
	s_waitcnt vmcnt(3)
	buffer_store_dword v96, off, s[0:3], 0 offset:300
	s_waitcnt vmcnt(3)
	buffer_store_dword v97, v0, s[0:3], 0 offen
	s_waitcnt vmcnt(3)
	buffer_store_dword v98, v0, s[0:3], 0 offen offset:4
.LBB46_308:
	s_or_b64 exec, exec, s[4:5]
	v_pk_mov_b32 v[0:1], s[10:11], s[10:11] op_sel:[0,1]
	flat_load_dword v0, v[0:1] offset:144
	s_waitcnt vmcnt(0) lgkmcnt(0)
	v_add_u32_e32 v0, -1, v0
	v_cmp_ne_u32_e32 vcc, 36, v0
	s_and_saveexec_b64 s[4:5], vcc
	s_cbranch_execz .LBB46_310
; %bb.309:
	v_mov_b32_e32 v1, 0
	v_lshl_add_u32 v0, v0, 3, v1
	buffer_load_dword v1, v0, s[0:3], 0 offen
	buffer_load_dword v96, v0, s[0:3], 0 offen offset:4
	buffer_load_dword v97, off, s[0:3], 0 offset:292
	buffer_load_dword v98, off, s[0:3], 0 offset:288
	s_waitcnt vmcnt(3)
	buffer_store_dword v1, off, s[0:3], 0 offset:288
	s_waitcnt vmcnt(3)
	buffer_store_dword v96, off, s[0:3], 0 offset:292
	s_waitcnt vmcnt(3)
	buffer_store_dword v97, v0, s[0:3], 0 offen offset:4
	s_waitcnt vmcnt(3)
	buffer_store_dword v98, v0, s[0:3], 0 offen
.LBB46_310:
	s_or_b64 exec, exec, s[4:5]
	v_pk_mov_b32 v[0:1], s[10:11], s[10:11] op_sel:[0,1]
	flat_load_dword v0, v[0:1] offset:140
	s_waitcnt vmcnt(0) lgkmcnt(0)
	v_add_u32_e32 v0, -1, v0
	v_cmp_ne_u32_e32 vcc, 35, v0
	s_and_saveexec_b64 s[4:5], vcc
	s_cbranch_execz .LBB46_312
; %bb.311:
	v_mov_b32_e32 v1, 0
	v_lshl_add_u32 v0, v0, 3, v1
	buffer_load_dword v1, v0, s[0:3], 0 offen
	buffer_load_dword v96, v0, s[0:3], 0 offen offset:4
	buffer_load_dword v97, off, s[0:3], 0 offset:280
	buffer_load_dword v98, off, s[0:3], 0 offset:284
	s_waitcnt vmcnt(3)
	buffer_store_dword v1, off, s[0:3], 0 offset:280
	s_waitcnt vmcnt(3)
	buffer_store_dword v96, off, s[0:3], 0 offset:284
	s_waitcnt vmcnt(3)
	buffer_store_dword v97, v0, s[0:3], 0 offen
	s_waitcnt vmcnt(3)
	buffer_store_dword v98, v0, s[0:3], 0 offen offset:4
.LBB46_312:
	s_or_b64 exec, exec, s[4:5]
	v_pk_mov_b32 v[0:1], s[10:11], s[10:11] op_sel:[0,1]
	flat_load_dword v0, v[0:1] offset:136
	s_waitcnt vmcnt(0) lgkmcnt(0)
	v_add_u32_e32 v0, -1, v0
	v_cmp_ne_u32_e32 vcc, 34, v0
	s_and_saveexec_b64 s[4:5], vcc
	s_cbranch_execz .LBB46_314
; %bb.313:
	v_mov_b32_e32 v1, 0
	v_lshl_add_u32 v0, v0, 3, v1
	buffer_load_dword v1, v0, s[0:3], 0 offen
	buffer_load_dword v96, v0, s[0:3], 0 offen offset:4
	buffer_load_dword v97, off, s[0:3], 0 offset:276
	buffer_load_dword v98, off, s[0:3], 0 offset:272
	s_waitcnt vmcnt(3)
	buffer_store_dword v1, off, s[0:3], 0 offset:272
	s_waitcnt vmcnt(3)
	buffer_store_dword v96, off, s[0:3], 0 offset:276
	s_waitcnt vmcnt(3)
	buffer_store_dword v97, v0, s[0:3], 0 offen offset:4
	s_waitcnt vmcnt(3)
	buffer_store_dword v98, v0, s[0:3], 0 offen
.LBB46_314:
	s_or_b64 exec, exec, s[4:5]
	v_pk_mov_b32 v[0:1], s[10:11], s[10:11] op_sel:[0,1]
	flat_load_dword v0, v[0:1] offset:132
	s_waitcnt vmcnt(0) lgkmcnt(0)
	v_add_u32_e32 v0, -1, v0
	v_cmp_ne_u32_e32 vcc, 33, v0
	s_and_saveexec_b64 s[4:5], vcc
	s_cbranch_execz .LBB46_316
; %bb.315:
	v_mov_b32_e32 v1, 0
	v_lshl_add_u32 v0, v0, 3, v1
	buffer_load_dword v1, v0, s[0:3], 0 offen
	buffer_load_dword v96, v0, s[0:3], 0 offen offset:4
	buffer_load_dword v97, off, s[0:3], 0 offset:264
	buffer_load_dword v98, off, s[0:3], 0 offset:268
	s_waitcnt vmcnt(3)
	buffer_store_dword v1, off, s[0:3], 0 offset:264
	s_waitcnt vmcnt(3)
	buffer_store_dword v96, off, s[0:3], 0 offset:268
	s_waitcnt vmcnt(3)
	buffer_store_dword v97, v0, s[0:3], 0 offen
	s_waitcnt vmcnt(3)
	buffer_store_dword v98, v0, s[0:3], 0 offen offset:4
.LBB46_316:
	s_or_b64 exec, exec, s[4:5]
	v_pk_mov_b32 v[0:1], s[10:11], s[10:11] op_sel:[0,1]
	flat_load_dword v0, v[0:1] offset:128
	s_waitcnt vmcnt(0) lgkmcnt(0)
	v_add_u32_e32 v0, -1, v0
	v_cmp_ne_u32_e32 vcc, 32, v0
	s_and_saveexec_b64 s[4:5], vcc
	s_cbranch_execz .LBB46_318
; %bb.317:
	v_mov_b32_e32 v1, 0
	v_lshl_add_u32 v0, v0, 3, v1
	buffer_load_dword v1, v0, s[0:3], 0 offen
	buffer_load_dword v96, v0, s[0:3], 0 offen offset:4
	buffer_load_dword v97, off, s[0:3], 0 offset:260
	buffer_load_dword v98, off, s[0:3], 0 offset:256
	s_waitcnt vmcnt(3)
	buffer_store_dword v1, off, s[0:3], 0 offset:256
	s_waitcnt vmcnt(3)
	buffer_store_dword v96, off, s[0:3], 0 offset:260
	s_waitcnt vmcnt(3)
	buffer_store_dword v97, v0, s[0:3], 0 offen offset:4
	s_waitcnt vmcnt(3)
	buffer_store_dword v98, v0, s[0:3], 0 offen
.LBB46_318:
	s_or_b64 exec, exec, s[4:5]
	v_pk_mov_b32 v[0:1], s[10:11], s[10:11] op_sel:[0,1]
	flat_load_dword v0, v[0:1] offset:124
	s_waitcnt vmcnt(0) lgkmcnt(0)
	v_add_u32_e32 v0, -1, v0
	v_cmp_ne_u32_e32 vcc, 31, v0
	s_and_saveexec_b64 s[4:5], vcc
	s_cbranch_execz .LBB46_320
; %bb.319:
	v_mov_b32_e32 v1, 0
	v_lshl_add_u32 v0, v0, 3, v1
	buffer_load_dword v1, v0, s[0:3], 0 offen
	buffer_load_dword v96, v0, s[0:3], 0 offen offset:4
	buffer_load_dword v97, off, s[0:3], 0 offset:248
	buffer_load_dword v98, off, s[0:3], 0 offset:252
	s_waitcnt vmcnt(3)
	buffer_store_dword v1, off, s[0:3], 0 offset:248
	s_waitcnt vmcnt(3)
	buffer_store_dword v96, off, s[0:3], 0 offset:252
	s_waitcnt vmcnt(3)
	buffer_store_dword v97, v0, s[0:3], 0 offen
	s_waitcnt vmcnt(3)
	buffer_store_dword v98, v0, s[0:3], 0 offen offset:4
.LBB46_320:
	s_or_b64 exec, exec, s[4:5]
	v_pk_mov_b32 v[0:1], s[10:11], s[10:11] op_sel:[0,1]
	flat_load_dword v0, v[0:1] offset:120
	s_waitcnt vmcnt(0) lgkmcnt(0)
	v_add_u32_e32 v0, -1, v0
	v_cmp_ne_u32_e32 vcc, 30, v0
	s_and_saveexec_b64 s[4:5], vcc
	s_cbranch_execz .LBB46_322
; %bb.321:
	v_mov_b32_e32 v1, 0
	v_lshl_add_u32 v0, v0, 3, v1
	buffer_load_dword v1, v0, s[0:3], 0 offen
	buffer_load_dword v96, v0, s[0:3], 0 offen offset:4
	buffer_load_dword v97, off, s[0:3], 0 offset:244
	buffer_load_dword v98, off, s[0:3], 0 offset:240
	s_waitcnt vmcnt(3)
	buffer_store_dword v1, off, s[0:3], 0 offset:240
	s_waitcnt vmcnt(3)
	buffer_store_dword v96, off, s[0:3], 0 offset:244
	s_waitcnt vmcnt(3)
	buffer_store_dword v97, v0, s[0:3], 0 offen offset:4
	s_waitcnt vmcnt(3)
	buffer_store_dword v98, v0, s[0:3], 0 offen
.LBB46_322:
	s_or_b64 exec, exec, s[4:5]
	v_pk_mov_b32 v[0:1], s[10:11], s[10:11] op_sel:[0,1]
	flat_load_dword v0, v[0:1] offset:116
	s_waitcnt vmcnt(0) lgkmcnt(0)
	v_add_u32_e32 v0, -1, v0
	v_cmp_ne_u32_e32 vcc, 29, v0
	s_and_saveexec_b64 s[4:5], vcc
	s_cbranch_execz .LBB46_324
; %bb.323:
	v_mov_b32_e32 v1, 0
	v_lshl_add_u32 v0, v0, 3, v1
	buffer_load_dword v1, v0, s[0:3], 0 offen
	buffer_load_dword v96, v0, s[0:3], 0 offen offset:4
	buffer_load_dword v97, off, s[0:3], 0 offset:232
	buffer_load_dword v98, off, s[0:3], 0 offset:236
	s_waitcnt vmcnt(3)
	buffer_store_dword v1, off, s[0:3], 0 offset:232
	s_waitcnt vmcnt(3)
	buffer_store_dword v96, off, s[0:3], 0 offset:236
	s_waitcnt vmcnt(3)
	buffer_store_dword v97, v0, s[0:3], 0 offen
	s_waitcnt vmcnt(3)
	buffer_store_dword v98, v0, s[0:3], 0 offen offset:4
.LBB46_324:
	s_or_b64 exec, exec, s[4:5]
	v_pk_mov_b32 v[0:1], s[10:11], s[10:11] op_sel:[0,1]
	flat_load_dword v0, v[0:1] offset:112
	s_waitcnt vmcnt(0) lgkmcnt(0)
	v_add_u32_e32 v0, -1, v0
	v_cmp_ne_u32_e32 vcc, 28, v0
	s_and_saveexec_b64 s[4:5], vcc
	s_cbranch_execz .LBB46_326
; %bb.325:
	v_mov_b32_e32 v1, 0
	v_lshl_add_u32 v0, v0, 3, v1
	buffer_load_dword v1, v0, s[0:3], 0 offen
	buffer_load_dword v96, v0, s[0:3], 0 offen offset:4
	buffer_load_dword v97, off, s[0:3], 0 offset:228
	buffer_load_dword v98, off, s[0:3], 0 offset:224
	s_waitcnt vmcnt(3)
	buffer_store_dword v1, off, s[0:3], 0 offset:224
	s_waitcnt vmcnt(3)
	buffer_store_dword v96, off, s[0:3], 0 offset:228
	s_waitcnt vmcnt(3)
	buffer_store_dword v97, v0, s[0:3], 0 offen offset:4
	s_waitcnt vmcnt(3)
	buffer_store_dword v98, v0, s[0:3], 0 offen
.LBB46_326:
	s_or_b64 exec, exec, s[4:5]
	v_pk_mov_b32 v[0:1], s[10:11], s[10:11] op_sel:[0,1]
	flat_load_dword v0, v[0:1] offset:108
	s_waitcnt vmcnt(0) lgkmcnt(0)
	v_add_u32_e32 v0, -1, v0
	v_cmp_ne_u32_e32 vcc, 27, v0
	s_and_saveexec_b64 s[4:5], vcc
	s_cbranch_execz .LBB46_328
; %bb.327:
	v_mov_b32_e32 v1, 0
	v_lshl_add_u32 v0, v0, 3, v1
	buffer_load_dword v1, v0, s[0:3], 0 offen
	buffer_load_dword v96, v0, s[0:3], 0 offen offset:4
	buffer_load_dword v97, off, s[0:3], 0 offset:216
	buffer_load_dword v98, off, s[0:3], 0 offset:220
	s_waitcnt vmcnt(3)
	buffer_store_dword v1, off, s[0:3], 0 offset:216
	s_waitcnt vmcnt(3)
	buffer_store_dword v96, off, s[0:3], 0 offset:220
	s_waitcnt vmcnt(3)
	buffer_store_dword v97, v0, s[0:3], 0 offen
	s_waitcnt vmcnt(3)
	buffer_store_dword v98, v0, s[0:3], 0 offen offset:4
.LBB46_328:
	s_or_b64 exec, exec, s[4:5]
	v_pk_mov_b32 v[0:1], s[10:11], s[10:11] op_sel:[0,1]
	flat_load_dword v0, v[0:1] offset:104
	s_waitcnt vmcnt(0) lgkmcnt(0)
	v_add_u32_e32 v0, -1, v0
	v_cmp_ne_u32_e32 vcc, 26, v0
	s_and_saveexec_b64 s[4:5], vcc
	s_cbranch_execz .LBB46_330
; %bb.329:
	v_mov_b32_e32 v1, 0
	v_lshl_add_u32 v0, v0, 3, v1
	buffer_load_dword v1, v0, s[0:3], 0 offen
	buffer_load_dword v96, v0, s[0:3], 0 offen offset:4
	buffer_load_dword v97, off, s[0:3], 0 offset:212
	buffer_load_dword v98, off, s[0:3], 0 offset:208
	s_waitcnt vmcnt(3)
	buffer_store_dword v1, off, s[0:3], 0 offset:208
	s_waitcnt vmcnt(3)
	buffer_store_dword v96, off, s[0:3], 0 offset:212
	s_waitcnt vmcnt(3)
	buffer_store_dword v97, v0, s[0:3], 0 offen offset:4
	s_waitcnt vmcnt(3)
	buffer_store_dword v98, v0, s[0:3], 0 offen
.LBB46_330:
	s_or_b64 exec, exec, s[4:5]
	v_pk_mov_b32 v[0:1], s[10:11], s[10:11] op_sel:[0,1]
	flat_load_dword v0, v[0:1] offset:100
	s_waitcnt vmcnt(0) lgkmcnt(0)
	v_add_u32_e32 v0, -1, v0
	v_cmp_ne_u32_e32 vcc, 25, v0
	s_and_saveexec_b64 s[4:5], vcc
	s_cbranch_execz .LBB46_332
; %bb.331:
	v_mov_b32_e32 v1, 0
	v_lshl_add_u32 v0, v0, 3, v1
	buffer_load_dword v1, v0, s[0:3], 0 offen
	buffer_load_dword v96, v0, s[0:3], 0 offen offset:4
	buffer_load_dword v97, off, s[0:3], 0 offset:200
	buffer_load_dword v98, off, s[0:3], 0 offset:204
	s_waitcnt vmcnt(3)
	buffer_store_dword v1, off, s[0:3], 0 offset:200
	s_waitcnt vmcnt(3)
	buffer_store_dword v96, off, s[0:3], 0 offset:204
	s_waitcnt vmcnt(3)
	buffer_store_dword v97, v0, s[0:3], 0 offen
	s_waitcnt vmcnt(3)
	buffer_store_dword v98, v0, s[0:3], 0 offen offset:4
.LBB46_332:
	s_or_b64 exec, exec, s[4:5]
	v_pk_mov_b32 v[0:1], s[10:11], s[10:11] op_sel:[0,1]
	flat_load_dword v0, v[0:1] offset:96
	s_waitcnt vmcnt(0) lgkmcnt(0)
	v_add_u32_e32 v0, -1, v0
	v_cmp_ne_u32_e32 vcc, 24, v0
	s_and_saveexec_b64 s[4:5], vcc
	s_cbranch_execz .LBB46_334
; %bb.333:
	v_mov_b32_e32 v1, 0
	v_lshl_add_u32 v0, v0, 3, v1
	buffer_load_dword v1, v0, s[0:3], 0 offen
	buffer_load_dword v96, v0, s[0:3], 0 offen offset:4
	buffer_load_dword v97, off, s[0:3], 0 offset:196
	buffer_load_dword v98, off, s[0:3], 0 offset:192
	s_waitcnt vmcnt(3)
	buffer_store_dword v1, off, s[0:3], 0 offset:192
	s_waitcnt vmcnt(3)
	buffer_store_dword v96, off, s[0:3], 0 offset:196
	s_waitcnt vmcnt(3)
	buffer_store_dword v97, v0, s[0:3], 0 offen offset:4
	s_waitcnt vmcnt(3)
	buffer_store_dword v98, v0, s[0:3], 0 offen
.LBB46_334:
	s_or_b64 exec, exec, s[4:5]
	v_pk_mov_b32 v[0:1], s[10:11], s[10:11] op_sel:[0,1]
	flat_load_dword v0, v[0:1] offset:92
	s_waitcnt vmcnt(0) lgkmcnt(0)
	v_add_u32_e32 v0, -1, v0
	v_cmp_ne_u32_e32 vcc, 23, v0
	s_and_saveexec_b64 s[4:5], vcc
	s_cbranch_execz .LBB46_336
; %bb.335:
	v_mov_b32_e32 v1, 0
	v_lshl_add_u32 v0, v0, 3, v1
	buffer_load_dword v1, v0, s[0:3], 0 offen
	buffer_load_dword v96, v0, s[0:3], 0 offen offset:4
	buffer_load_dword v97, off, s[0:3], 0 offset:184
	buffer_load_dword v98, off, s[0:3], 0 offset:188
	s_waitcnt vmcnt(3)
	buffer_store_dword v1, off, s[0:3], 0 offset:184
	s_waitcnt vmcnt(3)
	buffer_store_dword v96, off, s[0:3], 0 offset:188
	s_waitcnt vmcnt(3)
	buffer_store_dword v97, v0, s[0:3], 0 offen
	s_waitcnt vmcnt(3)
	buffer_store_dword v98, v0, s[0:3], 0 offen offset:4
.LBB46_336:
	s_or_b64 exec, exec, s[4:5]
	v_pk_mov_b32 v[0:1], s[10:11], s[10:11] op_sel:[0,1]
	flat_load_dword v0, v[0:1] offset:88
	s_waitcnt vmcnt(0) lgkmcnt(0)
	v_add_u32_e32 v0, -1, v0
	v_cmp_ne_u32_e32 vcc, 22, v0
	s_and_saveexec_b64 s[4:5], vcc
	s_cbranch_execz .LBB46_338
; %bb.337:
	v_mov_b32_e32 v1, 0
	v_lshl_add_u32 v0, v0, 3, v1
	buffer_load_dword v1, v0, s[0:3], 0 offen
	buffer_load_dword v96, v0, s[0:3], 0 offen offset:4
	buffer_load_dword v97, off, s[0:3], 0 offset:180
	buffer_load_dword v98, off, s[0:3], 0 offset:176
	s_waitcnt vmcnt(3)
	buffer_store_dword v1, off, s[0:3], 0 offset:176
	s_waitcnt vmcnt(3)
	buffer_store_dword v96, off, s[0:3], 0 offset:180
	s_waitcnt vmcnt(3)
	buffer_store_dword v97, v0, s[0:3], 0 offen offset:4
	s_waitcnt vmcnt(3)
	buffer_store_dword v98, v0, s[0:3], 0 offen
.LBB46_338:
	s_or_b64 exec, exec, s[4:5]
	v_pk_mov_b32 v[0:1], s[10:11], s[10:11] op_sel:[0,1]
	flat_load_dword v0, v[0:1] offset:84
	s_waitcnt vmcnt(0) lgkmcnt(0)
	v_add_u32_e32 v0, -1, v0
	v_cmp_ne_u32_e32 vcc, 21, v0
	s_and_saveexec_b64 s[4:5], vcc
	s_cbranch_execz .LBB46_340
; %bb.339:
	v_mov_b32_e32 v1, 0
	v_lshl_add_u32 v0, v0, 3, v1
	buffer_load_dword v1, v0, s[0:3], 0 offen
	buffer_load_dword v96, v0, s[0:3], 0 offen offset:4
	buffer_load_dword v97, off, s[0:3], 0 offset:168
	buffer_load_dword v98, off, s[0:3], 0 offset:172
	s_waitcnt vmcnt(3)
	buffer_store_dword v1, off, s[0:3], 0 offset:168
	s_waitcnt vmcnt(3)
	buffer_store_dword v96, off, s[0:3], 0 offset:172
	s_waitcnt vmcnt(3)
	buffer_store_dword v97, v0, s[0:3], 0 offen
	s_waitcnt vmcnt(3)
	buffer_store_dword v98, v0, s[0:3], 0 offen offset:4
.LBB46_340:
	s_or_b64 exec, exec, s[4:5]
	v_pk_mov_b32 v[0:1], s[10:11], s[10:11] op_sel:[0,1]
	flat_load_dword v0, v[0:1] offset:80
	s_waitcnt vmcnt(0) lgkmcnt(0)
	v_add_u32_e32 v0, -1, v0
	v_cmp_ne_u32_e32 vcc, 20, v0
	s_and_saveexec_b64 s[4:5], vcc
	s_cbranch_execz .LBB46_342
; %bb.341:
	v_mov_b32_e32 v1, 0
	v_lshl_add_u32 v0, v0, 3, v1
	buffer_load_dword v1, v0, s[0:3], 0 offen
	buffer_load_dword v96, v0, s[0:3], 0 offen offset:4
	buffer_load_dword v97, off, s[0:3], 0 offset:164
	buffer_load_dword v98, off, s[0:3], 0 offset:160
	s_waitcnt vmcnt(3)
	buffer_store_dword v1, off, s[0:3], 0 offset:160
	s_waitcnt vmcnt(3)
	buffer_store_dword v96, off, s[0:3], 0 offset:164
	s_waitcnt vmcnt(3)
	buffer_store_dword v97, v0, s[0:3], 0 offen offset:4
	s_waitcnt vmcnt(3)
	buffer_store_dword v98, v0, s[0:3], 0 offen
.LBB46_342:
	s_or_b64 exec, exec, s[4:5]
	v_pk_mov_b32 v[0:1], s[10:11], s[10:11] op_sel:[0,1]
	flat_load_dword v0, v[0:1] offset:76
	s_waitcnt vmcnt(0) lgkmcnt(0)
	v_add_u32_e32 v0, -1, v0
	v_cmp_ne_u32_e32 vcc, 19, v0
	s_and_saveexec_b64 s[4:5], vcc
	s_cbranch_execz .LBB46_344
; %bb.343:
	v_mov_b32_e32 v1, 0
	v_lshl_add_u32 v0, v0, 3, v1
	buffer_load_dword v1, v0, s[0:3], 0 offen
	buffer_load_dword v96, v0, s[0:3], 0 offen offset:4
	buffer_load_dword v97, off, s[0:3], 0 offset:152
	buffer_load_dword v98, off, s[0:3], 0 offset:156
	s_waitcnt vmcnt(3)
	buffer_store_dword v1, off, s[0:3], 0 offset:152
	s_waitcnt vmcnt(3)
	buffer_store_dword v96, off, s[0:3], 0 offset:156
	s_waitcnt vmcnt(3)
	buffer_store_dword v97, v0, s[0:3], 0 offen
	s_waitcnt vmcnt(3)
	buffer_store_dword v98, v0, s[0:3], 0 offen offset:4
.LBB46_344:
	s_or_b64 exec, exec, s[4:5]
	v_pk_mov_b32 v[0:1], s[10:11], s[10:11] op_sel:[0,1]
	flat_load_dword v0, v[0:1] offset:72
	s_waitcnt vmcnt(0) lgkmcnt(0)
	v_add_u32_e32 v0, -1, v0
	v_cmp_ne_u32_e32 vcc, 18, v0
	s_and_saveexec_b64 s[4:5], vcc
	s_cbranch_execz .LBB46_346
; %bb.345:
	v_mov_b32_e32 v1, 0
	v_lshl_add_u32 v0, v0, 3, v1
	buffer_load_dword v1, v0, s[0:3], 0 offen
	buffer_load_dword v96, v0, s[0:3], 0 offen offset:4
	buffer_load_dword v97, off, s[0:3], 0 offset:148
	buffer_load_dword v98, off, s[0:3], 0 offset:144
	s_waitcnt vmcnt(3)
	buffer_store_dword v1, off, s[0:3], 0 offset:144
	s_waitcnt vmcnt(3)
	buffer_store_dword v96, off, s[0:3], 0 offset:148
	s_waitcnt vmcnt(3)
	buffer_store_dword v97, v0, s[0:3], 0 offen offset:4
	s_waitcnt vmcnt(3)
	buffer_store_dword v98, v0, s[0:3], 0 offen
.LBB46_346:
	s_or_b64 exec, exec, s[4:5]
	v_pk_mov_b32 v[0:1], s[10:11], s[10:11] op_sel:[0,1]
	flat_load_dword v0, v[0:1] offset:68
	s_waitcnt vmcnt(0) lgkmcnt(0)
	v_add_u32_e32 v0, -1, v0
	v_cmp_ne_u32_e32 vcc, 17, v0
	s_and_saveexec_b64 s[4:5], vcc
	s_cbranch_execz .LBB46_348
; %bb.347:
	v_mov_b32_e32 v1, 0
	v_lshl_add_u32 v0, v0, 3, v1
	buffer_load_dword v1, v0, s[0:3], 0 offen
	buffer_load_dword v96, v0, s[0:3], 0 offen offset:4
	buffer_load_dword v97, off, s[0:3], 0 offset:136
	buffer_load_dword v98, off, s[0:3], 0 offset:140
	s_waitcnt vmcnt(3)
	buffer_store_dword v1, off, s[0:3], 0 offset:136
	s_waitcnt vmcnt(3)
	buffer_store_dword v96, off, s[0:3], 0 offset:140
	s_waitcnt vmcnt(3)
	buffer_store_dword v97, v0, s[0:3], 0 offen
	s_waitcnt vmcnt(3)
	buffer_store_dword v98, v0, s[0:3], 0 offen offset:4
.LBB46_348:
	s_or_b64 exec, exec, s[4:5]
	v_pk_mov_b32 v[0:1], s[10:11], s[10:11] op_sel:[0,1]
	flat_load_dword v0, v[0:1] offset:64
	s_waitcnt vmcnt(0) lgkmcnt(0)
	v_add_u32_e32 v0, -1, v0
	v_cmp_ne_u32_e32 vcc, 16, v0
	s_and_saveexec_b64 s[4:5], vcc
	s_cbranch_execz .LBB46_350
; %bb.349:
	v_mov_b32_e32 v1, 0
	v_lshl_add_u32 v0, v0, 3, v1
	buffer_load_dword v1, v0, s[0:3], 0 offen
	buffer_load_dword v96, v0, s[0:3], 0 offen offset:4
	buffer_load_dword v97, off, s[0:3], 0 offset:132
	buffer_load_dword v98, off, s[0:3], 0 offset:128
	s_waitcnt vmcnt(3)
	buffer_store_dword v1, off, s[0:3], 0 offset:128
	s_waitcnt vmcnt(3)
	buffer_store_dword v96, off, s[0:3], 0 offset:132
	s_waitcnt vmcnt(3)
	buffer_store_dword v97, v0, s[0:3], 0 offen offset:4
	s_waitcnt vmcnt(3)
	buffer_store_dword v98, v0, s[0:3], 0 offen
.LBB46_350:
	s_or_b64 exec, exec, s[4:5]
	v_pk_mov_b32 v[0:1], s[10:11], s[10:11] op_sel:[0,1]
	flat_load_dword v0, v[0:1] offset:60
	s_waitcnt vmcnt(0) lgkmcnt(0)
	v_add_u32_e32 v0, -1, v0
	v_cmp_ne_u32_e32 vcc, 15, v0
	s_and_saveexec_b64 s[4:5], vcc
	s_cbranch_execz .LBB46_352
; %bb.351:
	v_mov_b32_e32 v1, 0
	v_lshl_add_u32 v0, v0, 3, v1
	buffer_load_dword v1, v0, s[0:3], 0 offen
	buffer_load_dword v96, v0, s[0:3], 0 offen offset:4
	buffer_load_dword v97, off, s[0:3], 0 offset:120
	buffer_load_dword v98, off, s[0:3], 0 offset:124
	s_waitcnt vmcnt(3)
	buffer_store_dword v1, off, s[0:3], 0 offset:120
	s_waitcnt vmcnt(3)
	buffer_store_dword v96, off, s[0:3], 0 offset:124
	s_waitcnt vmcnt(3)
	buffer_store_dword v97, v0, s[0:3], 0 offen
	s_waitcnt vmcnt(3)
	buffer_store_dword v98, v0, s[0:3], 0 offen offset:4
.LBB46_352:
	s_or_b64 exec, exec, s[4:5]
	v_pk_mov_b32 v[0:1], s[10:11], s[10:11] op_sel:[0,1]
	flat_load_dword v0, v[0:1] offset:56
	s_waitcnt vmcnt(0) lgkmcnt(0)
	v_add_u32_e32 v0, -1, v0
	v_cmp_ne_u32_e32 vcc, 14, v0
	s_and_saveexec_b64 s[4:5], vcc
	s_cbranch_execz .LBB46_354
; %bb.353:
	v_mov_b32_e32 v1, 0
	v_lshl_add_u32 v0, v0, 3, v1
	buffer_load_dword v1, v0, s[0:3], 0 offen
	buffer_load_dword v96, v0, s[0:3], 0 offen offset:4
	buffer_load_dword v97, off, s[0:3], 0 offset:116
	buffer_load_dword v98, off, s[0:3], 0 offset:112
	s_waitcnt vmcnt(3)
	buffer_store_dword v1, off, s[0:3], 0 offset:112
	s_waitcnt vmcnt(3)
	buffer_store_dword v96, off, s[0:3], 0 offset:116
	s_waitcnt vmcnt(3)
	buffer_store_dword v97, v0, s[0:3], 0 offen offset:4
	s_waitcnt vmcnt(3)
	buffer_store_dword v98, v0, s[0:3], 0 offen
.LBB46_354:
	s_or_b64 exec, exec, s[4:5]
	v_pk_mov_b32 v[0:1], s[10:11], s[10:11] op_sel:[0,1]
	flat_load_dword v0, v[0:1] offset:52
	s_waitcnt vmcnt(0) lgkmcnt(0)
	v_add_u32_e32 v0, -1, v0
	v_cmp_ne_u32_e32 vcc, 13, v0
	s_and_saveexec_b64 s[4:5], vcc
	s_cbranch_execz .LBB46_356
; %bb.355:
	v_mov_b32_e32 v1, 0
	v_lshl_add_u32 v0, v0, 3, v1
	buffer_load_dword v1, v0, s[0:3], 0 offen
	buffer_load_dword v96, v0, s[0:3], 0 offen offset:4
	buffer_load_dword v97, off, s[0:3], 0 offset:104
	buffer_load_dword v98, off, s[0:3], 0 offset:108
	s_waitcnt vmcnt(3)
	buffer_store_dword v1, off, s[0:3], 0 offset:104
	s_waitcnt vmcnt(3)
	buffer_store_dword v96, off, s[0:3], 0 offset:108
	s_waitcnt vmcnt(3)
	buffer_store_dword v97, v0, s[0:3], 0 offen
	s_waitcnt vmcnt(3)
	buffer_store_dword v98, v0, s[0:3], 0 offen offset:4
.LBB46_356:
	s_or_b64 exec, exec, s[4:5]
	v_pk_mov_b32 v[0:1], s[10:11], s[10:11] op_sel:[0,1]
	flat_load_dword v0, v[0:1] offset:48
	s_waitcnt vmcnt(0) lgkmcnt(0)
	v_add_u32_e32 v0, -1, v0
	v_cmp_ne_u32_e32 vcc, 12, v0
	s_and_saveexec_b64 s[4:5], vcc
	s_cbranch_execz .LBB46_358
; %bb.357:
	v_mov_b32_e32 v1, 0
	v_lshl_add_u32 v0, v0, 3, v1
	buffer_load_dword v1, v0, s[0:3], 0 offen
	buffer_load_dword v96, v0, s[0:3], 0 offen offset:4
	buffer_load_dword v97, off, s[0:3], 0 offset:100
	buffer_load_dword v98, off, s[0:3], 0 offset:96
	s_waitcnt vmcnt(3)
	buffer_store_dword v1, off, s[0:3], 0 offset:96
	s_waitcnt vmcnt(3)
	buffer_store_dword v96, off, s[0:3], 0 offset:100
	s_waitcnt vmcnt(3)
	buffer_store_dword v97, v0, s[0:3], 0 offen offset:4
	s_waitcnt vmcnt(3)
	buffer_store_dword v98, v0, s[0:3], 0 offen
.LBB46_358:
	s_or_b64 exec, exec, s[4:5]
	v_pk_mov_b32 v[0:1], s[10:11], s[10:11] op_sel:[0,1]
	flat_load_dword v0, v[0:1] offset:44
	s_waitcnt vmcnt(0) lgkmcnt(0)
	v_add_u32_e32 v0, -1, v0
	v_cmp_ne_u32_e32 vcc, 11, v0
	s_and_saveexec_b64 s[4:5], vcc
	s_cbranch_execz .LBB46_360
; %bb.359:
	v_mov_b32_e32 v1, 0
	v_lshl_add_u32 v0, v0, 3, v1
	buffer_load_dword v1, v0, s[0:3], 0 offen
	buffer_load_dword v96, v0, s[0:3], 0 offen offset:4
	buffer_load_dword v97, off, s[0:3], 0 offset:88
	buffer_load_dword v98, off, s[0:3], 0 offset:92
	s_waitcnt vmcnt(3)
	buffer_store_dword v1, off, s[0:3], 0 offset:88
	s_waitcnt vmcnt(3)
	buffer_store_dword v96, off, s[0:3], 0 offset:92
	s_waitcnt vmcnt(3)
	buffer_store_dword v97, v0, s[0:3], 0 offen
	s_waitcnt vmcnt(3)
	buffer_store_dword v98, v0, s[0:3], 0 offen offset:4
.LBB46_360:
	s_or_b64 exec, exec, s[4:5]
	v_pk_mov_b32 v[0:1], s[10:11], s[10:11] op_sel:[0,1]
	flat_load_dword v0, v[0:1] offset:40
	s_waitcnt vmcnt(0) lgkmcnt(0)
	v_add_u32_e32 v0, -1, v0
	v_cmp_ne_u32_e32 vcc, 10, v0
	s_and_saveexec_b64 s[4:5], vcc
	s_cbranch_execz .LBB46_362
; %bb.361:
	v_mov_b32_e32 v1, 0
	v_lshl_add_u32 v0, v0, 3, v1
	buffer_load_dword v1, v0, s[0:3], 0 offen
	buffer_load_dword v96, v0, s[0:3], 0 offen offset:4
	buffer_load_dword v97, off, s[0:3], 0 offset:84
	buffer_load_dword v98, off, s[0:3], 0 offset:80
	s_waitcnt vmcnt(3)
	buffer_store_dword v1, off, s[0:3], 0 offset:80
	s_waitcnt vmcnt(3)
	buffer_store_dword v96, off, s[0:3], 0 offset:84
	s_waitcnt vmcnt(3)
	buffer_store_dword v97, v0, s[0:3], 0 offen offset:4
	s_waitcnt vmcnt(3)
	buffer_store_dword v98, v0, s[0:3], 0 offen
.LBB46_362:
	s_or_b64 exec, exec, s[4:5]
	v_pk_mov_b32 v[0:1], s[10:11], s[10:11] op_sel:[0,1]
	flat_load_dword v0, v[0:1] offset:36
	s_waitcnt vmcnt(0) lgkmcnt(0)
	v_add_u32_e32 v0, -1, v0
	v_cmp_ne_u32_e32 vcc, 9, v0
	s_and_saveexec_b64 s[4:5], vcc
	s_cbranch_execz .LBB46_364
; %bb.363:
	v_mov_b32_e32 v1, 0
	v_lshl_add_u32 v0, v0, 3, v1
	buffer_load_dword v1, v0, s[0:3], 0 offen
	buffer_load_dword v96, v0, s[0:3], 0 offen offset:4
	buffer_load_dword v97, off, s[0:3], 0 offset:72
	buffer_load_dword v98, off, s[0:3], 0 offset:76
	s_waitcnt vmcnt(3)
	buffer_store_dword v1, off, s[0:3], 0 offset:72
	s_waitcnt vmcnt(3)
	buffer_store_dword v96, off, s[0:3], 0 offset:76
	s_waitcnt vmcnt(3)
	buffer_store_dword v97, v0, s[0:3], 0 offen
	s_waitcnt vmcnt(3)
	buffer_store_dword v98, v0, s[0:3], 0 offen offset:4
.LBB46_364:
	s_or_b64 exec, exec, s[4:5]
	v_pk_mov_b32 v[0:1], s[10:11], s[10:11] op_sel:[0,1]
	flat_load_dword v0, v[0:1] offset:32
	s_waitcnt vmcnt(0) lgkmcnt(0)
	v_add_u32_e32 v0, -1, v0
	v_cmp_ne_u32_e32 vcc, 8, v0
	s_and_saveexec_b64 s[4:5], vcc
	s_cbranch_execz .LBB46_366
; %bb.365:
	v_mov_b32_e32 v1, 0
	v_lshl_add_u32 v0, v0, 3, v1
	buffer_load_dword v1, v0, s[0:3], 0 offen
	buffer_load_dword v96, v0, s[0:3], 0 offen offset:4
	buffer_load_dword v97, off, s[0:3], 0 offset:68
	buffer_load_dword v98, off, s[0:3], 0 offset:64
	s_waitcnt vmcnt(3)
	buffer_store_dword v1, off, s[0:3], 0 offset:64
	s_waitcnt vmcnt(3)
	buffer_store_dword v96, off, s[0:3], 0 offset:68
	s_waitcnt vmcnt(3)
	buffer_store_dword v97, v0, s[0:3], 0 offen offset:4
	s_waitcnt vmcnt(3)
	buffer_store_dword v98, v0, s[0:3], 0 offen
.LBB46_366:
	s_or_b64 exec, exec, s[4:5]
	v_pk_mov_b32 v[0:1], s[10:11], s[10:11] op_sel:[0,1]
	flat_load_dword v0, v[0:1] offset:28
	s_waitcnt vmcnt(0) lgkmcnt(0)
	v_add_u32_e32 v0, -1, v0
	v_cmp_ne_u32_e32 vcc, 7, v0
	s_and_saveexec_b64 s[4:5], vcc
	s_cbranch_execz .LBB46_368
; %bb.367:
	v_mov_b32_e32 v1, 0
	v_lshl_add_u32 v0, v0, 3, v1
	buffer_load_dword v1, v0, s[0:3], 0 offen
	buffer_load_dword v96, v0, s[0:3], 0 offen offset:4
	buffer_load_dword v97, off, s[0:3], 0 offset:56
	buffer_load_dword v98, off, s[0:3], 0 offset:60
	s_waitcnt vmcnt(3)
	buffer_store_dword v1, off, s[0:3], 0 offset:56
	s_waitcnt vmcnt(3)
	buffer_store_dword v96, off, s[0:3], 0 offset:60
	s_waitcnt vmcnt(3)
	buffer_store_dword v97, v0, s[0:3], 0 offen
	s_waitcnt vmcnt(3)
	buffer_store_dword v98, v0, s[0:3], 0 offen offset:4
.LBB46_368:
	s_or_b64 exec, exec, s[4:5]
	v_pk_mov_b32 v[0:1], s[10:11], s[10:11] op_sel:[0,1]
	flat_load_dword v0, v[0:1] offset:24
	s_waitcnt vmcnt(0) lgkmcnt(0)
	v_add_u32_e32 v0, -1, v0
	v_cmp_ne_u32_e32 vcc, 6, v0
	s_and_saveexec_b64 s[4:5], vcc
	s_cbranch_execz .LBB46_370
; %bb.369:
	v_mov_b32_e32 v1, 0
	v_lshl_add_u32 v0, v0, 3, v1
	buffer_load_dword v1, v0, s[0:3], 0 offen
	buffer_load_dword v96, v0, s[0:3], 0 offen offset:4
	buffer_load_dword v97, off, s[0:3], 0 offset:52
	buffer_load_dword v98, off, s[0:3], 0 offset:48
	s_waitcnt vmcnt(3)
	buffer_store_dword v1, off, s[0:3], 0 offset:48
	s_waitcnt vmcnt(3)
	buffer_store_dword v96, off, s[0:3], 0 offset:52
	s_waitcnt vmcnt(3)
	buffer_store_dword v97, v0, s[0:3], 0 offen offset:4
	s_waitcnt vmcnt(3)
	buffer_store_dword v98, v0, s[0:3], 0 offen
.LBB46_370:
	s_or_b64 exec, exec, s[4:5]
	v_pk_mov_b32 v[0:1], s[10:11], s[10:11] op_sel:[0,1]
	flat_load_dword v0, v[0:1] offset:20
	s_waitcnt vmcnt(0) lgkmcnt(0)
	v_add_u32_e32 v0, -1, v0
	v_cmp_ne_u32_e32 vcc, 5, v0
	s_and_saveexec_b64 s[4:5], vcc
	s_cbranch_execz .LBB46_372
; %bb.371:
	v_mov_b32_e32 v1, 0
	v_lshl_add_u32 v0, v0, 3, v1
	buffer_load_dword v1, v0, s[0:3], 0 offen
	buffer_load_dword v96, v0, s[0:3], 0 offen offset:4
	buffer_load_dword v97, off, s[0:3], 0 offset:40
	buffer_load_dword v98, off, s[0:3], 0 offset:44
	s_waitcnt vmcnt(3)
	buffer_store_dword v1, off, s[0:3], 0 offset:40
	s_waitcnt vmcnt(3)
	buffer_store_dword v96, off, s[0:3], 0 offset:44
	s_waitcnt vmcnt(3)
	buffer_store_dword v97, v0, s[0:3], 0 offen
	s_waitcnt vmcnt(3)
	buffer_store_dword v98, v0, s[0:3], 0 offen offset:4
.LBB46_372:
	s_or_b64 exec, exec, s[4:5]
	v_pk_mov_b32 v[0:1], s[10:11], s[10:11] op_sel:[0,1]
	flat_load_dword v0, v[0:1] offset:16
	s_waitcnt vmcnt(0) lgkmcnt(0)
	v_add_u32_e32 v0, -1, v0
	v_cmp_ne_u32_e32 vcc, 4, v0
	s_and_saveexec_b64 s[4:5], vcc
	s_cbranch_execz .LBB46_374
; %bb.373:
	v_mov_b32_e32 v1, 0
	v_lshl_add_u32 v0, v0, 3, v1
	buffer_load_dword v1, v0, s[0:3], 0 offen
	buffer_load_dword v96, v0, s[0:3], 0 offen offset:4
	buffer_load_dword v97, off, s[0:3], 0 offset:36
	buffer_load_dword v98, off, s[0:3], 0 offset:32
	s_waitcnt vmcnt(3)
	buffer_store_dword v1, off, s[0:3], 0 offset:32
	s_waitcnt vmcnt(3)
	buffer_store_dword v96, off, s[0:3], 0 offset:36
	s_waitcnt vmcnt(3)
	buffer_store_dword v97, v0, s[0:3], 0 offen offset:4
	s_waitcnt vmcnt(3)
	buffer_store_dword v98, v0, s[0:3], 0 offen
.LBB46_374:
	s_or_b64 exec, exec, s[4:5]
	v_pk_mov_b32 v[0:1], s[10:11], s[10:11] op_sel:[0,1]
	flat_load_dword v0, v[0:1] offset:12
	s_waitcnt vmcnt(0) lgkmcnt(0)
	v_add_u32_e32 v0, -1, v0
	v_cmp_ne_u32_e32 vcc, 3, v0
	s_and_saveexec_b64 s[4:5], vcc
	s_cbranch_execz .LBB46_376
; %bb.375:
	v_mov_b32_e32 v1, 0
	v_lshl_add_u32 v0, v0, 3, v1
	buffer_load_dword v1, v0, s[0:3], 0 offen
	buffer_load_dword v96, v0, s[0:3], 0 offen offset:4
	buffer_load_dword v97, off, s[0:3], 0 offset:24
	buffer_load_dword v98, off, s[0:3], 0 offset:28
	s_waitcnt vmcnt(3)
	buffer_store_dword v1, off, s[0:3], 0 offset:24
	s_waitcnt vmcnt(3)
	buffer_store_dword v96, off, s[0:3], 0 offset:28
	s_waitcnt vmcnt(3)
	buffer_store_dword v97, v0, s[0:3], 0 offen
	s_waitcnt vmcnt(3)
	buffer_store_dword v98, v0, s[0:3], 0 offen offset:4
.LBB46_376:
	s_or_b64 exec, exec, s[4:5]
	v_pk_mov_b32 v[0:1], s[10:11], s[10:11] op_sel:[0,1]
	flat_load_dword v0, v[0:1] offset:8
	s_waitcnt vmcnt(0) lgkmcnt(0)
	v_add_u32_e32 v0, -1, v0
	v_cmp_ne_u32_e32 vcc, 2, v0
	s_and_saveexec_b64 s[4:5], vcc
	s_cbranch_execz .LBB46_378
; %bb.377:
	v_mov_b32_e32 v1, 0
	v_lshl_add_u32 v0, v0, 3, v1
	buffer_load_dword v1, v0, s[0:3], 0 offen
	buffer_load_dword v96, v0, s[0:3], 0 offen offset:4
	buffer_load_dword v97, off, s[0:3], 0 offset:20
	buffer_load_dword v98, off, s[0:3], 0 offset:16
	s_waitcnt vmcnt(3)
	buffer_store_dword v1, off, s[0:3], 0 offset:16
	s_waitcnt vmcnt(3)
	buffer_store_dword v96, off, s[0:3], 0 offset:20
	s_waitcnt vmcnt(3)
	buffer_store_dword v97, v0, s[0:3], 0 offen offset:4
	s_waitcnt vmcnt(3)
	buffer_store_dword v98, v0, s[0:3], 0 offen
.LBB46_378:
	s_or_b64 exec, exec, s[4:5]
	v_pk_mov_b32 v[0:1], s[10:11], s[10:11] op_sel:[0,1]
	flat_load_dword v0, v[0:1] offset:4
	s_waitcnt vmcnt(0) lgkmcnt(0)
	v_add_u32_e32 v0, -1, v0
	v_cmp_ne_u32_e32 vcc, 1, v0
	s_and_saveexec_b64 s[4:5], vcc
	s_cbranch_execz .LBB46_380
; %bb.379:
	v_mov_b32_e32 v1, 0
	v_lshl_add_u32 v0, v0, 3, v1
	buffer_load_dword v1, v0, s[0:3], 0 offen
	buffer_load_dword v96, v0, s[0:3], 0 offen offset:4
	buffer_load_dword v97, off, s[0:3], 0 offset:8
	buffer_load_dword v98, off, s[0:3], 0 offset:12
	s_waitcnt vmcnt(3)
	buffer_store_dword v1, off, s[0:3], 0 offset:8
	s_waitcnt vmcnt(3)
	buffer_store_dword v96, off, s[0:3], 0 offset:12
	s_waitcnt vmcnt(3)
	buffer_store_dword v97, v0, s[0:3], 0 offen
	s_waitcnt vmcnt(3)
	buffer_store_dword v98, v0, s[0:3], 0 offen offset:4
.LBB46_380:
	s_or_b64 exec, exec, s[4:5]
	v_pk_mov_b32 v[0:1], s[10:11], s[10:11] op_sel:[0,1]
	flat_load_dword v96, v[0:1]
	s_nop 0
	buffer_load_dword v0, off, s[0:3], 0
	buffer_load_dword v1, off, s[0:3], 0 offset:4
	s_waitcnt vmcnt(0) lgkmcnt(0)
	v_add_u32_e32 v96, -1, v96
	v_cmp_ne_u32_e32 vcc, 0, v96
	s_and_saveexec_b64 s[4:5], vcc
	s_cbranch_execz .LBB46_382
; %bb.381:
	v_mov_b32_e32 v97, 0
	v_lshl_add_u32 v96, v96, 3, v97
	buffer_load_dword v97, v96, s[0:3], 0 offen offset:4
	buffer_load_dword v98, v96, s[0:3], 0 offen
	s_waitcnt vmcnt(1)
	buffer_store_dword v97, off, s[0:3], 0 offset:4
	s_waitcnt vmcnt(1)
	buffer_store_dword v98, off, s[0:3], 0
	buffer_store_dword v1, v96, s[0:3], 0 offen offset:4
	buffer_store_dword v0, v96, s[0:3], 0 offen
	buffer_load_dword v0, off, s[0:3], 0
	s_nop 0
	buffer_load_dword v1, off, s[0:3], 0 offset:4
.LBB46_382:
	s_or_b64 exec, exec, s[4:5]
.LBB46_383:
	s_waitcnt vmcnt(0)
	global_store_dwordx2 v[94:95], v[0:1], off
	buffer_load_dword v0, off, s[0:3], 0 offset:8
	s_nop 0
	buffer_load_dword v1, off, s[0:3], 0 offset:12
	buffer_load_dword v94, off, s[0:3], 0 offset:16
	;; [unrolled: 1-line block ×15, first 2 shown]
	s_waitcnt vmcnt(14)
	global_store_dwordx2 v[92:93], v[0:1], off
	s_waitcnt vmcnt(13)
	global_store_dwordx2 v[2:3], v[94:95], off
	;; [unrolled: 2-line block ×8, first 2 shown]
	buffer_load_dword v0, off, s[0:3], 0 offset:72
	buffer_load_dword v1, off, s[0:3], 0 offset:76
	s_waitcnt vmcnt(0)
	global_store_dwordx2 v[14:15], v[0:1], off
	buffer_load_dword v0, off, s[0:3], 0 offset:80
	s_nop 0
	buffer_load_dword v1, off, s[0:3], 0 offset:84
	s_waitcnt vmcnt(0)
	global_store_dwordx2 v[16:17], v[0:1], off
	buffer_load_dword v0, off, s[0:3], 0 offset:88
	s_nop 0
	;; [unrolled: 5-line block ×37, first 2 shown]
	buffer_load_dword v1, off, s[0:3], 0 offset:372
	s_waitcnt vmcnt(0)
	global_store_dwordx2 v[78:79], v[0:1], off
	s_endpgm
	.section	.rodata,"a",@progbits
	.p2align	6, 0x0
	.amdhsa_kernel _ZN9rocsolver6v33100L18getri_kernel_smallILi47EdPdEEvT1_iilPiilS4_bb
		.amdhsa_group_segment_fixed_size 760
		.amdhsa_private_segment_fixed_size 384
		.amdhsa_kernarg_size 60
		.amdhsa_user_sgpr_count 8
		.amdhsa_user_sgpr_private_segment_buffer 1
		.amdhsa_user_sgpr_dispatch_ptr 0
		.amdhsa_user_sgpr_queue_ptr 0
		.amdhsa_user_sgpr_kernarg_segment_ptr 1
		.amdhsa_user_sgpr_dispatch_id 0
		.amdhsa_user_sgpr_flat_scratch_init 1
		.amdhsa_user_sgpr_kernarg_preload_length 0
		.amdhsa_user_sgpr_kernarg_preload_offset 0
		.amdhsa_user_sgpr_private_segment_size 0
		.amdhsa_uses_dynamic_stack 0
		.amdhsa_system_sgpr_private_segment_wavefront_offset 1
		.amdhsa_system_sgpr_workgroup_id_x 1
		.amdhsa_system_sgpr_workgroup_id_y 0
		.amdhsa_system_sgpr_workgroup_id_z 0
		.amdhsa_system_sgpr_workgroup_info 0
		.amdhsa_system_vgpr_workitem_id 0
		.amdhsa_next_free_vgpr 164
		.amdhsa_next_free_sgpr 23
		.amdhsa_accum_offset 164
		.amdhsa_reserve_vcc 1
		.amdhsa_reserve_flat_scratch 1
		.amdhsa_float_round_mode_32 0
		.amdhsa_float_round_mode_16_64 0
		.amdhsa_float_denorm_mode_32 3
		.amdhsa_float_denorm_mode_16_64 3
		.amdhsa_dx10_clamp 1
		.amdhsa_ieee_mode 1
		.amdhsa_fp16_overflow 0
		.amdhsa_tg_split 0
		.amdhsa_exception_fp_ieee_invalid_op 0
		.amdhsa_exception_fp_denorm_src 0
		.amdhsa_exception_fp_ieee_div_zero 0
		.amdhsa_exception_fp_ieee_overflow 0
		.amdhsa_exception_fp_ieee_underflow 0
		.amdhsa_exception_fp_ieee_inexact 0
		.amdhsa_exception_int_div_zero 0
	.end_amdhsa_kernel
	.section	.text._ZN9rocsolver6v33100L18getri_kernel_smallILi47EdPdEEvT1_iilPiilS4_bb,"axG",@progbits,_ZN9rocsolver6v33100L18getri_kernel_smallILi47EdPdEEvT1_iilPiilS4_bb,comdat
.Lfunc_end46:
	.size	_ZN9rocsolver6v33100L18getri_kernel_smallILi47EdPdEEvT1_iilPiilS4_bb, .Lfunc_end46-_ZN9rocsolver6v33100L18getri_kernel_smallILi47EdPdEEvT1_iilPiilS4_bb
                                        ; -- End function
	.section	.AMDGPU.csdata,"",@progbits
; Kernel info:
; codeLenInByte = 54936
; NumSgprs: 29
; NumVgprs: 164
; NumAgprs: 0
; TotalNumVgprs: 164
; ScratchSize: 384
; MemoryBound: 1
; FloatMode: 240
; IeeeMode: 1
; LDSByteSize: 760 bytes/workgroup (compile time only)
; SGPRBlocks: 3
; VGPRBlocks: 20
; NumSGPRsForWavesPerEU: 29
; NumVGPRsForWavesPerEU: 164
; AccumOffset: 164
; Occupancy: 3
; WaveLimiterHint : 1
; COMPUTE_PGM_RSRC2:SCRATCH_EN: 1
; COMPUTE_PGM_RSRC2:USER_SGPR: 8
; COMPUTE_PGM_RSRC2:TRAP_HANDLER: 0
; COMPUTE_PGM_RSRC2:TGID_X_EN: 1
; COMPUTE_PGM_RSRC2:TGID_Y_EN: 0
; COMPUTE_PGM_RSRC2:TGID_Z_EN: 0
; COMPUTE_PGM_RSRC2:TIDIG_COMP_CNT: 0
; COMPUTE_PGM_RSRC3_GFX90A:ACCUM_OFFSET: 40
; COMPUTE_PGM_RSRC3_GFX90A:TG_SPLIT: 0
	.section	.text._ZN9rocsolver6v33100L18getri_kernel_smallILi48EdPdEEvT1_iilPiilS4_bb,"axG",@progbits,_ZN9rocsolver6v33100L18getri_kernel_smallILi48EdPdEEvT1_iilPiilS4_bb,comdat
	.globl	_ZN9rocsolver6v33100L18getri_kernel_smallILi48EdPdEEvT1_iilPiilS4_bb ; -- Begin function _ZN9rocsolver6v33100L18getri_kernel_smallILi48EdPdEEvT1_iilPiilS4_bb
	.p2align	8
	.type	_ZN9rocsolver6v33100L18getri_kernel_smallILi48EdPdEEvT1_iilPiilS4_bb,@function
_ZN9rocsolver6v33100L18getri_kernel_smallILi48EdPdEEvT1_iilPiilS4_bb: ; @_ZN9rocsolver6v33100L18getri_kernel_smallILi48EdPdEEvT1_iilPiilS4_bb
; %bb.0:
	s_add_u32 flat_scratch_lo, s6, s9
	s_addc_u32 flat_scratch_hi, s7, 0
	s_add_u32 s0, s0, s9
	s_addc_u32 s1, s1, 0
	v_cmp_gt_u32_e32 vcc, 48, v0
	s_and_saveexec_b64 s[6:7], vcc
	s_cbranch_execz .LBB47_200
; %bb.1:
	s_load_dword s22, s[4:5], 0x38
	s_load_dwordx4 s[16:19], s[4:5], 0x10
	s_load_dwordx4 s[12:15], s[4:5], 0x28
                                        ; implicit-def: $sgpr10_sgpr11
	s_waitcnt lgkmcnt(0)
	s_bitcmp1_b32 s22, 8
	s_cselect_b64 s[20:21], -1, 0
	s_ashr_i32 s9, s8, 31
	s_bfe_u32 s6, s22, 0x10008
	s_cmp_eq_u32 s6, 0
	s_cbranch_scc1 .LBB47_3
; %bb.2:
	s_load_dword s6, s[4:5], 0x20
	s_mul_i32 s7, s8, s13
	s_mul_hi_u32 s10, s8, s12
	s_mul_i32 s11, s9, s12
	s_add_i32 s10, s10, s7
	s_add_i32 s11, s10, s11
	s_mul_i32 s10, s8, s12
	s_waitcnt lgkmcnt(0)
	s_ashr_i32 s7, s6, 31
	s_lshl_b64 s[10:11], s[10:11], 2
	s_add_u32 s10, s18, s10
	s_addc_u32 s11, s19, s11
	s_lshl_b64 s[6:7], s[6:7], 2
	s_add_u32 s10, s10, s6
	s_addc_u32 s11, s11, s7
.LBB47_3:
	s_load_dwordx4 s[4:7], s[4:5], 0x0
	s_mul_i32 s12, s8, s17
	s_mul_hi_u32 s13, s8, s16
	s_add_i32 s17, s13, s12
	s_waitcnt lgkmcnt(0)
	s_ashr_i32 s13, s6, 31
	s_mov_b32 s12, s6
	s_mul_i32 s6, s9, s16
	s_add_i32 s17, s17, s6
	s_mul_i32 s16, s8, s16
	s_lshl_b64 s[16:17], s[16:17], 3
	s_add_u32 s6, s4, s16
	s_addc_u32 s16, s5, s17
	s_lshl_b64 s[4:5], s[12:13], 3
	s_add_u32 s4, s6, s4
	s_addc_u32 s5, s16, s5
	s_add_i32 s6, s7, s7
	v_add_u32_e32 v4, s6, v0
	v_ashrrev_i32_e32 v5, 31, v4
	v_lshlrev_b64 v[2:3], 3, v[4:5]
	v_add_u32_e32 v6, s7, v4
	v_mov_b32_e32 v1, s5
	v_add_co_u32_e32 v2, vcc, s4, v2
	v_ashrrev_i32_e32 v7, 31, v6
	v_addc_co_u32_e32 v3, vcc, v1, v3, vcc
	v_lshlrev_b64 v[4:5], 3, v[6:7]
	v_add_u32_e32 v8, s7, v6
	v_add_co_u32_e32 v4, vcc, s4, v4
	v_ashrrev_i32_e32 v9, 31, v8
	v_addc_co_u32_e32 v5, vcc, v1, v5, vcc
	v_lshlrev_b64 v[6:7], 3, v[8:9]
	v_add_u32_e32 v10, s7, v8
	;; [unrolled: 5-line block ×5, first 2 shown]
	v_add_co_u32_e32 v12, vcc, s4, v12
	v_ashrrev_i32_e32 v15, 31, v14
	v_addc_co_u32_e32 v13, vcc, v1, v13, vcc
	v_lshlrev_b64 v[16:17], 3, v[14:15]
	v_add_co_u32_e32 v18, vcc, s4, v16
	v_add_u32_e32 v16, s7, v14
	v_addc_co_u32_e32 v19, vcc, v1, v17, vcc
	v_ashrrev_i32_e32 v17, 31, v16
	v_lshlrev_b64 v[14:15], 3, v[16:17]
	v_add_u32_e32 v20, s7, v16
	v_add_co_u32_e32 v14, vcc, s4, v14
	v_ashrrev_i32_e32 v21, 31, v20
	v_addc_co_u32_e32 v15, vcc, v1, v15, vcc
	v_lshlrev_b64 v[16:17], 3, v[20:21]
	v_add_u32_e32 v22, s7, v20
	v_add_co_u32_e32 v16, vcc, s4, v16
	v_ashrrev_i32_e32 v23, 31, v22
	v_addc_co_u32_e32 v17, vcc, v1, v17, vcc
	;; [unrolled: 5-line block ×30, first 2 shown]
	v_lshlrev_b64 v[76:77], 3, v[78:79]
	v_add_co_u32_e32 v76, vcc, s4, v76
	v_add_u32_e32 v78, s7, v78
	v_addc_co_u32_e32 v77, vcc, v1, v77, vcc
	v_ashrrev_i32_e32 v79, 31, v78
	v_lshlrev_b32_e32 v1, 3, v0
	v_lshlrev_b64 v[80:81], 3, v[78:79]
	global_load_dwordx2 v[98:99], v1, s[4:5]
	global_load_dwordx2 v[102:103], v[2:3], off
	global_load_dwordx2 v[104:105], v[4:5], off
	;; [unrolled: 1-line block ×3, first 2 shown]
	v_mov_b32_e32 v79, s5
	v_add_co_u32_e32 v96, vcc, s4, v1
	s_ashr_i32 s13, s7, 31
	s_mov_b32 s12, s7
	v_addc_co_u32_e32 v97, vcc, 0, v79, vcc
	s_lshl_b64 s[12:13], s[12:13], 3
	v_mov_b32_e32 v79, s13
	v_add_co_u32_e32 v94, vcc, s12, v96
	v_addc_co_u32_e32 v95, vcc, v97, v79, vcc
	global_load_dwordx2 v[100:101], v[94:95], off
	global_load_dwordx2 v[108:109], v[8:9], off
	;; [unrolled: 1-line block ×11, first 2 shown]
	v_add_u32_e32 v78, s7, v78
	v_mov_b32_e32 v82, s5
	v_add_co_u32_e32 v80, vcc, s4, v80
	v_ashrrev_i32_e32 v79, 31, v78
	v_addc_co_u32_e32 v81, vcc, v82, v81, vcc
	v_lshlrev_b64 v[82:83], 3, v[78:79]
	v_add_u32_e32 v78, s7, v78
	v_mov_b32_e32 v84, s5
	v_add_co_u32_e32 v82, vcc, s4, v82
	v_ashrrev_i32_e32 v79, 31, v78
	v_addc_co_u32_e32 v83, vcc, v84, v83, vcc
	v_lshlrev_b64 v[84:85], 3, v[78:79]
	;; [unrolled: 6-line block ×7, first 2 shown]
	v_add_co_u32_e32 v78, vcc, s4, v78
	v_addc_co_u32_e32 v79, vcc, v128, v79, vcc
	global_load_dwordx2 v[128:129], v[28:29], off
	global_load_dwordx2 v[130:131], v[78:79], off
	;; [unrolled: 1-line block ×18, first 2 shown]
	s_bitcmp0_b32 s22, 0
	s_waitcnt vmcnt(32)
	buffer_store_dword v99, off, s[0:3], 0 offset:4
	buffer_store_dword v98, off, s[0:3], 0
	global_load_dwordx2 v[98:99], v[34:35], off
	s_mov_b64 s[6:7], -1
	s_waitcnt vmcnt(31)
	buffer_store_dword v101, off, s[0:3], 0 offset:12
	buffer_store_dword v100, off, s[0:3], 0 offset:8
	global_load_dwordx2 v[100:101], v[38:39], off
	s_nop 0
	buffer_store_dword v103, off, s[0:3], 0 offset:20
	buffer_store_dword v102, off, s[0:3], 0 offset:16
	global_load_dwordx2 v[102:103], v[42:43], off
	s_nop 0
	;; [unrolled: 4-line block ×3, first 2 shown]
	buffer_store_dword v107, off, s[0:3], 0 offset:36
	buffer_store_dword v106, off, s[0:3], 0 offset:32
	global_load_dwordx2 v[106:107], v[50:51], off
	s_waitcnt vmcnt(42)
	buffer_store_dword v109, off, s[0:3], 0 offset:44
	buffer_store_dword v108, off, s[0:3], 0 offset:40
	global_load_dwordx2 v[108:109], v[54:55], off
	s_waitcnt vmcnt(44)
	;; [unrolled: 4-line block ×6, first 2 shown]
	buffer_store_dword v118, off, s[0:3], 0 offset:80
	buffer_store_dword v119, off, s[0:3], 0 offset:84
	global_load_dwordx2 v[118:119], v[74:75], off
	s_nop 0
	buffer_store_dword v120, off, s[0:3], 0 offset:88
	buffer_store_dword v121, off, s[0:3], 0 offset:92
	global_load_dwordx2 v[120:121], v[80:81], off
	s_waitcnt vmcnt(56)
	buffer_store_dword v122, off, s[0:3], 0 offset:96
	buffer_store_dword v123, off, s[0:3], 0 offset:100
	global_load_dwordx2 v[122:123], v[84:85], off
	s_waitcnt vmcnt(58)
	;; [unrolled: 4-line block ×4, first 2 shown]
	buffer_store_dword v128, off, s[0:3], 0 offset:120
	buffer_store_dword v129, off, s[0:3], 0 offset:124
	s_waitcnt vmcnt(62)
	buffer_store_dword v132, off, s[0:3], 0 offset:128
	buffer_store_dword v133, off, s[0:3], 0 offset:132
	s_waitcnt vmcnt(62)
	;; [unrolled: 3-line block ×3, first 2 shown]
	buffer_store_dword v98, off, s[0:3], 0 offset:144
	buffer_store_dword v99, off, s[0:3], 0 offset:148
	buffer_store_dword v137, off, s[0:3], 0 offset:156
	buffer_store_dword v136, off, s[0:3], 0 offset:152
	s_waitcnt vmcnt(49)
	buffer_store_dword v101, off, s[0:3], 0 offset:164
	buffer_store_dword v100, off, s[0:3], 0 offset:160
	buffer_store_dword v138, off, s[0:3], 0 offset:168
	buffer_store_dword v139, off, s[0:3], 0 offset:172
	s_waitcnt vmcnt(50)
	;; [unrolled: 5-line block ×14, first 2 shown]
	buffer_store_dword v126, off, s[0:3], 0 offset:368
	buffer_store_dword v127, off, s[0:3], 0 offset:372
	;; [unrolled: 1-line block ×4, first 2 shown]
	s_cbranch_scc1 .LBB47_198
; %bb.4:
	v_cmp_eq_u32_e64 s[4:5], 0, v0
	s_and_saveexec_b64 s[6:7], s[4:5]
	s_cbranch_execz .LBB47_6
; %bb.5:
	v_mov_b32_e32 v98, 0
	ds_write_b32 v98, v98 offset:768
.LBB47_6:
	s_or_b64 exec, exec, s[6:7]
	v_mov_b32_e32 v98, 0
	v_lshl_add_u32 v98, v0, 3, v98
	s_waitcnt lgkmcnt(0)
	; wave barrier
	s_waitcnt lgkmcnt(0)
	buffer_load_dword v100, v98, s[0:3], 0 offen
	buffer_load_dword v101, v98, s[0:3], 0 offen offset:4
	s_waitcnt vmcnt(0)
	v_cmp_eq_f64_e32 vcc, 0, v[100:101]
	s_and_saveexec_b64 s[12:13], vcc
	s_cbranch_execz .LBB47_10
; %bb.7:
	v_mov_b32_e32 v99, 0
	ds_read_b32 v101, v99 offset:768
	v_add_u32_e32 v100, 1, v0
	s_waitcnt lgkmcnt(0)
	v_readfirstlane_b32 s6, v101
	s_cmp_eq_u32 s6, 0
	s_cselect_b64 s[16:17], -1, 0
	v_cmp_gt_i32_e32 vcc, s6, v100
	s_or_b64 s[16:17], s[16:17], vcc
	s_and_b64 exec, exec, s[16:17]
	s_cbranch_execz .LBB47_10
; %bb.8:
	s_mov_b64 s[16:17], 0
	v_mov_b32_e32 v101, s6
.LBB47_9:                               ; =>This Inner Loop Header: Depth=1
	ds_cmpst_rtn_b32 v101, v99, v101, v100 offset:768
	s_waitcnt lgkmcnt(0)
	v_cmp_ne_u32_e32 vcc, 0, v101
	v_cmp_le_i32_e64 s[6:7], v101, v100
	s_and_b64 s[6:7], vcc, s[6:7]
	s_and_b64 s[6:7], exec, s[6:7]
	s_or_b64 s[16:17], s[6:7], s[16:17]
	s_andn2_b64 exec, exec, s[16:17]
	s_cbranch_execnz .LBB47_9
.LBB47_10:
	s_or_b64 exec, exec, s[12:13]
	v_mov_b32_e32 v100, 0
	s_waitcnt lgkmcnt(0)
	; wave barrier
	ds_read_b32 v99, v100 offset:768
	s_and_saveexec_b64 s[6:7], s[4:5]
	s_cbranch_execz .LBB47_12
; %bb.11:
	s_lshl_b64 s[12:13], s[8:9], 2
	s_add_u32 s12, s14, s12
	s_addc_u32 s13, s15, s13
	s_waitcnt lgkmcnt(0)
	global_store_dword v100, v99, s[12:13]
.LBB47_12:
	s_or_b64 exec, exec, s[6:7]
	s_waitcnt lgkmcnt(0)
	v_cmp_ne_u32_e32 vcc, 0, v99
	s_mov_b64 s[6:7], 0
	s_cbranch_vccnz .LBB47_198
; %bb.13:
	buffer_load_dword v100, v98, s[0:3], 0 offen
	buffer_load_dword v101, v98, s[0:3], 0 offen offset:4
	s_waitcnt vmcnt(0)
	v_div_scale_f64 v[102:103], s[6:7], v[100:101], v[100:101], 1.0
	v_rcp_f64_e32 v[104:105], v[102:103]
	v_div_scale_f64 v[106:107], vcc, 1.0, v[100:101], 1.0
	v_fma_f64 v[108:109], -v[102:103], v[104:105], 1.0
	v_fmac_f64_e32 v[104:105], v[104:105], v[108:109]
	v_fma_f64 v[108:109], -v[102:103], v[104:105], 1.0
	v_fmac_f64_e32 v[104:105], v[104:105], v[108:109]
	v_mul_f64 v[108:109], v[106:107], v[104:105]
	v_fma_f64 v[102:103], -v[102:103], v[108:109], v[106:107]
	v_div_fmas_f64 v[102:103], v[102:103], v[104:105], v[108:109]
	v_div_fixup_f64 v[102:103], v[102:103], v[100:101], 1.0
	buffer_store_dword v103, v98, s[0:3], 0 offen offset:4
	buffer_store_dword v102, v98, s[0:3], 0 offen
	buffer_load_dword v105, off, s[0:3], 0 offset:12
	buffer_load_dword v104, off, s[0:3], 0 offset:8
	v_add_u32_e32 v100, 0x180, v1
	v_xor_b32_e32 v103, 0x80000000, v103
	s_waitcnt vmcnt(0)
	ds_write2_b64 v1, v[102:103], v[104:105] offset1:48
	s_waitcnt lgkmcnt(0)
	; wave barrier
	s_waitcnt lgkmcnt(0)
	s_and_saveexec_b64 s[6:7], s[4:5]
	s_cbranch_execz .LBB47_15
; %bb.14:
	buffer_load_dword v102, v98, s[0:3], 0 offen
	buffer_load_dword v103, v98, s[0:3], 0 offen offset:4
	v_mov_b32_e32 v99, 0
	ds_read_b64 v[104:105], v100
	ds_read_b64 v[106:107], v99 offset:8
	s_waitcnt vmcnt(0) lgkmcnt(1)
	v_fma_f64 v[102:103], v[102:103], v[104:105], 0
	s_waitcnt lgkmcnt(0)
	v_mul_f64 v[102:103], v[102:103], v[106:107]
	buffer_store_dword v102, off, s[0:3], 0 offset:8
	buffer_store_dword v103, off, s[0:3], 0 offset:12
.LBB47_15:
	s_or_b64 exec, exec, s[6:7]
	s_waitcnt lgkmcnt(0)
	; wave barrier
	buffer_load_dword v102, off, s[0:3], 0 offset:16
	buffer_load_dword v103, off, s[0:3], 0 offset:20
	v_cmp_gt_u32_e32 vcc, 2, v0
	s_waitcnt vmcnt(0)
	ds_write_b64 v100, v[102:103]
	s_waitcnt lgkmcnt(0)
	; wave barrier
	s_waitcnt lgkmcnt(0)
	s_and_saveexec_b64 s[6:7], vcc
	s_cbranch_execz .LBB47_17
; %bb.16:
	buffer_load_dword v99, v98, s[0:3], 0 offen offset:4
	buffer_load_dword v106, off, s[0:3], 0 offset:8
	s_nop 0
	buffer_load_dword v98, v98, s[0:3], 0 offen
	s_nop 0
	buffer_load_dword v107, off, s[0:3], 0 offset:12
	ds_read_b64 v[108:109], v100
	v_mov_b32_e32 v101, 0
	ds_read2_b64 v[102:105], v101 offset0:2 offset1:49
	s_waitcnt vmcnt(1) lgkmcnt(1)
	v_fma_f64 v[98:99], v[98:99], v[108:109], 0
	s_waitcnt vmcnt(0) lgkmcnt(0)
	v_fma_f64 v[104:105], v[106:107], v[104:105], v[98:99]
	v_cndmask_b32_e64 v99, v99, v105, s[4:5]
	v_cndmask_b32_e64 v98, v98, v104, s[4:5]
	v_mul_f64 v[98:99], v[98:99], v[102:103]
	buffer_store_dword v99, off, s[0:3], 0 offset:20
	buffer_store_dword v98, off, s[0:3], 0 offset:16
.LBB47_17:
	s_or_b64 exec, exec, s[6:7]
	s_waitcnt lgkmcnt(0)
	; wave barrier
	buffer_load_dword v98, off, s[0:3], 0 offset:24
	buffer_load_dword v99, off, s[0:3], 0 offset:28
	v_cmp_gt_u32_e32 vcc, 3, v0
	v_add_u32_e32 v101, -1, v0
	s_waitcnt vmcnt(0)
	ds_write_b64 v100, v[98:99]
	s_waitcnt lgkmcnt(0)
	; wave barrier
	s_waitcnt lgkmcnt(0)
	s_and_saveexec_b64 s[4:5], vcc
	s_cbranch_execz .LBB47_21
; %bb.18:
	v_add_u32_e32 v102, -1, v0
	v_add_u32_e32 v103, 0x180, v1
	v_add_u32_e32 v104, 0, v1
	s_mov_b64 s[6:7], 0
	v_pk_mov_b32 v[98:99], 0, 0
.LBB47_19:                              ; =>This Inner Loop Header: Depth=1
	buffer_load_dword v106, v104, s[0:3], 0 offen
	buffer_load_dword v107, v104, s[0:3], 0 offen offset:4
	ds_read_b64 v[108:109], v103
	v_add_u32_e32 v102, 1, v102
	v_cmp_lt_u32_e32 vcc, 1, v102
	v_add_u32_e32 v103, 8, v103
	v_add_u32_e32 v104, 8, v104
	s_or_b64 s[6:7], vcc, s[6:7]
	s_waitcnt vmcnt(0) lgkmcnt(0)
	v_fmac_f64_e32 v[98:99], v[106:107], v[108:109]
	s_andn2_b64 exec, exec, s[6:7]
	s_cbranch_execnz .LBB47_19
; %bb.20:
	s_or_b64 exec, exec, s[6:7]
	v_mov_b32_e32 v102, 0
	ds_read_b64 v[102:103], v102 offset:24
	s_waitcnt lgkmcnt(0)
	v_mul_f64 v[98:99], v[98:99], v[102:103]
	buffer_store_dword v99, off, s[0:3], 0 offset:28
	buffer_store_dword v98, off, s[0:3], 0 offset:24
.LBB47_21:
	s_or_b64 exec, exec, s[4:5]
	s_waitcnt lgkmcnt(0)
	; wave barrier
	buffer_load_dword v98, off, s[0:3], 0 offset:32
	buffer_load_dword v99, off, s[0:3], 0 offset:36
	v_cmp_gt_u32_e32 vcc, 4, v0
	s_waitcnt vmcnt(0)
	ds_write_b64 v100, v[98:99]
	s_waitcnt lgkmcnt(0)
	; wave barrier
	s_waitcnt lgkmcnt(0)
	s_and_saveexec_b64 s[4:5], vcc
	s_cbranch_execz .LBB47_25
; %bb.22:
	v_add_u32_e32 v102, -1, v0
	v_add_u32_e32 v103, 0x180, v1
	v_add_u32_e32 v104, 0, v1
	s_mov_b64 s[6:7], 0
	v_pk_mov_b32 v[98:99], 0, 0
.LBB47_23:                              ; =>This Inner Loop Header: Depth=1
	buffer_load_dword v106, v104, s[0:3], 0 offen
	buffer_load_dword v107, v104, s[0:3], 0 offen offset:4
	ds_read_b64 v[108:109], v103
	v_add_u32_e32 v102, 1, v102
	v_cmp_lt_u32_e32 vcc, 2, v102
	v_add_u32_e32 v103, 8, v103
	v_add_u32_e32 v104, 8, v104
	s_or_b64 s[6:7], vcc, s[6:7]
	s_waitcnt vmcnt(0) lgkmcnt(0)
	v_fmac_f64_e32 v[98:99], v[106:107], v[108:109]
	s_andn2_b64 exec, exec, s[6:7]
	s_cbranch_execnz .LBB47_23
; %bb.24:
	s_or_b64 exec, exec, s[6:7]
	v_mov_b32_e32 v102, 0
	ds_read_b64 v[102:103], v102 offset:32
	s_waitcnt lgkmcnt(0)
	v_mul_f64 v[98:99], v[98:99], v[102:103]
	buffer_store_dword v99, off, s[0:3], 0 offset:36
	buffer_store_dword v98, off, s[0:3], 0 offset:32
.LBB47_25:
	s_or_b64 exec, exec, s[4:5]
	s_waitcnt lgkmcnt(0)
	; wave barrier
	buffer_load_dword v98, off, s[0:3], 0 offset:40
	buffer_load_dword v99, off, s[0:3], 0 offset:44
	v_cmp_gt_u32_e32 vcc, 5, v0
	;; [unrolled: 41-line block ×21, first 2 shown]
	s_waitcnt vmcnt(0)
	ds_write_b64 v100, v[98:99]
	s_waitcnt lgkmcnt(0)
	; wave barrier
	s_waitcnt lgkmcnt(0)
	s_and_saveexec_b64 s[4:5], vcc
	s_cbranch_execz .LBB47_105
; %bb.102:
	v_add_u32_e32 v102, -1, v0
	v_add_u32_e32 v103, 0x180, v1
	v_add_u32_e32 v104, 0, v1
	s_mov_b64 s[6:7], 0
	v_pk_mov_b32 v[98:99], 0, 0
.LBB47_103:                             ; =>This Inner Loop Header: Depth=1
	buffer_load_dword v106, v104, s[0:3], 0 offen
	buffer_load_dword v107, v104, s[0:3], 0 offen offset:4
	ds_read_b64 v[108:109], v103
	v_add_u32_e32 v102, 1, v102
	v_cmp_lt_u32_e32 vcc, 22, v102
	v_add_u32_e32 v103, 8, v103
	v_add_u32_e32 v104, 8, v104
	s_or_b64 s[6:7], vcc, s[6:7]
	s_waitcnt vmcnt(0) lgkmcnt(0)
	v_fmac_f64_e32 v[98:99], v[106:107], v[108:109]
	s_andn2_b64 exec, exec, s[6:7]
	s_cbranch_execnz .LBB47_103
; %bb.104:
	s_or_b64 exec, exec, s[6:7]
	v_mov_b32_e32 v102, 0
	ds_read_b64 v[102:103], v102 offset:192
	s_waitcnt lgkmcnt(0)
	v_mul_f64 v[98:99], v[98:99], v[102:103]
	buffer_store_dword v99, off, s[0:3], 0 offset:196
	buffer_store_dword v98, off, s[0:3], 0 offset:192
.LBB47_105:
	s_or_b64 exec, exec, s[4:5]
	s_waitcnt lgkmcnt(0)
	; wave barrier
	buffer_load_dword v98, off, s[0:3], 0 offset:200
	buffer_load_dword v99, off, s[0:3], 0 offset:204
	v_cmp_gt_u32_e32 vcc, 25, v0
	s_waitcnt vmcnt(0)
	ds_write_b64 v100, v[98:99]
	s_waitcnt lgkmcnt(0)
	; wave barrier
	s_waitcnt lgkmcnt(0)
	s_and_saveexec_b64 s[4:5], vcc
	s_cbranch_execz .LBB47_109
; %bb.106:
	v_add_u32_e32 v102, -1, v0
	v_add_u32_e32 v103, 0x180, v1
	v_add_u32_e32 v104, 0, v1
	s_mov_b64 s[6:7], 0
	v_pk_mov_b32 v[98:99], 0, 0
.LBB47_107:                             ; =>This Inner Loop Header: Depth=1
	buffer_load_dword v106, v104, s[0:3], 0 offen
	buffer_load_dword v107, v104, s[0:3], 0 offen offset:4
	ds_read_b64 v[108:109], v103
	v_add_u32_e32 v102, 1, v102
	v_cmp_lt_u32_e32 vcc, 23, v102
	v_add_u32_e32 v103, 8, v103
	v_add_u32_e32 v104, 8, v104
	s_or_b64 s[6:7], vcc, s[6:7]
	s_waitcnt vmcnt(0) lgkmcnt(0)
	v_fmac_f64_e32 v[98:99], v[106:107], v[108:109]
	s_andn2_b64 exec, exec, s[6:7]
	s_cbranch_execnz .LBB47_107
; %bb.108:
	s_or_b64 exec, exec, s[6:7]
	v_mov_b32_e32 v102, 0
	ds_read_b64 v[102:103], v102 offset:200
	s_waitcnt lgkmcnt(0)
	v_mul_f64 v[98:99], v[98:99], v[102:103]
	buffer_store_dword v99, off, s[0:3], 0 offset:204
	buffer_store_dword v98, off, s[0:3], 0 offset:200
.LBB47_109:
	s_or_b64 exec, exec, s[4:5]
	s_waitcnt lgkmcnt(0)
	; wave barrier
	buffer_load_dword v98, off, s[0:3], 0 offset:208
	buffer_load_dword v99, off, s[0:3], 0 offset:212
	v_cmp_gt_u32_e32 vcc, 26, v0
	;; [unrolled: 41-line block ×22, first 2 shown]
	s_waitcnt vmcnt(0)
	ds_write_b64 v100, v[98:99]
	s_waitcnt lgkmcnt(0)
	; wave barrier
	s_waitcnt lgkmcnt(0)
	s_and_saveexec_b64 s[4:5], vcc
	s_cbranch_execz .LBB47_193
; %bb.190:
	v_add_u32_e32 v102, -1, v0
	v_add_u32_e32 v103, 0x180, v1
	v_add_u32_e32 v104, 0, v1
	s_mov_b64 s[6:7], 0
	v_pk_mov_b32 v[98:99], 0, 0
.LBB47_191:                             ; =>This Inner Loop Header: Depth=1
	buffer_load_dword v106, v104, s[0:3], 0 offen
	buffer_load_dword v107, v104, s[0:3], 0 offen offset:4
	ds_read_b64 v[108:109], v103
	v_add_u32_e32 v102, 1, v102
	v_cmp_lt_u32_e32 vcc, 44, v102
	v_add_u32_e32 v103, 8, v103
	v_add_u32_e32 v104, 8, v104
	s_or_b64 s[6:7], vcc, s[6:7]
	s_waitcnt vmcnt(0) lgkmcnt(0)
	v_fmac_f64_e32 v[98:99], v[106:107], v[108:109]
	s_andn2_b64 exec, exec, s[6:7]
	s_cbranch_execnz .LBB47_191
; %bb.192:
	s_or_b64 exec, exec, s[6:7]
	v_mov_b32_e32 v102, 0
	ds_read_b64 v[102:103], v102 offset:368
	s_waitcnt lgkmcnt(0)
	v_mul_f64 v[98:99], v[98:99], v[102:103]
	buffer_store_dword v99, off, s[0:3], 0 offset:372
	buffer_store_dword v98, off, s[0:3], 0 offset:368
.LBB47_193:
	s_or_b64 exec, exec, s[4:5]
	s_waitcnt lgkmcnt(0)
	; wave barrier
	buffer_load_dword v98, off, s[0:3], 0 offset:376
	buffer_load_dword v99, off, s[0:3], 0 offset:380
	v_cmp_ne_u32_e32 vcc, 47, v0
	s_waitcnt vmcnt(0)
	ds_write_b64 v100, v[98:99]
	s_waitcnt lgkmcnt(0)
	; wave barrier
	s_waitcnt lgkmcnt(0)
	s_and_saveexec_b64 s[4:5], vcc
	s_cbranch_execz .LBB47_197
; %bb.194:
	v_add_u32_e32 v100, 0x180, v1
	v_add_u32_e32 v1, 0, v1
	s_mov_b64 s[6:7], 0
	v_pk_mov_b32 v[98:99], 0, 0
.LBB47_195:                             ; =>This Inner Loop Header: Depth=1
	buffer_load_dword v102, v1, s[0:3], 0 offen
	buffer_load_dword v103, v1, s[0:3], 0 offen offset:4
	ds_read_b64 v[104:105], v100
	v_add_u32_e32 v101, 1, v101
	v_cmp_lt_u32_e32 vcc, 45, v101
	v_add_u32_e32 v100, 8, v100
	v_add_u32_e32 v1, 8, v1
	s_or_b64 s[6:7], vcc, s[6:7]
	s_waitcnt vmcnt(0) lgkmcnt(0)
	v_fmac_f64_e32 v[98:99], v[102:103], v[104:105]
	s_andn2_b64 exec, exec, s[6:7]
	s_cbranch_execnz .LBB47_195
; %bb.196:
	s_or_b64 exec, exec, s[6:7]
	v_mov_b32_e32 v1, 0
	ds_read_b64 v[100:101], v1 offset:376
	s_waitcnt lgkmcnt(0)
	v_mul_f64 v[98:99], v[98:99], v[100:101]
	buffer_store_dword v99, off, s[0:3], 0 offset:380
	buffer_store_dword v98, off, s[0:3], 0 offset:376
.LBB47_197:
	s_or_b64 exec, exec, s[4:5]
	s_mov_b64 s[6:7], -1
	s_waitcnt lgkmcnt(0)
	; wave barrier
.LBB47_198:
	s_and_b64 vcc, exec, s[6:7]
	s_cbranch_vccz .LBB47_200
; %bb.199:
	s_lshl_b64 s[4:5], s[8:9], 2
	s_add_u32 s4, s14, s4
	s_addc_u32 s5, s15, s5
	v_mov_b32_e32 v1, 0
	global_load_dword v1, v1, s[4:5]
	s_waitcnt vmcnt(0)
	v_cmp_ne_u32_e32 vcc, 0, v1
	s_cbranch_vccz .LBB47_201
.LBB47_200:
	s_endpgm
.LBB47_201:
	v_mov_b32_e32 v1, 0x180
	v_lshl_add_u32 v1, v0, 3, v1
	v_cmp_eq_u32_e32 vcc, 47, v0
	s_and_saveexec_b64 s[4:5], vcc
	s_cbranch_execz .LBB47_203
; %bb.202:
	buffer_load_dword v98, off, s[0:3], 0 offset:368
	buffer_load_dword v99, off, s[0:3], 0 offset:372
	v_mov_b32_e32 v100, 0
	buffer_store_dword v100, off, s[0:3], 0 offset:368
	buffer_store_dword v100, off, s[0:3], 0 offset:372
	s_waitcnt vmcnt(2)
	ds_write_b64 v1, v[98:99]
.LBB47_203:
	s_or_b64 exec, exec, s[4:5]
	s_waitcnt lgkmcnt(0)
	; wave barrier
	s_waitcnt lgkmcnt(0)
	buffer_load_dword v100, off, s[0:3], 0 offset:376
	buffer_load_dword v101, off, s[0:3], 0 offset:380
	;; [unrolled: 1-line block ×4, first 2 shown]
	v_mov_b32_e32 v98, 0
	ds_read_b64 v[104:105], v98 offset:760
	v_cmp_lt_u32_e32 vcc, 45, v0
	s_waitcnt vmcnt(2) lgkmcnt(0)
	v_fma_f64 v[100:101], v[100:101], v[104:105], 0
	s_waitcnt vmcnt(0)
	v_add_f64 v[100:101], v[102:103], -v[100:101]
	buffer_store_dword v100, off, s[0:3], 0 offset:368
	buffer_store_dword v101, off, s[0:3], 0 offset:372
	s_and_saveexec_b64 s[4:5], vcc
	s_cbranch_execz .LBB47_205
; %bb.204:
	buffer_load_dword v100, off, s[0:3], 0 offset:360
	buffer_load_dword v101, off, s[0:3], 0 offset:364
	s_waitcnt vmcnt(0)
	ds_write_b64 v1, v[100:101]
	buffer_store_dword v98, off, s[0:3], 0 offset:360
	buffer_store_dword v98, off, s[0:3], 0 offset:364
.LBB47_205:
	s_or_b64 exec, exec, s[4:5]
	s_waitcnt lgkmcnt(0)
	; wave barrier
	s_waitcnt lgkmcnt(0)
	buffer_load_dword v102, off, s[0:3], 0 offset:368
	buffer_load_dword v103, off, s[0:3], 0 offset:372
	;; [unrolled: 1-line block ×6, first 2 shown]
	ds_read_b128 v[98:101], v98 offset:752
	v_cmp_lt_u32_e32 vcc, 44, v0
	s_waitcnt vmcnt(4) lgkmcnt(0)
	v_fma_f64 v[98:99], v[102:103], v[98:99], 0
	s_waitcnt vmcnt(2)
	v_fmac_f64_e32 v[98:99], v[104:105], v[100:101]
	s_waitcnt vmcnt(0)
	v_add_f64 v[98:99], v[106:107], -v[98:99]
	buffer_store_dword v98, off, s[0:3], 0 offset:360
	buffer_store_dword v99, off, s[0:3], 0 offset:364
	s_and_saveexec_b64 s[4:5], vcc
	s_cbranch_execz .LBB47_207
; %bb.206:
	buffer_load_dword v98, off, s[0:3], 0 offset:352
	buffer_load_dword v99, off, s[0:3], 0 offset:356
	v_mov_b32_e32 v100, 0
	buffer_store_dword v100, off, s[0:3], 0 offset:352
	buffer_store_dword v100, off, s[0:3], 0 offset:356
	s_waitcnt vmcnt(2)
	ds_write_b64 v1, v[98:99]
.LBB47_207:
	s_or_b64 exec, exec, s[4:5]
	s_waitcnt lgkmcnt(0)
	; wave barrier
	s_waitcnt lgkmcnt(0)
	buffer_load_dword v104, off, s[0:3], 0 offset:360
	buffer_load_dword v105, off, s[0:3], 0 offset:364
	;; [unrolled: 1-line block ×8, first 2 shown]
	v_mov_b32_e32 v98, 0
	ds_read2_b64 v[100:103], v98 offset0:93 offset1:94
	ds_read_b64 v[112:113], v98 offset:760
	v_cmp_lt_u32_e32 vcc, 43, v0
	s_waitcnt vmcnt(6) lgkmcnt(1)
	v_fma_f64 v[100:101], v[104:105], v[100:101], 0
	s_waitcnt vmcnt(4)
	v_fmac_f64_e32 v[100:101], v[106:107], v[102:103]
	s_waitcnt vmcnt(2) lgkmcnt(0)
	v_fmac_f64_e32 v[100:101], v[108:109], v[112:113]
	s_waitcnt vmcnt(0)
	v_add_f64 v[100:101], v[110:111], -v[100:101]
	buffer_store_dword v100, off, s[0:3], 0 offset:352
	buffer_store_dword v101, off, s[0:3], 0 offset:356
	s_and_saveexec_b64 s[4:5], vcc
	s_cbranch_execz .LBB47_209
; %bb.208:
	buffer_load_dword v100, off, s[0:3], 0 offset:344
	buffer_load_dword v101, off, s[0:3], 0 offset:348
	s_waitcnt vmcnt(0)
	ds_write_b64 v1, v[100:101]
	buffer_store_dword v98, off, s[0:3], 0 offset:344
	buffer_store_dword v98, off, s[0:3], 0 offset:348
.LBB47_209:
	s_or_b64 exec, exec, s[4:5]
	s_waitcnt lgkmcnt(0)
	; wave barrier
	s_waitcnt lgkmcnt(0)
	buffer_load_dword v108, off, s[0:3], 0 offset:352
	buffer_load_dword v109, off, s[0:3], 0 offset:356
	;; [unrolled: 1-line block ×10, first 2 shown]
	ds_read_b128 v[100:103], v98 offset:736
	ds_read_b128 v[104:107], v98 offset:752
	v_cmp_lt_u32_e32 vcc, 42, v0
	s_waitcnt vmcnt(8) lgkmcnt(1)
	v_fma_f64 v[98:99], v[108:109], v[100:101], 0
	s_waitcnt vmcnt(6)
	v_fmac_f64_e32 v[98:99], v[110:111], v[102:103]
	s_waitcnt vmcnt(4) lgkmcnt(0)
	v_fmac_f64_e32 v[98:99], v[112:113], v[104:105]
	s_waitcnt vmcnt(2)
	v_fmac_f64_e32 v[98:99], v[114:115], v[106:107]
	s_waitcnt vmcnt(0)
	v_add_f64 v[98:99], v[116:117], -v[98:99]
	buffer_store_dword v98, off, s[0:3], 0 offset:344
	buffer_store_dword v99, off, s[0:3], 0 offset:348
	s_and_saveexec_b64 s[4:5], vcc
	s_cbranch_execz .LBB47_211
; %bb.210:
	buffer_load_dword v98, off, s[0:3], 0 offset:336
	buffer_load_dword v99, off, s[0:3], 0 offset:340
	v_mov_b32_e32 v100, 0
	buffer_store_dword v100, off, s[0:3], 0 offset:336
	buffer_store_dword v100, off, s[0:3], 0 offset:340
	s_waitcnt vmcnt(2)
	ds_write_b64 v1, v[98:99]
.LBB47_211:
	s_or_b64 exec, exec, s[4:5]
	s_waitcnt lgkmcnt(0)
	; wave barrier
	s_waitcnt lgkmcnt(0)
	buffer_load_dword v108, off, s[0:3], 0 offset:344
	buffer_load_dword v109, off, s[0:3], 0 offset:348
	;; [unrolled: 1-line block ×12, first 2 shown]
	v_mov_b32_e32 v98, 0
	ds_read2_b64 v[100:103], v98 offset0:91 offset1:92
	ds_read2_b64 v[104:107], v98 offset0:93 offset1:94
	ds_read_b64 v[120:121], v98 offset:760
	v_cmp_lt_u32_e32 vcc, 41, v0
	s_waitcnt vmcnt(10) lgkmcnt(2)
	v_fma_f64 v[100:101], v[108:109], v[100:101], 0
	s_waitcnt vmcnt(8)
	v_fmac_f64_e32 v[100:101], v[110:111], v[102:103]
	s_waitcnt vmcnt(6) lgkmcnt(1)
	v_fmac_f64_e32 v[100:101], v[112:113], v[104:105]
	s_waitcnt vmcnt(4)
	v_fmac_f64_e32 v[100:101], v[114:115], v[106:107]
	s_waitcnt vmcnt(2) lgkmcnt(0)
	v_fmac_f64_e32 v[100:101], v[116:117], v[120:121]
	s_waitcnt vmcnt(0)
	v_add_f64 v[100:101], v[118:119], -v[100:101]
	buffer_store_dword v100, off, s[0:3], 0 offset:336
	buffer_store_dword v101, off, s[0:3], 0 offset:340
	s_and_saveexec_b64 s[4:5], vcc
	s_cbranch_execz .LBB47_213
; %bb.212:
	buffer_load_dword v100, off, s[0:3], 0 offset:328
	buffer_load_dword v101, off, s[0:3], 0 offset:332
	s_waitcnt vmcnt(0)
	ds_write_b64 v1, v[100:101]
	buffer_store_dword v98, off, s[0:3], 0 offset:328
	buffer_store_dword v98, off, s[0:3], 0 offset:332
.LBB47_213:
	s_or_b64 exec, exec, s[4:5]
	s_waitcnt lgkmcnt(0)
	; wave barrier
	s_waitcnt lgkmcnt(0)
	buffer_load_dword v112, off, s[0:3], 0 offset:336
	buffer_load_dword v113, off, s[0:3], 0 offset:340
	;; [unrolled: 1-line block ×14, first 2 shown]
	ds_read_b128 v[100:103], v98 offset:720
	ds_read_b128 v[104:107], v98 offset:736
	;; [unrolled: 1-line block ×3, first 2 shown]
	v_cmp_lt_u32_e32 vcc, 40, v0
	s_waitcnt vmcnt(12) lgkmcnt(2)
	v_fma_f64 v[98:99], v[112:113], v[100:101], 0
	s_waitcnt vmcnt(10)
	v_fmac_f64_e32 v[98:99], v[114:115], v[102:103]
	s_waitcnt vmcnt(8) lgkmcnt(1)
	v_fmac_f64_e32 v[98:99], v[116:117], v[104:105]
	s_waitcnt vmcnt(6)
	v_fmac_f64_e32 v[98:99], v[118:119], v[106:107]
	s_waitcnt vmcnt(4) lgkmcnt(0)
	v_fmac_f64_e32 v[98:99], v[120:121], v[108:109]
	s_waitcnt vmcnt(2)
	v_fmac_f64_e32 v[98:99], v[122:123], v[110:111]
	s_waitcnt vmcnt(0)
	v_add_f64 v[98:99], v[124:125], -v[98:99]
	buffer_store_dword v98, off, s[0:3], 0 offset:328
	buffer_store_dword v99, off, s[0:3], 0 offset:332
	s_and_saveexec_b64 s[4:5], vcc
	s_cbranch_execz .LBB47_215
; %bb.214:
	buffer_load_dword v98, off, s[0:3], 0 offset:320
	buffer_load_dword v99, off, s[0:3], 0 offset:324
	v_mov_b32_e32 v100, 0
	buffer_store_dword v100, off, s[0:3], 0 offset:320
	buffer_store_dword v100, off, s[0:3], 0 offset:324
	s_waitcnt vmcnt(2)
	ds_write_b64 v1, v[98:99]
.LBB47_215:
	s_or_b64 exec, exec, s[4:5]
	s_waitcnt lgkmcnt(0)
	; wave barrier
	s_waitcnt lgkmcnt(0)
	buffer_load_dword v104, off, s[0:3], 0 offset:320
	buffer_load_dword v105, off, s[0:3], 0 offset:324
	;; [unrolled: 1-line block ×16, first 2 shown]
	v_mov_b32_e32 v98, 0
	ds_read2_b64 v[100:103], v98 offset0:89 offset1:90
	v_cmp_lt_u32_e32 vcc, 39, v0
	s_waitcnt vmcnt(12) lgkmcnt(0)
	v_fma_f64 v[106:107], v[106:107], v[100:101], 0
	s_waitcnt vmcnt(10)
	v_fmac_f64_e32 v[106:107], v[108:109], v[102:103]
	ds_read2_b64 v[100:103], v98 offset0:91 offset1:92
	s_waitcnt vmcnt(8) lgkmcnt(0)
	v_fmac_f64_e32 v[106:107], v[110:111], v[100:101]
	s_waitcnt vmcnt(6)
	v_fmac_f64_e32 v[106:107], v[112:113], v[102:103]
	ds_read2_b64 v[100:103], v98 offset0:93 offset1:94
	s_waitcnt vmcnt(4) lgkmcnt(0)
	v_fmac_f64_e32 v[106:107], v[114:115], v[100:101]
	ds_read_b64 v[100:101], v98 offset:760
	s_waitcnt vmcnt(2)
	v_fmac_f64_e32 v[106:107], v[116:117], v[102:103]
	s_waitcnt vmcnt(0) lgkmcnt(0)
	v_fmac_f64_e32 v[106:107], v[118:119], v[100:101]
	v_add_f64 v[100:101], v[104:105], -v[106:107]
	buffer_store_dword v100, off, s[0:3], 0 offset:320
	buffer_store_dword v101, off, s[0:3], 0 offset:324
	s_and_saveexec_b64 s[4:5], vcc
	s_cbranch_execz .LBB47_217
; %bb.216:
	buffer_load_dword v100, off, s[0:3], 0 offset:312
	buffer_load_dword v101, off, s[0:3], 0 offset:316
	s_waitcnt vmcnt(0)
	ds_write_b64 v1, v[100:101]
	buffer_store_dword v98, off, s[0:3], 0 offset:312
	buffer_store_dword v98, off, s[0:3], 0 offset:316
.LBB47_217:
	s_or_b64 exec, exec, s[4:5]
	s_waitcnt lgkmcnt(0)
	; wave barrier
	s_waitcnt lgkmcnt(0)
	buffer_load_dword v116, off, s[0:3], 0 offset:320
	buffer_load_dword v117, off, s[0:3], 0 offset:324
	;; [unrolled: 1-line block ×18, first 2 shown]
	ds_read_b128 v[100:103], v98 offset:704
	ds_read_b128 v[104:107], v98 offset:720
	;; [unrolled: 1-line block ×4, first 2 shown]
	v_cmp_lt_u32_e32 vcc, 38, v0
	s_waitcnt vmcnt(16) lgkmcnt(3)
	v_fma_f64 v[98:99], v[116:117], v[100:101], 0
	s_waitcnt vmcnt(14)
	v_fmac_f64_e32 v[98:99], v[118:119], v[102:103]
	s_waitcnt vmcnt(12) lgkmcnt(2)
	v_fmac_f64_e32 v[98:99], v[120:121], v[104:105]
	s_waitcnt vmcnt(10)
	v_fmac_f64_e32 v[98:99], v[122:123], v[106:107]
	s_waitcnt vmcnt(8) lgkmcnt(1)
	v_fmac_f64_e32 v[98:99], v[124:125], v[108:109]
	;; [unrolled: 4-line block ×3, first 2 shown]
	s_waitcnt vmcnt(2)
	v_fmac_f64_e32 v[98:99], v[130:131], v[114:115]
	s_waitcnt vmcnt(0)
	v_add_f64 v[98:99], v[132:133], -v[98:99]
	buffer_store_dword v98, off, s[0:3], 0 offset:312
	buffer_store_dword v99, off, s[0:3], 0 offset:316
	s_and_saveexec_b64 s[4:5], vcc
	s_cbranch_execz .LBB47_219
; %bb.218:
	buffer_load_dword v98, off, s[0:3], 0 offset:304
	buffer_load_dword v99, off, s[0:3], 0 offset:308
	v_mov_b32_e32 v100, 0
	buffer_store_dword v100, off, s[0:3], 0 offset:304
	buffer_store_dword v100, off, s[0:3], 0 offset:308
	s_waitcnt vmcnt(2)
	ds_write_b64 v1, v[98:99]
.LBB47_219:
	s_or_b64 exec, exec, s[4:5]
	s_waitcnt lgkmcnt(0)
	; wave barrier
	s_waitcnt lgkmcnt(0)
	buffer_load_dword v116, off, s[0:3], 0 offset:312
	buffer_load_dword v117, off, s[0:3], 0 offset:316
	;; [unrolled: 1-line block ×20, first 2 shown]
	v_mov_b32_e32 v98, 0
	ds_read2_b64 v[100:103], v98 offset0:87 offset1:88
	ds_read2_b64 v[104:107], v98 offset0:89 offset1:90
	;; [unrolled: 1-line block ×4, first 2 shown]
	ds_read_b64 v[136:137], v98 offset:760
	v_cmp_lt_u32_e32 vcc, 37, v0
	s_waitcnt vmcnt(18) lgkmcnt(4)
	v_fma_f64 v[100:101], v[116:117], v[100:101], 0
	s_waitcnt vmcnt(16)
	v_fmac_f64_e32 v[100:101], v[118:119], v[102:103]
	s_waitcnt vmcnt(14) lgkmcnt(3)
	v_fmac_f64_e32 v[100:101], v[120:121], v[104:105]
	s_waitcnt vmcnt(12)
	v_fmac_f64_e32 v[100:101], v[122:123], v[106:107]
	s_waitcnt vmcnt(10) lgkmcnt(2)
	v_fmac_f64_e32 v[100:101], v[124:125], v[108:109]
	;; [unrolled: 4-line block ×3, first 2 shown]
	s_waitcnt vmcnt(2)
	v_fmac_f64_e32 v[100:101], v[132:133], v[114:115]
	s_waitcnt lgkmcnt(0)
	v_fmac_f64_e32 v[100:101], v[130:131], v[136:137]
	s_waitcnt vmcnt(0)
	v_add_f64 v[100:101], v[134:135], -v[100:101]
	buffer_store_dword v100, off, s[0:3], 0 offset:304
	buffer_store_dword v101, off, s[0:3], 0 offset:308
	s_and_saveexec_b64 s[4:5], vcc
	s_cbranch_execz .LBB47_221
; %bb.220:
	buffer_load_dword v100, off, s[0:3], 0 offset:296
	buffer_load_dword v101, off, s[0:3], 0 offset:300
	s_waitcnt vmcnt(0)
	ds_write_b64 v1, v[100:101]
	buffer_store_dword v98, off, s[0:3], 0 offset:296
	buffer_store_dword v98, off, s[0:3], 0 offset:300
.LBB47_221:
	s_or_b64 exec, exec, s[4:5]
	s_waitcnt lgkmcnt(0)
	; wave barrier
	s_waitcnt lgkmcnt(0)
	buffer_load_dword v120, off, s[0:3], 0 offset:304
	buffer_load_dword v121, off, s[0:3], 0 offset:308
	;; [unrolled: 1-line block ×22, first 2 shown]
	ds_read_b128 v[100:103], v98 offset:688
	ds_read_b128 v[104:107], v98 offset:704
	;; [unrolled: 1-line block ×5, first 2 shown]
	v_cmp_lt_u32_e32 vcc, 36, v0
	s_waitcnt vmcnt(20) lgkmcnt(4)
	v_fma_f64 v[98:99], v[120:121], v[100:101], 0
	s_waitcnt vmcnt(18)
	v_fmac_f64_e32 v[98:99], v[122:123], v[102:103]
	s_waitcnt vmcnt(16) lgkmcnt(3)
	v_fmac_f64_e32 v[98:99], v[124:125], v[104:105]
	s_waitcnt vmcnt(14)
	v_fmac_f64_e32 v[98:99], v[126:127], v[106:107]
	s_waitcnt vmcnt(12) lgkmcnt(2)
	v_fmac_f64_e32 v[98:99], v[128:129], v[108:109]
	;; [unrolled: 4-line block ×3, first 2 shown]
	s_waitcnt vmcnt(3)
	v_fmac_f64_e32 v[98:99], v[138:139], v[114:115]
	s_waitcnt lgkmcnt(0)
	v_fmac_f64_e32 v[98:99], v[136:137], v[116:117]
	s_waitcnt vmcnt(2)
	v_fmac_f64_e32 v[98:99], v[134:135], v[118:119]
	s_waitcnt vmcnt(0)
	v_add_f64 v[98:99], v[140:141], -v[98:99]
	buffer_store_dword v98, off, s[0:3], 0 offset:296
	buffer_store_dword v99, off, s[0:3], 0 offset:300
	s_and_saveexec_b64 s[4:5], vcc
	s_cbranch_execz .LBB47_223
; %bb.222:
	buffer_load_dword v98, off, s[0:3], 0 offset:288
	buffer_load_dword v99, off, s[0:3], 0 offset:292
	v_mov_b32_e32 v100, 0
	buffer_store_dword v100, off, s[0:3], 0 offset:288
	buffer_store_dword v100, off, s[0:3], 0 offset:292
	s_waitcnt vmcnt(2)
	ds_write_b64 v1, v[98:99]
.LBB47_223:
	s_or_b64 exec, exec, s[4:5]
	s_waitcnt lgkmcnt(0)
	; wave barrier
	s_waitcnt lgkmcnt(0)
	buffer_load_dword v120, off, s[0:3], 0 offset:296
	buffer_load_dword v121, off, s[0:3], 0 offset:300
	buffer_load_dword v122, off, s[0:3], 0 offset:304
	buffer_load_dword v123, off, s[0:3], 0 offset:308
	buffer_load_dword v124, off, s[0:3], 0 offset:312
	buffer_load_dword v125, off, s[0:3], 0 offset:316
	buffer_load_dword v126, off, s[0:3], 0 offset:320
	buffer_load_dword v127, off, s[0:3], 0 offset:324
	buffer_load_dword v128, off, s[0:3], 0 offset:328
	buffer_load_dword v129, off, s[0:3], 0 offset:332
	buffer_load_dword v130, off, s[0:3], 0 offset:336
	buffer_load_dword v131, off, s[0:3], 0 offset:340
	buffer_load_dword v132, off, s[0:3], 0 offset:344
	buffer_load_dword v133, off, s[0:3], 0 offset:348
	buffer_load_dword v134, off, s[0:3], 0 offset:376
	buffer_load_dword v136, off, s[0:3], 0 offset:368
	buffer_load_dword v139, off, s[0:3], 0 offset:364
	buffer_load_dword v138, off, s[0:3], 0 offset:360
	buffer_load_dword v141, off, s[0:3], 0 offset:356
	buffer_load_dword v140, off, s[0:3], 0 offset:352
	buffer_load_dword v137, off, s[0:3], 0 offset:372
	buffer_load_dword v135, off, s[0:3], 0 offset:380
	buffer_load_dword v142, off, s[0:3], 0 offset:288
	buffer_load_dword v143, off, s[0:3], 0 offset:292
	v_mov_b32_e32 v98, 0
	ds_read2_b64 v[100:103], v98 offset0:85 offset1:86
	ds_read2_b64 v[104:107], v98 offset0:87 offset1:88
	;; [unrolled: 1-line block ×5, first 2 shown]
	ds_read_b64 v[144:145], v98 offset:760
	v_cmp_lt_u32_e32 vcc, 35, v0
	s_waitcnt vmcnt(22) lgkmcnt(5)
	v_fma_f64 v[100:101], v[120:121], v[100:101], 0
	s_waitcnt vmcnt(20)
	v_fmac_f64_e32 v[100:101], v[122:123], v[102:103]
	s_waitcnt vmcnt(18) lgkmcnt(4)
	v_fmac_f64_e32 v[100:101], v[124:125], v[104:105]
	s_waitcnt vmcnt(16)
	v_fmac_f64_e32 v[100:101], v[126:127], v[106:107]
	s_waitcnt vmcnt(14) lgkmcnt(3)
	v_fmac_f64_e32 v[100:101], v[128:129], v[108:109]
	;; [unrolled: 4-line block ×3, first 2 shown]
	s_waitcnt vmcnt(4)
	v_fmac_f64_e32 v[100:101], v[140:141], v[114:115]
	s_waitcnt lgkmcnt(1)
	v_fmac_f64_e32 v[100:101], v[138:139], v[116:117]
	s_waitcnt vmcnt(3)
	v_fmac_f64_e32 v[100:101], v[136:137], v[118:119]
	s_waitcnt vmcnt(2) lgkmcnt(0)
	v_fmac_f64_e32 v[100:101], v[134:135], v[144:145]
	s_waitcnt vmcnt(0)
	v_add_f64 v[100:101], v[142:143], -v[100:101]
	buffer_store_dword v101, off, s[0:3], 0 offset:292
	buffer_store_dword v100, off, s[0:3], 0 offset:288
	s_and_saveexec_b64 s[4:5], vcc
	s_cbranch_execz .LBB47_225
; %bb.224:
	buffer_load_dword v100, off, s[0:3], 0 offset:280
	buffer_load_dword v101, off, s[0:3], 0 offset:284
	s_waitcnt vmcnt(0)
	ds_write_b64 v1, v[100:101]
	buffer_store_dword v98, off, s[0:3], 0 offset:280
	buffer_store_dword v98, off, s[0:3], 0 offset:284
.LBB47_225:
	s_or_b64 exec, exec, s[4:5]
	s_waitcnt lgkmcnt(0)
	; wave barrier
	s_waitcnt lgkmcnt(0)
	buffer_load_dword v124, off, s[0:3], 0 offset:288
	buffer_load_dword v125, off, s[0:3], 0 offset:292
	;; [unrolled: 1-line block ×26, first 2 shown]
	ds_read_b128 v[100:103], v98 offset:672
	ds_read_b128 v[104:107], v98 offset:688
	;; [unrolled: 1-line block ×6, first 2 shown]
	v_cmp_lt_u32_e32 vcc, 34, v0
	s_waitcnt vmcnt(24) lgkmcnt(5)
	v_fma_f64 v[98:99], v[124:125], v[100:101], 0
	s_waitcnt vmcnt(22)
	v_fmac_f64_e32 v[98:99], v[126:127], v[102:103]
	s_waitcnt vmcnt(20) lgkmcnt(4)
	v_fmac_f64_e32 v[98:99], v[128:129], v[104:105]
	s_waitcnt vmcnt(18)
	v_fmac_f64_e32 v[98:99], v[130:131], v[106:107]
	s_waitcnt vmcnt(16) lgkmcnt(3)
	v_fmac_f64_e32 v[98:99], v[132:133], v[108:109]
	;; [unrolled: 4-line block ×3, first 2 shown]
	s_waitcnt vmcnt(5)
	v_fmac_f64_e32 v[98:99], v[144:145], v[114:115]
	s_waitcnt lgkmcnt(1)
	v_fmac_f64_e32 v[98:99], v[142:143], v[116:117]
	v_fmac_f64_e32 v[98:99], v[140:141], v[118:119]
	s_waitcnt vmcnt(4) lgkmcnt(0)
	v_fmac_f64_e32 v[98:99], v[138:139], v[120:121]
	s_waitcnt vmcnt(2)
	v_fmac_f64_e32 v[98:99], v[146:147], v[122:123]
	s_waitcnt vmcnt(0)
	v_add_f64 v[98:99], v[148:149], -v[98:99]
	buffer_store_dword v99, off, s[0:3], 0 offset:284
	buffer_store_dword v98, off, s[0:3], 0 offset:280
	s_and_saveexec_b64 s[4:5], vcc
	s_cbranch_execz .LBB47_227
; %bb.226:
	buffer_load_dword v98, off, s[0:3], 0 offset:272
	buffer_load_dword v99, off, s[0:3], 0 offset:276
	v_mov_b32_e32 v100, 0
	buffer_store_dword v100, off, s[0:3], 0 offset:272
	buffer_store_dword v100, off, s[0:3], 0 offset:276
	s_waitcnt vmcnt(2)
	ds_write_b64 v1, v[98:99]
.LBB47_227:
	s_or_b64 exec, exec, s[4:5]
	s_waitcnt lgkmcnt(0)
	; wave barrier
	s_waitcnt lgkmcnt(0)
	buffer_load_dword v124, off, s[0:3], 0 offset:280
	buffer_load_dword v125, off, s[0:3], 0 offset:284
	;; [unrolled: 1-line block ×28, first 2 shown]
	v_mov_b32_e32 v98, 0
	ds_read2_b64 v[100:103], v98 offset0:83 offset1:84
	ds_read2_b64 v[104:107], v98 offset0:85 offset1:86
	ds_read2_b64 v[108:111], v98 offset0:87 offset1:88
	ds_read2_b64 v[112:115], v98 offset0:89 offset1:90
	ds_read2_b64 v[116:119], v98 offset0:91 offset1:92
	ds_read2_b64 v[120:123], v98 offset0:93 offset1:94
	ds_read_b64 v[152:153], v98 offset:760
	v_cmp_lt_u32_e32 vcc, 33, v0
	s_waitcnt vmcnt(26) lgkmcnt(6)
	v_fma_f64 v[100:101], v[124:125], v[100:101], 0
	s_waitcnt vmcnt(24)
	v_fmac_f64_e32 v[100:101], v[126:127], v[102:103]
	s_waitcnt vmcnt(22) lgkmcnt(5)
	v_fmac_f64_e32 v[100:101], v[128:129], v[104:105]
	s_waitcnt vmcnt(20)
	v_fmac_f64_e32 v[100:101], v[130:131], v[106:107]
	s_waitcnt vmcnt(18) lgkmcnt(4)
	v_fmac_f64_e32 v[100:101], v[132:133], v[108:109]
	;; [unrolled: 4-line block ×3, first 2 shown]
	s_waitcnt vmcnt(6)
	v_fmac_f64_e32 v[100:101], v[144:145], v[114:115]
	s_waitcnt lgkmcnt(2)
	v_fmac_f64_e32 v[100:101], v[142:143], v[116:117]
	v_fmac_f64_e32 v[100:101], v[140:141], v[118:119]
	s_waitcnt lgkmcnt(1)
	v_fmac_f64_e32 v[100:101], v[138:139], v[120:121]
	s_waitcnt vmcnt(2)
	v_fmac_f64_e32 v[100:101], v[148:149], v[122:123]
	s_waitcnt lgkmcnt(0)
	v_fmac_f64_e32 v[100:101], v[146:147], v[152:153]
	s_waitcnt vmcnt(0)
	v_add_f64 v[100:101], v[150:151], -v[100:101]
	buffer_store_dword v101, off, s[0:3], 0 offset:276
	buffer_store_dword v100, off, s[0:3], 0 offset:272
	s_and_saveexec_b64 s[4:5], vcc
	s_cbranch_execz .LBB47_229
; %bb.228:
	buffer_load_dword v100, off, s[0:3], 0 offset:264
	buffer_load_dword v101, off, s[0:3], 0 offset:268
	s_waitcnt vmcnt(0)
	ds_write_b64 v1, v[100:101]
	buffer_store_dword v98, off, s[0:3], 0 offset:264
	buffer_store_dword v98, off, s[0:3], 0 offset:268
.LBB47_229:
	s_or_b64 exec, exec, s[4:5]
	s_waitcnt lgkmcnt(0)
	; wave barrier
	s_waitcnt lgkmcnt(0)
	buffer_load_dword v128, off, s[0:3], 0 offset:272
	buffer_load_dword v129, off, s[0:3], 0 offset:276
	;; [unrolled: 1-line block ×30, first 2 shown]
	ds_read_b128 v[100:103], v98 offset:656
	ds_read_b128 v[104:107], v98 offset:672
	;; [unrolled: 1-line block ×7, first 2 shown]
	v_cmp_lt_u32_e32 vcc, 32, v0
	s_waitcnt vmcnt(28) lgkmcnt(6)
	v_fma_f64 v[98:99], v[128:129], v[100:101], 0
	s_waitcnt vmcnt(26)
	v_fmac_f64_e32 v[98:99], v[130:131], v[102:103]
	s_waitcnt vmcnt(24) lgkmcnt(5)
	v_fmac_f64_e32 v[98:99], v[132:133], v[104:105]
	s_waitcnt vmcnt(22)
	v_fmac_f64_e32 v[98:99], v[134:135], v[106:107]
	s_waitcnt vmcnt(20) lgkmcnt(4)
	v_fmac_f64_e32 v[98:99], v[136:137], v[108:109]
	;; [unrolled: 4-line block ×3, first 2 shown]
	s_waitcnt vmcnt(8)
	v_fmac_f64_e32 v[98:99], v[148:149], v[114:115]
	s_waitcnt lgkmcnt(2)
	v_fmac_f64_e32 v[98:99], v[146:147], v[116:117]
	v_fmac_f64_e32 v[98:99], v[144:145], v[118:119]
	s_waitcnt lgkmcnt(1)
	v_fmac_f64_e32 v[98:99], v[142:143], v[120:121]
	s_waitcnt vmcnt(3)
	v_fmac_f64_e32 v[98:99], v[154:155], v[122:123]
	s_waitcnt lgkmcnt(0)
	v_fmac_f64_e32 v[98:99], v[152:153], v[124:125]
	s_waitcnt vmcnt(2)
	v_fmac_f64_e32 v[98:99], v[150:151], v[126:127]
	s_waitcnt vmcnt(0)
	v_add_f64 v[98:99], v[156:157], -v[98:99]
	buffer_store_dword v99, off, s[0:3], 0 offset:268
	buffer_store_dword v98, off, s[0:3], 0 offset:264
	s_and_saveexec_b64 s[4:5], vcc
	s_cbranch_execz .LBB47_231
; %bb.230:
	buffer_load_dword v98, off, s[0:3], 0 offset:256
	buffer_load_dword v99, off, s[0:3], 0 offset:260
	v_mov_b32_e32 v100, 0
	buffer_store_dword v100, off, s[0:3], 0 offset:256
	buffer_store_dword v100, off, s[0:3], 0 offset:260
	s_waitcnt vmcnt(2)
	ds_write_b64 v1, v[98:99]
.LBB47_231:
	s_or_b64 exec, exec, s[4:5]
	s_waitcnt lgkmcnt(0)
	; wave barrier
	s_waitcnt lgkmcnt(0)
	buffer_load_dword v128, off, s[0:3], 0 offset:264
	buffer_load_dword v129, off, s[0:3], 0 offset:268
	;; [unrolled: 1-line block ×32, first 2 shown]
	v_mov_b32_e32 v98, 0
	ds_read2_b64 v[100:103], v98 offset0:81 offset1:82
	ds_read2_b64 v[104:107], v98 offset0:83 offset1:84
	ds_read2_b64 v[108:111], v98 offset0:85 offset1:86
	ds_read2_b64 v[112:115], v98 offset0:87 offset1:88
	ds_read2_b64 v[116:119], v98 offset0:89 offset1:90
	ds_read2_b64 v[120:123], v98 offset0:91 offset1:92
	ds_read2_b64 v[124:127], v98 offset0:93 offset1:94
	ds_read_b64 v[160:161], v98 offset:760
	v_cmp_lt_u32_e32 vcc, 31, v0
	s_waitcnt vmcnt(30) lgkmcnt(7)
	v_fma_f64 v[100:101], v[128:129], v[100:101], 0
	s_waitcnt vmcnt(28)
	v_fmac_f64_e32 v[100:101], v[130:131], v[102:103]
	s_waitcnt vmcnt(26) lgkmcnt(6)
	v_fmac_f64_e32 v[100:101], v[132:133], v[104:105]
	s_waitcnt vmcnt(24)
	v_fmac_f64_e32 v[100:101], v[134:135], v[106:107]
	s_waitcnt vmcnt(22) lgkmcnt(5)
	v_fmac_f64_e32 v[100:101], v[136:137], v[108:109]
	;; [unrolled: 4-line block ×3, first 2 shown]
	s_waitcnt vmcnt(10)
	v_fmac_f64_e32 v[100:101], v[148:149], v[114:115]
	s_waitcnt lgkmcnt(3)
	v_fmac_f64_e32 v[100:101], v[146:147], v[116:117]
	v_fmac_f64_e32 v[100:101], v[144:145], v[118:119]
	s_waitcnt lgkmcnt(2)
	v_fmac_f64_e32 v[100:101], v[142:143], v[120:121]
	s_waitcnt vmcnt(4)
	v_fmac_f64_e32 v[100:101], v[156:157], v[122:123]
	s_waitcnt lgkmcnt(1)
	v_fmac_f64_e32 v[100:101], v[154:155], v[124:125]
	s_waitcnt vmcnt(3)
	v_fmac_f64_e32 v[100:101], v[152:153], v[126:127]
	s_waitcnt vmcnt(2) lgkmcnt(0)
	v_fmac_f64_e32 v[100:101], v[150:151], v[160:161]
	s_waitcnt vmcnt(0)
	v_add_f64 v[100:101], v[158:159], -v[100:101]
	buffer_store_dword v101, off, s[0:3], 0 offset:260
	buffer_store_dword v100, off, s[0:3], 0 offset:256
	s_and_saveexec_b64 s[4:5], vcc
	s_cbranch_execz .LBB47_233
; %bb.232:
	buffer_load_dword v100, off, s[0:3], 0 offset:248
	buffer_load_dword v101, off, s[0:3], 0 offset:252
	s_waitcnt vmcnt(0)
	ds_write_b64 v1, v[100:101]
	buffer_store_dword v98, off, s[0:3], 0 offset:248
	buffer_store_dword v98, off, s[0:3], 0 offset:252
.LBB47_233:
	s_or_b64 exec, exec, s[4:5]
	s_waitcnt lgkmcnt(0)
	; wave barrier
	s_waitcnt lgkmcnt(0)
	buffer_load_dword v132, off, s[0:3], 0 offset:256
	buffer_load_dword v133, off, s[0:3], 0 offset:260
	;; [unrolled: 1-line block ×34, first 2 shown]
	ds_read_b128 v[100:103], v98 offset:640
	ds_read_b128 v[104:107], v98 offset:656
	;; [unrolled: 1-line block ×8, first 2 shown]
	v_cmp_lt_u32_e32 vcc, 30, v0
	s_waitcnt vmcnt(32) lgkmcnt(7)
	v_fma_f64 v[98:99], v[132:133], v[100:101], 0
	s_waitcnt vmcnt(30)
	v_fmac_f64_e32 v[98:99], v[134:135], v[102:103]
	s_waitcnt vmcnt(28) lgkmcnt(6)
	v_fmac_f64_e32 v[98:99], v[136:137], v[104:105]
	s_waitcnt vmcnt(26)
	v_fmac_f64_e32 v[98:99], v[138:139], v[106:107]
	s_waitcnt vmcnt(24) lgkmcnt(5)
	v_fmac_f64_e32 v[98:99], v[140:141], v[108:109]
	s_waitcnt vmcnt(22)
	v_fmac_f64_e32 v[98:99], v[142:143], v[110:111]
	s_waitcnt vmcnt(20) lgkmcnt(4)
	v_fmac_f64_e32 v[98:99], v[144:145], v[112:113]
	s_waitcnt vmcnt(12)
	v_fmac_f64_e32 v[98:99], v[152:153], v[114:115]
	s_waitcnt lgkmcnt(3)
	v_fmac_f64_e32 v[98:99], v[150:151], v[116:117]
	v_fmac_f64_e32 v[98:99], v[148:149], v[118:119]
	s_waitcnt lgkmcnt(2)
	v_fmac_f64_e32 v[98:99], v[146:147], v[120:121]
	s_waitcnt vmcnt(5)
	v_fmac_f64_e32 v[98:99], v[160:161], v[122:123]
	s_waitcnt lgkmcnt(1)
	v_fmac_f64_e32 v[98:99], v[158:159], v[124:125]
	v_fmac_f64_e32 v[98:99], v[156:157], v[126:127]
	s_waitcnt vmcnt(4) lgkmcnt(0)
	v_fmac_f64_e32 v[98:99], v[154:155], v[128:129]
	s_waitcnt vmcnt(2)
	v_fmac_f64_e32 v[98:99], v[162:163], v[130:131]
	s_waitcnt vmcnt(0)
	v_add_f64 v[98:99], v[164:165], -v[98:99]
	buffer_store_dword v99, off, s[0:3], 0 offset:252
	buffer_store_dword v98, off, s[0:3], 0 offset:248
	s_and_saveexec_b64 s[4:5], vcc
	s_cbranch_execz .LBB47_235
; %bb.234:
	buffer_load_dword v98, off, s[0:3], 0 offset:240
	buffer_load_dword v99, off, s[0:3], 0 offset:244
	v_mov_b32_e32 v100, 0
	buffer_store_dword v100, off, s[0:3], 0 offset:240
	buffer_store_dword v100, off, s[0:3], 0 offset:244
	s_waitcnt vmcnt(2)
	ds_write_b64 v1, v[98:99]
.LBB47_235:
	s_or_b64 exec, exec, s[4:5]
	s_waitcnt lgkmcnt(0)
	; wave barrier
	s_waitcnt lgkmcnt(0)
	buffer_load_dword v98, off, s[0:3], 0 offset:240
	buffer_load_dword v99, off, s[0:3], 0 offset:244
	;; [unrolled: 1-line block ×16, first 2 shown]
	v_mov_b32_e32 v102, 0
	ds_read2_b64 v[104:107], v102 offset0:79 offset1:80
	v_cmp_lt_u32_e32 vcc, 29, v0
	s_waitcnt vmcnt(12) lgkmcnt(0)
	v_fma_f64 v[100:101], v[100:101], v[104:105], 0
	s_waitcnt vmcnt(10)
	v_fmac_f64_e32 v[100:101], v[108:109], v[106:107]
	ds_read2_b64 v[104:107], v102 offset0:81 offset1:82
	s_waitcnt vmcnt(8) lgkmcnt(0)
	v_fmac_f64_e32 v[100:101], v[110:111], v[104:105]
	s_waitcnt vmcnt(6)
	v_fmac_f64_e32 v[100:101], v[112:113], v[106:107]
	ds_read2_b64 v[104:107], v102 offset0:83 offset1:84
	s_waitcnt vmcnt(4) lgkmcnt(0)
	v_fmac_f64_e32 v[100:101], v[114:115], v[104:105]
	;; [unrolled: 5-line block ×3, first 2 shown]
	buffer_load_dword v105, off, s[0:3], 0 offset:308
	buffer_load_dword v104, off, s[0:3], 0 offset:304
	buffer_load_dword v109, off, s[0:3], 0 offset:316
	buffer_load_dword v108, off, s[0:3], 0 offset:312
	s_waitcnt vmcnt(2)
	v_fmac_f64_e32 v[100:101], v[104:105], v[106:107]
	ds_read2_b64 v[104:107], v102 offset0:87 offset1:88
	s_waitcnt vmcnt(0) lgkmcnt(0)
	v_fmac_f64_e32 v[100:101], v[108:109], v[104:105]
	buffer_load_dword v105, off, s[0:3], 0 offset:324
	buffer_load_dword v104, off, s[0:3], 0 offset:320
	buffer_load_dword v109, off, s[0:3], 0 offset:332
	buffer_load_dword v108, off, s[0:3], 0 offset:328
	s_waitcnt vmcnt(2)
	v_fmac_f64_e32 v[100:101], v[104:105], v[106:107]
	ds_read2_b64 v[104:107], v102 offset0:89 offset1:90
	s_waitcnt vmcnt(0) lgkmcnt(0)
	v_fmac_f64_e32 v[100:101], v[108:109], v[104:105]
	;; [unrolled: 9-line block ×4, first 2 shown]
	buffer_load_dword v105, off, s[0:3], 0 offset:372
	buffer_load_dword v104, off, s[0:3], 0 offset:368
	s_waitcnt vmcnt(0)
	v_fmac_f64_e32 v[100:101], v[104:105], v[106:107]
	buffer_load_dword v105, off, s[0:3], 0 offset:380
	buffer_load_dword v104, off, s[0:3], 0 offset:376
	ds_read_b64 v[106:107], v102 offset:760
	s_waitcnt vmcnt(0) lgkmcnt(0)
	v_fmac_f64_e32 v[100:101], v[104:105], v[106:107]
	v_add_f64 v[98:99], v[98:99], -v[100:101]
	buffer_store_dword v99, off, s[0:3], 0 offset:244
	buffer_store_dword v98, off, s[0:3], 0 offset:240
	s_and_saveexec_b64 s[4:5], vcc
	s_cbranch_execz .LBB47_237
; %bb.236:
	buffer_load_dword v98, off, s[0:3], 0 offset:232
	buffer_load_dword v99, off, s[0:3], 0 offset:236
	s_waitcnt vmcnt(0)
	ds_write_b64 v1, v[98:99]
	buffer_store_dword v102, off, s[0:3], 0 offset:232
	buffer_store_dword v102, off, s[0:3], 0 offset:236
.LBB47_237:
	s_or_b64 exec, exec, s[4:5]
	s_waitcnt lgkmcnt(0)
	; wave barrier
	s_waitcnt lgkmcnt(0)
	buffer_load_dword v98, off, s[0:3], 0 offset:232
	buffer_load_dword v99, off, s[0:3], 0 offset:236
	;; [unrolled: 1-line block ×16, first 2 shown]
	ds_read_b128 v[104:107], v102 offset:624
	ds_read_b128 v[108:111], v102 offset:640
	;; [unrolled: 1-line block ×4, first 2 shown]
	v_cmp_lt_u32_e32 vcc, 28, v0
	s_waitcnt vmcnt(12) lgkmcnt(3)
	v_fma_f64 v[100:101], v[100:101], v[104:105], 0
	buffer_load_dword v105, off, s[0:3], 0 offset:300
	buffer_load_dword v104, off, s[0:3], 0 offset:296
	s_waitcnt vmcnt(12)
	v_fmac_f64_e32 v[100:101], v[120:121], v[106:107]
	s_waitcnt vmcnt(10) lgkmcnt(2)
	v_fmac_f64_e32 v[100:101], v[122:123], v[108:109]
	buffer_load_dword v109, off, s[0:3], 0 offset:308
	buffer_load_dword v108, off, s[0:3], 0 offset:304
	s_waitcnt vmcnt(10)
	v_fmac_f64_e32 v[100:101], v[124:125], v[110:111]
	s_waitcnt vmcnt(8) lgkmcnt(1)
	v_fmac_f64_e32 v[100:101], v[126:127], v[112:113]
	s_waitcnt vmcnt(6)
	v_fmac_f64_e32 v[100:101], v[128:129], v[114:115]
	s_waitcnt vmcnt(4) lgkmcnt(0)
	v_fmac_f64_e32 v[100:101], v[130:131], v[116:117]
	s_waitcnt vmcnt(2)
	v_fmac_f64_e32 v[100:101], v[104:105], v[118:119]
	ds_read_b128 v[104:107], v102 offset:688
	s_waitcnt vmcnt(0) lgkmcnt(0)
	v_fmac_f64_e32 v[100:101], v[108:109], v[104:105]
	buffer_load_dword v105, off, s[0:3], 0 offset:316
	buffer_load_dword v104, off, s[0:3], 0 offset:312
	buffer_load_dword v109, off, s[0:3], 0 offset:324
	buffer_load_dword v108, off, s[0:3], 0 offset:320
	s_waitcnt vmcnt(2)
	v_fmac_f64_e32 v[100:101], v[104:105], v[106:107]
	ds_read_b128 v[104:107], v102 offset:704
	s_waitcnt vmcnt(0) lgkmcnt(0)
	v_fmac_f64_e32 v[100:101], v[108:109], v[104:105]
	buffer_load_dword v105, off, s[0:3], 0 offset:332
	buffer_load_dword v104, off, s[0:3], 0 offset:328
	buffer_load_dword v109, off, s[0:3], 0 offset:340
	buffer_load_dword v108, off, s[0:3], 0 offset:336
	;; [unrolled: 9-line block ×3, first 2 shown]
	s_waitcnt vmcnt(2)
	v_fmac_f64_e32 v[100:101], v[104:105], v[106:107]
	ds_read_b128 v[104:107], v102 offset:736
	s_waitcnt vmcnt(0) lgkmcnt(0)
	v_fmac_f64_e32 v[100:101], v[108:109], v[104:105]
	buffer_load_dword v105, off, s[0:3], 0 offset:364
	buffer_load_dword v104, off, s[0:3], 0 offset:360
	s_waitcnt vmcnt(0)
	v_fmac_f64_e32 v[100:101], v[104:105], v[106:107]
	buffer_load_dword v107, off, s[0:3], 0 offset:372
	buffer_load_dword v106, off, s[0:3], 0 offset:368
	ds_read_b128 v[102:105], v102 offset:752
	s_waitcnt vmcnt(0) lgkmcnt(0)
	v_fmac_f64_e32 v[100:101], v[106:107], v[102:103]
	buffer_load_dword v103, off, s[0:3], 0 offset:380
	buffer_load_dword v102, off, s[0:3], 0 offset:376
	s_waitcnt vmcnt(0)
	v_fmac_f64_e32 v[100:101], v[102:103], v[104:105]
	v_add_f64 v[98:99], v[98:99], -v[100:101]
	buffer_store_dword v99, off, s[0:3], 0 offset:236
	buffer_store_dword v98, off, s[0:3], 0 offset:232
	s_and_saveexec_b64 s[4:5], vcc
	s_cbranch_execz .LBB47_239
; %bb.238:
	buffer_load_dword v98, off, s[0:3], 0 offset:224
	buffer_load_dword v99, off, s[0:3], 0 offset:228
	v_mov_b32_e32 v100, 0
	buffer_store_dword v100, off, s[0:3], 0 offset:224
	buffer_store_dword v100, off, s[0:3], 0 offset:228
	s_waitcnt vmcnt(2)
	ds_write_b64 v1, v[98:99]
.LBB47_239:
	s_or_b64 exec, exec, s[4:5]
	s_waitcnt lgkmcnt(0)
	; wave barrier
	s_waitcnt lgkmcnt(0)
	buffer_load_dword v98, off, s[0:3], 0 offset:224
	buffer_load_dword v99, off, s[0:3], 0 offset:228
	;; [unrolled: 1-line block ×16, first 2 shown]
	v_mov_b32_e32 v102, 0
	ds_read2_b64 v[104:107], v102 offset0:77 offset1:78
	v_cmp_lt_u32_e32 vcc, 27, v0
	s_waitcnt vmcnt(12) lgkmcnt(0)
	v_fma_f64 v[100:101], v[100:101], v[104:105], 0
	s_waitcnt vmcnt(10)
	v_fmac_f64_e32 v[100:101], v[108:109], v[106:107]
	ds_read2_b64 v[104:107], v102 offset0:79 offset1:80
	s_waitcnt vmcnt(8) lgkmcnt(0)
	v_fmac_f64_e32 v[100:101], v[110:111], v[104:105]
	s_waitcnt vmcnt(6)
	v_fmac_f64_e32 v[100:101], v[112:113], v[106:107]
	ds_read2_b64 v[104:107], v102 offset0:81 offset1:82
	s_waitcnt vmcnt(4) lgkmcnt(0)
	v_fmac_f64_e32 v[100:101], v[114:115], v[104:105]
	;; [unrolled: 5-line block ×3, first 2 shown]
	buffer_load_dword v105, off, s[0:3], 0 offset:292
	buffer_load_dword v104, off, s[0:3], 0 offset:288
	buffer_load_dword v109, off, s[0:3], 0 offset:300
	buffer_load_dword v108, off, s[0:3], 0 offset:296
	s_waitcnt vmcnt(2)
	v_fmac_f64_e32 v[100:101], v[104:105], v[106:107]
	ds_read2_b64 v[104:107], v102 offset0:85 offset1:86
	s_waitcnt vmcnt(0) lgkmcnt(0)
	v_fmac_f64_e32 v[100:101], v[108:109], v[104:105]
	buffer_load_dword v105, off, s[0:3], 0 offset:308
	buffer_load_dword v104, off, s[0:3], 0 offset:304
	buffer_load_dword v109, off, s[0:3], 0 offset:316
	buffer_load_dword v108, off, s[0:3], 0 offset:312
	s_waitcnt vmcnt(2)
	v_fmac_f64_e32 v[100:101], v[104:105], v[106:107]
	ds_read2_b64 v[104:107], v102 offset0:87 offset1:88
	s_waitcnt vmcnt(0) lgkmcnt(0)
	v_fmac_f64_e32 v[100:101], v[108:109], v[104:105]
	;; [unrolled: 9-line block ×5, first 2 shown]
	buffer_load_dword v105, off, s[0:3], 0 offset:372
	buffer_load_dword v104, off, s[0:3], 0 offset:368
	s_waitcnt vmcnt(0)
	v_fmac_f64_e32 v[100:101], v[104:105], v[106:107]
	buffer_load_dword v105, off, s[0:3], 0 offset:380
	buffer_load_dword v104, off, s[0:3], 0 offset:376
	ds_read_b64 v[106:107], v102 offset:760
	s_waitcnt vmcnt(0) lgkmcnt(0)
	v_fmac_f64_e32 v[100:101], v[104:105], v[106:107]
	v_add_f64 v[98:99], v[98:99], -v[100:101]
	buffer_store_dword v99, off, s[0:3], 0 offset:228
	buffer_store_dword v98, off, s[0:3], 0 offset:224
	s_and_saveexec_b64 s[4:5], vcc
	s_cbranch_execz .LBB47_241
; %bb.240:
	buffer_load_dword v98, off, s[0:3], 0 offset:216
	buffer_load_dword v99, off, s[0:3], 0 offset:220
	s_waitcnt vmcnt(0)
	ds_write_b64 v1, v[98:99]
	buffer_store_dword v102, off, s[0:3], 0 offset:216
	buffer_store_dword v102, off, s[0:3], 0 offset:220
.LBB47_241:
	s_or_b64 exec, exec, s[4:5]
	s_waitcnt lgkmcnt(0)
	; wave barrier
	s_waitcnt lgkmcnt(0)
	buffer_load_dword v98, off, s[0:3], 0 offset:216
	buffer_load_dword v99, off, s[0:3], 0 offset:220
	;; [unrolled: 1-line block ×16, first 2 shown]
	ds_read_b128 v[104:107], v102 offset:608
	ds_read_b128 v[108:111], v102 offset:624
	;; [unrolled: 1-line block ×4, first 2 shown]
	v_cmp_lt_u32_e32 vcc, 26, v0
	s_waitcnt vmcnt(12) lgkmcnt(3)
	v_fma_f64 v[100:101], v[100:101], v[104:105], 0
	buffer_load_dword v105, off, s[0:3], 0 offset:284
	buffer_load_dword v104, off, s[0:3], 0 offset:280
	s_waitcnt vmcnt(12)
	v_fmac_f64_e32 v[100:101], v[120:121], v[106:107]
	s_waitcnt vmcnt(10) lgkmcnt(2)
	v_fmac_f64_e32 v[100:101], v[122:123], v[108:109]
	buffer_load_dword v109, off, s[0:3], 0 offset:292
	buffer_load_dword v108, off, s[0:3], 0 offset:288
	s_waitcnt vmcnt(10)
	v_fmac_f64_e32 v[100:101], v[124:125], v[110:111]
	s_waitcnt vmcnt(8) lgkmcnt(1)
	v_fmac_f64_e32 v[100:101], v[126:127], v[112:113]
	s_waitcnt vmcnt(6)
	v_fmac_f64_e32 v[100:101], v[128:129], v[114:115]
	s_waitcnt vmcnt(4) lgkmcnt(0)
	v_fmac_f64_e32 v[100:101], v[130:131], v[116:117]
	s_waitcnt vmcnt(2)
	v_fmac_f64_e32 v[100:101], v[104:105], v[118:119]
	ds_read_b128 v[104:107], v102 offset:672
	s_waitcnt vmcnt(0) lgkmcnt(0)
	v_fmac_f64_e32 v[100:101], v[108:109], v[104:105]
	buffer_load_dword v105, off, s[0:3], 0 offset:300
	buffer_load_dword v104, off, s[0:3], 0 offset:296
	buffer_load_dword v109, off, s[0:3], 0 offset:308
	buffer_load_dword v108, off, s[0:3], 0 offset:304
	s_waitcnt vmcnt(2)
	v_fmac_f64_e32 v[100:101], v[104:105], v[106:107]
	ds_read_b128 v[104:107], v102 offset:688
	s_waitcnt vmcnt(0) lgkmcnt(0)
	v_fmac_f64_e32 v[100:101], v[108:109], v[104:105]
	buffer_load_dword v105, off, s[0:3], 0 offset:316
	buffer_load_dword v104, off, s[0:3], 0 offset:312
	buffer_load_dword v109, off, s[0:3], 0 offset:324
	buffer_load_dword v108, off, s[0:3], 0 offset:320
	;; [unrolled: 9-line block ×4, first 2 shown]
	s_waitcnt vmcnt(2)
	v_fmac_f64_e32 v[100:101], v[104:105], v[106:107]
	ds_read_b128 v[104:107], v102 offset:736
	s_waitcnt vmcnt(0) lgkmcnt(0)
	v_fmac_f64_e32 v[100:101], v[108:109], v[104:105]
	buffer_load_dword v105, off, s[0:3], 0 offset:364
	buffer_load_dword v104, off, s[0:3], 0 offset:360
	s_waitcnt vmcnt(0)
	v_fmac_f64_e32 v[100:101], v[104:105], v[106:107]
	buffer_load_dword v107, off, s[0:3], 0 offset:372
	buffer_load_dword v106, off, s[0:3], 0 offset:368
	ds_read_b128 v[102:105], v102 offset:752
	s_waitcnt vmcnt(0) lgkmcnt(0)
	v_fmac_f64_e32 v[100:101], v[106:107], v[102:103]
	buffer_load_dword v103, off, s[0:3], 0 offset:380
	buffer_load_dword v102, off, s[0:3], 0 offset:376
	s_waitcnt vmcnt(0)
	v_fmac_f64_e32 v[100:101], v[102:103], v[104:105]
	v_add_f64 v[98:99], v[98:99], -v[100:101]
	buffer_store_dword v99, off, s[0:3], 0 offset:220
	buffer_store_dword v98, off, s[0:3], 0 offset:216
	s_and_saveexec_b64 s[4:5], vcc
	s_cbranch_execz .LBB47_243
; %bb.242:
	buffer_load_dword v98, off, s[0:3], 0 offset:208
	buffer_load_dword v99, off, s[0:3], 0 offset:212
	v_mov_b32_e32 v100, 0
	buffer_store_dword v100, off, s[0:3], 0 offset:208
	buffer_store_dword v100, off, s[0:3], 0 offset:212
	s_waitcnt vmcnt(2)
	ds_write_b64 v1, v[98:99]
.LBB47_243:
	s_or_b64 exec, exec, s[4:5]
	s_waitcnt lgkmcnt(0)
	; wave barrier
	s_waitcnt lgkmcnt(0)
	buffer_load_dword v98, off, s[0:3], 0 offset:208
	buffer_load_dword v99, off, s[0:3], 0 offset:212
	;; [unrolled: 1-line block ×16, first 2 shown]
	v_mov_b32_e32 v102, 0
	ds_read2_b64 v[104:107], v102 offset0:75 offset1:76
	v_cmp_lt_u32_e32 vcc, 25, v0
	s_waitcnt vmcnt(12) lgkmcnt(0)
	v_fma_f64 v[100:101], v[100:101], v[104:105], 0
	s_waitcnt vmcnt(10)
	v_fmac_f64_e32 v[100:101], v[108:109], v[106:107]
	ds_read2_b64 v[104:107], v102 offset0:77 offset1:78
	s_waitcnt vmcnt(8) lgkmcnt(0)
	v_fmac_f64_e32 v[100:101], v[110:111], v[104:105]
	s_waitcnt vmcnt(6)
	v_fmac_f64_e32 v[100:101], v[112:113], v[106:107]
	ds_read2_b64 v[104:107], v102 offset0:79 offset1:80
	s_waitcnt vmcnt(4) lgkmcnt(0)
	v_fmac_f64_e32 v[100:101], v[114:115], v[104:105]
	;; [unrolled: 5-line block ×3, first 2 shown]
	buffer_load_dword v105, off, s[0:3], 0 offset:276
	buffer_load_dword v104, off, s[0:3], 0 offset:272
	buffer_load_dword v109, off, s[0:3], 0 offset:284
	buffer_load_dword v108, off, s[0:3], 0 offset:280
	s_waitcnt vmcnt(2)
	v_fmac_f64_e32 v[100:101], v[104:105], v[106:107]
	ds_read2_b64 v[104:107], v102 offset0:83 offset1:84
	s_waitcnt vmcnt(0) lgkmcnt(0)
	v_fmac_f64_e32 v[100:101], v[108:109], v[104:105]
	buffer_load_dword v105, off, s[0:3], 0 offset:292
	buffer_load_dword v104, off, s[0:3], 0 offset:288
	buffer_load_dword v109, off, s[0:3], 0 offset:300
	buffer_load_dword v108, off, s[0:3], 0 offset:296
	s_waitcnt vmcnt(2)
	v_fmac_f64_e32 v[100:101], v[104:105], v[106:107]
	ds_read2_b64 v[104:107], v102 offset0:85 offset1:86
	s_waitcnt vmcnt(0) lgkmcnt(0)
	v_fmac_f64_e32 v[100:101], v[108:109], v[104:105]
	;; [unrolled: 9-line block ×6, first 2 shown]
	buffer_load_dword v105, off, s[0:3], 0 offset:372
	buffer_load_dword v104, off, s[0:3], 0 offset:368
	s_waitcnt vmcnt(0)
	v_fmac_f64_e32 v[100:101], v[104:105], v[106:107]
	buffer_load_dword v105, off, s[0:3], 0 offset:380
	buffer_load_dword v104, off, s[0:3], 0 offset:376
	ds_read_b64 v[106:107], v102 offset:760
	s_waitcnt vmcnt(0) lgkmcnt(0)
	v_fmac_f64_e32 v[100:101], v[104:105], v[106:107]
	v_add_f64 v[98:99], v[98:99], -v[100:101]
	buffer_store_dword v99, off, s[0:3], 0 offset:212
	buffer_store_dword v98, off, s[0:3], 0 offset:208
	s_and_saveexec_b64 s[4:5], vcc
	s_cbranch_execz .LBB47_245
; %bb.244:
	buffer_load_dword v98, off, s[0:3], 0 offset:200
	buffer_load_dword v99, off, s[0:3], 0 offset:204
	s_waitcnt vmcnt(0)
	ds_write_b64 v1, v[98:99]
	buffer_store_dword v102, off, s[0:3], 0 offset:200
	buffer_store_dword v102, off, s[0:3], 0 offset:204
.LBB47_245:
	s_or_b64 exec, exec, s[4:5]
	s_waitcnt lgkmcnt(0)
	; wave barrier
	s_waitcnt lgkmcnt(0)
	buffer_load_dword v98, off, s[0:3], 0 offset:200
	buffer_load_dword v99, off, s[0:3], 0 offset:204
	;; [unrolled: 1-line block ×16, first 2 shown]
	ds_read_b128 v[104:107], v102 offset:592
	ds_read_b128 v[108:111], v102 offset:608
	;; [unrolled: 1-line block ×4, first 2 shown]
	v_cmp_lt_u32_e32 vcc, 24, v0
	s_waitcnt vmcnt(12) lgkmcnt(3)
	v_fma_f64 v[100:101], v[100:101], v[104:105], 0
	buffer_load_dword v105, off, s[0:3], 0 offset:268
	buffer_load_dword v104, off, s[0:3], 0 offset:264
	s_waitcnt vmcnt(12)
	v_fmac_f64_e32 v[100:101], v[120:121], v[106:107]
	s_waitcnt vmcnt(10) lgkmcnt(2)
	v_fmac_f64_e32 v[100:101], v[122:123], v[108:109]
	buffer_load_dword v109, off, s[0:3], 0 offset:276
	buffer_load_dword v108, off, s[0:3], 0 offset:272
	s_waitcnt vmcnt(10)
	v_fmac_f64_e32 v[100:101], v[124:125], v[110:111]
	s_waitcnt vmcnt(8) lgkmcnt(1)
	v_fmac_f64_e32 v[100:101], v[126:127], v[112:113]
	s_waitcnt vmcnt(6)
	v_fmac_f64_e32 v[100:101], v[128:129], v[114:115]
	s_waitcnt vmcnt(4) lgkmcnt(0)
	v_fmac_f64_e32 v[100:101], v[130:131], v[116:117]
	s_waitcnt vmcnt(2)
	v_fmac_f64_e32 v[100:101], v[104:105], v[118:119]
	ds_read_b128 v[104:107], v102 offset:656
	s_waitcnt vmcnt(0) lgkmcnt(0)
	v_fmac_f64_e32 v[100:101], v[108:109], v[104:105]
	buffer_load_dword v105, off, s[0:3], 0 offset:284
	buffer_load_dword v104, off, s[0:3], 0 offset:280
	buffer_load_dword v109, off, s[0:3], 0 offset:292
	buffer_load_dword v108, off, s[0:3], 0 offset:288
	s_waitcnt vmcnt(2)
	v_fmac_f64_e32 v[100:101], v[104:105], v[106:107]
	ds_read_b128 v[104:107], v102 offset:672
	s_waitcnt vmcnt(0) lgkmcnt(0)
	v_fmac_f64_e32 v[100:101], v[108:109], v[104:105]
	buffer_load_dword v105, off, s[0:3], 0 offset:300
	buffer_load_dword v104, off, s[0:3], 0 offset:296
	buffer_load_dword v109, off, s[0:3], 0 offset:308
	buffer_load_dword v108, off, s[0:3], 0 offset:304
	;; [unrolled: 9-line block ×5, first 2 shown]
	s_waitcnt vmcnt(2)
	v_fmac_f64_e32 v[100:101], v[104:105], v[106:107]
	ds_read_b128 v[104:107], v102 offset:736
	s_waitcnt vmcnt(0) lgkmcnt(0)
	v_fmac_f64_e32 v[100:101], v[108:109], v[104:105]
	buffer_load_dword v105, off, s[0:3], 0 offset:364
	buffer_load_dword v104, off, s[0:3], 0 offset:360
	s_waitcnt vmcnt(0)
	v_fmac_f64_e32 v[100:101], v[104:105], v[106:107]
	buffer_load_dword v107, off, s[0:3], 0 offset:372
	buffer_load_dword v106, off, s[0:3], 0 offset:368
	ds_read_b128 v[102:105], v102 offset:752
	s_waitcnt vmcnt(0) lgkmcnt(0)
	v_fmac_f64_e32 v[100:101], v[106:107], v[102:103]
	buffer_load_dword v103, off, s[0:3], 0 offset:380
	buffer_load_dword v102, off, s[0:3], 0 offset:376
	s_waitcnt vmcnt(0)
	v_fmac_f64_e32 v[100:101], v[102:103], v[104:105]
	v_add_f64 v[98:99], v[98:99], -v[100:101]
	buffer_store_dword v99, off, s[0:3], 0 offset:204
	buffer_store_dword v98, off, s[0:3], 0 offset:200
	s_and_saveexec_b64 s[4:5], vcc
	s_cbranch_execz .LBB47_247
; %bb.246:
	buffer_load_dword v98, off, s[0:3], 0 offset:192
	buffer_load_dword v99, off, s[0:3], 0 offset:196
	v_mov_b32_e32 v100, 0
	buffer_store_dword v100, off, s[0:3], 0 offset:192
	buffer_store_dword v100, off, s[0:3], 0 offset:196
	s_waitcnt vmcnt(2)
	ds_write_b64 v1, v[98:99]
.LBB47_247:
	s_or_b64 exec, exec, s[4:5]
	s_waitcnt lgkmcnt(0)
	; wave barrier
	s_waitcnt lgkmcnt(0)
	buffer_load_dword v98, off, s[0:3], 0 offset:192
	buffer_load_dword v99, off, s[0:3], 0 offset:196
	;; [unrolled: 1-line block ×16, first 2 shown]
	v_mov_b32_e32 v102, 0
	ds_read2_b64 v[104:107], v102 offset0:73 offset1:74
	v_cmp_lt_u32_e32 vcc, 23, v0
	s_waitcnt vmcnt(12) lgkmcnt(0)
	v_fma_f64 v[100:101], v[100:101], v[104:105], 0
	s_waitcnt vmcnt(10)
	v_fmac_f64_e32 v[100:101], v[108:109], v[106:107]
	ds_read2_b64 v[104:107], v102 offset0:75 offset1:76
	s_waitcnt vmcnt(8) lgkmcnt(0)
	v_fmac_f64_e32 v[100:101], v[110:111], v[104:105]
	s_waitcnt vmcnt(6)
	v_fmac_f64_e32 v[100:101], v[112:113], v[106:107]
	ds_read2_b64 v[104:107], v102 offset0:77 offset1:78
	s_waitcnt vmcnt(4) lgkmcnt(0)
	v_fmac_f64_e32 v[100:101], v[114:115], v[104:105]
	;; [unrolled: 5-line block ×3, first 2 shown]
	buffer_load_dword v105, off, s[0:3], 0 offset:260
	buffer_load_dword v104, off, s[0:3], 0 offset:256
	buffer_load_dword v109, off, s[0:3], 0 offset:268
	buffer_load_dword v108, off, s[0:3], 0 offset:264
	s_waitcnt vmcnt(2)
	v_fmac_f64_e32 v[100:101], v[104:105], v[106:107]
	ds_read2_b64 v[104:107], v102 offset0:81 offset1:82
	s_waitcnt vmcnt(0) lgkmcnt(0)
	v_fmac_f64_e32 v[100:101], v[108:109], v[104:105]
	buffer_load_dword v105, off, s[0:3], 0 offset:276
	buffer_load_dword v104, off, s[0:3], 0 offset:272
	buffer_load_dword v109, off, s[0:3], 0 offset:284
	buffer_load_dword v108, off, s[0:3], 0 offset:280
	s_waitcnt vmcnt(2)
	v_fmac_f64_e32 v[100:101], v[104:105], v[106:107]
	ds_read2_b64 v[104:107], v102 offset0:83 offset1:84
	s_waitcnt vmcnt(0) lgkmcnt(0)
	v_fmac_f64_e32 v[100:101], v[108:109], v[104:105]
	;; [unrolled: 9-line block ×7, first 2 shown]
	buffer_load_dword v105, off, s[0:3], 0 offset:372
	buffer_load_dword v104, off, s[0:3], 0 offset:368
	s_waitcnt vmcnt(0)
	v_fmac_f64_e32 v[100:101], v[104:105], v[106:107]
	buffer_load_dword v105, off, s[0:3], 0 offset:380
	buffer_load_dword v104, off, s[0:3], 0 offset:376
	ds_read_b64 v[106:107], v102 offset:760
	s_waitcnt vmcnt(0) lgkmcnt(0)
	v_fmac_f64_e32 v[100:101], v[104:105], v[106:107]
	v_add_f64 v[98:99], v[98:99], -v[100:101]
	buffer_store_dword v99, off, s[0:3], 0 offset:196
	buffer_store_dword v98, off, s[0:3], 0 offset:192
	s_and_saveexec_b64 s[4:5], vcc
	s_cbranch_execz .LBB47_249
; %bb.248:
	buffer_load_dword v98, off, s[0:3], 0 offset:184
	buffer_load_dword v99, off, s[0:3], 0 offset:188
	s_waitcnt vmcnt(0)
	ds_write_b64 v1, v[98:99]
	buffer_store_dword v102, off, s[0:3], 0 offset:184
	buffer_store_dword v102, off, s[0:3], 0 offset:188
.LBB47_249:
	s_or_b64 exec, exec, s[4:5]
	s_waitcnt lgkmcnt(0)
	; wave barrier
	s_waitcnt lgkmcnt(0)
	buffer_load_dword v98, off, s[0:3], 0 offset:184
	buffer_load_dword v99, off, s[0:3], 0 offset:188
	;; [unrolled: 1-line block ×16, first 2 shown]
	ds_read_b128 v[104:107], v102 offset:576
	ds_read_b128 v[108:111], v102 offset:592
	;; [unrolled: 1-line block ×4, first 2 shown]
	v_cmp_lt_u32_e32 vcc, 22, v0
	s_waitcnt vmcnt(12) lgkmcnt(3)
	v_fma_f64 v[100:101], v[100:101], v[104:105], 0
	buffer_load_dword v105, off, s[0:3], 0 offset:252
	buffer_load_dword v104, off, s[0:3], 0 offset:248
	s_waitcnt vmcnt(12)
	v_fmac_f64_e32 v[100:101], v[120:121], v[106:107]
	s_waitcnt vmcnt(10) lgkmcnt(2)
	v_fmac_f64_e32 v[100:101], v[122:123], v[108:109]
	buffer_load_dword v109, off, s[0:3], 0 offset:260
	buffer_load_dword v108, off, s[0:3], 0 offset:256
	s_waitcnt vmcnt(10)
	v_fmac_f64_e32 v[100:101], v[124:125], v[110:111]
	s_waitcnt vmcnt(8) lgkmcnt(1)
	v_fmac_f64_e32 v[100:101], v[126:127], v[112:113]
	s_waitcnt vmcnt(6)
	v_fmac_f64_e32 v[100:101], v[128:129], v[114:115]
	s_waitcnt vmcnt(4) lgkmcnt(0)
	v_fmac_f64_e32 v[100:101], v[130:131], v[116:117]
	s_waitcnt vmcnt(2)
	v_fmac_f64_e32 v[100:101], v[104:105], v[118:119]
	ds_read_b128 v[104:107], v102 offset:640
	s_waitcnt vmcnt(0) lgkmcnt(0)
	v_fmac_f64_e32 v[100:101], v[108:109], v[104:105]
	buffer_load_dword v105, off, s[0:3], 0 offset:268
	buffer_load_dword v104, off, s[0:3], 0 offset:264
	buffer_load_dword v109, off, s[0:3], 0 offset:276
	buffer_load_dword v108, off, s[0:3], 0 offset:272
	s_waitcnt vmcnt(2)
	v_fmac_f64_e32 v[100:101], v[104:105], v[106:107]
	ds_read_b128 v[104:107], v102 offset:656
	s_waitcnt vmcnt(0) lgkmcnt(0)
	v_fmac_f64_e32 v[100:101], v[108:109], v[104:105]
	buffer_load_dword v105, off, s[0:3], 0 offset:284
	buffer_load_dword v104, off, s[0:3], 0 offset:280
	buffer_load_dword v109, off, s[0:3], 0 offset:292
	buffer_load_dword v108, off, s[0:3], 0 offset:288
	;; [unrolled: 9-line block ×6, first 2 shown]
	s_waitcnt vmcnt(2)
	v_fmac_f64_e32 v[100:101], v[104:105], v[106:107]
	ds_read_b128 v[104:107], v102 offset:736
	s_waitcnt vmcnt(0) lgkmcnt(0)
	v_fmac_f64_e32 v[100:101], v[108:109], v[104:105]
	buffer_load_dword v105, off, s[0:3], 0 offset:364
	buffer_load_dword v104, off, s[0:3], 0 offset:360
	s_waitcnt vmcnt(0)
	v_fmac_f64_e32 v[100:101], v[104:105], v[106:107]
	buffer_load_dword v107, off, s[0:3], 0 offset:372
	buffer_load_dword v106, off, s[0:3], 0 offset:368
	ds_read_b128 v[102:105], v102 offset:752
	s_waitcnt vmcnt(0) lgkmcnt(0)
	v_fmac_f64_e32 v[100:101], v[106:107], v[102:103]
	buffer_load_dword v103, off, s[0:3], 0 offset:380
	buffer_load_dword v102, off, s[0:3], 0 offset:376
	s_waitcnt vmcnt(0)
	v_fmac_f64_e32 v[100:101], v[102:103], v[104:105]
	v_add_f64 v[98:99], v[98:99], -v[100:101]
	buffer_store_dword v99, off, s[0:3], 0 offset:188
	buffer_store_dword v98, off, s[0:3], 0 offset:184
	s_and_saveexec_b64 s[4:5], vcc
	s_cbranch_execz .LBB47_251
; %bb.250:
	buffer_load_dword v98, off, s[0:3], 0 offset:176
	buffer_load_dword v99, off, s[0:3], 0 offset:180
	v_mov_b32_e32 v100, 0
	buffer_store_dword v100, off, s[0:3], 0 offset:176
	buffer_store_dword v100, off, s[0:3], 0 offset:180
	s_waitcnt vmcnt(2)
	ds_write_b64 v1, v[98:99]
.LBB47_251:
	s_or_b64 exec, exec, s[4:5]
	s_waitcnt lgkmcnt(0)
	; wave barrier
	s_waitcnt lgkmcnt(0)
	buffer_load_dword v98, off, s[0:3], 0 offset:176
	buffer_load_dword v99, off, s[0:3], 0 offset:180
	;; [unrolled: 1-line block ×16, first 2 shown]
	v_mov_b32_e32 v102, 0
	ds_read2_b64 v[104:107], v102 offset0:71 offset1:72
	v_cmp_lt_u32_e32 vcc, 21, v0
	s_waitcnt vmcnt(12) lgkmcnt(0)
	v_fma_f64 v[100:101], v[100:101], v[104:105], 0
	s_waitcnt vmcnt(10)
	v_fmac_f64_e32 v[100:101], v[108:109], v[106:107]
	ds_read2_b64 v[104:107], v102 offset0:73 offset1:74
	s_waitcnt vmcnt(8) lgkmcnt(0)
	v_fmac_f64_e32 v[100:101], v[110:111], v[104:105]
	s_waitcnt vmcnt(6)
	v_fmac_f64_e32 v[100:101], v[112:113], v[106:107]
	ds_read2_b64 v[104:107], v102 offset0:75 offset1:76
	s_waitcnt vmcnt(4) lgkmcnt(0)
	v_fmac_f64_e32 v[100:101], v[114:115], v[104:105]
	;; [unrolled: 5-line block ×3, first 2 shown]
	buffer_load_dword v105, off, s[0:3], 0 offset:244
	buffer_load_dword v104, off, s[0:3], 0 offset:240
	buffer_load_dword v109, off, s[0:3], 0 offset:252
	buffer_load_dword v108, off, s[0:3], 0 offset:248
	s_waitcnt vmcnt(2)
	v_fmac_f64_e32 v[100:101], v[104:105], v[106:107]
	ds_read2_b64 v[104:107], v102 offset0:79 offset1:80
	s_waitcnt vmcnt(0) lgkmcnt(0)
	v_fmac_f64_e32 v[100:101], v[108:109], v[104:105]
	buffer_load_dword v105, off, s[0:3], 0 offset:260
	buffer_load_dword v104, off, s[0:3], 0 offset:256
	buffer_load_dword v109, off, s[0:3], 0 offset:268
	buffer_load_dword v108, off, s[0:3], 0 offset:264
	s_waitcnt vmcnt(2)
	v_fmac_f64_e32 v[100:101], v[104:105], v[106:107]
	ds_read2_b64 v[104:107], v102 offset0:81 offset1:82
	s_waitcnt vmcnt(0) lgkmcnt(0)
	v_fmac_f64_e32 v[100:101], v[108:109], v[104:105]
	buffer_load_dword v105, off, s[0:3], 0 offset:276
	buffer_load_dword v104, off, s[0:3], 0 offset:272
	buffer_load_dword v109, off, s[0:3], 0 offset:284
	buffer_load_dword v108, off, s[0:3], 0 offset:280
	s_waitcnt vmcnt(2)
	v_fmac_f64_e32 v[100:101], v[104:105], v[106:107]
	ds_read2_b64 v[104:107], v102 offset0:83 offset1:84
	s_waitcnt vmcnt(0) lgkmcnt(0)
	v_fmac_f64_e32 v[100:101], v[108:109], v[104:105]
	buffer_load_dword v105, off, s[0:3], 0 offset:292
	buffer_load_dword v104, off, s[0:3], 0 offset:288
	buffer_load_dword v109, off, s[0:3], 0 offset:300
	buffer_load_dword v108, off, s[0:3], 0 offset:296
	s_waitcnt vmcnt(2)
	v_fmac_f64_e32 v[100:101], v[104:105], v[106:107]
	ds_read2_b64 v[104:107], v102 offset0:85 offset1:86
	s_waitcnt vmcnt(0) lgkmcnt(0)
	v_fmac_f64_e32 v[100:101], v[108:109], v[104:105]
	buffer_load_dword v105, off, s[0:3], 0 offset:308
	buffer_load_dword v104, off, s[0:3], 0 offset:304
	buffer_load_dword v109, off, s[0:3], 0 offset:316
	buffer_load_dword v108, off, s[0:3], 0 offset:312
	s_waitcnt vmcnt(2)
	v_fmac_f64_e32 v[100:101], v[104:105], v[106:107]
	ds_read2_b64 v[104:107], v102 offset0:87 offset1:88
	s_waitcnt vmcnt(0) lgkmcnt(0)
	v_fmac_f64_e32 v[100:101], v[108:109], v[104:105]
	buffer_load_dword v105, off, s[0:3], 0 offset:324
	buffer_load_dword v104, off, s[0:3], 0 offset:320
	buffer_load_dword v109, off, s[0:3], 0 offset:332
	buffer_load_dword v108, off, s[0:3], 0 offset:328
	s_waitcnt vmcnt(2)
	v_fmac_f64_e32 v[100:101], v[104:105], v[106:107]
	ds_read2_b64 v[104:107], v102 offset0:89 offset1:90
	s_waitcnt vmcnt(0) lgkmcnt(0)
	v_fmac_f64_e32 v[100:101], v[108:109], v[104:105]
	buffer_load_dword v105, off, s[0:3], 0 offset:340
	buffer_load_dword v104, off, s[0:3], 0 offset:336
	buffer_load_dword v109, off, s[0:3], 0 offset:348
	buffer_load_dword v108, off, s[0:3], 0 offset:344
	s_waitcnt vmcnt(2)
	v_fmac_f64_e32 v[100:101], v[104:105], v[106:107]
	ds_read2_b64 v[104:107], v102 offset0:91 offset1:92
	s_waitcnt vmcnt(0) lgkmcnt(0)
	v_fmac_f64_e32 v[100:101], v[108:109], v[104:105]
	buffer_load_dword v105, off, s[0:3], 0 offset:356
	buffer_load_dword v104, off, s[0:3], 0 offset:352
	buffer_load_dword v109, off, s[0:3], 0 offset:364
	buffer_load_dword v108, off, s[0:3], 0 offset:360
	s_waitcnt vmcnt(2)
	v_fmac_f64_e32 v[100:101], v[104:105], v[106:107]
	ds_read2_b64 v[104:107], v102 offset0:93 offset1:94
	s_waitcnt vmcnt(0) lgkmcnt(0)
	v_fmac_f64_e32 v[100:101], v[108:109], v[104:105]
	buffer_load_dword v105, off, s[0:3], 0 offset:372
	buffer_load_dword v104, off, s[0:3], 0 offset:368
	s_waitcnt vmcnt(0)
	v_fmac_f64_e32 v[100:101], v[104:105], v[106:107]
	buffer_load_dword v105, off, s[0:3], 0 offset:380
	buffer_load_dword v104, off, s[0:3], 0 offset:376
	ds_read_b64 v[106:107], v102 offset:760
	s_waitcnt vmcnt(0) lgkmcnt(0)
	v_fmac_f64_e32 v[100:101], v[104:105], v[106:107]
	v_add_f64 v[98:99], v[98:99], -v[100:101]
	buffer_store_dword v99, off, s[0:3], 0 offset:180
	buffer_store_dword v98, off, s[0:3], 0 offset:176
	s_and_saveexec_b64 s[4:5], vcc
	s_cbranch_execz .LBB47_253
; %bb.252:
	buffer_load_dword v98, off, s[0:3], 0 offset:168
	buffer_load_dword v99, off, s[0:3], 0 offset:172
	s_waitcnt vmcnt(0)
	ds_write_b64 v1, v[98:99]
	buffer_store_dword v102, off, s[0:3], 0 offset:168
	buffer_store_dword v102, off, s[0:3], 0 offset:172
.LBB47_253:
	s_or_b64 exec, exec, s[4:5]
	s_waitcnt lgkmcnt(0)
	; wave barrier
	s_waitcnt lgkmcnt(0)
	buffer_load_dword v98, off, s[0:3], 0 offset:168
	buffer_load_dword v99, off, s[0:3], 0 offset:172
	;; [unrolled: 1-line block ×16, first 2 shown]
	ds_read_b128 v[104:107], v102 offset:560
	ds_read_b128 v[108:111], v102 offset:576
	;; [unrolled: 1-line block ×4, first 2 shown]
	v_cmp_lt_u32_e32 vcc, 20, v0
	s_waitcnt vmcnt(12) lgkmcnt(3)
	v_fma_f64 v[100:101], v[100:101], v[104:105], 0
	buffer_load_dword v105, off, s[0:3], 0 offset:236
	buffer_load_dword v104, off, s[0:3], 0 offset:232
	s_waitcnt vmcnt(12)
	v_fmac_f64_e32 v[100:101], v[120:121], v[106:107]
	s_waitcnt vmcnt(10) lgkmcnt(2)
	v_fmac_f64_e32 v[100:101], v[122:123], v[108:109]
	buffer_load_dword v109, off, s[0:3], 0 offset:244
	buffer_load_dword v108, off, s[0:3], 0 offset:240
	s_waitcnt vmcnt(10)
	v_fmac_f64_e32 v[100:101], v[124:125], v[110:111]
	s_waitcnt vmcnt(8) lgkmcnt(1)
	v_fmac_f64_e32 v[100:101], v[126:127], v[112:113]
	s_waitcnt vmcnt(6)
	v_fmac_f64_e32 v[100:101], v[128:129], v[114:115]
	s_waitcnt vmcnt(4) lgkmcnt(0)
	v_fmac_f64_e32 v[100:101], v[130:131], v[116:117]
	s_waitcnt vmcnt(2)
	v_fmac_f64_e32 v[100:101], v[104:105], v[118:119]
	ds_read_b128 v[104:107], v102 offset:624
	s_waitcnt vmcnt(0) lgkmcnt(0)
	v_fmac_f64_e32 v[100:101], v[108:109], v[104:105]
	buffer_load_dword v105, off, s[0:3], 0 offset:252
	buffer_load_dword v104, off, s[0:3], 0 offset:248
	buffer_load_dword v109, off, s[0:3], 0 offset:260
	buffer_load_dword v108, off, s[0:3], 0 offset:256
	s_waitcnt vmcnt(2)
	v_fmac_f64_e32 v[100:101], v[104:105], v[106:107]
	ds_read_b128 v[104:107], v102 offset:640
	s_waitcnt vmcnt(0) lgkmcnt(0)
	v_fmac_f64_e32 v[100:101], v[108:109], v[104:105]
	buffer_load_dword v105, off, s[0:3], 0 offset:268
	buffer_load_dword v104, off, s[0:3], 0 offset:264
	buffer_load_dword v109, off, s[0:3], 0 offset:276
	buffer_load_dword v108, off, s[0:3], 0 offset:272
	;; [unrolled: 9-line block ×7, first 2 shown]
	s_waitcnt vmcnt(2)
	v_fmac_f64_e32 v[100:101], v[104:105], v[106:107]
	ds_read_b128 v[104:107], v102 offset:736
	s_waitcnt vmcnt(0) lgkmcnt(0)
	v_fmac_f64_e32 v[100:101], v[108:109], v[104:105]
	buffer_load_dword v105, off, s[0:3], 0 offset:364
	buffer_load_dword v104, off, s[0:3], 0 offset:360
	s_waitcnt vmcnt(0)
	v_fmac_f64_e32 v[100:101], v[104:105], v[106:107]
	buffer_load_dword v107, off, s[0:3], 0 offset:372
	buffer_load_dword v106, off, s[0:3], 0 offset:368
	ds_read_b128 v[102:105], v102 offset:752
	s_waitcnt vmcnt(0) lgkmcnt(0)
	v_fmac_f64_e32 v[100:101], v[106:107], v[102:103]
	buffer_load_dword v103, off, s[0:3], 0 offset:380
	buffer_load_dword v102, off, s[0:3], 0 offset:376
	s_waitcnt vmcnt(0)
	v_fmac_f64_e32 v[100:101], v[102:103], v[104:105]
	v_add_f64 v[98:99], v[98:99], -v[100:101]
	buffer_store_dword v99, off, s[0:3], 0 offset:172
	buffer_store_dword v98, off, s[0:3], 0 offset:168
	s_and_saveexec_b64 s[4:5], vcc
	s_cbranch_execz .LBB47_255
; %bb.254:
	buffer_load_dword v98, off, s[0:3], 0 offset:160
	buffer_load_dword v99, off, s[0:3], 0 offset:164
	v_mov_b32_e32 v100, 0
	buffer_store_dword v100, off, s[0:3], 0 offset:160
	buffer_store_dword v100, off, s[0:3], 0 offset:164
	s_waitcnt vmcnt(2)
	ds_write_b64 v1, v[98:99]
.LBB47_255:
	s_or_b64 exec, exec, s[4:5]
	s_waitcnt lgkmcnt(0)
	; wave barrier
	s_waitcnt lgkmcnt(0)
	buffer_load_dword v98, off, s[0:3], 0 offset:160
	buffer_load_dword v99, off, s[0:3], 0 offset:164
	;; [unrolled: 1-line block ×16, first 2 shown]
	v_mov_b32_e32 v102, 0
	ds_read2_b64 v[104:107], v102 offset0:69 offset1:70
	v_cmp_lt_u32_e32 vcc, 19, v0
	s_waitcnt vmcnt(12) lgkmcnt(0)
	v_fma_f64 v[100:101], v[100:101], v[104:105], 0
	s_waitcnt vmcnt(10)
	v_fmac_f64_e32 v[100:101], v[108:109], v[106:107]
	ds_read2_b64 v[104:107], v102 offset0:71 offset1:72
	s_waitcnt vmcnt(8) lgkmcnt(0)
	v_fmac_f64_e32 v[100:101], v[110:111], v[104:105]
	s_waitcnt vmcnt(6)
	v_fmac_f64_e32 v[100:101], v[112:113], v[106:107]
	ds_read2_b64 v[104:107], v102 offset0:73 offset1:74
	s_waitcnt vmcnt(4) lgkmcnt(0)
	v_fmac_f64_e32 v[100:101], v[114:115], v[104:105]
	;; [unrolled: 5-line block ×3, first 2 shown]
	buffer_load_dword v105, off, s[0:3], 0 offset:228
	buffer_load_dword v104, off, s[0:3], 0 offset:224
	buffer_load_dword v109, off, s[0:3], 0 offset:236
	buffer_load_dword v108, off, s[0:3], 0 offset:232
	s_waitcnt vmcnt(2)
	v_fmac_f64_e32 v[100:101], v[104:105], v[106:107]
	ds_read2_b64 v[104:107], v102 offset0:77 offset1:78
	s_waitcnt vmcnt(0) lgkmcnt(0)
	v_fmac_f64_e32 v[100:101], v[108:109], v[104:105]
	buffer_load_dword v105, off, s[0:3], 0 offset:244
	buffer_load_dword v104, off, s[0:3], 0 offset:240
	buffer_load_dword v109, off, s[0:3], 0 offset:252
	buffer_load_dword v108, off, s[0:3], 0 offset:248
	s_waitcnt vmcnt(2)
	v_fmac_f64_e32 v[100:101], v[104:105], v[106:107]
	ds_read2_b64 v[104:107], v102 offset0:79 offset1:80
	s_waitcnt vmcnt(0) lgkmcnt(0)
	v_fmac_f64_e32 v[100:101], v[108:109], v[104:105]
	;; [unrolled: 9-line block ×9, first 2 shown]
	buffer_load_dword v105, off, s[0:3], 0 offset:372
	buffer_load_dword v104, off, s[0:3], 0 offset:368
	s_waitcnt vmcnt(0)
	v_fmac_f64_e32 v[100:101], v[104:105], v[106:107]
	buffer_load_dword v105, off, s[0:3], 0 offset:380
	buffer_load_dword v104, off, s[0:3], 0 offset:376
	ds_read_b64 v[106:107], v102 offset:760
	s_waitcnt vmcnt(0) lgkmcnt(0)
	v_fmac_f64_e32 v[100:101], v[104:105], v[106:107]
	v_add_f64 v[98:99], v[98:99], -v[100:101]
	buffer_store_dword v99, off, s[0:3], 0 offset:164
	buffer_store_dword v98, off, s[0:3], 0 offset:160
	s_and_saveexec_b64 s[4:5], vcc
	s_cbranch_execz .LBB47_257
; %bb.256:
	buffer_load_dword v98, off, s[0:3], 0 offset:152
	buffer_load_dword v99, off, s[0:3], 0 offset:156
	s_waitcnt vmcnt(0)
	ds_write_b64 v1, v[98:99]
	buffer_store_dword v102, off, s[0:3], 0 offset:152
	buffer_store_dword v102, off, s[0:3], 0 offset:156
.LBB47_257:
	s_or_b64 exec, exec, s[4:5]
	s_waitcnt lgkmcnt(0)
	; wave barrier
	s_waitcnt lgkmcnt(0)
	buffer_load_dword v98, off, s[0:3], 0 offset:152
	buffer_load_dword v99, off, s[0:3], 0 offset:156
	buffer_load_dword v100, off, s[0:3], 0 offset:160
	buffer_load_dword v101, off, s[0:3], 0 offset:164
	buffer_load_dword v120, off, s[0:3], 0 offset:168
	buffer_load_dword v121, off, s[0:3], 0 offset:172
	buffer_load_dword v122, off, s[0:3], 0 offset:176
	buffer_load_dword v123, off, s[0:3], 0 offset:180
	buffer_load_dword v124, off, s[0:3], 0 offset:184
	buffer_load_dword v125, off, s[0:3], 0 offset:188
	buffer_load_dword v126, off, s[0:3], 0 offset:192
	buffer_load_dword v127, off, s[0:3], 0 offset:196
	buffer_load_dword v128, off, s[0:3], 0 offset:200
	buffer_load_dword v129, off, s[0:3], 0 offset:204
	buffer_load_dword v130, off, s[0:3], 0 offset:208
	buffer_load_dword v131, off, s[0:3], 0 offset:212
	ds_read_b128 v[104:107], v102 offset:544
	ds_read_b128 v[108:111], v102 offset:560
	;; [unrolled: 1-line block ×4, first 2 shown]
	v_cmp_lt_u32_e32 vcc, 18, v0
	s_waitcnt vmcnt(12) lgkmcnt(3)
	v_fma_f64 v[100:101], v[100:101], v[104:105], 0
	buffer_load_dword v105, off, s[0:3], 0 offset:220
	buffer_load_dword v104, off, s[0:3], 0 offset:216
	s_waitcnt vmcnt(12)
	v_fmac_f64_e32 v[100:101], v[120:121], v[106:107]
	s_waitcnt vmcnt(10) lgkmcnt(2)
	v_fmac_f64_e32 v[100:101], v[122:123], v[108:109]
	buffer_load_dword v109, off, s[0:3], 0 offset:228
	buffer_load_dword v108, off, s[0:3], 0 offset:224
	s_waitcnt vmcnt(10)
	v_fmac_f64_e32 v[100:101], v[124:125], v[110:111]
	s_waitcnt vmcnt(8) lgkmcnt(1)
	v_fmac_f64_e32 v[100:101], v[126:127], v[112:113]
	s_waitcnt vmcnt(6)
	v_fmac_f64_e32 v[100:101], v[128:129], v[114:115]
	s_waitcnt vmcnt(4) lgkmcnt(0)
	v_fmac_f64_e32 v[100:101], v[130:131], v[116:117]
	s_waitcnt vmcnt(2)
	v_fmac_f64_e32 v[100:101], v[104:105], v[118:119]
	ds_read_b128 v[104:107], v102 offset:608
	s_waitcnt vmcnt(0) lgkmcnt(0)
	v_fmac_f64_e32 v[100:101], v[108:109], v[104:105]
	buffer_load_dword v105, off, s[0:3], 0 offset:236
	buffer_load_dword v104, off, s[0:3], 0 offset:232
	buffer_load_dword v109, off, s[0:3], 0 offset:244
	buffer_load_dword v108, off, s[0:3], 0 offset:240
	s_waitcnt vmcnt(2)
	v_fmac_f64_e32 v[100:101], v[104:105], v[106:107]
	ds_read_b128 v[104:107], v102 offset:624
	s_waitcnt vmcnt(0) lgkmcnt(0)
	v_fmac_f64_e32 v[100:101], v[108:109], v[104:105]
	buffer_load_dword v105, off, s[0:3], 0 offset:252
	buffer_load_dword v104, off, s[0:3], 0 offset:248
	buffer_load_dword v109, off, s[0:3], 0 offset:260
	buffer_load_dword v108, off, s[0:3], 0 offset:256
	;; [unrolled: 9-line block ×8, first 2 shown]
	s_waitcnt vmcnt(2)
	v_fmac_f64_e32 v[100:101], v[104:105], v[106:107]
	ds_read_b128 v[104:107], v102 offset:736
	s_waitcnt vmcnt(0) lgkmcnt(0)
	v_fmac_f64_e32 v[100:101], v[108:109], v[104:105]
	buffer_load_dword v105, off, s[0:3], 0 offset:364
	buffer_load_dword v104, off, s[0:3], 0 offset:360
	s_waitcnt vmcnt(0)
	v_fmac_f64_e32 v[100:101], v[104:105], v[106:107]
	buffer_load_dword v107, off, s[0:3], 0 offset:372
	buffer_load_dword v106, off, s[0:3], 0 offset:368
	ds_read_b128 v[102:105], v102 offset:752
	s_waitcnt vmcnt(0) lgkmcnt(0)
	v_fmac_f64_e32 v[100:101], v[106:107], v[102:103]
	buffer_load_dword v103, off, s[0:3], 0 offset:380
	buffer_load_dword v102, off, s[0:3], 0 offset:376
	s_waitcnt vmcnt(0)
	v_fmac_f64_e32 v[100:101], v[102:103], v[104:105]
	v_add_f64 v[98:99], v[98:99], -v[100:101]
	buffer_store_dword v99, off, s[0:3], 0 offset:156
	buffer_store_dword v98, off, s[0:3], 0 offset:152
	s_and_saveexec_b64 s[4:5], vcc
	s_cbranch_execz .LBB47_259
; %bb.258:
	buffer_load_dword v98, off, s[0:3], 0 offset:144
	buffer_load_dword v99, off, s[0:3], 0 offset:148
	v_mov_b32_e32 v100, 0
	buffer_store_dword v100, off, s[0:3], 0 offset:144
	buffer_store_dword v100, off, s[0:3], 0 offset:148
	s_waitcnt vmcnt(2)
	ds_write_b64 v1, v[98:99]
.LBB47_259:
	s_or_b64 exec, exec, s[4:5]
	s_waitcnt lgkmcnt(0)
	; wave barrier
	s_waitcnt lgkmcnt(0)
	buffer_load_dword v98, off, s[0:3], 0 offset:144
	buffer_load_dword v99, off, s[0:3], 0 offset:148
	buffer_load_dword v100, off, s[0:3], 0 offset:152
	buffer_load_dword v101, off, s[0:3], 0 offset:156
	buffer_load_dword v108, off, s[0:3], 0 offset:160
	buffer_load_dword v109, off, s[0:3], 0 offset:164
	buffer_load_dword v110, off, s[0:3], 0 offset:168
	buffer_load_dword v111, off, s[0:3], 0 offset:172
	buffer_load_dword v112, off, s[0:3], 0 offset:176
	buffer_load_dword v113, off, s[0:3], 0 offset:180
	buffer_load_dword v114, off, s[0:3], 0 offset:184
	buffer_load_dword v115, off, s[0:3], 0 offset:188
	buffer_load_dword v116, off, s[0:3], 0 offset:192
	buffer_load_dword v117, off, s[0:3], 0 offset:196
	buffer_load_dword v118, off, s[0:3], 0 offset:200
	buffer_load_dword v119, off, s[0:3], 0 offset:204
	v_mov_b32_e32 v102, 0
	ds_read2_b64 v[104:107], v102 offset0:67 offset1:68
	v_cmp_lt_u32_e32 vcc, 17, v0
	s_waitcnt vmcnt(12) lgkmcnt(0)
	v_fma_f64 v[100:101], v[100:101], v[104:105], 0
	s_waitcnt vmcnt(10)
	v_fmac_f64_e32 v[100:101], v[108:109], v[106:107]
	ds_read2_b64 v[104:107], v102 offset0:69 offset1:70
	s_waitcnt vmcnt(8) lgkmcnt(0)
	v_fmac_f64_e32 v[100:101], v[110:111], v[104:105]
	s_waitcnt vmcnt(6)
	v_fmac_f64_e32 v[100:101], v[112:113], v[106:107]
	ds_read2_b64 v[104:107], v102 offset0:71 offset1:72
	s_waitcnt vmcnt(4) lgkmcnt(0)
	v_fmac_f64_e32 v[100:101], v[114:115], v[104:105]
	s_waitcnt vmcnt(2)
	v_fmac_f64_e32 v[100:101], v[116:117], v[106:107]
	ds_read2_b64 v[104:107], v102 offset0:73 offset1:74
	s_waitcnt vmcnt(0) lgkmcnt(0)
	v_fmac_f64_e32 v[100:101], v[118:119], v[104:105]
	buffer_load_dword v105, off, s[0:3], 0 offset:212
	buffer_load_dword v104, off, s[0:3], 0 offset:208
	buffer_load_dword v109, off, s[0:3], 0 offset:220
	buffer_load_dword v108, off, s[0:3], 0 offset:216
	s_waitcnt vmcnt(2)
	v_fmac_f64_e32 v[100:101], v[104:105], v[106:107]
	ds_read2_b64 v[104:107], v102 offset0:75 offset1:76
	s_waitcnt vmcnt(0) lgkmcnt(0)
	v_fmac_f64_e32 v[100:101], v[108:109], v[104:105]
	buffer_load_dword v105, off, s[0:3], 0 offset:228
	buffer_load_dword v104, off, s[0:3], 0 offset:224
	buffer_load_dword v109, off, s[0:3], 0 offset:236
	buffer_load_dword v108, off, s[0:3], 0 offset:232
	s_waitcnt vmcnt(2)
	v_fmac_f64_e32 v[100:101], v[104:105], v[106:107]
	ds_read2_b64 v[104:107], v102 offset0:77 offset1:78
	s_waitcnt vmcnt(0) lgkmcnt(0)
	v_fmac_f64_e32 v[100:101], v[108:109], v[104:105]
	;; [unrolled: 9-line block ×10, first 2 shown]
	buffer_load_dword v105, off, s[0:3], 0 offset:372
	buffer_load_dword v104, off, s[0:3], 0 offset:368
	s_waitcnt vmcnt(0)
	v_fmac_f64_e32 v[100:101], v[104:105], v[106:107]
	buffer_load_dword v105, off, s[0:3], 0 offset:380
	buffer_load_dword v104, off, s[0:3], 0 offset:376
	ds_read_b64 v[106:107], v102 offset:760
	s_waitcnt vmcnt(0) lgkmcnt(0)
	v_fmac_f64_e32 v[100:101], v[104:105], v[106:107]
	v_add_f64 v[98:99], v[98:99], -v[100:101]
	buffer_store_dword v99, off, s[0:3], 0 offset:148
	buffer_store_dword v98, off, s[0:3], 0 offset:144
	s_and_saveexec_b64 s[4:5], vcc
	s_cbranch_execz .LBB47_261
; %bb.260:
	buffer_load_dword v98, off, s[0:3], 0 offset:136
	buffer_load_dword v99, off, s[0:3], 0 offset:140
	s_waitcnt vmcnt(0)
	ds_write_b64 v1, v[98:99]
	buffer_store_dword v102, off, s[0:3], 0 offset:136
	buffer_store_dword v102, off, s[0:3], 0 offset:140
.LBB47_261:
	s_or_b64 exec, exec, s[4:5]
	s_waitcnt lgkmcnt(0)
	; wave barrier
	s_waitcnt lgkmcnt(0)
	buffer_load_dword v98, off, s[0:3], 0 offset:136
	buffer_load_dword v99, off, s[0:3], 0 offset:140
	;; [unrolled: 1-line block ×16, first 2 shown]
	ds_read_b128 v[104:107], v102 offset:528
	ds_read_b128 v[108:111], v102 offset:544
	;; [unrolled: 1-line block ×4, first 2 shown]
	v_cmp_lt_u32_e32 vcc, 16, v0
	s_waitcnt vmcnt(12) lgkmcnt(3)
	v_fma_f64 v[100:101], v[100:101], v[104:105], 0
	buffer_load_dword v105, off, s[0:3], 0 offset:204
	buffer_load_dword v104, off, s[0:3], 0 offset:200
	s_waitcnt vmcnt(12)
	v_fmac_f64_e32 v[100:101], v[120:121], v[106:107]
	s_waitcnt vmcnt(10) lgkmcnt(2)
	v_fmac_f64_e32 v[100:101], v[122:123], v[108:109]
	buffer_load_dword v109, off, s[0:3], 0 offset:212
	buffer_load_dword v108, off, s[0:3], 0 offset:208
	s_waitcnt vmcnt(10)
	v_fmac_f64_e32 v[100:101], v[124:125], v[110:111]
	s_waitcnt vmcnt(8) lgkmcnt(1)
	v_fmac_f64_e32 v[100:101], v[126:127], v[112:113]
	s_waitcnt vmcnt(6)
	v_fmac_f64_e32 v[100:101], v[128:129], v[114:115]
	s_waitcnt vmcnt(4) lgkmcnt(0)
	v_fmac_f64_e32 v[100:101], v[130:131], v[116:117]
	s_waitcnt vmcnt(2)
	v_fmac_f64_e32 v[100:101], v[104:105], v[118:119]
	ds_read_b128 v[104:107], v102 offset:592
	s_waitcnt vmcnt(0) lgkmcnt(0)
	v_fmac_f64_e32 v[100:101], v[108:109], v[104:105]
	buffer_load_dword v105, off, s[0:3], 0 offset:220
	buffer_load_dword v104, off, s[0:3], 0 offset:216
	buffer_load_dword v109, off, s[0:3], 0 offset:228
	buffer_load_dword v108, off, s[0:3], 0 offset:224
	s_waitcnt vmcnt(2)
	v_fmac_f64_e32 v[100:101], v[104:105], v[106:107]
	ds_read_b128 v[104:107], v102 offset:608
	s_waitcnt vmcnt(0) lgkmcnt(0)
	v_fmac_f64_e32 v[100:101], v[108:109], v[104:105]
	buffer_load_dword v105, off, s[0:3], 0 offset:236
	buffer_load_dword v104, off, s[0:3], 0 offset:232
	buffer_load_dword v109, off, s[0:3], 0 offset:244
	buffer_load_dword v108, off, s[0:3], 0 offset:240
	;; [unrolled: 9-line block ×9, first 2 shown]
	s_waitcnt vmcnt(2)
	v_fmac_f64_e32 v[100:101], v[104:105], v[106:107]
	ds_read_b128 v[104:107], v102 offset:736
	s_waitcnt vmcnt(0) lgkmcnt(0)
	v_fmac_f64_e32 v[100:101], v[108:109], v[104:105]
	buffer_load_dword v105, off, s[0:3], 0 offset:364
	buffer_load_dword v104, off, s[0:3], 0 offset:360
	s_waitcnt vmcnt(0)
	v_fmac_f64_e32 v[100:101], v[104:105], v[106:107]
	buffer_load_dword v107, off, s[0:3], 0 offset:372
	buffer_load_dword v106, off, s[0:3], 0 offset:368
	ds_read_b128 v[102:105], v102 offset:752
	s_waitcnt vmcnt(0) lgkmcnt(0)
	v_fmac_f64_e32 v[100:101], v[106:107], v[102:103]
	buffer_load_dword v103, off, s[0:3], 0 offset:380
	buffer_load_dword v102, off, s[0:3], 0 offset:376
	s_waitcnt vmcnt(0)
	v_fmac_f64_e32 v[100:101], v[102:103], v[104:105]
	v_add_f64 v[98:99], v[98:99], -v[100:101]
	buffer_store_dword v99, off, s[0:3], 0 offset:140
	buffer_store_dword v98, off, s[0:3], 0 offset:136
	s_and_saveexec_b64 s[4:5], vcc
	s_cbranch_execz .LBB47_263
; %bb.262:
	buffer_load_dword v98, off, s[0:3], 0 offset:128
	buffer_load_dword v99, off, s[0:3], 0 offset:132
	v_mov_b32_e32 v100, 0
	buffer_store_dword v100, off, s[0:3], 0 offset:128
	buffer_store_dword v100, off, s[0:3], 0 offset:132
	s_waitcnt vmcnt(2)
	ds_write_b64 v1, v[98:99]
.LBB47_263:
	s_or_b64 exec, exec, s[4:5]
	s_waitcnt lgkmcnt(0)
	; wave barrier
	s_waitcnt lgkmcnt(0)
	buffer_load_dword v98, off, s[0:3], 0 offset:128
	buffer_load_dword v99, off, s[0:3], 0 offset:132
	;; [unrolled: 1-line block ×16, first 2 shown]
	v_mov_b32_e32 v102, 0
	ds_read2_b64 v[104:107], v102 offset0:65 offset1:66
	v_cmp_lt_u32_e32 vcc, 15, v0
	s_waitcnt vmcnt(12) lgkmcnt(0)
	v_fma_f64 v[100:101], v[100:101], v[104:105], 0
	s_waitcnt vmcnt(10)
	v_fmac_f64_e32 v[100:101], v[108:109], v[106:107]
	ds_read2_b64 v[104:107], v102 offset0:67 offset1:68
	s_waitcnt vmcnt(8) lgkmcnt(0)
	v_fmac_f64_e32 v[100:101], v[110:111], v[104:105]
	s_waitcnt vmcnt(6)
	v_fmac_f64_e32 v[100:101], v[112:113], v[106:107]
	ds_read2_b64 v[104:107], v102 offset0:69 offset1:70
	s_waitcnt vmcnt(4) lgkmcnt(0)
	v_fmac_f64_e32 v[100:101], v[114:115], v[104:105]
	;; [unrolled: 5-line block ×3, first 2 shown]
	buffer_load_dword v105, off, s[0:3], 0 offset:196
	buffer_load_dword v104, off, s[0:3], 0 offset:192
	buffer_load_dword v109, off, s[0:3], 0 offset:204
	buffer_load_dword v108, off, s[0:3], 0 offset:200
	s_waitcnt vmcnt(2)
	v_fmac_f64_e32 v[100:101], v[104:105], v[106:107]
	ds_read2_b64 v[104:107], v102 offset0:73 offset1:74
	s_waitcnt vmcnt(0) lgkmcnt(0)
	v_fmac_f64_e32 v[100:101], v[108:109], v[104:105]
	buffer_load_dword v105, off, s[0:3], 0 offset:212
	buffer_load_dword v104, off, s[0:3], 0 offset:208
	buffer_load_dword v109, off, s[0:3], 0 offset:220
	buffer_load_dword v108, off, s[0:3], 0 offset:216
	s_waitcnt vmcnt(2)
	v_fmac_f64_e32 v[100:101], v[104:105], v[106:107]
	ds_read2_b64 v[104:107], v102 offset0:75 offset1:76
	s_waitcnt vmcnt(0) lgkmcnt(0)
	v_fmac_f64_e32 v[100:101], v[108:109], v[104:105]
	;; [unrolled: 9-line block ×11, first 2 shown]
	buffer_load_dword v105, off, s[0:3], 0 offset:372
	buffer_load_dword v104, off, s[0:3], 0 offset:368
	s_waitcnt vmcnt(0)
	v_fmac_f64_e32 v[100:101], v[104:105], v[106:107]
	buffer_load_dword v105, off, s[0:3], 0 offset:380
	buffer_load_dword v104, off, s[0:3], 0 offset:376
	ds_read_b64 v[106:107], v102 offset:760
	s_waitcnt vmcnt(0) lgkmcnt(0)
	v_fmac_f64_e32 v[100:101], v[104:105], v[106:107]
	v_add_f64 v[98:99], v[98:99], -v[100:101]
	buffer_store_dword v99, off, s[0:3], 0 offset:132
	buffer_store_dword v98, off, s[0:3], 0 offset:128
	s_and_saveexec_b64 s[4:5], vcc
	s_cbranch_execz .LBB47_265
; %bb.264:
	buffer_load_dword v98, off, s[0:3], 0 offset:120
	buffer_load_dword v99, off, s[0:3], 0 offset:124
	s_waitcnt vmcnt(0)
	ds_write_b64 v1, v[98:99]
	buffer_store_dword v102, off, s[0:3], 0 offset:120
	buffer_store_dword v102, off, s[0:3], 0 offset:124
.LBB47_265:
	s_or_b64 exec, exec, s[4:5]
	s_waitcnt lgkmcnt(0)
	; wave barrier
	s_waitcnt lgkmcnt(0)
	buffer_load_dword v98, off, s[0:3], 0 offset:120
	buffer_load_dword v99, off, s[0:3], 0 offset:124
	;; [unrolled: 1-line block ×16, first 2 shown]
	ds_read_b128 v[104:107], v102 offset:512
	ds_read_b128 v[108:111], v102 offset:528
	ds_read_b128 v[112:115], v102 offset:544
	ds_read_b128 v[116:119], v102 offset:560
	v_cmp_lt_u32_e32 vcc, 14, v0
	s_waitcnt vmcnt(12) lgkmcnt(3)
	v_fma_f64 v[100:101], v[100:101], v[104:105], 0
	buffer_load_dword v105, off, s[0:3], 0 offset:188
	buffer_load_dword v104, off, s[0:3], 0 offset:184
	s_waitcnt vmcnt(12)
	v_fmac_f64_e32 v[100:101], v[120:121], v[106:107]
	s_waitcnt vmcnt(10) lgkmcnt(2)
	v_fmac_f64_e32 v[100:101], v[122:123], v[108:109]
	buffer_load_dword v109, off, s[0:3], 0 offset:196
	buffer_load_dword v108, off, s[0:3], 0 offset:192
	s_waitcnt vmcnt(10)
	v_fmac_f64_e32 v[100:101], v[124:125], v[110:111]
	s_waitcnt vmcnt(8) lgkmcnt(1)
	v_fmac_f64_e32 v[100:101], v[126:127], v[112:113]
	s_waitcnt vmcnt(6)
	v_fmac_f64_e32 v[100:101], v[128:129], v[114:115]
	s_waitcnt vmcnt(4) lgkmcnt(0)
	v_fmac_f64_e32 v[100:101], v[130:131], v[116:117]
	s_waitcnt vmcnt(2)
	v_fmac_f64_e32 v[100:101], v[104:105], v[118:119]
	ds_read_b128 v[104:107], v102 offset:576
	s_waitcnt vmcnt(0) lgkmcnt(0)
	v_fmac_f64_e32 v[100:101], v[108:109], v[104:105]
	buffer_load_dword v105, off, s[0:3], 0 offset:204
	buffer_load_dword v104, off, s[0:3], 0 offset:200
	buffer_load_dword v109, off, s[0:3], 0 offset:212
	buffer_load_dword v108, off, s[0:3], 0 offset:208
	s_waitcnt vmcnt(2)
	v_fmac_f64_e32 v[100:101], v[104:105], v[106:107]
	ds_read_b128 v[104:107], v102 offset:592
	s_waitcnt vmcnt(0) lgkmcnt(0)
	v_fmac_f64_e32 v[100:101], v[108:109], v[104:105]
	buffer_load_dword v105, off, s[0:3], 0 offset:220
	buffer_load_dword v104, off, s[0:3], 0 offset:216
	buffer_load_dword v109, off, s[0:3], 0 offset:228
	buffer_load_dword v108, off, s[0:3], 0 offset:224
	;; [unrolled: 9-line block ×10, first 2 shown]
	s_waitcnt vmcnt(2)
	v_fmac_f64_e32 v[100:101], v[104:105], v[106:107]
	ds_read_b128 v[104:107], v102 offset:736
	s_waitcnt vmcnt(0) lgkmcnt(0)
	v_fmac_f64_e32 v[100:101], v[108:109], v[104:105]
	buffer_load_dword v105, off, s[0:3], 0 offset:364
	buffer_load_dword v104, off, s[0:3], 0 offset:360
	s_waitcnt vmcnt(0)
	v_fmac_f64_e32 v[100:101], v[104:105], v[106:107]
	buffer_load_dword v107, off, s[0:3], 0 offset:372
	buffer_load_dword v106, off, s[0:3], 0 offset:368
	ds_read_b128 v[102:105], v102 offset:752
	s_waitcnt vmcnt(0) lgkmcnt(0)
	v_fmac_f64_e32 v[100:101], v[106:107], v[102:103]
	buffer_load_dword v103, off, s[0:3], 0 offset:380
	buffer_load_dword v102, off, s[0:3], 0 offset:376
	s_waitcnt vmcnt(0)
	v_fmac_f64_e32 v[100:101], v[102:103], v[104:105]
	v_add_f64 v[98:99], v[98:99], -v[100:101]
	buffer_store_dword v99, off, s[0:3], 0 offset:124
	buffer_store_dword v98, off, s[0:3], 0 offset:120
	s_and_saveexec_b64 s[4:5], vcc
	s_cbranch_execz .LBB47_267
; %bb.266:
	buffer_load_dword v98, off, s[0:3], 0 offset:112
	buffer_load_dword v99, off, s[0:3], 0 offset:116
	v_mov_b32_e32 v100, 0
	buffer_store_dword v100, off, s[0:3], 0 offset:112
	buffer_store_dword v100, off, s[0:3], 0 offset:116
	s_waitcnt vmcnt(2)
	ds_write_b64 v1, v[98:99]
.LBB47_267:
	s_or_b64 exec, exec, s[4:5]
	s_waitcnt lgkmcnt(0)
	; wave barrier
	s_waitcnt lgkmcnt(0)
	buffer_load_dword v98, off, s[0:3], 0 offset:112
	buffer_load_dword v99, off, s[0:3], 0 offset:116
	;; [unrolled: 1-line block ×16, first 2 shown]
	v_mov_b32_e32 v102, 0
	ds_read2_b64 v[104:107], v102 offset0:63 offset1:64
	v_cmp_lt_u32_e32 vcc, 13, v0
	s_waitcnt vmcnt(12) lgkmcnt(0)
	v_fma_f64 v[100:101], v[100:101], v[104:105], 0
	s_waitcnt vmcnt(10)
	v_fmac_f64_e32 v[100:101], v[108:109], v[106:107]
	ds_read2_b64 v[104:107], v102 offset0:65 offset1:66
	s_waitcnt vmcnt(8) lgkmcnt(0)
	v_fmac_f64_e32 v[100:101], v[110:111], v[104:105]
	s_waitcnt vmcnt(6)
	v_fmac_f64_e32 v[100:101], v[112:113], v[106:107]
	ds_read2_b64 v[104:107], v102 offset0:67 offset1:68
	s_waitcnt vmcnt(4) lgkmcnt(0)
	v_fmac_f64_e32 v[100:101], v[114:115], v[104:105]
	;; [unrolled: 5-line block ×3, first 2 shown]
	buffer_load_dword v105, off, s[0:3], 0 offset:180
	buffer_load_dword v104, off, s[0:3], 0 offset:176
	buffer_load_dword v109, off, s[0:3], 0 offset:188
	buffer_load_dword v108, off, s[0:3], 0 offset:184
	s_waitcnt vmcnt(2)
	v_fmac_f64_e32 v[100:101], v[104:105], v[106:107]
	ds_read2_b64 v[104:107], v102 offset0:71 offset1:72
	s_waitcnt vmcnt(0) lgkmcnt(0)
	v_fmac_f64_e32 v[100:101], v[108:109], v[104:105]
	buffer_load_dword v105, off, s[0:3], 0 offset:196
	buffer_load_dword v104, off, s[0:3], 0 offset:192
	buffer_load_dword v109, off, s[0:3], 0 offset:204
	buffer_load_dword v108, off, s[0:3], 0 offset:200
	s_waitcnt vmcnt(2)
	v_fmac_f64_e32 v[100:101], v[104:105], v[106:107]
	ds_read2_b64 v[104:107], v102 offset0:73 offset1:74
	s_waitcnt vmcnt(0) lgkmcnt(0)
	v_fmac_f64_e32 v[100:101], v[108:109], v[104:105]
	;; [unrolled: 9-line block ×12, first 2 shown]
	buffer_load_dword v105, off, s[0:3], 0 offset:372
	buffer_load_dword v104, off, s[0:3], 0 offset:368
	s_waitcnt vmcnt(0)
	v_fmac_f64_e32 v[100:101], v[104:105], v[106:107]
	buffer_load_dword v105, off, s[0:3], 0 offset:380
	buffer_load_dword v104, off, s[0:3], 0 offset:376
	ds_read_b64 v[106:107], v102 offset:760
	s_waitcnt vmcnt(0) lgkmcnt(0)
	v_fmac_f64_e32 v[100:101], v[104:105], v[106:107]
	v_add_f64 v[98:99], v[98:99], -v[100:101]
	buffer_store_dword v99, off, s[0:3], 0 offset:116
	buffer_store_dword v98, off, s[0:3], 0 offset:112
	s_and_saveexec_b64 s[4:5], vcc
	s_cbranch_execz .LBB47_269
; %bb.268:
	buffer_load_dword v98, off, s[0:3], 0 offset:104
	buffer_load_dword v99, off, s[0:3], 0 offset:108
	s_waitcnt vmcnt(0)
	ds_write_b64 v1, v[98:99]
	buffer_store_dword v102, off, s[0:3], 0 offset:104
	buffer_store_dword v102, off, s[0:3], 0 offset:108
.LBB47_269:
	s_or_b64 exec, exec, s[4:5]
	s_waitcnt lgkmcnt(0)
	; wave barrier
	s_waitcnt lgkmcnt(0)
	buffer_load_dword v98, off, s[0:3], 0 offset:104
	buffer_load_dword v99, off, s[0:3], 0 offset:108
	buffer_load_dword v100, off, s[0:3], 0 offset:112
	buffer_load_dword v101, off, s[0:3], 0 offset:116
	buffer_load_dword v120, off, s[0:3], 0 offset:120
	buffer_load_dword v121, off, s[0:3], 0 offset:124
	buffer_load_dword v122, off, s[0:3], 0 offset:128
	buffer_load_dword v123, off, s[0:3], 0 offset:132
	buffer_load_dword v124, off, s[0:3], 0 offset:136
	buffer_load_dword v125, off, s[0:3], 0 offset:140
	buffer_load_dword v126, off, s[0:3], 0 offset:144
	buffer_load_dword v127, off, s[0:3], 0 offset:148
	buffer_load_dword v128, off, s[0:3], 0 offset:152
	buffer_load_dword v129, off, s[0:3], 0 offset:156
	buffer_load_dword v130, off, s[0:3], 0 offset:160
	buffer_load_dword v131, off, s[0:3], 0 offset:164
	ds_read_b128 v[104:107], v102 offset:496
	ds_read_b128 v[108:111], v102 offset:512
	;; [unrolled: 1-line block ×4, first 2 shown]
	v_cmp_lt_u32_e32 vcc, 12, v0
	s_waitcnt vmcnt(12) lgkmcnt(3)
	v_fma_f64 v[100:101], v[100:101], v[104:105], 0
	buffer_load_dword v105, off, s[0:3], 0 offset:172
	buffer_load_dword v104, off, s[0:3], 0 offset:168
	s_waitcnt vmcnt(12)
	v_fmac_f64_e32 v[100:101], v[120:121], v[106:107]
	s_waitcnt vmcnt(10) lgkmcnt(2)
	v_fmac_f64_e32 v[100:101], v[122:123], v[108:109]
	buffer_load_dword v109, off, s[0:3], 0 offset:180
	buffer_load_dword v108, off, s[0:3], 0 offset:176
	s_waitcnt vmcnt(10)
	v_fmac_f64_e32 v[100:101], v[124:125], v[110:111]
	s_waitcnt vmcnt(8) lgkmcnt(1)
	v_fmac_f64_e32 v[100:101], v[126:127], v[112:113]
	s_waitcnt vmcnt(6)
	v_fmac_f64_e32 v[100:101], v[128:129], v[114:115]
	s_waitcnt vmcnt(4) lgkmcnt(0)
	v_fmac_f64_e32 v[100:101], v[130:131], v[116:117]
	s_waitcnt vmcnt(2)
	v_fmac_f64_e32 v[100:101], v[104:105], v[118:119]
	ds_read_b128 v[104:107], v102 offset:560
	s_waitcnt vmcnt(0) lgkmcnt(0)
	v_fmac_f64_e32 v[100:101], v[108:109], v[104:105]
	buffer_load_dword v105, off, s[0:3], 0 offset:188
	buffer_load_dword v104, off, s[0:3], 0 offset:184
	buffer_load_dword v109, off, s[0:3], 0 offset:196
	buffer_load_dword v108, off, s[0:3], 0 offset:192
	s_waitcnt vmcnt(2)
	v_fmac_f64_e32 v[100:101], v[104:105], v[106:107]
	ds_read_b128 v[104:107], v102 offset:576
	s_waitcnt vmcnt(0) lgkmcnt(0)
	v_fmac_f64_e32 v[100:101], v[108:109], v[104:105]
	buffer_load_dword v105, off, s[0:3], 0 offset:204
	buffer_load_dword v104, off, s[0:3], 0 offset:200
	buffer_load_dword v109, off, s[0:3], 0 offset:212
	buffer_load_dword v108, off, s[0:3], 0 offset:208
	;; [unrolled: 9-line block ×11, first 2 shown]
	s_waitcnt vmcnt(2)
	v_fmac_f64_e32 v[100:101], v[104:105], v[106:107]
	ds_read_b128 v[104:107], v102 offset:736
	s_waitcnt vmcnt(0) lgkmcnt(0)
	v_fmac_f64_e32 v[100:101], v[108:109], v[104:105]
	buffer_load_dword v105, off, s[0:3], 0 offset:364
	buffer_load_dword v104, off, s[0:3], 0 offset:360
	s_waitcnt vmcnt(0)
	v_fmac_f64_e32 v[100:101], v[104:105], v[106:107]
	buffer_load_dword v107, off, s[0:3], 0 offset:372
	buffer_load_dword v106, off, s[0:3], 0 offset:368
	ds_read_b128 v[102:105], v102 offset:752
	s_waitcnt vmcnt(0) lgkmcnt(0)
	v_fmac_f64_e32 v[100:101], v[106:107], v[102:103]
	buffer_load_dword v103, off, s[0:3], 0 offset:380
	buffer_load_dword v102, off, s[0:3], 0 offset:376
	s_waitcnt vmcnt(0)
	v_fmac_f64_e32 v[100:101], v[102:103], v[104:105]
	v_add_f64 v[98:99], v[98:99], -v[100:101]
	buffer_store_dword v99, off, s[0:3], 0 offset:108
	buffer_store_dword v98, off, s[0:3], 0 offset:104
	s_and_saveexec_b64 s[4:5], vcc
	s_cbranch_execz .LBB47_271
; %bb.270:
	buffer_load_dword v98, off, s[0:3], 0 offset:96
	buffer_load_dword v99, off, s[0:3], 0 offset:100
	v_mov_b32_e32 v100, 0
	buffer_store_dword v100, off, s[0:3], 0 offset:96
	buffer_store_dword v100, off, s[0:3], 0 offset:100
	s_waitcnt vmcnt(2)
	ds_write_b64 v1, v[98:99]
.LBB47_271:
	s_or_b64 exec, exec, s[4:5]
	s_waitcnt lgkmcnt(0)
	; wave barrier
	s_waitcnt lgkmcnt(0)
	buffer_load_dword v98, off, s[0:3], 0 offset:96
	buffer_load_dword v99, off, s[0:3], 0 offset:100
	;; [unrolled: 1-line block ×16, first 2 shown]
	v_mov_b32_e32 v102, 0
	ds_read2_b64 v[104:107], v102 offset0:61 offset1:62
	v_cmp_lt_u32_e32 vcc, 11, v0
	s_waitcnt vmcnt(12) lgkmcnt(0)
	v_fma_f64 v[100:101], v[100:101], v[104:105], 0
	s_waitcnt vmcnt(10)
	v_fmac_f64_e32 v[100:101], v[108:109], v[106:107]
	ds_read2_b64 v[104:107], v102 offset0:63 offset1:64
	s_waitcnt vmcnt(8) lgkmcnt(0)
	v_fmac_f64_e32 v[100:101], v[110:111], v[104:105]
	s_waitcnt vmcnt(6)
	v_fmac_f64_e32 v[100:101], v[112:113], v[106:107]
	ds_read2_b64 v[104:107], v102 offset0:65 offset1:66
	s_waitcnt vmcnt(4) lgkmcnt(0)
	v_fmac_f64_e32 v[100:101], v[114:115], v[104:105]
	;; [unrolled: 5-line block ×3, first 2 shown]
	buffer_load_dword v105, off, s[0:3], 0 offset:164
	buffer_load_dword v104, off, s[0:3], 0 offset:160
	buffer_load_dword v109, off, s[0:3], 0 offset:172
	buffer_load_dword v108, off, s[0:3], 0 offset:168
	s_waitcnt vmcnt(2)
	v_fmac_f64_e32 v[100:101], v[104:105], v[106:107]
	ds_read2_b64 v[104:107], v102 offset0:69 offset1:70
	s_waitcnt vmcnt(0) lgkmcnt(0)
	v_fmac_f64_e32 v[100:101], v[108:109], v[104:105]
	buffer_load_dword v105, off, s[0:3], 0 offset:180
	buffer_load_dword v104, off, s[0:3], 0 offset:176
	buffer_load_dword v109, off, s[0:3], 0 offset:188
	buffer_load_dword v108, off, s[0:3], 0 offset:184
	s_waitcnt vmcnt(2)
	v_fmac_f64_e32 v[100:101], v[104:105], v[106:107]
	ds_read2_b64 v[104:107], v102 offset0:71 offset1:72
	s_waitcnt vmcnt(0) lgkmcnt(0)
	v_fmac_f64_e32 v[100:101], v[108:109], v[104:105]
	;; [unrolled: 9-line block ×13, first 2 shown]
	buffer_load_dword v105, off, s[0:3], 0 offset:372
	buffer_load_dword v104, off, s[0:3], 0 offset:368
	s_waitcnt vmcnt(0)
	v_fmac_f64_e32 v[100:101], v[104:105], v[106:107]
	buffer_load_dword v105, off, s[0:3], 0 offset:380
	buffer_load_dword v104, off, s[0:3], 0 offset:376
	ds_read_b64 v[106:107], v102 offset:760
	s_waitcnt vmcnt(0) lgkmcnt(0)
	v_fmac_f64_e32 v[100:101], v[104:105], v[106:107]
	v_add_f64 v[98:99], v[98:99], -v[100:101]
	buffer_store_dword v99, off, s[0:3], 0 offset:100
	buffer_store_dword v98, off, s[0:3], 0 offset:96
	s_and_saveexec_b64 s[4:5], vcc
	s_cbranch_execz .LBB47_273
; %bb.272:
	buffer_load_dword v98, off, s[0:3], 0 offset:88
	buffer_load_dword v99, off, s[0:3], 0 offset:92
	s_waitcnt vmcnt(0)
	ds_write_b64 v1, v[98:99]
	buffer_store_dword v102, off, s[0:3], 0 offset:88
	buffer_store_dword v102, off, s[0:3], 0 offset:92
.LBB47_273:
	s_or_b64 exec, exec, s[4:5]
	s_waitcnt lgkmcnt(0)
	; wave barrier
	s_waitcnt lgkmcnt(0)
	buffer_load_dword v98, off, s[0:3], 0 offset:88
	buffer_load_dword v99, off, s[0:3], 0 offset:92
	;; [unrolled: 1-line block ×16, first 2 shown]
	ds_read_b128 v[104:107], v102 offset:480
	ds_read_b128 v[108:111], v102 offset:496
	;; [unrolled: 1-line block ×4, first 2 shown]
	v_cmp_lt_u32_e32 vcc, 10, v0
	s_waitcnt vmcnt(12) lgkmcnt(3)
	v_fma_f64 v[100:101], v[100:101], v[104:105], 0
	buffer_load_dword v105, off, s[0:3], 0 offset:156
	buffer_load_dword v104, off, s[0:3], 0 offset:152
	s_waitcnt vmcnt(12)
	v_fmac_f64_e32 v[100:101], v[120:121], v[106:107]
	s_waitcnt vmcnt(10) lgkmcnt(2)
	v_fmac_f64_e32 v[100:101], v[122:123], v[108:109]
	buffer_load_dword v109, off, s[0:3], 0 offset:164
	buffer_load_dword v108, off, s[0:3], 0 offset:160
	s_waitcnt vmcnt(10)
	v_fmac_f64_e32 v[100:101], v[124:125], v[110:111]
	s_waitcnt vmcnt(8) lgkmcnt(1)
	v_fmac_f64_e32 v[100:101], v[126:127], v[112:113]
	s_waitcnt vmcnt(6)
	v_fmac_f64_e32 v[100:101], v[128:129], v[114:115]
	s_waitcnt vmcnt(4) lgkmcnt(0)
	v_fmac_f64_e32 v[100:101], v[130:131], v[116:117]
	s_waitcnt vmcnt(2)
	v_fmac_f64_e32 v[100:101], v[104:105], v[118:119]
	ds_read_b128 v[104:107], v102 offset:544
	s_waitcnt vmcnt(0) lgkmcnt(0)
	v_fmac_f64_e32 v[100:101], v[108:109], v[104:105]
	buffer_load_dword v105, off, s[0:3], 0 offset:172
	buffer_load_dword v104, off, s[0:3], 0 offset:168
	buffer_load_dword v109, off, s[0:3], 0 offset:180
	buffer_load_dword v108, off, s[0:3], 0 offset:176
	s_waitcnt vmcnt(2)
	v_fmac_f64_e32 v[100:101], v[104:105], v[106:107]
	ds_read_b128 v[104:107], v102 offset:560
	s_waitcnt vmcnt(0) lgkmcnt(0)
	v_fmac_f64_e32 v[100:101], v[108:109], v[104:105]
	buffer_load_dword v105, off, s[0:3], 0 offset:188
	buffer_load_dword v104, off, s[0:3], 0 offset:184
	buffer_load_dword v109, off, s[0:3], 0 offset:196
	buffer_load_dword v108, off, s[0:3], 0 offset:192
	;; [unrolled: 9-line block ×12, first 2 shown]
	s_waitcnt vmcnt(2)
	v_fmac_f64_e32 v[100:101], v[104:105], v[106:107]
	ds_read_b128 v[104:107], v102 offset:736
	s_waitcnt vmcnt(0) lgkmcnt(0)
	v_fmac_f64_e32 v[100:101], v[108:109], v[104:105]
	buffer_load_dword v105, off, s[0:3], 0 offset:364
	buffer_load_dword v104, off, s[0:3], 0 offset:360
	s_waitcnt vmcnt(0)
	v_fmac_f64_e32 v[100:101], v[104:105], v[106:107]
	buffer_load_dword v107, off, s[0:3], 0 offset:372
	buffer_load_dword v106, off, s[0:3], 0 offset:368
	ds_read_b128 v[102:105], v102 offset:752
	s_waitcnt vmcnt(0) lgkmcnt(0)
	v_fmac_f64_e32 v[100:101], v[106:107], v[102:103]
	buffer_load_dword v103, off, s[0:3], 0 offset:380
	buffer_load_dword v102, off, s[0:3], 0 offset:376
	s_waitcnt vmcnt(0)
	v_fmac_f64_e32 v[100:101], v[102:103], v[104:105]
	v_add_f64 v[98:99], v[98:99], -v[100:101]
	buffer_store_dword v99, off, s[0:3], 0 offset:92
	buffer_store_dword v98, off, s[0:3], 0 offset:88
	s_and_saveexec_b64 s[4:5], vcc
	s_cbranch_execz .LBB47_275
; %bb.274:
	buffer_load_dword v98, off, s[0:3], 0 offset:80
	buffer_load_dword v99, off, s[0:3], 0 offset:84
	v_mov_b32_e32 v100, 0
	buffer_store_dword v100, off, s[0:3], 0 offset:80
	buffer_store_dword v100, off, s[0:3], 0 offset:84
	s_waitcnt vmcnt(2)
	ds_write_b64 v1, v[98:99]
.LBB47_275:
	s_or_b64 exec, exec, s[4:5]
	s_waitcnt lgkmcnt(0)
	; wave barrier
	s_waitcnt lgkmcnt(0)
	buffer_load_dword v98, off, s[0:3], 0 offset:80
	buffer_load_dword v99, off, s[0:3], 0 offset:84
	;; [unrolled: 1-line block ×16, first 2 shown]
	v_mov_b32_e32 v102, 0
	ds_read2_b64 v[104:107], v102 offset0:59 offset1:60
	v_cmp_lt_u32_e32 vcc, 9, v0
	s_waitcnt vmcnt(12) lgkmcnt(0)
	v_fma_f64 v[100:101], v[100:101], v[104:105], 0
	s_waitcnt vmcnt(10)
	v_fmac_f64_e32 v[100:101], v[108:109], v[106:107]
	ds_read2_b64 v[104:107], v102 offset0:61 offset1:62
	s_waitcnt vmcnt(8) lgkmcnt(0)
	v_fmac_f64_e32 v[100:101], v[110:111], v[104:105]
	s_waitcnt vmcnt(6)
	v_fmac_f64_e32 v[100:101], v[112:113], v[106:107]
	ds_read2_b64 v[104:107], v102 offset0:63 offset1:64
	s_waitcnt vmcnt(4) lgkmcnt(0)
	v_fmac_f64_e32 v[100:101], v[114:115], v[104:105]
	;; [unrolled: 5-line block ×3, first 2 shown]
	buffer_load_dword v105, off, s[0:3], 0 offset:148
	buffer_load_dword v104, off, s[0:3], 0 offset:144
	buffer_load_dword v109, off, s[0:3], 0 offset:156
	buffer_load_dword v108, off, s[0:3], 0 offset:152
	s_waitcnt vmcnt(2)
	v_fmac_f64_e32 v[100:101], v[104:105], v[106:107]
	ds_read2_b64 v[104:107], v102 offset0:67 offset1:68
	s_waitcnt vmcnt(0) lgkmcnt(0)
	v_fmac_f64_e32 v[100:101], v[108:109], v[104:105]
	buffer_load_dword v105, off, s[0:3], 0 offset:164
	buffer_load_dword v104, off, s[0:3], 0 offset:160
	buffer_load_dword v109, off, s[0:3], 0 offset:172
	buffer_load_dword v108, off, s[0:3], 0 offset:168
	s_waitcnt vmcnt(2)
	v_fmac_f64_e32 v[100:101], v[104:105], v[106:107]
	ds_read2_b64 v[104:107], v102 offset0:69 offset1:70
	s_waitcnt vmcnt(0) lgkmcnt(0)
	v_fmac_f64_e32 v[100:101], v[108:109], v[104:105]
	;; [unrolled: 9-line block ×14, first 2 shown]
	buffer_load_dword v105, off, s[0:3], 0 offset:372
	buffer_load_dword v104, off, s[0:3], 0 offset:368
	s_waitcnt vmcnt(0)
	v_fmac_f64_e32 v[100:101], v[104:105], v[106:107]
	buffer_load_dword v105, off, s[0:3], 0 offset:380
	buffer_load_dword v104, off, s[0:3], 0 offset:376
	ds_read_b64 v[106:107], v102 offset:760
	s_waitcnt vmcnt(0) lgkmcnt(0)
	v_fmac_f64_e32 v[100:101], v[104:105], v[106:107]
	v_add_f64 v[98:99], v[98:99], -v[100:101]
	buffer_store_dword v99, off, s[0:3], 0 offset:84
	buffer_store_dword v98, off, s[0:3], 0 offset:80
	s_and_saveexec_b64 s[4:5], vcc
	s_cbranch_execz .LBB47_277
; %bb.276:
	buffer_load_dword v98, off, s[0:3], 0 offset:72
	buffer_load_dword v99, off, s[0:3], 0 offset:76
	s_waitcnt vmcnt(0)
	ds_write_b64 v1, v[98:99]
	buffer_store_dword v102, off, s[0:3], 0 offset:72
	buffer_store_dword v102, off, s[0:3], 0 offset:76
.LBB47_277:
	s_or_b64 exec, exec, s[4:5]
	s_waitcnt lgkmcnt(0)
	; wave barrier
	s_waitcnt lgkmcnt(0)
	buffer_load_dword v98, off, s[0:3], 0 offset:72
	buffer_load_dword v99, off, s[0:3], 0 offset:76
	;; [unrolled: 1-line block ×16, first 2 shown]
	ds_read_b128 v[104:107], v102 offset:464
	ds_read_b128 v[108:111], v102 offset:480
	;; [unrolled: 1-line block ×4, first 2 shown]
	v_cmp_lt_u32_e32 vcc, 8, v0
	s_waitcnt vmcnt(12) lgkmcnt(3)
	v_fma_f64 v[100:101], v[100:101], v[104:105], 0
	buffer_load_dword v105, off, s[0:3], 0 offset:140
	buffer_load_dword v104, off, s[0:3], 0 offset:136
	s_waitcnt vmcnt(12)
	v_fmac_f64_e32 v[100:101], v[120:121], v[106:107]
	s_waitcnt vmcnt(10) lgkmcnt(2)
	v_fmac_f64_e32 v[100:101], v[122:123], v[108:109]
	buffer_load_dword v109, off, s[0:3], 0 offset:148
	buffer_load_dword v108, off, s[0:3], 0 offset:144
	s_waitcnt vmcnt(10)
	v_fmac_f64_e32 v[100:101], v[124:125], v[110:111]
	s_waitcnt vmcnt(8) lgkmcnt(1)
	v_fmac_f64_e32 v[100:101], v[126:127], v[112:113]
	s_waitcnt vmcnt(6)
	v_fmac_f64_e32 v[100:101], v[128:129], v[114:115]
	s_waitcnt vmcnt(4) lgkmcnt(0)
	v_fmac_f64_e32 v[100:101], v[130:131], v[116:117]
	s_waitcnt vmcnt(2)
	v_fmac_f64_e32 v[100:101], v[104:105], v[118:119]
	ds_read_b128 v[104:107], v102 offset:528
	s_waitcnt vmcnt(0) lgkmcnt(0)
	v_fmac_f64_e32 v[100:101], v[108:109], v[104:105]
	buffer_load_dword v105, off, s[0:3], 0 offset:156
	buffer_load_dword v104, off, s[0:3], 0 offset:152
	buffer_load_dword v109, off, s[0:3], 0 offset:164
	buffer_load_dword v108, off, s[0:3], 0 offset:160
	s_waitcnt vmcnt(2)
	v_fmac_f64_e32 v[100:101], v[104:105], v[106:107]
	ds_read_b128 v[104:107], v102 offset:544
	s_waitcnt vmcnt(0) lgkmcnt(0)
	v_fmac_f64_e32 v[100:101], v[108:109], v[104:105]
	buffer_load_dword v105, off, s[0:3], 0 offset:172
	buffer_load_dword v104, off, s[0:3], 0 offset:168
	buffer_load_dword v109, off, s[0:3], 0 offset:180
	buffer_load_dword v108, off, s[0:3], 0 offset:176
	;; [unrolled: 9-line block ×13, first 2 shown]
	s_waitcnt vmcnt(2)
	v_fmac_f64_e32 v[100:101], v[104:105], v[106:107]
	ds_read_b128 v[104:107], v102 offset:736
	s_waitcnt vmcnt(0) lgkmcnt(0)
	v_fmac_f64_e32 v[100:101], v[108:109], v[104:105]
	buffer_load_dword v105, off, s[0:3], 0 offset:364
	buffer_load_dword v104, off, s[0:3], 0 offset:360
	s_waitcnt vmcnt(0)
	v_fmac_f64_e32 v[100:101], v[104:105], v[106:107]
	buffer_load_dword v107, off, s[0:3], 0 offset:372
	buffer_load_dword v106, off, s[0:3], 0 offset:368
	ds_read_b128 v[102:105], v102 offset:752
	s_waitcnt vmcnt(0) lgkmcnt(0)
	v_fmac_f64_e32 v[100:101], v[106:107], v[102:103]
	buffer_load_dword v103, off, s[0:3], 0 offset:380
	buffer_load_dword v102, off, s[0:3], 0 offset:376
	s_waitcnt vmcnt(0)
	v_fmac_f64_e32 v[100:101], v[102:103], v[104:105]
	v_add_f64 v[98:99], v[98:99], -v[100:101]
	buffer_store_dword v99, off, s[0:3], 0 offset:76
	buffer_store_dword v98, off, s[0:3], 0 offset:72
	s_and_saveexec_b64 s[4:5], vcc
	s_cbranch_execz .LBB47_279
; %bb.278:
	buffer_load_dword v98, off, s[0:3], 0 offset:64
	buffer_load_dword v99, off, s[0:3], 0 offset:68
	v_mov_b32_e32 v100, 0
	buffer_store_dword v100, off, s[0:3], 0 offset:64
	buffer_store_dword v100, off, s[0:3], 0 offset:68
	s_waitcnt vmcnt(2)
	ds_write_b64 v1, v[98:99]
.LBB47_279:
	s_or_b64 exec, exec, s[4:5]
	s_waitcnt lgkmcnt(0)
	; wave barrier
	s_waitcnt lgkmcnt(0)
	buffer_load_dword v98, off, s[0:3], 0 offset:64
	buffer_load_dword v99, off, s[0:3], 0 offset:68
	;; [unrolled: 1-line block ×16, first 2 shown]
	v_mov_b32_e32 v102, 0
	ds_read2_b64 v[104:107], v102 offset0:57 offset1:58
	v_cmp_lt_u32_e32 vcc, 7, v0
	s_waitcnt vmcnt(12) lgkmcnt(0)
	v_fma_f64 v[100:101], v[100:101], v[104:105], 0
	s_waitcnt vmcnt(10)
	v_fmac_f64_e32 v[100:101], v[108:109], v[106:107]
	ds_read2_b64 v[104:107], v102 offset0:59 offset1:60
	s_waitcnt vmcnt(8) lgkmcnt(0)
	v_fmac_f64_e32 v[100:101], v[110:111], v[104:105]
	s_waitcnt vmcnt(6)
	v_fmac_f64_e32 v[100:101], v[112:113], v[106:107]
	ds_read2_b64 v[104:107], v102 offset0:61 offset1:62
	s_waitcnt vmcnt(4) lgkmcnt(0)
	v_fmac_f64_e32 v[100:101], v[114:115], v[104:105]
	;; [unrolled: 5-line block ×3, first 2 shown]
	buffer_load_dword v105, off, s[0:3], 0 offset:132
	buffer_load_dword v104, off, s[0:3], 0 offset:128
	buffer_load_dword v109, off, s[0:3], 0 offset:140
	buffer_load_dword v108, off, s[0:3], 0 offset:136
	s_waitcnt vmcnt(2)
	v_fmac_f64_e32 v[100:101], v[104:105], v[106:107]
	ds_read2_b64 v[104:107], v102 offset0:65 offset1:66
	s_waitcnt vmcnt(0) lgkmcnt(0)
	v_fmac_f64_e32 v[100:101], v[108:109], v[104:105]
	buffer_load_dword v105, off, s[0:3], 0 offset:148
	buffer_load_dword v104, off, s[0:3], 0 offset:144
	buffer_load_dword v109, off, s[0:3], 0 offset:156
	buffer_load_dword v108, off, s[0:3], 0 offset:152
	s_waitcnt vmcnt(2)
	v_fmac_f64_e32 v[100:101], v[104:105], v[106:107]
	ds_read2_b64 v[104:107], v102 offset0:67 offset1:68
	s_waitcnt vmcnt(0) lgkmcnt(0)
	v_fmac_f64_e32 v[100:101], v[108:109], v[104:105]
	;; [unrolled: 9-line block ×15, first 2 shown]
	buffer_load_dword v105, off, s[0:3], 0 offset:372
	buffer_load_dword v104, off, s[0:3], 0 offset:368
	s_waitcnt vmcnt(0)
	v_fmac_f64_e32 v[100:101], v[104:105], v[106:107]
	buffer_load_dword v105, off, s[0:3], 0 offset:380
	buffer_load_dword v104, off, s[0:3], 0 offset:376
	ds_read_b64 v[106:107], v102 offset:760
	s_waitcnt vmcnt(0) lgkmcnt(0)
	v_fmac_f64_e32 v[100:101], v[104:105], v[106:107]
	v_add_f64 v[98:99], v[98:99], -v[100:101]
	buffer_store_dword v99, off, s[0:3], 0 offset:68
	buffer_store_dword v98, off, s[0:3], 0 offset:64
	s_and_saveexec_b64 s[4:5], vcc
	s_cbranch_execz .LBB47_281
; %bb.280:
	buffer_load_dword v98, off, s[0:3], 0 offset:56
	buffer_load_dword v99, off, s[0:3], 0 offset:60
	s_waitcnt vmcnt(0)
	ds_write_b64 v1, v[98:99]
	buffer_store_dword v102, off, s[0:3], 0 offset:56
	buffer_store_dword v102, off, s[0:3], 0 offset:60
.LBB47_281:
	s_or_b64 exec, exec, s[4:5]
	s_waitcnt lgkmcnt(0)
	; wave barrier
	s_waitcnt lgkmcnt(0)
	buffer_load_dword v98, off, s[0:3], 0 offset:56
	buffer_load_dword v99, off, s[0:3], 0 offset:60
	;; [unrolled: 1-line block ×16, first 2 shown]
	ds_read_b128 v[104:107], v102 offset:448
	ds_read_b128 v[108:111], v102 offset:464
	;; [unrolled: 1-line block ×4, first 2 shown]
	v_cmp_lt_u32_e32 vcc, 6, v0
	s_waitcnt vmcnt(12) lgkmcnt(3)
	v_fma_f64 v[100:101], v[100:101], v[104:105], 0
	buffer_load_dword v105, off, s[0:3], 0 offset:124
	buffer_load_dword v104, off, s[0:3], 0 offset:120
	s_waitcnt vmcnt(12)
	v_fmac_f64_e32 v[100:101], v[120:121], v[106:107]
	s_waitcnt vmcnt(10) lgkmcnt(2)
	v_fmac_f64_e32 v[100:101], v[122:123], v[108:109]
	buffer_load_dword v109, off, s[0:3], 0 offset:132
	buffer_load_dword v108, off, s[0:3], 0 offset:128
	s_waitcnt vmcnt(10)
	v_fmac_f64_e32 v[100:101], v[124:125], v[110:111]
	s_waitcnt vmcnt(8) lgkmcnt(1)
	v_fmac_f64_e32 v[100:101], v[126:127], v[112:113]
	s_waitcnt vmcnt(6)
	v_fmac_f64_e32 v[100:101], v[128:129], v[114:115]
	s_waitcnt vmcnt(4) lgkmcnt(0)
	v_fmac_f64_e32 v[100:101], v[130:131], v[116:117]
	s_waitcnt vmcnt(2)
	v_fmac_f64_e32 v[100:101], v[104:105], v[118:119]
	ds_read_b128 v[104:107], v102 offset:512
	s_waitcnt vmcnt(0) lgkmcnt(0)
	v_fmac_f64_e32 v[100:101], v[108:109], v[104:105]
	buffer_load_dword v105, off, s[0:3], 0 offset:140
	buffer_load_dword v104, off, s[0:3], 0 offset:136
	buffer_load_dword v109, off, s[0:3], 0 offset:148
	buffer_load_dword v108, off, s[0:3], 0 offset:144
	s_waitcnt vmcnt(2)
	v_fmac_f64_e32 v[100:101], v[104:105], v[106:107]
	ds_read_b128 v[104:107], v102 offset:528
	s_waitcnt vmcnt(0) lgkmcnt(0)
	v_fmac_f64_e32 v[100:101], v[108:109], v[104:105]
	buffer_load_dword v105, off, s[0:3], 0 offset:156
	buffer_load_dword v104, off, s[0:3], 0 offset:152
	buffer_load_dword v109, off, s[0:3], 0 offset:164
	buffer_load_dword v108, off, s[0:3], 0 offset:160
	;; [unrolled: 9-line block ×14, first 2 shown]
	s_waitcnt vmcnt(2)
	v_fmac_f64_e32 v[100:101], v[104:105], v[106:107]
	ds_read_b128 v[104:107], v102 offset:736
	s_waitcnt vmcnt(0) lgkmcnt(0)
	v_fmac_f64_e32 v[100:101], v[108:109], v[104:105]
	buffer_load_dword v105, off, s[0:3], 0 offset:364
	buffer_load_dword v104, off, s[0:3], 0 offset:360
	s_waitcnt vmcnt(0)
	v_fmac_f64_e32 v[100:101], v[104:105], v[106:107]
	buffer_load_dword v107, off, s[0:3], 0 offset:372
	buffer_load_dword v106, off, s[0:3], 0 offset:368
	ds_read_b128 v[102:105], v102 offset:752
	s_waitcnt vmcnt(0) lgkmcnt(0)
	v_fmac_f64_e32 v[100:101], v[106:107], v[102:103]
	buffer_load_dword v103, off, s[0:3], 0 offset:380
	buffer_load_dword v102, off, s[0:3], 0 offset:376
	s_waitcnt vmcnt(0)
	v_fmac_f64_e32 v[100:101], v[102:103], v[104:105]
	v_add_f64 v[98:99], v[98:99], -v[100:101]
	buffer_store_dword v99, off, s[0:3], 0 offset:60
	buffer_store_dword v98, off, s[0:3], 0 offset:56
	s_and_saveexec_b64 s[4:5], vcc
	s_cbranch_execz .LBB47_283
; %bb.282:
	buffer_load_dword v98, off, s[0:3], 0 offset:48
	buffer_load_dword v99, off, s[0:3], 0 offset:52
	v_mov_b32_e32 v100, 0
	buffer_store_dword v100, off, s[0:3], 0 offset:48
	buffer_store_dword v100, off, s[0:3], 0 offset:52
	s_waitcnt vmcnt(2)
	ds_write_b64 v1, v[98:99]
.LBB47_283:
	s_or_b64 exec, exec, s[4:5]
	s_waitcnt lgkmcnt(0)
	; wave barrier
	s_waitcnt lgkmcnt(0)
	buffer_load_dword v98, off, s[0:3], 0 offset:48
	buffer_load_dword v99, off, s[0:3], 0 offset:52
	;; [unrolled: 1-line block ×16, first 2 shown]
	v_mov_b32_e32 v102, 0
	ds_read2_b64 v[104:107], v102 offset0:55 offset1:56
	v_cmp_lt_u32_e32 vcc, 5, v0
	s_waitcnt vmcnt(12) lgkmcnt(0)
	v_fma_f64 v[100:101], v[100:101], v[104:105], 0
	s_waitcnt vmcnt(10)
	v_fmac_f64_e32 v[100:101], v[108:109], v[106:107]
	ds_read2_b64 v[104:107], v102 offset0:57 offset1:58
	s_waitcnt vmcnt(8) lgkmcnt(0)
	v_fmac_f64_e32 v[100:101], v[110:111], v[104:105]
	s_waitcnt vmcnt(6)
	v_fmac_f64_e32 v[100:101], v[112:113], v[106:107]
	ds_read2_b64 v[104:107], v102 offset0:59 offset1:60
	s_waitcnt vmcnt(4) lgkmcnt(0)
	v_fmac_f64_e32 v[100:101], v[114:115], v[104:105]
	;; [unrolled: 5-line block ×3, first 2 shown]
	buffer_load_dword v105, off, s[0:3], 0 offset:116
	buffer_load_dword v104, off, s[0:3], 0 offset:112
	buffer_load_dword v109, off, s[0:3], 0 offset:124
	buffer_load_dword v108, off, s[0:3], 0 offset:120
	s_waitcnt vmcnt(2)
	v_fmac_f64_e32 v[100:101], v[104:105], v[106:107]
	ds_read2_b64 v[104:107], v102 offset0:63 offset1:64
	s_waitcnt vmcnt(0) lgkmcnt(0)
	v_fmac_f64_e32 v[100:101], v[108:109], v[104:105]
	buffer_load_dword v105, off, s[0:3], 0 offset:132
	buffer_load_dword v104, off, s[0:3], 0 offset:128
	buffer_load_dword v109, off, s[0:3], 0 offset:140
	buffer_load_dword v108, off, s[0:3], 0 offset:136
	s_waitcnt vmcnt(2)
	v_fmac_f64_e32 v[100:101], v[104:105], v[106:107]
	ds_read2_b64 v[104:107], v102 offset0:65 offset1:66
	s_waitcnt vmcnt(0) lgkmcnt(0)
	v_fmac_f64_e32 v[100:101], v[108:109], v[104:105]
	;; [unrolled: 9-line block ×16, first 2 shown]
	buffer_load_dword v105, off, s[0:3], 0 offset:372
	buffer_load_dword v104, off, s[0:3], 0 offset:368
	s_waitcnt vmcnt(0)
	v_fmac_f64_e32 v[100:101], v[104:105], v[106:107]
	buffer_load_dword v105, off, s[0:3], 0 offset:380
	buffer_load_dword v104, off, s[0:3], 0 offset:376
	ds_read_b64 v[106:107], v102 offset:760
	s_waitcnt vmcnt(0) lgkmcnt(0)
	v_fmac_f64_e32 v[100:101], v[104:105], v[106:107]
	v_add_f64 v[98:99], v[98:99], -v[100:101]
	buffer_store_dword v99, off, s[0:3], 0 offset:52
	buffer_store_dword v98, off, s[0:3], 0 offset:48
	s_and_saveexec_b64 s[4:5], vcc
	s_cbranch_execz .LBB47_285
; %bb.284:
	buffer_load_dword v98, off, s[0:3], 0 offset:40
	buffer_load_dword v99, off, s[0:3], 0 offset:44
	s_waitcnt vmcnt(0)
	ds_write_b64 v1, v[98:99]
	buffer_store_dword v102, off, s[0:3], 0 offset:40
	buffer_store_dword v102, off, s[0:3], 0 offset:44
.LBB47_285:
	s_or_b64 exec, exec, s[4:5]
	s_waitcnt lgkmcnt(0)
	; wave barrier
	s_waitcnt lgkmcnt(0)
	buffer_load_dword v98, off, s[0:3], 0 offset:40
	buffer_load_dword v99, off, s[0:3], 0 offset:44
	;; [unrolled: 1-line block ×16, first 2 shown]
	ds_read_b128 v[104:107], v102 offset:432
	ds_read_b128 v[108:111], v102 offset:448
	;; [unrolled: 1-line block ×4, first 2 shown]
	v_cmp_lt_u32_e32 vcc, 4, v0
	s_waitcnt vmcnt(12) lgkmcnt(3)
	v_fma_f64 v[100:101], v[100:101], v[104:105], 0
	buffer_load_dword v105, off, s[0:3], 0 offset:108
	buffer_load_dword v104, off, s[0:3], 0 offset:104
	s_waitcnt vmcnt(12)
	v_fmac_f64_e32 v[100:101], v[120:121], v[106:107]
	s_waitcnt vmcnt(10) lgkmcnt(2)
	v_fmac_f64_e32 v[100:101], v[122:123], v[108:109]
	buffer_load_dword v109, off, s[0:3], 0 offset:116
	buffer_load_dword v108, off, s[0:3], 0 offset:112
	s_waitcnt vmcnt(10)
	v_fmac_f64_e32 v[100:101], v[124:125], v[110:111]
	s_waitcnt vmcnt(8) lgkmcnt(1)
	v_fmac_f64_e32 v[100:101], v[126:127], v[112:113]
	s_waitcnt vmcnt(6)
	v_fmac_f64_e32 v[100:101], v[128:129], v[114:115]
	s_waitcnt vmcnt(4) lgkmcnt(0)
	v_fmac_f64_e32 v[100:101], v[130:131], v[116:117]
	s_waitcnt vmcnt(2)
	v_fmac_f64_e32 v[100:101], v[104:105], v[118:119]
	ds_read_b128 v[104:107], v102 offset:496
	s_waitcnt vmcnt(0) lgkmcnt(0)
	v_fmac_f64_e32 v[100:101], v[108:109], v[104:105]
	buffer_load_dword v105, off, s[0:3], 0 offset:124
	buffer_load_dword v104, off, s[0:3], 0 offset:120
	buffer_load_dword v109, off, s[0:3], 0 offset:132
	buffer_load_dword v108, off, s[0:3], 0 offset:128
	s_waitcnt vmcnt(2)
	v_fmac_f64_e32 v[100:101], v[104:105], v[106:107]
	ds_read_b128 v[104:107], v102 offset:512
	s_waitcnt vmcnt(0) lgkmcnt(0)
	v_fmac_f64_e32 v[100:101], v[108:109], v[104:105]
	buffer_load_dword v105, off, s[0:3], 0 offset:140
	buffer_load_dword v104, off, s[0:3], 0 offset:136
	buffer_load_dword v109, off, s[0:3], 0 offset:148
	buffer_load_dword v108, off, s[0:3], 0 offset:144
	;; [unrolled: 9-line block ×15, first 2 shown]
	s_waitcnt vmcnt(2)
	v_fmac_f64_e32 v[100:101], v[104:105], v[106:107]
	ds_read_b128 v[104:107], v102 offset:736
	s_waitcnt vmcnt(0) lgkmcnt(0)
	v_fmac_f64_e32 v[100:101], v[108:109], v[104:105]
	buffer_load_dword v105, off, s[0:3], 0 offset:364
	buffer_load_dword v104, off, s[0:3], 0 offset:360
	s_waitcnt vmcnt(0)
	v_fmac_f64_e32 v[100:101], v[104:105], v[106:107]
	buffer_load_dword v107, off, s[0:3], 0 offset:372
	buffer_load_dword v106, off, s[0:3], 0 offset:368
	ds_read_b128 v[102:105], v102 offset:752
	s_waitcnt vmcnt(0) lgkmcnt(0)
	v_fmac_f64_e32 v[100:101], v[106:107], v[102:103]
	buffer_load_dword v103, off, s[0:3], 0 offset:380
	buffer_load_dword v102, off, s[0:3], 0 offset:376
	s_waitcnt vmcnt(0)
	v_fmac_f64_e32 v[100:101], v[102:103], v[104:105]
	v_add_f64 v[98:99], v[98:99], -v[100:101]
	buffer_store_dword v99, off, s[0:3], 0 offset:44
	buffer_store_dword v98, off, s[0:3], 0 offset:40
	s_and_saveexec_b64 s[4:5], vcc
	s_cbranch_execz .LBB47_287
; %bb.286:
	buffer_load_dword v98, off, s[0:3], 0 offset:32
	buffer_load_dword v99, off, s[0:3], 0 offset:36
	v_mov_b32_e32 v100, 0
	buffer_store_dword v100, off, s[0:3], 0 offset:32
	buffer_store_dword v100, off, s[0:3], 0 offset:36
	s_waitcnt vmcnt(2)
	ds_write_b64 v1, v[98:99]
.LBB47_287:
	s_or_b64 exec, exec, s[4:5]
	s_waitcnt lgkmcnt(0)
	; wave barrier
	s_waitcnt lgkmcnt(0)
	buffer_load_dword v98, off, s[0:3], 0 offset:32
	buffer_load_dword v99, off, s[0:3], 0 offset:36
	;; [unrolled: 1-line block ×16, first 2 shown]
	v_mov_b32_e32 v102, 0
	ds_read2_b64 v[104:107], v102 offset0:53 offset1:54
	v_cmp_lt_u32_e32 vcc, 3, v0
	s_waitcnt vmcnt(12) lgkmcnt(0)
	v_fma_f64 v[100:101], v[100:101], v[104:105], 0
	s_waitcnt vmcnt(10)
	v_fmac_f64_e32 v[100:101], v[108:109], v[106:107]
	ds_read2_b64 v[104:107], v102 offset0:55 offset1:56
	s_waitcnt vmcnt(8) lgkmcnt(0)
	v_fmac_f64_e32 v[100:101], v[110:111], v[104:105]
	s_waitcnt vmcnt(6)
	v_fmac_f64_e32 v[100:101], v[112:113], v[106:107]
	ds_read2_b64 v[104:107], v102 offset0:57 offset1:58
	s_waitcnt vmcnt(4) lgkmcnt(0)
	v_fmac_f64_e32 v[100:101], v[114:115], v[104:105]
	;; [unrolled: 5-line block ×3, first 2 shown]
	buffer_load_dword v105, off, s[0:3], 0 offset:100
	buffer_load_dword v104, off, s[0:3], 0 offset:96
	buffer_load_dword v109, off, s[0:3], 0 offset:108
	buffer_load_dword v108, off, s[0:3], 0 offset:104
	s_waitcnt vmcnt(2)
	v_fmac_f64_e32 v[100:101], v[104:105], v[106:107]
	ds_read2_b64 v[104:107], v102 offset0:61 offset1:62
	s_waitcnt vmcnt(0) lgkmcnt(0)
	v_fmac_f64_e32 v[100:101], v[108:109], v[104:105]
	buffer_load_dword v105, off, s[0:3], 0 offset:116
	buffer_load_dword v104, off, s[0:3], 0 offset:112
	buffer_load_dword v109, off, s[0:3], 0 offset:124
	buffer_load_dword v108, off, s[0:3], 0 offset:120
	s_waitcnt vmcnt(2)
	v_fmac_f64_e32 v[100:101], v[104:105], v[106:107]
	ds_read2_b64 v[104:107], v102 offset0:63 offset1:64
	s_waitcnt vmcnt(0) lgkmcnt(0)
	v_fmac_f64_e32 v[100:101], v[108:109], v[104:105]
	buffer_load_dword v105, off, s[0:3], 0 offset:132
	buffer_load_dword v104, off, s[0:3], 0 offset:128
	buffer_load_dword v109, off, s[0:3], 0 offset:140
	buffer_load_dword v108, off, s[0:3], 0 offset:136
	s_waitcnt vmcnt(2)
	v_fmac_f64_e32 v[100:101], v[104:105], v[106:107]
	ds_read2_b64 v[104:107], v102 offset0:65 offset1:66
	s_waitcnt vmcnt(0) lgkmcnt(0)
	v_fmac_f64_e32 v[100:101], v[108:109], v[104:105]
	buffer_load_dword v105, off, s[0:3], 0 offset:148
	buffer_load_dword v104, off, s[0:3], 0 offset:144
	buffer_load_dword v109, off, s[0:3], 0 offset:156
	buffer_load_dword v108, off, s[0:3], 0 offset:152
	s_waitcnt vmcnt(2)
	v_fmac_f64_e32 v[100:101], v[104:105], v[106:107]
	ds_read2_b64 v[104:107], v102 offset0:67 offset1:68
	s_waitcnt vmcnt(0) lgkmcnt(0)
	v_fmac_f64_e32 v[100:101], v[108:109], v[104:105]
	buffer_load_dword v105, off, s[0:3], 0 offset:164
	buffer_load_dword v104, off, s[0:3], 0 offset:160
	buffer_load_dword v109, off, s[0:3], 0 offset:172
	buffer_load_dword v108, off, s[0:3], 0 offset:168
	s_waitcnt vmcnt(2)
	v_fmac_f64_e32 v[100:101], v[104:105], v[106:107]
	ds_read2_b64 v[104:107], v102 offset0:69 offset1:70
	s_waitcnt vmcnt(0) lgkmcnt(0)
	v_fmac_f64_e32 v[100:101], v[108:109], v[104:105]
	buffer_load_dword v105, off, s[0:3], 0 offset:180
	buffer_load_dword v104, off, s[0:3], 0 offset:176
	buffer_load_dword v109, off, s[0:3], 0 offset:188
	buffer_load_dword v108, off, s[0:3], 0 offset:184
	s_waitcnt vmcnt(2)
	v_fmac_f64_e32 v[100:101], v[104:105], v[106:107]
	ds_read2_b64 v[104:107], v102 offset0:71 offset1:72
	s_waitcnt vmcnt(0) lgkmcnt(0)
	v_fmac_f64_e32 v[100:101], v[108:109], v[104:105]
	buffer_load_dword v105, off, s[0:3], 0 offset:196
	buffer_load_dword v104, off, s[0:3], 0 offset:192
	buffer_load_dword v109, off, s[0:3], 0 offset:204
	buffer_load_dword v108, off, s[0:3], 0 offset:200
	s_waitcnt vmcnt(2)
	v_fmac_f64_e32 v[100:101], v[104:105], v[106:107]
	ds_read2_b64 v[104:107], v102 offset0:73 offset1:74
	s_waitcnt vmcnt(0) lgkmcnt(0)
	v_fmac_f64_e32 v[100:101], v[108:109], v[104:105]
	buffer_load_dword v105, off, s[0:3], 0 offset:212
	buffer_load_dword v104, off, s[0:3], 0 offset:208
	buffer_load_dword v109, off, s[0:3], 0 offset:220
	buffer_load_dword v108, off, s[0:3], 0 offset:216
	s_waitcnt vmcnt(2)
	v_fmac_f64_e32 v[100:101], v[104:105], v[106:107]
	ds_read2_b64 v[104:107], v102 offset0:75 offset1:76
	s_waitcnt vmcnt(0) lgkmcnt(0)
	v_fmac_f64_e32 v[100:101], v[108:109], v[104:105]
	buffer_load_dword v105, off, s[0:3], 0 offset:228
	buffer_load_dword v104, off, s[0:3], 0 offset:224
	buffer_load_dword v109, off, s[0:3], 0 offset:236
	buffer_load_dword v108, off, s[0:3], 0 offset:232
	s_waitcnt vmcnt(2)
	v_fmac_f64_e32 v[100:101], v[104:105], v[106:107]
	ds_read2_b64 v[104:107], v102 offset0:77 offset1:78
	s_waitcnt vmcnt(0) lgkmcnt(0)
	v_fmac_f64_e32 v[100:101], v[108:109], v[104:105]
	buffer_load_dword v105, off, s[0:3], 0 offset:244
	buffer_load_dword v104, off, s[0:3], 0 offset:240
	buffer_load_dword v109, off, s[0:3], 0 offset:252
	buffer_load_dword v108, off, s[0:3], 0 offset:248
	s_waitcnt vmcnt(2)
	v_fmac_f64_e32 v[100:101], v[104:105], v[106:107]
	ds_read2_b64 v[104:107], v102 offset0:79 offset1:80
	s_waitcnt vmcnt(0) lgkmcnt(0)
	v_fmac_f64_e32 v[100:101], v[108:109], v[104:105]
	buffer_load_dword v105, off, s[0:3], 0 offset:260
	buffer_load_dword v104, off, s[0:3], 0 offset:256
	buffer_load_dword v109, off, s[0:3], 0 offset:268
	buffer_load_dword v108, off, s[0:3], 0 offset:264
	s_waitcnt vmcnt(2)
	v_fmac_f64_e32 v[100:101], v[104:105], v[106:107]
	ds_read2_b64 v[104:107], v102 offset0:81 offset1:82
	s_waitcnt vmcnt(0) lgkmcnt(0)
	v_fmac_f64_e32 v[100:101], v[108:109], v[104:105]
	buffer_load_dword v105, off, s[0:3], 0 offset:276
	buffer_load_dword v104, off, s[0:3], 0 offset:272
	buffer_load_dword v109, off, s[0:3], 0 offset:284
	buffer_load_dword v108, off, s[0:3], 0 offset:280
	s_waitcnt vmcnt(2)
	v_fmac_f64_e32 v[100:101], v[104:105], v[106:107]
	ds_read2_b64 v[104:107], v102 offset0:83 offset1:84
	s_waitcnt vmcnt(0) lgkmcnt(0)
	v_fmac_f64_e32 v[100:101], v[108:109], v[104:105]
	buffer_load_dword v105, off, s[0:3], 0 offset:292
	buffer_load_dword v104, off, s[0:3], 0 offset:288
	buffer_load_dword v109, off, s[0:3], 0 offset:300
	buffer_load_dword v108, off, s[0:3], 0 offset:296
	s_waitcnt vmcnt(2)
	v_fmac_f64_e32 v[100:101], v[104:105], v[106:107]
	ds_read2_b64 v[104:107], v102 offset0:85 offset1:86
	s_waitcnt vmcnt(0) lgkmcnt(0)
	v_fmac_f64_e32 v[100:101], v[108:109], v[104:105]
	buffer_load_dword v105, off, s[0:3], 0 offset:308
	buffer_load_dword v104, off, s[0:3], 0 offset:304
	buffer_load_dword v109, off, s[0:3], 0 offset:316
	buffer_load_dword v108, off, s[0:3], 0 offset:312
	s_waitcnt vmcnt(2)
	v_fmac_f64_e32 v[100:101], v[104:105], v[106:107]
	ds_read2_b64 v[104:107], v102 offset0:87 offset1:88
	s_waitcnt vmcnt(0) lgkmcnt(0)
	v_fmac_f64_e32 v[100:101], v[108:109], v[104:105]
	buffer_load_dword v105, off, s[0:3], 0 offset:324
	buffer_load_dword v104, off, s[0:3], 0 offset:320
	buffer_load_dword v109, off, s[0:3], 0 offset:332
	buffer_load_dword v108, off, s[0:3], 0 offset:328
	s_waitcnt vmcnt(2)
	v_fmac_f64_e32 v[100:101], v[104:105], v[106:107]
	ds_read2_b64 v[104:107], v102 offset0:89 offset1:90
	s_waitcnt vmcnt(0) lgkmcnt(0)
	v_fmac_f64_e32 v[100:101], v[108:109], v[104:105]
	buffer_load_dword v105, off, s[0:3], 0 offset:340
	buffer_load_dword v104, off, s[0:3], 0 offset:336
	buffer_load_dword v109, off, s[0:3], 0 offset:348
	buffer_load_dword v108, off, s[0:3], 0 offset:344
	s_waitcnt vmcnt(2)
	v_fmac_f64_e32 v[100:101], v[104:105], v[106:107]
	ds_read2_b64 v[104:107], v102 offset0:91 offset1:92
	s_waitcnt vmcnt(0) lgkmcnt(0)
	v_fmac_f64_e32 v[100:101], v[108:109], v[104:105]
	buffer_load_dword v105, off, s[0:3], 0 offset:356
	buffer_load_dword v104, off, s[0:3], 0 offset:352
	buffer_load_dword v109, off, s[0:3], 0 offset:364
	buffer_load_dword v108, off, s[0:3], 0 offset:360
	s_waitcnt vmcnt(2)
	v_fmac_f64_e32 v[100:101], v[104:105], v[106:107]
	ds_read2_b64 v[104:107], v102 offset0:93 offset1:94
	s_waitcnt vmcnt(0) lgkmcnt(0)
	v_fmac_f64_e32 v[100:101], v[108:109], v[104:105]
	buffer_load_dword v105, off, s[0:3], 0 offset:372
	buffer_load_dword v104, off, s[0:3], 0 offset:368
	s_waitcnt vmcnt(0)
	v_fmac_f64_e32 v[100:101], v[104:105], v[106:107]
	buffer_load_dword v105, off, s[0:3], 0 offset:380
	buffer_load_dword v104, off, s[0:3], 0 offset:376
	ds_read_b64 v[106:107], v102 offset:760
	s_waitcnt vmcnt(0) lgkmcnt(0)
	v_fmac_f64_e32 v[100:101], v[104:105], v[106:107]
	v_add_f64 v[98:99], v[98:99], -v[100:101]
	buffer_store_dword v99, off, s[0:3], 0 offset:36
	buffer_store_dword v98, off, s[0:3], 0 offset:32
	s_and_saveexec_b64 s[4:5], vcc
	s_cbranch_execz .LBB47_289
; %bb.288:
	buffer_load_dword v98, off, s[0:3], 0 offset:24
	buffer_load_dword v99, off, s[0:3], 0 offset:28
	s_waitcnt vmcnt(0)
	ds_write_b64 v1, v[98:99]
	buffer_store_dword v102, off, s[0:3], 0 offset:24
	buffer_store_dword v102, off, s[0:3], 0 offset:28
.LBB47_289:
	s_or_b64 exec, exec, s[4:5]
	s_waitcnt lgkmcnt(0)
	; wave barrier
	s_waitcnt lgkmcnt(0)
	buffer_load_dword v98, off, s[0:3], 0 offset:24
	buffer_load_dword v99, off, s[0:3], 0 offset:28
	;; [unrolled: 1-line block ×16, first 2 shown]
	ds_read_b128 v[104:107], v102 offset:416
	ds_read_b128 v[108:111], v102 offset:432
	;; [unrolled: 1-line block ×4, first 2 shown]
	v_cmp_lt_u32_e32 vcc, 2, v0
	s_waitcnt vmcnt(12) lgkmcnt(3)
	v_fma_f64 v[100:101], v[100:101], v[104:105], 0
	buffer_load_dword v105, off, s[0:3], 0 offset:92
	buffer_load_dword v104, off, s[0:3], 0 offset:88
	s_waitcnt vmcnt(12)
	v_fmac_f64_e32 v[100:101], v[120:121], v[106:107]
	s_waitcnt vmcnt(10) lgkmcnt(2)
	v_fmac_f64_e32 v[100:101], v[122:123], v[108:109]
	buffer_load_dword v109, off, s[0:3], 0 offset:100
	buffer_load_dword v108, off, s[0:3], 0 offset:96
	s_waitcnt vmcnt(10)
	v_fmac_f64_e32 v[100:101], v[124:125], v[110:111]
	s_waitcnt vmcnt(8) lgkmcnt(1)
	v_fmac_f64_e32 v[100:101], v[126:127], v[112:113]
	s_waitcnt vmcnt(6)
	v_fmac_f64_e32 v[100:101], v[128:129], v[114:115]
	s_waitcnt vmcnt(4) lgkmcnt(0)
	v_fmac_f64_e32 v[100:101], v[130:131], v[116:117]
	s_waitcnt vmcnt(2)
	v_fmac_f64_e32 v[100:101], v[104:105], v[118:119]
	ds_read_b128 v[104:107], v102 offset:480
	s_waitcnt vmcnt(0) lgkmcnt(0)
	v_fmac_f64_e32 v[100:101], v[108:109], v[104:105]
	buffer_load_dword v105, off, s[0:3], 0 offset:108
	buffer_load_dword v104, off, s[0:3], 0 offset:104
	buffer_load_dword v109, off, s[0:3], 0 offset:116
	buffer_load_dword v108, off, s[0:3], 0 offset:112
	s_waitcnt vmcnt(2)
	v_fmac_f64_e32 v[100:101], v[104:105], v[106:107]
	ds_read_b128 v[104:107], v102 offset:496
	s_waitcnt vmcnt(0) lgkmcnt(0)
	v_fmac_f64_e32 v[100:101], v[108:109], v[104:105]
	buffer_load_dword v105, off, s[0:3], 0 offset:124
	buffer_load_dword v104, off, s[0:3], 0 offset:120
	buffer_load_dword v109, off, s[0:3], 0 offset:132
	buffer_load_dword v108, off, s[0:3], 0 offset:128
	;; [unrolled: 9-line block ×16, first 2 shown]
	s_waitcnt vmcnt(2)
	v_fmac_f64_e32 v[100:101], v[104:105], v[106:107]
	ds_read_b128 v[104:107], v102 offset:736
	s_waitcnt vmcnt(0) lgkmcnt(0)
	v_fmac_f64_e32 v[100:101], v[108:109], v[104:105]
	buffer_load_dword v105, off, s[0:3], 0 offset:364
	buffer_load_dword v104, off, s[0:3], 0 offset:360
	s_waitcnt vmcnt(0)
	v_fmac_f64_e32 v[100:101], v[104:105], v[106:107]
	buffer_load_dword v107, off, s[0:3], 0 offset:372
	buffer_load_dword v106, off, s[0:3], 0 offset:368
	ds_read_b128 v[102:105], v102 offset:752
	s_waitcnt vmcnt(0) lgkmcnt(0)
	v_fmac_f64_e32 v[100:101], v[106:107], v[102:103]
	buffer_load_dword v103, off, s[0:3], 0 offset:380
	buffer_load_dword v102, off, s[0:3], 0 offset:376
	s_waitcnt vmcnt(0)
	v_fmac_f64_e32 v[100:101], v[102:103], v[104:105]
	v_add_f64 v[98:99], v[98:99], -v[100:101]
	buffer_store_dword v99, off, s[0:3], 0 offset:28
	buffer_store_dword v98, off, s[0:3], 0 offset:24
	s_and_saveexec_b64 s[4:5], vcc
	s_cbranch_execz .LBB47_291
; %bb.290:
	buffer_load_dword v98, off, s[0:3], 0 offset:16
	buffer_load_dword v99, off, s[0:3], 0 offset:20
	v_mov_b32_e32 v100, 0
	buffer_store_dword v100, off, s[0:3], 0 offset:16
	buffer_store_dword v100, off, s[0:3], 0 offset:20
	s_waitcnt vmcnt(2)
	ds_write_b64 v1, v[98:99]
.LBB47_291:
	s_or_b64 exec, exec, s[4:5]
	s_waitcnt lgkmcnt(0)
	; wave barrier
	s_waitcnt lgkmcnt(0)
	buffer_load_dword v98, off, s[0:3], 0 offset:16
	buffer_load_dword v99, off, s[0:3], 0 offset:20
	;; [unrolled: 1-line block ×16, first 2 shown]
	v_mov_b32_e32 v102, 0
	ds_read2_b64 v[104:107], v102 offset0:51 offset1:52
	v_cmp_lt_u32_e32 vcc, 1, v0
	s_waitcnt vmcnt(12) lgkmcnt(0)
	v_fma_f64 v[100:101], v[100:101], v[104:105], 0
	s_waitcnt vmcnt(10)
	v_fmac_f64_e32 v[100:101], v[108:109], v[106:107]
	ds_read2_b64 v[104:107], v102 offset0:53 offset1:54
	s_waitcnt vmcnt(8) lgkmcnt(0)
	v_fmac_f64_e32 v[100:101], v[110:111], v[104:105]
	s_waitcnt vmcnt(6)
	v_fmac_f64_e32 v[100:101], v[112:113], v[106:107]
	ds_read2_b64 v[104:107], v102 offset0:55 offset1:56
	s_waitcnt vmcnt(4) lgkmcnt(0)
	v_fmac_f64_e32 v[100:101], v[114:115], v[104:105]
	;; [unrolled: 5-line block ×3, first 2 shown]
	buffer_load_dword v105, off, s[0:3], 0 offset:84
	buffer_load_dword v104, off, s[0:3], 0 offset:80
	buffer_load_dword v109, off, s[0:3], 0 offset:92
	buffer_load_dword v108, off, s[0:3], 0 offset:88
	s_waitcnt vmcnt(2)
	v_fmac_f64_e32 v[100:101], v[104:105], v[106:107]
	ds_read2_b64 v[104:107], v102 offset0:59 offset1:60
	s_waitcnt vmcnt(0) lgkmcnt(0)
	v_fmac_f64_e32 v[100:101], v[108:109], v[104:105]
	buffer_load_dword v105, off, s[0:3], 0 offset:100
	buffer_load_dword v104, off, s[0:3], 0 offset:96
	buffer_load_dword v109, off, s[0:3], 0 offset:108
	buffer_load_dword v108, off, s[0:3], 0 offset:104
	s_waitcnt vmcnt(2)
	v_fmac_f64_e32 v[100:101], v[104:105], v[106:107]
	ds_read2_b64 v[104:107], v102 offset0:61 offset1:62
	s_waitcnt vmcnt(0) lgkmcnt(0)
	v_fmac_f64_e32 v[100:101], v[108:109], v[104:105]
	;; [unrolled: 9-line block ×18, first 2 shown]
	buffer_load_dword v105, off, s[0:3], 0 offset:372
	buffer_load_dword v104, off, s[0:3], 0 offset:368
	s_waitcnt vmcnt(0)
	v_fmac_f64_e32 v[100:101], v[104:105], v[106:107]
	buffer_load_dword v105, off, s[0:3], 0 offset:380
	buffer_load_dword v104, off, s[0:3], 0 offset:376
	ds_read_b64 v[106:107], v102 offset:760
	s_waitcnt vmcnt(0) lgkmcnt(0)
	v_fmac_f64_e32 v[100:101], v[104:105], v[106:107]
	v_add_f64 v[98:99], v[98:99], -v[100:101]
	buffer_store_dword v99, off, s[0:3], 0 offset:20
	buffer_store_dword v98, off, s[0:3], 0 offset:16
	s_and_saveexec_b64 s[4:5], vcc
	s_cbranch_execz .LBB47_293
; %bb.292:
	buffer_load_dword v98, off, s[0:3], 0 offset:8
	buffer_load_dword v99, off, s[0:3], 0 offset:12
	s_waitcnt vmcnt(0)
	ds_write_b64 v1, v[98:99]
	buffer_store_dword v102, off, s[0:3], 0 offset:8
	buffer_store_dword v102, off, s[0:3], 0 offset:12
.LBB47_293:
	s_or_b64 exec, exec, s[4:5]
	s_waitcnt lgkmcnt(0)
	; wave barrier
	s_waitcnt lgkmcnt(0)
	buffer_load_dword v98, off, s[0:3], 0 offset:8
	buffer_load_dword v99, off, s[0:3], 0 offset:12
	;; [unrolled: 1-line block ×16, first 2 shown]
	ds_read_b128 v[104:107], v102 offset:400
	ds_read_b128 v[108:111], v102 offset:416
	;; [unrolled: 1-line block ×4, first 2 shown]
	v_cmp_ne_u32_e32 vcc, 0, v0
	s_waitcnt vmcnt(12) lgkmcnt(3)
	v_fma_f64 v[100:101], v[100:101], v[104:105], 0
	buffer_load_dword v105, off, s[0:3], 0 offset:76
	buffer_load_dword v104, off, s[0:3], 0 offset:72
	s_waitcnt vmcnt(12)
	v_fmac_f64_e32 v[100:101], v[120:121], v[106:107]
	s_waitcnt vmcnt(10) lgkmcnt(2)
	v_fmac_f64_e32 v[100:101], v[122:123], v[108:109]
	buffer_load_dword v109, off, s[0:3], 0 offset:84
	buffer_load_dword v108, off, s[0:3], 0 offset:80
	s_waitcnt vmcnt(10)
	v_fmac_f64_e32 v[100:101], v[124:125], v[110:111]
	s_waitcnt vmcnt(8) lgkmcnt(1)
	v_fmac_f64_e32 v[100:101], v[126:127], v[112:113]
	s_waitcnt vmcnt(6)
	v_fmac_f64_e32 v[100:101], v[128:129], v[114:115]
	s_waitcnt vmcnt(4) lgkmcnt(0)
	v_fmac_f64_e32 v[100:101], v[130:131], v[116:117]
	s_waitcnt vmcnt(2)
	v_fmac_f64_e32 v[100:101], v[104:105], v[118:119]
	ds_read_b128 v[104:107], v102 offset:464
	s_waitcnt vmcnt(0) lgkmcnt(0)
	v_fmac_f64_e32 v[100:101], v[108:109], v[104:105]
	buffer_load_dword v105, off, s[0:3], 0 offset:92
	buffer_load_dword v104, off, s[0:3], 0 offset:88
	buffer_load_dword v109, off, s[0:3], 0 offset:100
	buffer_load_dword v108, off, s[0:3], 0 offset:96
	s_waitcnt vmcnt(2)
	v_fmac_f64_e32 v[100:101], v[104:105], v[106:107]
	ds_read_b128 v[104:107], v102 offset:480
	s_waitcnt vmcnt(0) lgkmcnt(0)
	v_fmac_f64_e32 v[100:101], v[108:109], v[104:105]
	buffer_load_dword v105, off, s[0:3], 0 offset:108
	buffer_load_dword v104, off, s[0:3], 0 offset:104
	buffer_load_dword v109, off, s[0:3], 0 offset:116
	buffer_load_dword v108, off, s[0:3], 0 offset:112
	;; [unrolled: 9-line block ×17, first 2 shown]
	s_waitcnt vmcnt(2)
	v_fmac_f64_e32 v[100:101], v[104:105], v[106:107]
	ds_read_b128 v[104:107], v102 offset:736
	s_waitcnt vmcnt(0) lgkmcnt(0)
	v_fmac_f64_e32 v[100:101], v[108:109], v[104:105]
	buffer_load_dword v105, off, s[0:3], 0 offset:364
	buffer_load_dword v104, off, s[0:3], 0 offset:360
	s_waitcnt vmcnt(0)
	v_fmac_f64_e32 v[100:101], v[104:105], v[106:107]
	buffer_load_dword v107, off, s[0:3], 0 offset:372
	buffer_load_dword v106, off, s[0:3], 0 offset:368
	ds_read_b128 v[102:105], v102 offset:752
	s_waitcnt vmcnt(0) lgkmcnt(0)
	v_fmac_f64_e32 v[100:101], v[106:107], v[102:103]
	buffer_load_dword v103, off, s[0:3], 0 offset:380
	buffer_load_dword v102, off, s[0:3], 0 offset:376
	s_waitcnt vmcnt(0)
	v_fmac_f64_e32 v[100:101], v[102:103], v[104:105]
	v_add_f64 v[98:99], v[98:99], -v[100:101]
	buffer_store_dword v99, off, s[0:3], 0 offset:12
	buffer_store_dword v98, off, s[0:3], 0 offset:8
	s_and_saveexec_b64 s[4:5], vcc
	s_cbranch_execz .LBB47_295
; %bb.294:
	buffer_load_dword v98, off, s[0:3], 0
	buffer_load_dword v99, off, s[0:3], 0 offset:4
	v_mov_b32_e32 v0, 0
	buffer_store_dword v0, off, s[0:3], 0
	buffer_store_dword v0, off, s[0:3], 0 offset:4
	s_waitcnt vmcnt(2)
	ds_write_b64 v1, v[98:99]
.LBB47_295:
	s_or_b64 exec, exec, s[4:5]
	s_waitcnt lgkmcnt(0)
	; wave barrier
	s_waitcnt lgkmcnt(0)
	buffer_load_dword v0, off, s[0:3], 0
	buffer_load_dword v1, off, s[0:3], 0 offset:4
	buffer_load_dword v104, off, s[0:3], 0 offset:8
	;; [unrolled: 1-line block ×15, first 2 shown]
	v_mov_b32_e32 v102, 0
	ds_read2_b64 v[98:101], v102 offset0:49 offset1:50
	s_and_b64 vcc, exec, s[20:21]
	s_waitcnt vmcnt(12) lgkmcnt(0)
	v_fma_f64 v[98:99], v[104:105], v[98:99], 0
	s_waitcnt vmcnt(10)
	v_fmac_f64_e32 v[98:99], v[106:107], v[100:101]
	ds_read2_b64 v[104:107], v102 offset0:51 offset1:52
	s_waitcnt vmcnt(8) lgkmcnt(0)
	v_fmac_f64_e32 v[98:99], v[108:109], v[104:105]
	s_waitcnt vmcnt(6)
	v_fmac_f64_e32 v[98:99], v[110:111], v[106:107]
	ds_read2_b64 v[104:107], v102 offset0:53 offset1:54
	s_waitcnt vmcnt(4) lgkmcnt(0)
	v_fmac_f64_e32 v[98:99], v[112:113], v[104:105]
	s_waitcnt vmcnt(2)
	v_fmac_f64_e32 v[98:99], v[114:115], v[106:107]
	ds_read2_b64 v[104:107], v102 offset0:55 offset1:56
	buffer_load_dword v101, off, s[0:3], 0 offset:68
	buffer_load_dword v100, off, s[0:3], 0 offset:64
	s_waitcnt vmcnt(2) lgkmcnt(0)
	v_fmac_f64_e32 v[98:99], v[116:117], v[104:105]
	s_waitcnt vmcnt(0)
	v_fmac_f64_e32 v[98:99], v[100:101], v[106:107]
	buffer_load_dword v101, off, s[0:3], 0 offset:76
	buffer_load_dword v100, off, s[0:3], 0 offset:72
	ds_read2_b64 v[104:107], v102 offset0:57 offset1:58
	s_waitcnt vmcnt(0) lgkmcnt(0)
	v_fmac_f64_e32 v[98:99], v[100:101], v[104:105]
	buffer_load_dword v101, off, s[0:3], 0 offset:84
	buffer_load_dword v100, off, s[0:3], 0 offset:80
	s_waitcnt vmcnt(0)
	v_fmac_f64_e32 v[98:99], v[100:101], v[106:107]
	buffer_load_dword v101, off, s[0:3], 0 offset:92
	buffer_load_dword v100, off, s[0:3], 0 offset:88
	ds_read2_b64 v[104:107], v102 offset0:59 offset1:60
	s_waitcnt vmcnt(0) lgkmcnt(0)
	v_fmac_f64_e32 v[98:99], v[100:101], v[104:105]
	buffer_load_dword v101, off, s[0:3], 0 offset:100
	buffer_load_dword v100, off, s[0:3], 0 offset:96
	;; [unrolled: 9-line block ×19, first 2 shown]
	buffer_load_dword v105, off, s[0:3], 0 offset:380
	buffer_load_dword v104, off, s[0:3], 0 offset:376
	ds_read_b64 v[102:103], v102 offset:760
	s_waitcnt vmcnt(2)
	v_fmac_f64_e32 v[98:99], v[100:101], v[106:107]
	s_waitcnt vmcnt(0) lgkmcnt(0)
	v_fmac_f64_e32 v[98:99], v[104:105], v[102:103]
	v_add_f64 v[0:1], v[0:1], -v[98:99]
	buffer_store_dword v1, off, s[0:3], 0 offset:4
	buffer_store_dword v0, off, s[0:3], 0
	s_cbranch_vccz .LBB47_391
; %bb.296:
	v_pk_mov_b32 v[0:1], s[10:11], s[10:11] op_sel:[0,1]
	flat_load_dword v0, v[0:1] offset:184
	s_waitcnt vmcnt(0) lgkmcnt(0)
	v_add_u32_e32 v0, -1, v0
	v_cmp_ne_u32_e32 vcc, 46, v0
	s_and_saveexec_b64 s[4:5], vcc
	s_cbranch_execz .LBB47_298
; %bb.297:
	v_mov_b32_e32 v1, 0
	v_lshl_add_u32 v0, v0, 3, v1
	buffer_load_dword v1, v0, s[0:3], 0 offen offset:4
	buffer_load_dword v98, v0, s[0:3], 0 offen
	s_waitcnt vmcnt(1)
	buffer_store_dword v1, off, s[0:3], 0 offset:372
	s_waitcnt vmcnt(1)
	buffer_store_dword v98, off, s[0:3], 0 offset:368
	buffer_store_dword v101, v0, s[0:3], 0 offen offset:4
	buffer_store_dword v100, v0, s[0:3], 0 offen
.LBB47_298:
	s_or_b64 exec, exec, s[4:5]
	v_pk_mov_b32 v[0:1], s[10:11], s[10:11] op_sel:[0,1]
	flat_load_dword v0, v[0:1] offset:180
	s_waitcnt vmcnt(0) lgkmcnt(0)
	v_add_u32_e32 v0, -1, v0
	v_cmp_ne_u32_e32 vcc, 45, v0
	s_and_saveexec_b64 s[4:5], vcc
	s_cbranch_execz .LBB47_300
; %bb.299:
	v_mov_b32_e32 v1, 0
	v_lshl_add_u32 v0, v0, 3, v1
	buffer_load_dword v1, v0, s[0:3], 0 offen
	buffer_load_dword v98, v0, s[0:3], 0 offen offset:4
	buffer_load_dword v99, off, s[0:3], 0 offset:360
	buffer_load_dword v100, off, s[0:3], 0 offset:364
	s_waitcnt vmcnt(3)
	buffer_store_dword v1, off, s[0:3], 0 offset:360
	s_waitcnt vmcnt(3)
	buffer_store_dword v98, off, s[0:3], 0 offset:364
	s_waitcnt vmcnt(3)
	buffer_store_dword v99, v0, s[0:3], 0 offen
	s_waitcnt vmcnt(3)
	buffer_store_dword v100, v0, s[0:3], 0 offen offset:4
.LBB47_300:
	s_or_b64 exec, exec, s[4:5]
	v_pk_mov_b32 v[0:1], s[10:11], s[10:11] op_sel:[0,1]
	flat_load_dword v0, v[0:1] offset:176
	s_waitcnt vmcnt(0) lgkmcnt(0)
	v_add_u32_e32 v0, -1, v0
	v_cmp_ne_u32_e32 vcc, 44, v0
	s_and_saveexec_b64 s[4:5], vcc
	s_cbranch_execz .LBB47_302
; %bb.301:
	v_mov_b32_e32 v1, 0
	v_lshl_add_u32 v0, v0, 3, v1
	buffer_load_dword v1, v0, s[0:3], 0 offen
	buffer_load_dword v98, v0, s[0:3], 0 offen offset:4
	buffer_load_dword v99, off, s[0:3], 0 offset:356
	buffer_load_dword v100, off, s[0:3], 0 offset:352
	s_waitcnt vmcnt(3)
	buffer_store_dword v1, off, s[0:3], 0 offset:352
	s_waitcnt vmcnt(3)
	buffer_store_dword v98, off, s[0:3], 0 offset:356
	s_waitcnt vmcnt(3)
	buffer_store_dword v99, v0, s[0:3], 0 offen offset:4
	s_waitcnt vmcnt(3)
	buffer_store_dword v100, v0, s[0:3], 0 offen
.LBB47_302:
	s_or_b64 exec, exec, s[4:5]
	v_pk_mov_b32 v[0:1], s[10:11], s[10:11] op_sel:[0,1]
	flat_load_dword v0, v[0:1] offset:172
	s_waitcnt vmcnt(0) lgkmcnt(0)
	v_add_u32_e32 v0, -1, v0
	v_cmp_ne_u32_e32 vcc, 43, v0
	s_and_saveexec_b64 s[4:5], vcc
	s_cbranch_execz .LBB47_304
; %bb.303:
	v_mov_b32_e32 v1, 0
	v_lshl_add_u32 v0, v0, 3, v1
	buffer_load_dword v1, v0, s[0:3], 0 offen
	buffer_load_dword v98, v0, s[0:3], 0 offen offset:4
	buffer_load_dword v99, off, s[0:3], 0 offset:344
	buffer_load_dword v100, off, s[0:3], 0 offset:348
	s_waitcnt vmcnt(3)
	buffer_store_dword v1, off, s[0:3], 0 offset:344
	s_waitcnt vmcnt(3)
	buffer_store_dword v98, off, s[0:3], 0 offset:348
	s_waitcnt vmcnt(3)
	buffer_store_dword v99, v0, s[0:3], 0 offen
	s_waitcnt vmcnt(3)
	buffer_store_dword v100, v0, s[0:3], 0 offen offset:4
.LBB47_304:
	s_or_b64 exec, exec, s[4:5]
	v_pk_mov_b32 v[0:1], s[10:11], s[10:11] op_sel:[0,1]
	flat_load_dword v0, v[0:1] offset:168
	s_waitcnt vmcnt(0) lgkmcnt(0)
	v_add_u32_e32 v0, -1, v0
	v_cmp_ne_u32_e32 vcc, 42, v0
	s_and_saveexec_b64 s[4:5], vcc
	s_cbranch_execz .LBB47_306
; %bb.305:
	v_mov_b32_e32 v1, 0
	v_lshl_add_u32 v0, v0, 3, v1
	buffer_load_dword v1, v0, s[0:3], 0 offen
	buffer_load_dword v98, v0, s[0:3], 0 offen offset:4
	buffer_load_dword v99, off, s[0:3], 0 offset:340
	buffer_load_dword v100, off, s[0:3], 0 offset:336
	s_waitcnt vmcnt(3)
	buffer_store_dword v1, off, s[0:3], 0 offset:336
	s_waitcnt vmcnt(3)
	buffer_store_dword v98, off, s[0:3], 0 offset:340
	s_waitcnt vmcnt(3)
	buffer_store_dword v99, v0, s[0:3], 0 offen offset:4
	s_waitcnt vmcnt(3)
	buffer_store_dword v100, v0, s[0:3], 0 offen
.LBB47_306:
	;; [unrolled: 48-line block ×22, first 2 shown]
	s_or_b64 exec, exec, s[4:5]
	v_pk_mov_b32 v[0:1], s[10:11], s[10:11] op_sel:[0,1]
	flat_load_dword v0, v[0:1] offset:4
	s_waitcnt vmcnt(0) lgkmcnt(0)
	v_add_u32_e32 v0, -1, v0
	v_cmp_ne_u32_e32 vcc, 1, v0
	s_and_saveexec_b64 s[4:5], vcc
	s_cbranch_execz .LBB47_388
; %bb.387:
	v_mov_b32_e32 v1, 0
	v_lshl_add_u32 v0, v0, 3, v1
	buffer_load_dword v1, v0, s[0:3], 0 offen
	buffer_load_dword v98, v0, s[0:3], 0 offen offset:4
	buffer_load_dword v99, off, s[0:3], 0 offset:8
	buffer_load_dword v100, off, s[0:3], 0 offset:12
	s_waitcnt vmcnt(3)
	buffer_store_dword v1, off, s[0:3], 0 offset:8
	s_waitcnt vmcnt(3)
	buffer_store_dword v98, off, s[0:3], 0 offset:12
	s_waitcnt vmcnt(3)
	buffer_store_dword v99, v0, s[0:3], 0 offen
	s_waitcnt vmcnt(3)
	buffer_store_dword v100, v0, s[0:3], 0 offen offset:4
.LBB47_388:
	s_or_b64 exec, exec, s[4:5]
	v_pk_mov_b32 v[0:1], s[10:11], s[10:11] op_sel:[0,1]
	flat_load_dword v98, v[0:1]
	s_nop 0
	buffer_load_dword v0, off, s[0:3], 0
	buffer_load_dword v1, off, s[0:3], 0 offset:4
	s_waitcnt vmcnt(0) lgkmcnt(0)
	v_add_u32_e32 v98, -1, v98
	v_cmp_ne_u32_e32 vcc, 0, v98
	s_and_saveexec_b64 s[4:5], vcc
	s_cbranch_execz .LBB47_390
; %bb.389:
	v_mov_b32_e32 v99, 0
	v_lshl_add_u32 v98, v98, 3, v99
	buffer_load_dword v99, v98, s[0:3], 0 offen offset:4
	buffer_load_dword v100, v98, s[0:3], 0 offen
	s_waitcnt vmcnt(1)
	buffer_store_dword v99, off, s[0:3], 0 offset:4
	s_waitcnt vmcnt(1)
	buffer_store_dword v100, off, s[0:3], 0
	buffer_store_dword v1, v98, s[0:3], 0 offen offset:4
	buffer_store_dword v0, v98, s[0:3], 0 offen
	buffer_load_dword v0, off, s[0:3], 0
	s_nop 0
	buffer_load_dword v1, off, s[0:3], 0 offset:4
.LBB47_390:
	s_or_b64 exec, exec, s[4:5]
.LBB47_391:
	s_waitcnt vmcnt(0)
	global_store_dwordx2 v[96:97], v[0:1], off
	buffer_load_dword v0, off, s[0:3], 0 offset:8
	s_nop 0
	buffer_load_dword v1, off, s[0:3], 0 offset:12
	buffer_load_dword v96, off, s[0:3], 0 offset:16
	;; [unrolled: 1-line block ×15, first 2 shown]
	s_waitcnt vmcnt(14)
	global_store_dwordx2 v[94:95], v[0:1], off
	s_waitcnt vmcnt(13)
	global_store_dwordx2 v[2:3], v[96:97], off
	s_waitcnt vmcnt(12)
	global_store_dwordx2 v[4:5], v[98:99], off
	s_waitcnt vmcnt(11)
	global_store_dwordx2 v[6:7], v[100:101], off
	s_waitcnt vmcnt(10)
	global_store_dwordx2 v[8:9], v[102:103], off
	s_waitcnt vmcnt(9)
	global_store_dwordx2 v[10:11], v[104:105], off
	s_waitcnt vmcnt(8)
	global_store_dwordx2 v[12:13], v[106:107], off
	s_waitcnt vmcnt(7)
	global_store_dwordx2 v[18:19], v[108:109], off
	buffer_load_dword v0, off, s[0:3], 0 offset:72
	buffer_load_dword v1, off, s[0:3], 0 offset:76
	s_waitcnt vmcnt(0)
	global_store_dwordx2 v[14:15], v[0:1], off
	buffer_load_dword v0, off, s[0:3], 0 offset:80
	s_nop 0
	buffer_load_dword v1, off, s[0:3], 0 offset:84
	s_waitcnt vmcnt(0)
	global_store_dwordx2 v[16:17], v[0:1], off
	buffer_load_dword v0, off, s[0:3], 0 offset:88
	s_nop 0
	;; [unrolled: 5-line block ×38, first 2 shown]
	buffer_load_dword v1, off, s[0:3], 0 offset:380
	s_waitcnt vmcnt(0)
	global_store_dwordx2 v[78:79], v[0:1], off
	s_endpgm
	.section	.rodata,"a",@progbits
	.p2align	6, 0x0
	.amdhsa_kernel _ZN9rocsolver6v33100L18getri_kernel_smallILi48EdPdEEvT1_iilPiilS4_bb
		.amdhsa_group_segment_fixed_size 776
		.amdhsa_private_segment_fixed_size 400
		.amdhsa_kernarg_size 60
		.amdhsa_user_sgpr_count 8
		.amdhsa_user_sgpr_private_segment_buffer 1
		.amdhsa_user_sgpr_dispatch_ptr 0
		.amdhsa_user_sgpr_queue_ptr 0
		.amdhsa_user_sgpr_kernarg_segment_ptr 1
		.amdhsa_user_sgpr_dispatch_id 0
		.amdhsa_user_sgpr_flat_scratch_init 1
		.amdhsa_user_sgpr_kernarg_preload_length 0
		.amdhsa_user_sgpr_kernarg_preload_offset 0
		.amdhsa_user_sgpr_private_segment_size 0
		.amdhsa_uses_dynamic_stack 0
		.amdhsa_system_sgpr_private_segment_wavefront_offset 1
		.amdhsa_system_sgpr_workgroup_id_x 1
		.amdhsa_system_sgpr_workgroup_id_y 0
		.amdhsa_system_sgpr_workgroup_id_z 0
		.amdhsa_system_sgpr_workgroup_info 0
		.amdhsa_system_vgpr_workitem_id 0
		.amdhsa_next_free_vgpr 166
		.amdhsa_next_free_sgpr 23
		.amdhsa_accum_offset 168
		.amdhsa_reserve_vcc 1
		.amdhsa_reserve_flat_scratch 1
		.amdhsa_float_round_mode_32 0
		.amdhsa_float_round_mode_16_64 0
		.amdhsa_float_denorm_mode_32 3
		.amdhsa_float_denorm_mode_16_64 3
		.amdhsa_dx10_clamp 1
		.amdhsa_ieee_mode 1
		.amdhsa_fp16_overflow 0
		.amdhsa_tg_split 0
		.amdhsa_exception_fp_ieee_invalid_op 0
		.amdhsa_exception_fp_denorm_src 0
		.amdhsa_exception_fp_ieee_div_zero 0
		.amdhsa_exception_fp_ieee_overflow 0
		.amdhsa_exception_fp_ieee_underflow 0
		.amdhsa_exception_fp_ieee_inexact 0
		.amdhsa_exception_int_div_zero 0
	.end_amdhsa_kernel
	.section	.text._ZN9rocsolver6v33100L18getri_kernel_smallILi48EdPdEEvT1_iilPiilS4_bb,"axG",@progbits,_ZN9rocsolver6v33100L18getri_kernel_smallILi48EdPdEEvT1_iilPiilS4_bb,comdat
.Lfunc_end47:
	.size	_ZN9rocsolver6v33100L18getri_kernel_smallILi48EdPdEEvT1_iilPiilS4_bb, .Lfunc_end47-_ZN9rocsolver6v33100L18getri_kernel_smallILi48EdPdEEvT1_iilPiilS4_bb
                                        ; -- End function
	.section	.AMDGPU.csdata,"",@progbits
; Kernel info:
; codeLenInByte = 56776
; NumSgprs: 29
; NumVgprs: 166
; NumAgprs: 0
; TotalNumVgprs: 166
; ScratchSize: 400
; MemoryBound: 1
; FloatMode: 240
; IeeeMode: 1
; LDSByteSize: 776 bytes/workgroup (compile time only)
; SGPRBlocks: 3
; VGPRBlocks: 20
; NumSGPRsForWavesPerEU: 29
; NumVGPRsForWavesPerEU: 166
; AccumOffset: 168
; Occupancy: 3
; WaveLimiterHint : 1
; COMPUTE_PGM_RSRC2:SCRATCH_EN: 1
; COMPUTE_PGM_RSRC2:USER_SGPR: 8
; COMPUTE_PGM_RSRC2:TRAP_HANDLER: 0
; COMPUTE_PGM_RSRC2:TGID_X_EN: 1
; COMPUTE_PGM_RSRC2:TGID_Y_EN: 0
; COMPUTE_PGM_RSRC2:TGID_Z_EN: 0
; COMPUTE_PGM_RSRC2:TIDIG_COMP_CNT: 0
; COMPUTE_PGM_RSRC3_GFX90A:ACCUM_OFFSET: 41
; COMPUTE_PGM_RSRC3_GFX90A:TG_SPLIT: 0
	.section	.text._ZN9rocsolver6v33100L18getri_kernel_smallILi49EdPdEEvT1_iilPiilS4_bb,"axG",@progbits,_ZN9rocsolver6v33100L18getri_kernel_smallILi49EdPdEEvT1_iilPiilS4_bb,comdat
	.globl	_ZN9rocsolver6v33100L18getri_kernel_smallILi49EdPdEEvT1_iilPiilS4_bb ; -- Begin function _ZN9rocsolver6v33100L18getri_kernel_smallILi49EdPdEEvT1_iilPiilS4_bb
	.p2align	8
	.type	_ZN9rocsolver6v33100L18getri_kernel_smallILi49EdPdEEvT1_iilPiilS4_bb,@function
_ZN9rocsolver6v33100L18getri_kernel_smallILi49EdPdEEvT1_iilPiilS4_bb: ; @_ZN9rocsolver6v33100L18getri_kernel_smallILi49EdPdEEvT1_iilPiilS4_bb
; %bb.0:
	s_add_u32 flat_scratch_lo, s6, s9
	s_addc_u32 flat_scratch_hi, s7, 0
	s_add_u32 s0, s0, s9
	s_addc_u32 s1, s1, 0
	v_cmp_gt_u32_e32 vcc, 49, v0
	s_and_saveexec_b64 s[6:7], vcc
	s_cbranch_execz .LBB48_204
; %bb.1:
	s_load_dword s22, s[4:5], 0x38
	s_load_dwordx4 s[16:19], s[4:5], 0x10
	s_load_dwordx4 s[12:15], s[4:5], 0x28
                                        ; implicit-def: $sgpr10_sgpr11
	s_waitcnt lgkmcnt(0)
	s_bitcmp1_b32 s22, 8
	s_cselect_b64 s[20:21], -1, 0
	s_ashr_i32 s9, s8, 31
	s_bfe_u32 s6, s22, 0x10008
	s_cmp_eq_u32 s6, 0
	s_cbranch_scc1 .LBB48_3
; %bb.2:
	s_load_dword s6, s[4:5], 0x20
	s_mul_i32 s7, s8, s13
	s_mul_hi_u32 s10, s8, s12
	s_mul_i32 s11, s9, s12
	s_add_i32 s10, s10, s7
	s_add_i32 s11, s10, s11
	s_mul_i32 s10, s8, s12
	s_waitcnt lgkmcnt(0)
	s_ashr_i32 s7, s6, 31
	s_lshl_b64 s[10:11], s[10:11], 2
	s_add_u32 s10, s18, s10
	s_addc_u32 s11, s19, s11
	s_lshl_b64 s[6:7], s[6:7], 2
	s_add_u32 s10, s10, s6
	s_addc_u32 s11, s11, s7
.LBB48_3:
	s_load_dwordx4 s[4:7], s[4:5], 0x0
	s_mul_i32 s12, s8, s17
	s_mul_hi_u32 s13, s8, s16
	s_add_i32 s17, s13, s12
	s_waitcnt lgkmcnt(0)
	s_ashr_i32 s13, s6, 31
	s_mov_b32 s12, s6
	s_mul_i32 s6, s9, s16
	s_add_i32 s17, s17, s6
	s_mul_i32 s16, s8, s16
	s_lshl_b64 s[16:17], s[16:17], 3
	s_add_u32 s6, s4, s16
	s_addc_u32 s16, s5, s17
	s_lshl_b64 s[4:5], s[12:13], 3
	s_add_u32 s4, s6, s4
	s_addc_u32 s5, s16, s5
	s_add_i32 s6, s7, s7
	v_add_u32_e32 v4, s6, v0
	v_ashrrev_i32_e32 v5, 31, v4
	v_lshlrev_b64 v[2:3], 3, v[4:5]
	v_add_u32_e32 v6, s7, v4
	v_mov_b32_e32 v1, s5
	v_add_co_u32_e32 v2, vcc, s4, v2
	v_ashrrev_i32_e32 v7, 31, v6
	v_addc_co_u32_e32 v3, vcc, v1, v3, vcc
	v_lshlrev_b64 v[4:5], 3, v[6:7]
	v_add_u32_e32 v8, s7, v6
	v_add_co_u32_e32 v4, vcc, s4, v4
	v_ashrrev_i32_e32 v9, 31, v8
	v_addc_co_u32_e32 v5, vcc, v1, v5, vcc
	v_lshlrev_b64 v[6:7], 3, v[8:9]
	v_add_u32_e32 v10, s7, v8
	;; [unrolled: 5-line block ×5, first 2 shown]
	v_add_co_u32_e32 v12, vcc, s4, v12
	v_ashrrev_i32_e32 v15, 31, v14
	v_addc_co_u32_e32 v13, vcc, v1, v13, vcc
	v_lshlrev_b64 v[16:17], 3, v[14:15]
	v_add_co_u32_e32 v18, vcc, s4, v16
	v_add_u32_e32 v16, s7, v14
	v_addc_co_u32_e32 v19, vcc, v1, v17, vcc
	v_ashrrev_i32_e32 v17, 31, v16
	v_lshlrev_b64 v[14:15], 3, v[16:17]
	v_add_u32_e32 v20, s7, v16
	v_add_co_u32_e32 v14, vcc, s4, v14
	v_ashrrev_i32_e32 v21, 31, v20
	v_addc_co_u32_e32 v15, vcc, v1, v15, vcc
	v_lshlrev_b64 v[16:17], 3, v[20:21]
	v_add_u32_e32 v22, s7, v20
	v_add_co_u32_e32 v16, vcc, s4, v16
	v_ashrrev_i32_e32 v23, 31, v22
	v_addc_co_u32_e32 v17, vcc, v1, v17, vcc
	;; [unrolled: 5-line block ×31, first 2 shown]
	v_lshlrev_b64 v[78:79], 3, v[80:81]
	v_add_co_u32_e32 v78, vcc, s4, v78
	v_addc_co_u32_e32 v79, vcc, v1, v79, vcc
	v_lshlrev_b32_e32 v1, 3, v0
	v_mov_b32_e32 v82, s5
	v_add_co_u32_e32 v98, vcc, s4, v1
	s_ashr_i32 s13, s7, 31
	s_mov_b32 s12, s7
	v_addc_co_u32_e32 v99, vcc, 0, v82, vcc
	s_lshl_b64 s[12:13], s[12:13], 3
	global_load_dwordx2 v[100:101], v1, s[4:5]
	global_load_dwordx2 v[104:105], v[2:3], off
	global_load_dwordx2 v[106:107], v[4:5], off
	;; [unrolled: 1-line block ×3, first 2 shown]
	v_mov_b32_e32 v82, s13
	v_add_co_u32_e32 v96, vcc, s12, v98
	v_addc_co_u32_e32 v97, vcc, v99, v82, vcc
	global_load_dwordx2 v[102:103], v[96:97], off
	global_load_dwordx2 v[112:113], v[10:11], off
	;; [unrolled: 1-line block ×13, first 2 shown]
	v_add_u32_e32 v80, s7, v80
	v_ashrrev_i32_e32 v81, 31, v80
	v_lshlrev_b64 v[82:83], 3, v[80:81]
	v_add_u32_e32 v80, s7, v80
	v_mov_b32_e32 v84, s5
	v_add_co_u32_e32 v82, vcc, s4, v82
	v_ashrrev_i32_e32 v81, 31, v80
	v_addc_co_u32_e32 v83, vcc, v84, v83, vcc
	v_lshlrev_b64 v[84:85], 3, v[80:81]
	v_add_u32_e32 v80, s7, v80
	v_mov_b32_e32 v86, s5
	v_add_co_u32_e32 v84, vcc, s4, v84
	v_ashrrev_i32_e32 v81, 31, v80
	v_addc_co_u32_e32 v85, vcc, v86, v85, vcc
	;; [unrolled: 6-line block ×5, first 2 shown]
	v_lshlrev_b64 v[92:93], 3, v[80:81]
	v_add_u32_e32 v80, s7, v80
	v_mov_b32_e32 v94, s5
	v_add_co_u32_e32 v92, vcc, s4, v92
	v_ashrrev_i32_e32 v81, 31, v80
	s_waitcnt vmcnt(16)
	buffer_store_dword v101, off, s[0:3], 0 offset:4
	buffer_store_dword v100, off, s[0:3], 0
	s_waitcnt vmcnt(14)
	buffer_store_dword v103, off, s[0:3], 0 offset:12
	v_addc_co_u32_e32 v93, vcc, v94, v93, vcc
	v_lshlrev_b64 v[94:95], 3, v[80:81]
	v_add_u32_e32 v80, s7, v80
	global_load_dwordx2 v[100:101], v[32:33], off
	v_mov_b32_e32 v134, s5
	v_add_co_u32_e32 v94, vcc, s4, v94
	v_ashrrev_i32_e32 v81, 31, v80
	v_addc_co_u32_e32 v95, vcc, v134, v95, vcc
	v_lshlrev_b64 v[80:81], 3, v[80:81]
	buffer_store_dword v102, off, s[0:3], 0 offset:8
	global_load_dwordx2 v[102:103], v[34:35], off
	v_add_co_u32_e32 v80, vcc, s4, v80
	v_addc_co_u32_e32 v81, vcc, v134, v81, vcc
	global_load_dwordx2 v[134:135], v[36:37], off
	global_load_dwordx2 v[136:137], v[40:41], off
	;; [unrolled: 1-line block ×15, first 2 shown]
	s_bitcmp0_b32 s22, 0
	buffer_store_dword v105, off, s[0:3], 0 offset:20
	buffer_store_dword v104, off, s[0:3], 0 offset:16
	global_load_dwordx2 v[104:105], v[38:39], off
	s_mov_b64 s[6:7], -1
	buffer_store_dword v107, off, s[0:3], 0 offset:28
	buffer_store_dword v106, off, s[0:3], 0 offset:24
	global_load_dwordx2 v[106:107], v[42:43], off
	s_nop 0
	buffer_store_dword v109, off, s[0:3], 0 offset:36
	buffer_store_dword v108, off, s[0:3], 0 offset:32
	global_load_dwordx2 v[108:109], v[46:47], off
	s_waitcnt vmcnt(40)
	buffer_store_dword v111, off, s[0:3], 0 offset:44
	buffer_store_dword v110, off, s[0:3], 0 offset:40
	global_load_dwordx2 v[110:111], v[50:51], off
	s_nop 0
	buffer_store_dword v113, off, s[0:3], 0 offset:52
	buffer_store_dword v112, off, s[0:3], 0 offset:48
	global_load_dwordx2 v[112:113], v[54:55], off
	s_waitcnt vmcnt(45)
	buffer_store_dword v115, off, s[0:3], 0 offset:60
	buffer_store_dword v114, off, s[0:3], 0 offset:56
	global_load_dwordx2 v[114:115], v[58:59], off
	s_waitcnt vmcnt(47)
	;; [unrolled: 4-line block ×11, first 2 shown]
	buffer_store_dword v100, off, s[0:3], 0 offset:136
	buffer_store_dword v101, off, s[0:3], 0 offset:140
	s_waitcnt vmcnt(62)
	buffer_store_dword v102, off, s[0:3], 0 offset:144
	buffer_store_dword v103, off, s[0:3], 0 offset:148
	s_waitcnt vmcnt(62)
	;; [unrolled: 3-line block ×3, first 2 shown]
	buffer_store_dword v105, off, s[0:3], 0 offset:164
	buffer_store_dword v104, off, s[0:3], 0 offset:160
	buffer_store_dword v136, off, s[0:3], 0 offset:168
	buffer_store_dword v137, off, s[0:3], 0 offset:172
	s_waitcnt vmcnt(49)
	buffer_store_dword v106, off, s[0:3], 0 offset:176
	buffer_store_dword v107, off, s[0:3], 0 offset:180
	buffer_store_dword v138, off, s[0:3], 0 offset:184
	buffer_store_dword v139, off, s[0:3], 0 offset:188
	s_waitcnt vmcnt(50)
	;; [unrolled: 5-line block ×14, first 2 shown]
	buffer_store_dword v132, off, s[0:3], 0 offset:384
	buffer_store_dword v133, off, s[0:3], 0 offset:388
	s_cbranch_scc1 .LBB48_202
; %bb.4:
	v_cmp_eq_u32_e64 s[4:5], 0, v0
	s_and_saveexec_b64 s[6:7], s[4:5]
	s_cbranch_execz .LBB48_6
; %bb.5:
	v_mov_b32_e32 v100, 0
	ds_write_b32 v100, v100 offset:392
.LBB48_6:
	s_or_b64 exec, exec, s[6:7]
	v_mov_b32_e32 v100, 0
	v_lshl_add_u32 v100, v0, 3, v100
	s_waitcnt lgkmcnt(0)
	; wave barrier
	s_waitcnt lgkmcnt(0)
	buffer_load_dword v102, v100, s[0:3], 0 offen
	buffer_load_dword v103, v100, s[0:3], 0 offen offset:4
	s_waitcnt vmcnt(0)
	v_cmp_eq_f64_e32 vcc, 0, v[102:103]
	s_and_saveexec_b64 s[12:13], vcc
	s_cbranch_execz .LBB48_10
; %bb.7:
	v_mov_b32_e32 v101, 0
	ds_read_b32 v103, v101 offset:392
	v_add_u32_e32 v102, 1, v0
	s_waitcnt lgkmcnt(0)
	v_readfirstlane_b32 s6, v103
	s_cmp_eq_u32 s6, 0
	s_cselect_b64 s[16:17], -1, 0
	v_cmp_gt_i32_e32 vcc, s6, v102
	s_or_b64 s[16:17], s[16:17], vcc
	s_and_b64 exec, exec, s[16:17]
	s_cbranch_execz .LBB48_10
; %bb.8:
	s_mov_b64 s[16:17], 0
	v_mov_b32_e32 v103, s6
.LBB48_9:                               ; =>This Inner Loop Header: Depth=1
	ds_cmpst_rtn_b32 v103, v101, v103, v102 offset:392
	s_waitcnt lgkmcnt(0)
	v_cmp_ne_u32_e32 vcc, 0, v103
	v_cmp_le_i32_e64 s[6:7], v103, v102
	s_and_b64 s[6:7], vcc, s[6:7]
	s_and_b64 s[6:7], exec, s[6:7]
	s_or_b64 s[16:17], s[6:7], s[16:17]
	s_andn2_b64 exec, exec, s[16:17]
	s_cbranch_execnz .LBB48_9
.LBB48_10:
	s_or_b64 exec, exec, s[12:13]
	v_mov_b32_e32 v102, 0
	s_waitcnt lgkmcnt(0)
	; wave barrier
	ds_read_b32 v101, v102 offset:392
	s_and_saveexec_b64 s[6:7], s[4:5]
	s_cbranch_execz .LBB48_12
; %bb.11:
	s_lshl_b64 s[12:13], s[8:9], 2
	s_add_u32 s12, s14, s12
	s_addc_u32 s13, s15, s13
	s_waitcnt lgkmcnt(0)
	global_store_dword v102, v101, s[12:13]
.LBB48_12:
	s_or_b64 exec, exec, s[6:7]
	s_waitcnt lgkmcnt(0)
	v_cmp_ne_u32_e32 vcc, 0, v101
	s_mov_b64 s[6:7], 0
	s_cbranch_vccnz .LBB48_202
; %bb.13:
	buffer_load_dword v102, v100, s[0:3], 0 offen
	buffer_load_dword v103, v100, s[0:3], 0 offen offset:4
	s_waitcnt vmcnt(0)
	v_div_scale_f64 v[104:105], s[6:7], v[102:103], v[102:103], 1.0
	v_rcp_f64_e32 v[106:107], v[104:105]
	v_div_scale_f64 v[108:109], vcc, 1.0, v[102:103], 1.0
	v_fma_f64 v[110:111], -v[104:105], v[106:107], 1.0
	v_fmac_f64_e32 v[106:107], v[106:107], v[110:111]
	v_fma_f64 v[110:111], -v[104:105], v[106:107], 1.0
	v_fmac_f64_e32 v[106:107], v[106:107], v[110:111]
	v_mul_f64 v[110:111], v[108:109], v[106:107]
	v_fma_f64 v[104:105], -v[104:105], v[110:111], v[108:109]
	v_div_fmas_f64 v[104:105], v[104:105], v[106:107], v[110:111]
	v_div_fixup_f64 v[104:105], v[104:105], v[102:103], 1.0
	buffer_store_dword v105, v100, s[0:3], 0 offen offset:4
	buffer_store_dword v104, v100, s[0:3], 0 offen
	buffer_load_dword v107, off, s[0:3], 0 offset:12
	buffer_load_dword v106, off, s[0:3], 0 offset:8
	v_add_u32_e32 v102, 0x190, v1
	v_xor_b32_e32 v105, 0x80000000, v105
	s_waitcnt vmcnt(0)
	ds_write2_b64 v1, v[104:105], v[106:107] offset1:50
	s_waitcnt lgkmcnt(0)
	; wave barrier
	s_waitcnt lgkmcnt(0)
	s_and_saveexec_b64 s[6:7], s[4:5]
	s_cbranch_execz .LBB48_15
; %bb.14:
	buffer_load_dword v104, v100, s[0:3], 0 offen
	buffer_load_dword v105, v100, s[0:3], 0 offen offset:4
	v_mov_b32_e32 v101, 0
	ds_read_b64 v[106:107], v102
	ds_read_b64 v[108:109], v101 offset:8
	s_waitcnt vmcnt(0) lgkmcnt(1)
	v_fma_f64 v[104:105], v[104:105], v[106:107], 0
	s_waitcnt lgkmcnt(0)
	v_mul_f64 v[104:105], v[104:105], v[108:109]
	buffer_store_dword v104, off, s[0:3], 0 offset:8
	buffer_store_dword v105, off, s[0:3], 0 offset:12
.LBB48_15:
	s_or_b64 exec, exec, s[6:7]
	s_waitcnt lgkmcnt(0)
	; wave barrier
	buffer_load_dword v104, off, s[0:3], 0 offset:16
	buffer_load_dword v105, off, s[0:3], 0 offset:20
	v_cmp_gt_u32_e32 vcc, 2, v0
	s_waitcnt vmcnt(0)
	ds_write_b64 v102, v[104:105]
	s_waitcnt lgkmcnt(0)
	; wave barrier
	s_waitcnt lgkmcnt(0)
	s_and_saveexec_b64 s[6:7], vcc
	s_cbranch_execz .LBB48_17
; %bb.16:
	buffer_load_dword v101, v100, s[0:3], 0 offen offset:4
	buffer_load_dword v108, off, s[0:3], 0 offset:8
	s_nop 0
	buffer_load_dword v100, v100, s[0:3], 0 offen
	s_nop 0
	buffer_load_dword v109, off, s[0:3], 0 offset:12
	ds_read_b64 v[110:111], v102
	v_mov_b32_e32 v103, 0
	ds_read2_b64 v[104:107], v103 offset0:2 offset1:51
	s_waitcnt vmcnt(1) lgkmcnt(1)
	v_fma_f64 v[100:101], v[100:101], v[110:111], 0
	s_waitcnt vmcnt(0) lgkmcnt(0)
	v_fma_f64 v[106:107], v[108:109], v[106:107], v[100:101]
	v_cndmask_b32_e64 v101, v101, v107, s[4:5]
	v_cndmask_b32_e64 v100, v100, v106, s[4:5]
	v_mul_f64 v[100:101], v[100:101], v[104:105]
	buffer_store_dword v101, off, s[0:3], 0 offset:20
	buffer_store_dword v100, off, s[0:3], 0 offset:16
.LBB48_17:
	s_or_b64 exec, exec, s[6:7]
	s_waitcnt lgkmcnt(0)
	; wave barrier
	buffer_load_dword v100, off, s[0:3], 0 offset:24
	buffer_load_dword v101, off, s[0:3], 0 offset:28
	v_cmp_gt_u32_e32 vcc, 3, v0
	v_add_u32_e32 v103, -1, v0
	s_waitcnt vmcnt(0)
	ds_write_b64 v102, v[100:101]
	s_waitcnt lgkmcnt(0)
	; wave barrier
	s_waitcnt lgkmcnt(0)
	s_and_saveexec_b64 s[4:5], vcc
	s_cbranch_execz .LBB48_21
; %bb.18:
	v_add_u32_e32 v104, -1, v0
	v_add_u32_e32 v105, 0x190, v1
	v_add_u32_e32 v106, 0, v1
	s_mov_b64 s[6:7], 0
	v_pk_mov_b32 v[100:101], 0, 0
.LBB48_19:                              ; =>This Inner Loop Header: Depth=1
	buffer_load_dword v108, v106, s[0:3], 0 offen
	buffer_load_dword v109, v106, s[0:3], 0 offen offset:4
	ds_read_b64 v[110:111], v105
	v_add_u32_e32 v104, 1, v104
	v_cmp_lt_u32_e32 vcc, 1, v104
	v_add_u32_e32 v105, 8, v105
	v_add_u32_e32 v106, 8, v106
	s_or_b64 s[6:7], vcc, s[6:7]
	s_waitcnt vmcnt(0) lgkmcnt(0)
	v_fmac_f64_e32 v[100:101], v[108:109], v[110:111]
	s_andn2_b64 exec, exec, s[6:7]
	s_cbranch_execnz .LBB48_19
; %bb.20:
	s_or_b64 exec, exec, s[6:7]
	v_mov_b32_e32 v104, 0
	ds_read_b64 v[104:105], v104 offset:24
	s_waitcnt lgkmcnt(0)
	v_mul_f64 v[100:101], v[100:101], v[104:105]
	buffer_store_dword v101, off, s[0:3], 0 offset:28
	buffer_store_dword v100, off, s[0:3], 0 offset:24
.LBB48_21:
	s_or_b64 exec, exec, s[4:5]
	s_waitcnt lgkmcnt(0)
	; wave barrier
	buffer_load_dword v100, off, s[0:3], 0 offset:32
	buffer_load_dword v101, off, s[0:3], 0 offset:36
	v_cmp_gt_u32_e32 vcc, 4, v0
	s_waitcnt vmcnt(0)
	ds_write_b64 v102, v[100:101]
	s_waitcnt lgkmcnt(0)
	; wave barrier
	s_waitcnt lgkmcnt(0)
	s_and_saveexec_b64 s[4:5], vcc
	s_cbranch_execz .LBB48_25
; %bb.22:
	v_add_u32_e32 v104, -1, v0
	v_add_u32_e32 v105, 0x190, v1
	v_add_u32_e32 v106, 0, v1
	s_mov_b64 s[6:7], 0
	v_pk_mov_b32 v[100:101], 0, 0
.LBB48_23:                              ; =>This Inner Loop Header: Depth=1
	buffer_load_dword v108, v106, s[0:3], 0 offen
	buffer_load_dword v109, v106, s[0:3], 0 offen offset:4
	ds_read_b64 v[110:111], v105
	v_add_u32_e32 v104, 1, v104
	v_cmp_lt_u32_e32 vcc, 2, v104
	v_add_u32_e32 v105, 8, v105
	v_add_u32_e32 v106, 8, v106
	s_or_b64 s[6:7], vcc, s[6:7]
	s_waitcnt vmcnt(0) lgkmcnt(0)
	v_fmac_f64_e32 v[100:101], v[108:109], v[110:111]
	s_andn2_b64 exec, exec, s[6:7]
	s_cbranch_execnz .LBB48_23
; %bb.24:
	s_or_b64 exec, exec, s[6:7]
	v_mov_b32_e32 v104, 0
	ds_read_b64 v[104:105], v104 offset:32
	s_waitcnt lgkmcnt(0)
	v_mul_f64 v[100:101], v[100:101], v[104:105]
	buffer_store_dword v101, off, s[0:3], 0 offset:36
	buffer_store_dword v100, off, s[0:3], 0 offset:32
.LBB48_25:
	s_or_b64 exec, exec, s[4:5]
	s_waitcnt lgkmcnt(0)
	; wave barrier
	buffer_load_dword v100, off, s[0:3], 0 offset:40
	buffer_load_dword v101, off, s[0:3], 0 offset:44
	v_cmp_gt_u32_e32 vcc, 5, v0
	;; [unrolled: 41-line block ×21, first 2 shown]
	s_waitcnt vmcnt(0)
	ds_write_b64 v102, v[100:101]
	s_waitcnt lgkmcnt(0)
	; wave barrier
	s_waitcnt lgkmcnt(0)
	s_and_saveexec_b64 s[4:5], vcc
	s_cbranch_execz .LBB48_105
; %bb.102:
	v_add_u32_e32 v104, -1, v0
	v_add_u32_e32 v105, 0x190, v1
	v_add_u32_e32 v106, 0, v1
	s_mov_b64 s[6:7], 0
	v_pk_mov_b32 v[100:101], 0, 0
.LBB48_103:                             ; =>This Inner Loop Header: Depth=1
	buffer_load_dword v108, v106, s[0:3], 0 offen
	buffer_load_dword v109, v106, s[0:3], 0 offen offset:4
	ds_read_b64 v[110:111], v105
	v_add_u32_e32 v104, 1, v104
	v_cmp_lt_u32_e32 vcc, 22, v104
	v_add_u32_e32 v105, 8, v105
	v_add_u32_e32 v106, 8, v106
	s_or_b64 s[6:7], vcc, s[6:7]
	s_waitcnt vmcnt(0) lgkmcnt(0)
	v_fmac_f64_e32 v[100:101], v[108:109], v[110:111]
	s_andn2_b64 exec, exec, s[6:7]
	s_cbranch_execnz .LBB48_103
; %bb.104:
	s_or_b64 exec, exec, s[6:7]
	v_mov_b32_e32 v104, 0
	ds_read_b64 v[104:105], v104 offset:192
	s_waitcnt lgkmcnt(0)
	v_mul_f64 v[100:101], v[100:101], v[104:105]
	buffer_store_dword v101, off, s[0:3], 0 offset:196
	buffer_store_dword v100, off, s[0:3], 0 offset:192
.LBB48_105:
	s_or_b64 exec, exec, s[4:5]
	s_waitcnt lgkmcnt(0)
	; wave barrier
	buffer_load_dword v100, off, s[0:3], 0 offset:200
	buffer_load_dword v101, off, s[0:3], 0 offset:204
	v_cmp_gt_u32_e32 vcc, 25, v0
	s_waitcnt vmcnt(0)
	ds_write_b64 v102, v[100:101]
	s_waitcnt lgkmcnt(0)
	; wave barrier
	s_waitcnt lgkmcnt(0)
	s_and_saveexec_b64 s[4:5], vcc
	s_cbranch_execz .LBB48_109
; %bb.106:
	v_add_u32_e32 v104, -1, v0
	v_add_u32_e32 v105, 0x190, v1
	v_add_u32_e32 v106, 0, v1
	s_mov_b64 s[6:7], 0
	v_pk_mov_b32 v[100:101], 0, 0
.LBB48_107:                             ; =>This Inner Loop Header: Depth=1
	buffer_load_dword v108, v106, s[0:3], 0 offen
	buffer_load_dword v109, v106, s[0:3], 0 offen offset:4
	ds_read_b64 v[110:111], v105
	v_add_u32_e32 v104, 1, v104
	v_cmp_lt_u32_e32 vcc, 23, v104
	v_add_u32_e32 v105, 8, v105
	v_add_u32_e32 v106, 8, v106
	s_or_b64 s[6:7], vcc, s[6:7]
	s_waitcnt vmcnt(0) lgkmcnt(0)
	v_fmac_f64_e32 v[100:101], v[108:109], v[110:111]
	s_andn2_b64 exec, exec, s[6:7]
	s_cbranch_execnz .LBB48_107
; %bb.108:
	s_or_b64 exec, exec, s[6:7]
	v_mov_b32_e32 v104, 0
	ds_read_b64 v[104:105], v104 offset:200
	s_waitcnt lgkmcnt(0)
	v_mul_f64 v[100:101], v[100:101], v[104:105]
	buffer_store_dword v101, off, s[0:3], 0 offset:204
	buffer_store_dword v100, off, s[0:3], 0 offset:200
.LBB48_109:
	s_or_b64 exec, exec, s[4:5]
	s_waitcnt lgkmcnt(0)
	; wave barrier
	buffer_load_dword v100, off, s[0:3], 0 offset:208
	buffer_load_dword v101, off, s[0:3], 0 offset:212
	v_cmp_gt_u32_e32 vcc, 26, v0
	s_waitcnt vmcnt(0)
	ds_write_b64 v102, v[100:101]
	s_waitcnt lgkmcnt(0)
	; wave barrier
	s_waitcnt lgkmcnt(0)
	s_and_saveexec_b64 s[4:5], vcc
	s_cbranch_execz .LBB48_113
; %bb.110:
	v_add_u32_e32 v104, -1, v0
	v_add_u32_e32 v105, 0x190, v1
	v_add_u32_e32 v106, 0, v1
	s_mov_b64 s[6:7], 0
	v_pk_mov_b32 v[100:101], 0, 0
.LBB48_111:                             ; =>This Inner Loop Header: Depth=1
	buffer_load_dword v108, v106, s[0:3], 0 offen
	buffer_load_dword v109, v106, s[0:3], 0 offen offset:4
	ds_read_b64 v[110:111], v105
	v_add_u32_e32 v104, 1, v104
	v_cmp_lt_u32_e32 vcc, 24, v104
	v_add_u32_e32 v105, 8, v105
	v_add_u32_e32 v106, 8, v106
	s_or_b64 s[6:7], vcc, s[6:7]
	s_waitcnt vmcnt(0) lgkmcnt(0)
	v_fmac_f64_e32 v[100:101], v[108:109], v[110:111]
	s_andn2_b64 exec, exec, s[6:7]
	s_cbranch_execnz .LBB48_111
; %bb.112:
	s_or_b64 exec, exec, s[6:7]
	v_mov_b32_e32 v104, 0
	ds_read_b64 v[104:105], v104 offset:208
	s_waitcnt lgkmcnt(0)
	v_mul_f64 v[100:101], v[100:101], v[104:105]
	buffer_store_dword v101, off, s[0:3], 0 offset:212
	buffer_store_dword v100, off, s[0:3], 0 offset:208
.LBB48_113:
	s_or_b64 exec, exec, s[4:5]
	s_waitcnt lgkmcnt(0)
	; wave barrier
	buffer_load_dword v100, off, s[0:3], 0 offset:216
	buffer_load_dword v101, off, s[0:3], 0 offset:220
	v_cmp_gt_u32_e32 vcc, 27, v0
	s_waitcnt vmcnt(0)
	ds_write_b64 v102, v[100:101]
	s_waitcnt lgkmcnt(0)
	; wave barrier
	s_waitcnt lgkmcnt(0)
	s_and_saveexec_b64 s[4:5], vcc
	s_cbranch_execz .LBB48_117
; %bb.114:
	v_add_u32_e32 v104, -1, v0
	v_add_u32_e32 v105, 0x190, v1
	v_add_u32_e32 v106, 0, v1
	s_mov_b64 s[6:7], 0
	v_pk_mov_b32 v[100:101], 0, 0
.LBB48_115:                             ; =>This Inner Loop Header: Depth=1
	buffer_load_dword v108, v106, s[0:3], 0 offen
	buffer_load_dword v109, v106, s[0:3], 0 offen offset:4
	ds_read_b64 v[110:111], v105
	v_add_u32_e32 v104, 1, v104
	v_cmp_lt_u32_e32 vcc, 25, v104
	v_add_u32_e32 v105, 8, v105
	v_add_u32_e32 v106, 8, v106
	s_or_b64 s[6:7], vcc, s[6:7]
	s_waitcnt vmcnt(0) lgkmcnt(0)
	v_fmac_f64_e32 v[100:101], v[108:109], v[110:111]
	s_andn2_b64 exec, exec, s[6:7]
	s_cbranch_execnz .LBB48_115
; %bb.116:
	s_or_b64 exec, exec, s[6:7]
	v_mov_b32_e32 v104, 0
	ds_read_b64 v[104:105], v104 offset:216
	s_waitcnt lgkmcnt(0)
	v_mul_f64 v[100:101], v[100:101], v[104:105]
	buffer_store_dword v101, off, s[0:3], 0 offset:220
	buffer_store_dword v100, off, s[0:3], 0 offset:216
.LBB48_117:
	s_or_b64 exec, exec, s[4:5]
	s_waitcnt lgkmcnt(0)
	; wave barrier
	buffer_load_dword v100, off, s[0:3], 0 offset:224
	buffer_load_dword v101, off, s[0:3], 0 offset:228
	v_cmp_gt_u32_e32 vcc, 28, v0
	s_waitcnt vmcnt(0)
	ds_write_b64 v102, v[100:101]
	s_waitcnt lgkmcnt(0)
	; wave barrier
	s_waitcnt lgkmcnt(0)
	s_and_saveexec_b64 s[4:5], vcc
	s_cbranch_execz .LBB48_121
; %bb.118:
	v_add_u32_e32 v104, -1, v0
	v_add_u32_e32 v105, 0x190, v1
	v_add_u32_e32 v106, 0, v1
	s_mov_b64 s[6:7], 0
	v_pk_mov_b32 v[100:101], 0, 0
.LBB48_119:                             ; =>This Inner Loop Header: Depth=1
	buffer_load_dword v108, v106, s[0:3], 0 offen
	buffer_load_dword v109, v106, s[0:3], 0 offen offset:4
	ds_read_b64 v[110:111], v105
	v_add_u32_e32 v104, 1, v104
	v_cmp_lt_u32_e32 vcc, 26, v104
	v_add_u32_e32 v105, 8, v105
	v_add_u32_e32 v106, 8, v106
	s_or_b64 s[6:7], vcc, s[6:7]
	s_waitcnt vmcnt(0) lgkmcnt(0)
	v_fmac_f64_e32 v[100:101], v[108:109], v[110:111]
	s_andn2_b64 exec, exec, s[6:7]
	s_cbranch_execnz .LBB48_119
; %bb.120:
	s_or_b64 exec, exec, s[6:7]
	v_mov_b32_e32 v104, 0
	ds_read_b64 v[104:105], v104 offset:224
	s_waitcnt lgkmcnt(0)
	v_mul_f64 v[100:101], v[100:101], v[104:105]
	buffer_store_dword v101, off, s[0:3], 0 offset:228
	buffer_store_dword v100, off, s[0:3], 0 offset:224
.LBB48_121:
	s_or_b64 exec, exec, s[4:5]
	s_waitcnt lgkmcnt(0)
	; wave barrier
	buffer_load_dword v100, off, s[0:3], 0 offset:232
	buffer_load_dword v101, off, s[0:3], 0 offset:236
	v_cmp_gt_u32_e32 vcc, 29, v0
	s_waitcnt vmcnt(0)
	ds_write_b64 v102, v[100:101]
	s_waitcnt lgkmcnt(0)
	; wave barrier
	s_waitcnt lgkmcnt(0)
	s_and_saveexec_b64 s[4:5], vcc
	s_cbranch_execz .LBB48_125
; %bb.122:
	v_add_u32_e32 v104, -1, v0
	v_add_u32_e32 v105, 0x190, v1
	v_add_u32_e32 v106, 0, v1
	s_mov_b64 s[6:7], 0
	v_pk_mov_b32 v[100:101], 0, 0
.LBB48_123:                             ; =>This Inner Loop Header: Depth=1
	buffer_load_dword v108, v106, s[0:3], 0 offen
	buffer_load_dword v109, v106, s[0:3], 0 offen offset:4
	ds_read_b64 v[110:111], v105
	v_add_u32_e32 v104, 1, v104
	v_cmp_lt_u32_e32 vcc, 27, v104
	v_add_u32_e32 v105, 8, v105
	v_add_u32_e32 v106, 8, v106
	s_or_b64 s[6:7], vcc, s[6:7]
	s_waitcnt vmcnt(0) lgkmcnt(0)
	v_fmac_f64_e32 v[100:101], v[108:109], v[110:111]
	s_andn2_b64 exec, exec, s[6:7]
	s_cbranch_execnz .LBB48_123
; %bb.124:
	s_or_b64 exec, exec, s[6:7]
	v_mov_b32_e32 v104, 0
	ds_read_b64 v[104:105], v104 offset:232
	s_waitcnt lgkmcnt(0)
	v_mul_f64 v[100:101], v[100:101], v[104:105]
	buffer_store_dword v101, off, s[0:3], 0 offset:236
	buffer_store_dword v100, off, s[0:3], 0 offset:232
.LBB48_125:
	s_or_b64 exec, exec, s[4:5]
	s_waitcnt lgkmcnt(0)
	; wave barrier
	buffer_load_dword v100, off, s[0:3], 0 offset:240
	buffer_load_dword v101, off, s[0:3], 0 offset:244
	v_cmp_gt_u32_e32 vcc, 30, v0
	s_waitcnt vmcnt(0)
	ds_write_b64 v102, v[100:101]
	s_waitcnt lgkmcnt(0)
	; wave barrier
	s_waitcnt lgkmcnt(0)
	s_and_saveexec_b64 s[4:5], vcc
	s_cbranch_execz .LBB48_129
; %bb.126:
	v_add_u32_e32 v104, -1, v0
	v_add_u32_e32 v105, 0x190, v1
	v_add_u32_e32 v106, 0, v1
	s_mov_b64 s[6:7], 0
	v_pk_mov_b32 v[100:101], 0, 0
.LBB48_127:                             ; =>This Inner Loop Header: Depth=1
	buffer_load_dword v108, v106, s[0:3], 0 offen
	buffer_load_dword v109, v106, s[0:3], 0 offen offset:4
	ds_read_b64 v[110:111], v105
	v_add_u32_e32 v104, 1, v104
	v_cmp_lt_u32_e32 vcc, 28, v104
	v_add_u32_e32 v105, 8, v105
	v_add_u32_e32 v106, 8, v106
	s_or_b64 s[6:7], vcc, s[6:7]
	s_waitcnt vmcnt(0) lgkmcnt(0)
	v_fmac_f64_e32 v[100:101], v[108:109], v[110:111]
	s_andn2_b64 exec, exec, s[6:7]
	s_cbranch_execnz .LBB48_127
; %bb.128:
	s_or_b64 exec, exec, s[6:7]
	v_mov_b32_e32 v104, 0
	ds_read_b64 v[104:105], v104 offset:240
	s_waitcnt lgkmcnt(0)
	v_mul_f64 v[100:101], v[100:101], v[104:105]
	buffer_store_dword v101, off, s[0:3], 0 offset:244
	buffer_store_dword v100, off, s[0:3], 0 offset:240
.LBB48_129:
	s_or_b64 exec, exec, s[4:5]
	s_waitcnt lgkmcnt(0)
	; wave barrier
	buffer_load_dword v100, off, s[0:3], 0 offset:248
	buffer_load_dword v101, off, s[0:3], 0 offset:252
	v_cmp_gt_u32_e32 vcc, 31, v0
	s_waitcnt vmcnt(0)
	ds_write_b64 v102, v[100:101]
	s_waitcnt lgkmcnt(0)
	; wave barrier
	s_waitcnt lgkmcnt(0)
	s_and_saveexec_b64 s[4:5], vcc
	s_cbranch_execz .LBB48_133
; %bb.130:
	v_add_u32_e32 v104, -1, v0
	v_add_u32_e32 v105, 0x190, v1
	v_add_u32_e32 v106, 0, v1
	s_mov_b64 s[6:7], 0
	v_pk_mov_b32 v[100:101], 0, 0
.LBB48_131:                             ; =>This Inner Loop Header: Depth=1
	buffer_load_dword v108, v106, s[0:3], 0 offen
	buffer_load_dword v109, v106, s[0:3], 0 offen offset:4
	ds_read_b64 v[110:111], v105
	v_add_u32_e32 v104, 1, v104
	v_cmp_lt_u32_e32 vcc, 29, v104
	v_add_u32_e32 v105, 8, v105
	v_add_u32_e32 v106, 8, v106
	s_or_b64 s[6:7], vcc, s[6:7]
	s_waitcnt vmcnt(0) lgkmcnt(0)
	v_fmac_f64_e32 v[100:101], v[108:109], v[110:111]
	s_andn2_b64 exec, exec, s[6:7]
	s_cbranch_execnz .LBB48_131
; %bb.132:
	s_or_b64 exec, exec, s[6:7]
	v_mov_b32_e32 v104, 0
	ds_read_b64 v[104:105], v104 offset:248
	s_waitcnt lgkmcnt(0)
	v_mul_f64 v[100:101], v[100:101], v[104:105]
	buffer_store_dword v101, off, s[0:3], 0 offset:252
	buffer_store_dword v100, off, s[0:3], 0 offset:248
.LBB48_133:
	s_or_b64 exec, exec, s[4:5]
	s_waitcnt lgkmcnt(0)
	; wave barrier
	buffer_load_dword v100, off, s[0:3], 0 offset:256
	buffer_load_dword v101, off, s[0:3], 0 offset:260
	v_cmp_gt_u32_e32 vcc, 32, v0
	s_waitcnt vmcnt(0)
	ds_write_b64 v102, v[100:101]
	s_waitcnt lgkmcnt(0)
	; wave barrier
	s_waitcnt lgkmcnt(0)
	s_and_saveexec_b64 s[4:5], vcc
	s_cbranch_execz .LBB48_137
; %bb.134:
	v_add_u32_e32 v104, -1, v0
	v_add_u32_e32 v105, 0x190, v1
	v_add_u32_e32 v106, 0, v1
	s_mov_b64 s[6:7], 0
	v_pk_mov_b32 v[100:101], 0, 0
.LBB48_135:                             ; =>This Inner Loop Header: Depth=1
	buffer_load_dword v108, v106, s[0:3], 0 offen
	buffer_load_dword v109, v106, s[0:3], 0 offen offset:4
	ds_read_b64 v[110:111], v105
	v_add_u32_e32 v104, 1, v104
	v_cmp_lt_u32_e32 vcc, 30, v104
	v_add_u32_e32 v105, 8, v105
	v_add_u32_e32 v106, 8, v106
	s_or_b64 s[6:7], vcc, s[6:7]
	s_waitcnt vmcnt(0) lgkmcnt(0)
	v_fmac_f64_e32 v[100:101], v[108:109], v[110:111]
	s_andn2_b64 exec, exec, s[6:7]
	s_cbranch_execnz .LBB48_135
; %bb.136:
	s_or_b64 exec, exec, s[6:7]
	v_mov_b32_e32 v104, 0
	ds_read_b64 v[104:105], v104 offset:256
	s_waitcnt lgkmcnt(0)
	v_mul_f64 v[100:101], v[100:101], v[104:105]
	buffer_store_dword v101, off, s[0:3], 0 offset:260
	buffer_store_dword v100, off, s[0:3], 0 offset:256
.LBB48_137:
	s_or_b64 exec, exec, s[4:5]
	s_waitcnt lgkmcnt(0)
	; wave barrier
	buffer_load_dword v100, off, s[0:3], 0 offset:264
	buffer_load_dword v101, off, s[0:3], 0 offset:268
	v_cmp_gt_u32_e32 vcc, 33, v0
	s_waitcnt vmcnt(0)
	ds_write_b64 v102, v[100:101]
	s_waitcnt lgkmcnt(0)
	; wave barrier
	s_waitcnt lgkmcnt(0)
	s_and_saveexec_b64 s[4:5], vcc
	s_cbranch_execz .LBB48_141
; %bb.138:
	v_add_u32_e32 v104, -1, v0
	v_add_u32_e32 v105, 0x190, v1
	v_add_u32_e32 v106, 0, v1
	s_mov_b64 s[6:7], 0
	v_pk_mov_b32 v[100:101], 0, 0
.LBB48_139:                             ; =>This Inner Loop Header: Depth=1
	buffer_load_dword v108, v106, s[0:3], 0 offen
	buffer_load_dword v109, v106, s[0:3], 0 offen offset:4
	ds_read_b64 v[110:111], v105
	v_add_u32_e32 v104, 1, v104
	v_cmp_lt_u32_e32 vcc, 31, v104
	v_add_u32_e32 v105, 8, v105
	v_add_u32_e32 v106, 8, v106
	s_or_b64 s[6:7], vcc, s[6:7]
	s_waitcnt vmcnt(0) lgkmcnt(0)
	v_fmac_f64_e32 v[100:101], v[108:109], v[110:111]
	s_andn2_b64 exec, exec, s[6:7]
	s_cbranch_execnz .LBB48_139
; %bb.140:
	s_or_b64 exec, exec, s[6:7]
	v_mov_b32_e32 v104, 0
	ds_read_b64 v[104:105], v104 offset:264
	s_waitcnt lgkmcnt(0)
	v_mul_f64 v[100:101], v[100:101], v[104:105]
	buffer_store_dword v101, off, s[0:3], 0 offset:268
	buffer_store_dword v100, off, s[0:3], 0 offset:264
.LBB48_141:
	s_or_b64 exec, exec, s[4:5]
	s_waitcnt lgkmcnt(0)
	; wave barrier
	buffer_load_dword v100, off, s[0:3], 0 offset:272
	buffer_load_dword v101, off, s[0:3], 0 offset:276
	v_cmp_gt_u32_e32 vcc, 34, v0
	s_waitcnt vmcnt(0)
	ds_write_b64 v102, v[100:101]
	s_waitcnt lgkmcnt(0)
	; wave barrier
	s_waitcnt lgkmcnt(0)
	s_and_saveexec_b64 s[4:5], vcc
	s_cbranch_execz .LBB48_145
; %bb.142:
	v_add_u32_e32 v104, -1, v0
	v_add_u32_e32 v105, 0x190, v1
	v_add_u32_e32 v106, 0, v1
	s_mov_b64 s[6:7], 0
	v_pk_mov_b32 v[100:101], 0, 0
.LBB48_143:                             ; =>This Inner Loop Header: Depth=1
	buffer_load_dword v108, v106, s[0:3], 0 offen
	buffer_load_dword v109, v106, s[0:3], 0 offen offset:4
	ds_read_b64 v[110:111], v105
	v_add_u32_e32 v104, 1, v104
	v_cmp_lt_u32_e32 vcc, 32, v104
	v_add_u32_e32 v105, 8, v105
	v_add_u32_e32 v106, 8, v106
	s_or_b64 s[6:7], vcc, s[6:7]
	s_waitcnt vmcnt(0) lgkmcnt(0)
	v_fmac_f64_e32 v[100:101], v[108:109], v[110:111]
	s_andn2_b64 exec, exec, s[6:7]
	s_cbranch_execnz .LBB48_143
; %bb.144:
	s_or_b64 exec, exec, s[6:7]
	v_mov_b32_e32 v104, 0
	ds_read_b64 v[104:105], v104 offset:272
	s_waitcnt lgkmcnt(0)
	v_mul_f64 v[100:101], v[100:101], v[104:105]
	buffer_store_dword v101, off, s[0:3], 0 offset:276
	buffer_store_dword v100, off, s[0:3], 0 offset:272
.LBB48_145:
	s_or_b64 exec, exec, s[4:5]
	s_waitcnt lgkmcnt(0)
	; wave barrier
	buffer_load_dword v100, off, s[0:3], 0 offset:280
	buffer_load_dword v101, off, s[0:3], 0 offset:284
	v_cmp_gt_u32_e32 vcc, 35, v0
	s_waitcnt vmcnt(0)
	ds_write_b64 v102, v[100:101]
	s_waitcnt lgkmcnt(0)
	; wave barrier
	s_waitcnt lgkmcnt(0)
	s_and_saveexec_b64 s[4:5], vcc
	s_cbranch_execz .LBB48_149
; %bb.146:
	v_add_u32_e32 v104, -1, v0
	v_add_u32_e32 v105, 0x190, v1
	v_add_u32_e32 v106, 0, v1
	s_mov_b64 s[6:7], 0
	v_pk_mov_b32 v[100:101], 0, 0
.LBB48_147:                             ; =>This Inner Loop Header: Depth=1
	buffer_load_dword v108, v106, s[0:3], 0 offen
	buffer_load_dword v109, v106, s[0:3], 0 offen offset:4
	ds_read_b64 v[110:111], v105
	v_add_u32_e32 v104, 1, v104
	v_cmp_lt_u32_e32 vcc, 33, v104
	v_add_u32_e32 v105, 8, v105
	v_add_u32_e32 v106, 8, v106
	s_or_b64 s[6:7], vcc, s[6:7]
	s_waitcnt vmcnt(0) lgkmcnt(0)
	v_fmac_f64_e32 v[100:101], v[108:109], v[110:111]
	s_andn2_b64 exec, exec, s[6:7]
	s_cbranch_execnz .LBB48_147
; %bb.148:
	s_or_b64 exec, exec, s[6:7]
	v_mov_b32_e32 v104, 0
	ds_read_b64 v[104:105], v104 offset:280
	s_waitcnt lgkmcnt(0)
	v_mul_f64 v[100:101], v[100:101], v[104:105]
	buffer_store_dword v101, off, s[0:3], 0 offset:284
	buffer_store_dword v100, off, s[0:3], 0 offset:280
.LBB48_149:
	s_or_b64 exec, exec, s[4:5]
	s_waitcnt lgkmcnt(0)
	; wave barrier
	buffer_load_dword v100, off, s[0:3], 0 offset:288
	buffer_load_dword v101, off, s[0:3], 0 offset:292
	v_cmp_gt_u32_e32 vcc, 36, v0
	s_waitcnt vmcnt(0)
	ds_write_b64 v102, v[100:101]
	s_waitcnt lgkmcnt(0)
	; wave barrier
	s_waitcnt lgkmcnt(0)
	s_and_saveexec_b64 s[4:5], vcc
	s_cbranch_execz .LBB48_153
; %bb.150:
	v_add_u32_e32 v104, -1, v0
	v_add_u32_e32 v105, 0x190, v1
	v_add_u32_e32 v106, 0, v1
	s_mov_b64 s[6:7], 0
	v_pk_mov_b32 v[100:101], 0, 0
.LBB48_151:                             ; =>This Inner Loop Header: Depth=1
	buffer_load_dword v108, v106, s[0:3], 0 offen
	buffer_load_dword v109, v106, s[0:3], 0 offen offset:4
	ds_read_b64 v[110:111], v105
	v_add_u32_e32 v104, 1, v104
	v_cmp_lt_u32_e32 vcc, 34, v104
	v_add_u32_e32 v105, 8, v105
	v_add_u32_e32 v106, 8, v106
	s_or_b64 s[6:7], vcc, s[6:7]
	s_waitcnt vmcnt(0) lgkmcnt(0)
	v_fmac_f64_e32 v[100:101], v[108:109], v[110:111]
	s_andn2_b64 exec, exec, s[6:7]
	s_cbranch_execnz .LBB48_151
; %bb.152:
	s_or_b64 exec, exec, s[6:7]
	v_mov_b32_e32 v104, 0
	ds_read_b64 v[104:105], v104 offset:288
	s_waitcnt lgkmcnt(0)
	v_mul_f64 v[100:101], v[100:101], v[104:105]
	buffer_store_dword v101, off, s[0:3], 0 offset:292
	buffer_store_dword v100, off, s[0:3], 0 offset:288
.LBB48_153:
	s_or_b64 exec, exec, s[4:5]
	s_waitcnt lgkmcnt(0)
	; wave barrier
	buffer_load_dword v100, off, s[0:3], 0 offset:296
	buffer_load_dword v101, off, s[0:3], 0 offset:300
	v_cmp_gt_u32_e32 vcc, 37, v0
	s_waitcnt vmcnt(0)
	ds_write_b64 v102, v[100:101]
	s_waitcnt lgkmcnt(0)
	; wave barrier
	s_waitcnt lgkmcnt(0)
	s_and_saveexec_b64 s[4:5], vcc
	s_cbranch_execz .LBB48_157
; %bb.154:
	v_add_u32_e32 v104, -1, v0
	v_add_u32_e32 v105, 0x190, v1
	v_add_u32_e32 v106, 0, v1
	s_mov_b64 s[6:7], 0
	v_pk_mov_b32 v[100:101], 0, 0
.LBB48_155:                             ; =>This Inner Loop Header: Depth=1
	buffer_load_dword v108, v106, s[0:3], 0 offen
	buffer_load_dword v109, v106, s[0:3], 0 offen offset:4
	ds_read_b64 v[110:111], v105
	v_add_u32_e32 v104, 1, v104
	v_cmp_lt_u32_e32 vcc, 35, v104
	v_add_u32_e32 v105, 8, v105
	v_add_u32_e32 v106, 8, v106
	s_or_b64 s[6:7], vcc, s[6:7]
	s_waitcnt vmcnt(0) lgkmcnt(0)
	v_fmac_f64_e32 v[100:101], v[108:109], v[110:111]
	s_andn2_b64 exec, exec, s[6:7]
	s_cbranch_execnz .LBB48_155
; %bb.156:
	s_or_b64 exec, exec, s[6:7]
	v_mov_b32_e32 v104, 0
	ds_read_b64 v[104:105], v104 offset:296
	s_waitcnt lgkmcnt(0)
	v_mul_f64 v[100:101], v[100:101], v[104:105]
	buffer_store_dword v101, off, s[0:3], 0 offset:300
	buffer_store_dword v100, off, s[0:3], 0 offset:296
.LBB48_157:
	s_or_b64 exec, exec, s[4:5]
	s_waitcnt lgkmcnt(0)
	; wave barrier
	buffer_load_dword v100, off, s[0:3], 0 offset:304
	buffer_load_dword v101, off, s[0:3], 0 offset:308
	v_cmp_gt_u32_e32 vcc, 38, v0
	s_waitcnt vmcnt(0)
	ds_write_b64 v102, v[100:101]
	s_waitcnt lgkmcnt(0)
	; wave barrier
	s_waitcnt lgkmcnt(0)
	s_and_saveexec_b64 s[4:5], vcc
	s_cbranch_execz .LBB48_161
; %bb.158:
	v_add_u32_e32 v104, -1, v0
	v_add_u32_e32 v105, 0x190, v1
	v_add_u32_e32 v106, 0, v1
	s_mov_b64 s[6:7], 0
	v_pk_mov_b32 v[100:101], 0, 0
.LBB48_159:                             ; =>This Inner Loop Header: Depth=1
	buffer_load_dword v108, v106, s[0:3], 0 offen
	buffer_load_dword v109, v106, s[0:3], 0 offen offset:4
	ds_read_b64 v[110:111], v105
	v_add_u32_e32 v104, 1, v104
	v_cmp_lt_u32_e32 vcc, 36, v104
	v_add_u32_e32 v105, 8, v105
	v_add_u32_e32 v106, 8, v106
	s_or_b64 s[6:7], vcc, s[6:7]
	s_waitcnt vmcnt(0) lgkmcnt(0)
	v_fmac_f64_e32 v[100:101], v[108:109], v[110:111]
	s_andn2_b64 exec, exec, s[6:7]
	s_cbranch_execnz .LBB48_159
; %bb.160:
	s_or_b64 exec, exec, s[6:7]
	v_mov_b32_e32 v104, 0
	ds_read_b64 v[104:105], v104 offset:304
	s_waitcnt lgkmcnt(0)
	v_mul_f64 v[100:101], v[100:101], v[104:105]
	buffer_store_dword v101, off, s[0:3], 0 offset:308
	buffer_store_dword v100, off, s[0:3], 0 offset:304
.LBB48_161:
	s_or_b64 exec, exec, s[4:5]
	s_waitcnt lgkmcnt(0)
	; wave barrier
	buffer_load_dword v100, off, s[0:3], 0 offset:312
	buffer_load_dword v101, off, s[0:3], 0 offset:316
	v_cmp_gt_u32_e32 vcc, 39, v0
	s_waitcnt vmcnt(0)
	ds_write_b64 v102, v[100:101]
	s_waitcnt lgkmcnt(0)
	; wave barrier
	s_waitcnt lgkmcnt(0)
	s_and_saveexec_b64 s[4:5], vcc
	s_cbranch_execz .LBB48_165
; %bb.162:
	v_add_u32_e32 v104, -1, v0
	v_add_u32_e32 v105, 0x190, v1
	v_add_u32_e32 v106, 0, v1
	s_mov_b64 s[6:7], 0
	v_pk_mov_b32 v[100:101], 0, 0
.LBB48_163:                             ; =>This Inner Loop Header: Depth=1
	buffer_load_dword v108, v106, s[0:3], 0 offen
	buffer_load_dword v109, v106, s[0:3], 0 offen offset:4
	ds_read_b64 v[110:111], v105
	v_add_u32_e32 v104, 1, v104
	v_cmp_lt_u32_e32 vcc, 37, v104
	v_add_u32_e32 v105, 8, v105
	v_add_u32_e32 v106, 8, v106
	s_or_b64 s[6:7], vcc, s[6:7]
	s_waitcnt vmcnt(0) lgkmcnt(0)
	v_fmac_f64_e32 v[100:101], v[108:109], v[110:111]
	s_andn2_b64 exec, exec, s[6:7]
	s_cbranch_execnz .LBB48_163
; %bb.164:
	s_or_b64 exec, exec, s[6:7]
	v_mov_b32_e32 v104, 0
	ds_read_b64 v[104:105], v104 offset:312
	s_waitcnt lgkmcnt(0)
	v_mul_f64 v[100:101], v[100:101], v[104:105]
	buffer_store_dword v101, off, s[0:3], 0 offset:316
	buffer_store_dword v100, off, s[0:3], 0 offset:312
.LBB48_165:
	s_or_b64 exec, exec, s[4:5]
	s_waitcnt lgkmcnt(0)
	; wave barrier
	buffer_load_dword v100, off, s[0:3], 0 offset:320
	buffer_load_dword v101, off, s[0:3], 0 offset:324
	v_cmp_gt_u32_e32 vcc, 40, v0
	s_waitcnt vmcnt(0)
	ds_write_b64 v102, v[100:101]
	s_waitcnt lgkmcnt(0)
	; wave barrier
	s_waitcnt lgkmcnt(0)
	s_and_saveexec_b64 s[4:5], vcc
	s_cbranch_execz .LBB48_169
; %bb.166:
	v_add_u32_e32 v104, -1, v0
	v_add_u32_e32 v105, 0x190, v1
	v_add_u32_e32 v106, 0, v1
	s_mov_b64 s[6:7], 0
	v_pk_mov_b32 v[100:101], 0, 0
.LBB48_167:                             ; =>This Inner Loop Header: Depth=1
	buffer_load_dword v108, v106, s[0:3], 0 offen
	buffer_load_dword v109, v106, s[0:3], 0 offen offset:4
	ds_read_b64 v[110:111], v105
	v_add_u32_e32 v104, 1, v104
	v_cmp_lt_u32_e32 vcc, 38, v104
	v_add_u32_e32 v105, 8, v105
	v_add_u32_e32 v106, 8, v106
	s_or_b64 s[6:7], vcc, s[6:7]
	s_waitcnt vmcnt(0) lgkmcnt(0)
	v_fmac_f64_e32 v[100:101], v[108:109], v[110:111]
	s_andn2_b64 exec, exec, s[6:7]
	s_cbranch_execnz .LBB48_167
; %bb.168:
	s_or_b64 exec, exec, s[6:7]
	v_mov_b32_e32 v104, 0
	ds_read_b64 v[104:105], v104 offset:320
	s_waitcnt lgkmcnt(0)
	v_mul_f64 v[100:101], v[100:101], v[104:105]
	buffer_store_dword v101, off, s[0:3], 0 offset:324
	buffer_store_dword v100, off, s[0:3], 0 offset:320
.LBB48_169:
	s_or_b64 exec, exec, s[4:5]
	s_waitcnt lgkmcnt(0)
	; wave barrier
	buffer_load_dword v100, off, s[0:3], 0 offset:328
	buffer_load_dword v101, off, s[0:3], 0 offset:332
	v_cmp_gt_u32_e32 vcc, 41, v0
	s_waitcnt vmcnt(0)
	ds_write_b64 v102, v[100:101]
	s_waitcnt lgkmcnt(0)
	; wave barrier
	s_waitcnt lgkmcnt(0)
	s_and_saveexec_b64 s[4:5], vcc
	s_cbranch_execz .LBB48_173
; %bb.170:
	v_add_u32_e32 v104, -1, v0
	v_add_u32_e32 v105, 0x190, v1
	v_add_u32_e32 v106, 0, v1
	s_mov_b64 s[6:7], 0
	v_pk_mov_b32 v[100:101], 0, 0
.LBB48_171:                             ; =>This Inner Loop Header: Depth=1
	buffer_load_dword v108, v106, s[0:3], 0 offen
	buffer_load_dword v109, v106, s[0:3], 0 offen offset:4
	ds_read_b64 v[110:111], v105
	v_add_u32_e32 v104, 1, v104
	v_cmp_lt_u32_e32 vcc, 39, v104
	v_add_u32_e32 v105, 8, v105
	v_add_u32_e32 v106, 8, v106
	s_or_b64 s[6:7], vcc, s[6:7]
	s_waitcnt vmcnt(0) lgkmcnt(0)
	v_fmac_f64_e32 v[100:101], v[108:109], v[110:111]
	s_andn2_b64 exec, exec, s[6:7]
	s_cbranch_execnz .LBB48_171
; %bb.172:
	s_or_b64 exec, exec, s[6:7]
	v_mov_b32_e32 v104, 0
	ds_read_b64 v[104:105], v104 offset:328
	s_waitcnt lgkmcnt(0)
	v_mul_f64 v[100:101], v[100:101], v[104:105]
	buffer_store_dword v101, off, s[0:3], 0 offset:332
	buffer_store_dword v100, off, s[0:3], 0 offset:328
.LBB48_173:
	s_or_b64 exec, exec, s[4:5]
	s_waitcnt lgkmcnt(0)
	; wave barrier
	buffer_load_dword v100, off, s[0:3], 0 offset:336
	buffer_load_dword v101, off, s[0:3], 0 offset:340
	v_cmp_gt_u32_e32 vcc, 42, v0
	s_waitcnt vmcnt(0)
	ds_write_b64 v102, v[100:101]
	s_waitcnt lgkmcnt(0)
	; wave barrier
	s_waitcnt lgkmcnt(0)
	s_and_saveexec_b64 s[4:5], vcc
	s_cbranch_execz .LBB48_177
; %bb.174:
	v_add_u32_e32 v104, -1, v0
	v_add_u32_e32 v105, 0x190, v1
	v_add_u32_e32 v106, 0, v1
	s_mov_b64 s[6:7], 0
	v_pk_mov_b32 v[100:101], 0, 0
.LBB48_175:                             ; =>This Inner Loop Header: Depth=1
	buffer_load_dword v108, v106, s[0:3], 0 offen
	buffer_load_dword v109, v106, s[0:3], 0 offen offset:4
	ds_read_b64 v[110:111], v105
	v_add_u32_e32 v104, 1, v104
	v_cmp_lt_u32_e32 vcc, 40, v104
	v_add_u32_e32 v105, 8, v105
	v_add_u32_e32 v106, 8, v106
	s_or_b64 s[6:7], vcc, s[6:7]
	s_waitcnt vmcnt(0) lgkmcnt(0)
	v_fmac_f64_e32 v[100:101], v[108:109], v[110:111]
	s_andn2_b64 exec, exec, s[6:7]
	s_cbranch_execnz .LBB48_175
; %bb.176:
	s_or_b64 exec, exec, s[6:7]
	v_mov_b32_e32 v104, 0
	ds_read_b64 v[104:105], v104 offset:336
	s_waitcnt lgkmcnt(0)
	v_mul_f64 v[100:101], v[100:101], v[104:105]
	buffer_store_dword v101, off, s[0:3], 0 offset:340
	buffer_store_dword v100, off, s[0:3], 0 offset:336
.LBB48_177:
	s_or_b64 exec, exec, s[4:5]
	s_waitcnt lgkmcnt(0)
	; wave barrier
	buffer_load_dword v100, off, s[0:3], 0 offset:344
	buffer_load_dword v101, off, s[0:3], 0 offset:348
	v_cmp_gt_u32_e32 vcc, 43, v0
	s_waitcnt vmcnt(0)
	ds_write_b64 v102, v[100:101]
	s_waitcnt lgkmcnt(0)
	; wave barrier
	s_waitcnt lgkmcnt(0)
	s_and_saveexec_b64 s[4:5], vcc
	s_cbranch_execz .LBB48_181
; %bb.178:
	v_add_u32_e32 v104, -1, v0
	v_add_u32_e32 v105, 0x190, v1
	v_add_u32_e32 v106, 0, v1
	s_mov_b64 s[6:7], 0
	v_pk_mov_b32 v[100:101], 0, 0
.LBB48_179:                             ; =>This Inner Loop Header: Depth=1
	buffer_load_dword v108, v106, s[0:3], 0 offen
	buffer_load_dword v109, v106, s[0:3], 0 offen offset:4
	ds_read_b64 v[110:111], v105
	v_add_u32_e32 v104, 1, v104
	v_cmp_lt_u32_e32 vcc, 41, v104
	v_add_u32_e32 v105, 8, v105
	v_add_u32_e32 v106, 8, v106
	s_or_b64 s[6:7], vcc, s[6:7]
	s_waitcnt vmcnt(0) lgkmcnt(0)
	v_fmac_f64_e32 v[100:101], v[108:109], v[110:111]
	s_andn2_b64 exec, exec, s[6:7]
	s_cbranch_execnz .LBB48_179
; %bb.180:
	s_or_b64 exec, exec, s[6:7]
	v_mov_b32_e32 v104, 0
	ds_read_b64 v[104:105], v104 offset:344
	s_waitcnt lgkmcnt(0)
	v_mul_f64 v[100:101], v[100:101], v[104:105]
	buffer_store_dword v101, off, s[0:3], 0 offset:348
	buffer_store_dword v100, off, s[0:3], 0 offset:344
.LBB48_181:
	s_or_b64 exec, exec, s[4:5]
	s_waitcnt lgkmcnt(0)
	; wave barrier
	buffer_load_dword v100, off, s[0:3], 0 offset:352
	buffer_load_dword v101, off, s[0:3], 0 offset:356
	v_cmp_gt_u32_e32 vcc, 44, v0
	s_waitcnt vmcnt(0)
	ds_write_b64 v102, v[100:101]
	s_waitcnt lgkmcnt(0)
	; wave barrier
	s_waitcnt lgkmcnt(0)
	s_and_saveexec_b64 s[4:5], vcc
	s_cbranch_execz .LBB48_185
; %bb.182:
	v_add_u32_e32 v104, -1, v0
	v_add_u32_e32 v105, 0x190, v1
	v_add_u32_e32 v106, 0, v1
	s_mov_b64 s[6:7], 0
	v_pk_mov_b32 v[100:101], 0, 0
.LBB48_183:                             ; =>This Inner Loop Header: Depth=1
	buffer_load_dword v108, v106, s[0:3], 0 offen
	buffer_load_dword v109, v106, s[0:3], 0 offen offset:4
	ds_read_b64 v[110:111], v105
	v_add_u32_e32 v104, 1, v104
	v_cmp_lt_u32_e32 vcc, 42, v104
	v_add_u32_e32 v105, 8, v105
	v_add_u32_e32 v106, 8, v106
	s_or_b64 s[6:7], vcc, s[6:7]
	s_waitcnt vmcnt(0) lgkmcnt(0)
	v_fmac_f64_e32 v[100:101], v[108:109], v[110:111]
	s_andn2_b64 exec, exec, s[6:7]
	s_cbranch_execnz .LBB48_183
; %bb.184:
	s_or_b64 exec, exec, s[6:7]
	v_mov_b32_e32 v104, 0
	ds_read_b64 v[104:105], v104 offset:352
	s_waitcnt lgkmcnt(0)
	v_mul_f64 v[100:101], v[100:101], v[104:105]
	buffer_store_dword v101, off, s[0:3], 0 offset:356
	buffer_store_dword v100, off, s[0:3], 0 offset:352
.LBB48_185:
	s_or_b64 exec, exec, s[4:5]
	s_waitcnt lgkmcnt(0)
	; wave barrier
	buffer_load_dword v100, off, s[0:3], 0 offset:360
	buffer_load_dword v101, off, s[0:3], 0 offset:364
	v_cmp_gt_u32_e32 vcc, 45, v0
	s_waitcnt vmcnt(0)
	ds_write_b64 v102, v[100:101]
	s_waitcnt lgkmcnt(0)
	; wave barrier
	s_waitcnt lgkmcnt(0)
	s_and_saveexec_b64 s[4:5], vcc
	s_cbranch_execz .LBB48_189
; %bb.186:
	v_add_u32_e32 v104, -1, v0
	v_add_u32_e32 v105, 0x190, v1
	v_add_u32_e32 v106, 0, v1
	s_mov_b64 s[6:7], 0
	v_pk_mov_b32 v[100:101], 0, 0
.LBB48_187:                             ; =>This Inner Loop Header: Depth=1
	buffer_load_dword v108, v106, s[0:3], 0 offen
	buffer_load_dword v109, v106, s[0:3], 0 offen offset:4
	ds_read_b64 v[110:111], v105
	v_add_u32_e32 v104, 1, v104
	v_cmp_lt_u32_e32 vcc, 43, v104
	v_add_u32_e32 v105, 8, v105
	v_add_u32_e32 v106, 8, v106
	s_or_b64 s[6:7], vcc, s[6:7]
	s_waitcnt vmcnt(0) lgkmcnt(0)
	v_fmac_f64_e32 v[100:101], v[108:109], v[110:111]
	s_andn2_b64 exec, exec, s[6:7]
	s_cbranch_execnz .LBB48_187
; %bb.188:
	s_or_b64 exec, exec, s[6:7]
	v_mov_b32_e32 v104, 0
	ds_read_b64 v[104:105], v104 offset:360
	s_waitcnt lgkmcnt(0)
	v_mul_f64 v[100:101], v[100:101], v[104:105]
	buffer_store_dword v101, off, s[0:3], 0 offset:364
	buffer_store_dword v100, off, s[0:3], 0 offset:360
.LBB48_189:
	s_or_b64 exec, exec, s[4:5]
	s_waitcnt lgkmcnt(0)
	; wave barrier
	buffer_load_dword v100, off, s[0:3], 0 offset:368
	buffer_load_dword v101, off, s[0:3], 0 offset:372
	v_cmp_gt_u32_e32 vcc, 46, v0
	s_waitcnt vmcnt(0)
	ds_write_b64 v102, v[100:101]
	s_waitcnt lgkmcnt(0)
	; wave barrier
	s_waitcnt lgkmcnt(0)
	s_and_saveexec_b64 s[4:5], vcc
	s_cbranch_execz .LBB48_193
; %bb.190:
	v_add_u32_e32 v104, -1, v0
	v_add_u32_e32 v105, 0x190, v1
	v_add_u32_e32 v106, 0, v1
	s_mov_b64 s[6:7], 0
	v_pk_mov_b32 v[100:101], 0, 0
.LBB48_191:                             ; =>This Inner Loop Header: Depth=1
	buffer_load_dword v108, v106, s[0:3], 0 offen
	buffer_load_dword v109, v106, s[0:3], 0 offen offset:4
	ds_read_b64 v[110:111], v105
	v_add_u32_e32 v104, 1, v104
	v_cmp_lt_u32_e32 vcc, 44, v104
	v_add_u32_e32 v105, 8, v105
	v_add_u32_e32 v106, 8, v106
	s_or_b64 s[6:7], vcc, s[6:7]
	s_waitcnt vmcnt(0) lgkmcnt(0)
	v_fmac_f64_e32 v[100:101], v[108:109], v[110:111]
	s_andn2_b64 exec, exec, s[6:7]
	s_cbranch_execnz .LBB48_191
; %bb.192:
	s_or_b64 exec, exec, s[6:7]
	v_mov_b32_e32 v104, 0
	ds_read_b64 v[104:105], v104 offset:368
	s_waitcnt lgkmcnt(0)
	v_mul_f64 v[100:101], v[100:101], v[104:105]
	buffer_store_dword v101, off, s[0:3], 0 offset:372
	buffer_store_dword v100, off, s[0:3], 0 offset:368
.LBB48_193:
	s_or_b64 exec, exec, s[4:5]
	s_waitcnt lgkmcnt(0)
	; wave barrier
	buffer_load_dword v100, off, s[0:3], 0 offset:376
	buffer_load_dword v101, off, s[0:3], 0 offset:380
	v_cmp_gt_u32_e32 vcc, 47, v0
	s_waitcnt vmcnt(0)
	ds_write_b64 v102, v[100:101]
	s_waitcnt lgkmcnt(0)
	; wave barrier
	s_waitcnt lgkmcnt(0)
	s_and_saveexec_b64 s[4:5], vcc
	s_cbranch_execz .LBB48_197
; %bb.194:
	v_add_u32_e32 v104, -1, v0
	v_add_u32_e32 v105, 0x190, v1
	v_add_u32_e32 v106, 0, v1
	s_mov_b64 s[6:7], 0
	v_pk_mov_b32 v[100:101], 0, 0
.LBB48_195:                             ; =>This Inner Loop Header: Depth=1
	buffer_load_dword v108, v106, s[0:3], 0 offen
	buffer_load_dword v109, v106, s[0:3], 0 offen offset:4
	ds_read_b64 v[110:111], v105
	v_add_u32_e32 v104, 1, v104
	v_cmp_lt_u32_e32 vcc, 45, v104
	v_add_u32_e32 v105, 8, v105
	v_add_u32_e32 v106, 8, v106
	s_or_b64 s[6:7], vcc, s[6:7]
	s_waitcnt vmcnt(0) lgkmcnt(0)
	v_fmac_f64_e32 v[100:101], v[108:109], v[110:111]
	s_andn2_b64 exec, exec, s[6:7]
	s_cbranch_execnz .LBB48_195
; %bb.196:
	s_or_b64 exec, exec, s[6:7]
	v_mov_b32_e32 v104, 0
	ds_read_b64 v[104:105], v104 offset:376
	s_waitcnt lgkmcnt(0)
	v_mul_f64 v[100:101], v[100:101], v[104:105]
	buffer_store_dword v101, off, s[0:3], 0 offset:380
	buffer_store_dword v100, off, s[0:3], 0 offset:376
.LBB48_197:
	s_or_b64 exec, exec, s[4:5]
	s_waitcnt lgkmcnt(0)
	; wave barrier
	buffer_load_dword v100, off, s[0:3], 0 offset:384
	buffer_load_dword v101, off, s[0:3], 0 offset:388
	v_cmp_ne_u32_e32 vcc, 48, v0
	s_waitcnt vmcnt(0)
	ds_write_b64 v102, v[100:101]
	s_waitcnt lgkmcnt(0)
	; wave barrier
	s_waitcnt lgkmcnt(0)
	s_and_saveexec_b64 s[4:5], vcc
	s_cbranch_execz .LBB48_201
; %bb.198:
	v_add_u32_e32 v102, 0x190, v1
	v_add_u32_e32 v1, 0, v1
	s_mov_b64 s[6:7], 0
	v_pk_mov_b32 v[100:101], 0, 0
.LBB48_199:                             ; =>This Inner Loop Header: Depth=1
	buffer_load_dword v104, v1, s[0:3], 0 offen
	buffer_load_dword v105, v1, s[0:3], 0 offen offset:4
	ds_read_b64 v[106:107], v102
	v_add_u32_e32 v103, 1, v103
	v_cmp_lt_u32_e32 vcc, 46, v103
	v_add_u32_e32 v102, 8, v102
	v_add_u32_e32 v1, 8, v1
	s_or_b64 s[6:7], vcc, s[6:7]
	s_waitcnt vmcnt(0) lgkmcnt(0)
	v_fmac_f64_e32 v[100:101], v[104:105], v[106:107]
	s_andn2_b64 exec, exec, s[6:7]
	s_cbranch_execnz .LBB48_199
; %bb.200:
	s_or_b64 exec, exec, s[6:7]
	v_mov_b32_e32 v1, 0
	ds_read_b64 v[102:103], v1 offset:384
	s_waitcnt lgkmcnt(0)
	v_mul_f64 v[100:101], v[100:101], v[102:103]
	buffer_store_dword v101, off, s[0:3], 0 offset:388
	buffer_store_dword v100, off, s[0:3], 0 offset:384
.LBB48_201:
	s_or_b64 exec, exec, s[4:5]
	s_mov_b64 s[6:7], -1
	s_waitcnt lgkmcnt(0)
	; wave barrier
.LBB48_202:
	s_and_b64 vcc, exec, s[6:7]
	s_cbranch_vccz .LBB48_204
; %bb.203:
	s_lshl_b64 s[4:5], s[8:9], 2
	s_add_u32 s4, s14, s4
	s_addc_u32 s5, s15, s5
	v_mov_b32_e32 v1, 0
	global_load_dword v1, v1, s[4:5]
	s_waitcnt vmcnt(0)
	v_cmp_ne_u32_e32 vcc, 0, v1
	s_cbranch_vccz .LBB48_205
.LBB48_204:
	s_endpgm
.LBB48_205:
	v_mov_b32_e32 v1, 0x190
	v_lshl_add_u32 v1, v0, 3, v1
	v_cmp_eq_u32_e32 vcc, 48, v0
	s_and_saveexec_b64 s[4:5], vcc
	s_cbranch_execz .LBB48_207
; %bb.206:
	buffer_load_dword v100, off, s[0:3], 0 offset:376
	buffer_load_dword v101, off, s[0:3], 0 offset:380
	v_mov_b32_e32 v102, 0
	buffer_store_dword v102, off, s[0:3], 0 offset:376
	buffer_store_dword v102, off, s[0:3], 0 offset:380
	s_waitcnt vmcnt(2)
	ds_write_b64 v1, v[100:101]
.LBB48_207:
	s_or_b64 exec, exec, s[4:5]
	s_waitcnt lgkmcnt(0)
	; wave barrier
	s_waitcnt lgkmcnt(0)
	buffer_load_dword v102, off, s[0:3], 0 offset:384
	buffer_load_dword v103, off, s[0:3], 0 offset:388
	;; [unrolled: 1-line block ×4, first 2 shown]
	v_mov_b32_e32 v100, 0
	ds_read_b64 v[106:107], v100 offset:784
	v_cmp_lt_u32_e32 vcc, 46, v0
	s_waitcnt vmcnt(2) lgkmcnt(0)
	v_fma_f64 v[102:103], v[102:103], v[106:107], 0
	s_waitcnt vmcnt(0)
	v_add_f64 v[102:103], v[104:105], -v[102:103]
	buffer_store_dword v102, off, s[0:3], 0 offset:376
	buffer_store_dword v103, off, s[0:3], 0 offset:380
	s_and_saveexec_b64 s[4:5], vcc
	s_cbranch_execz .LBB48_209
; %bb.208:
	buffer_load_dword v102, off, s[0:3], 0 offset:368
	buffer_load_dword v103, off, s[0:3], 0 offset:372
	s_waitcnt vmcnt(0)
	ds_write_b64 v1, v[102:103]
	buffer_store_dword v100, off, s[0:3], 0 offset:368
	buffer_store_dword v100, off, s[0:3], 0 offset:372
.LBB48_209:
	s_or_b64 exec, exec, s[4:5]
	s_waitcnt lgkmcnt(0)
	; wave barrier
	s_waitcnt lgkmcnt(0)
	buffer_load_dword v104, off, s[0:3], 0 offset:376
	buffer_load_dword v105, off, s[0:3], 0 offset:380
	;; [unrolled: 1-line block ×6, first 2 shown]
	ds_read2_b64 v[100:103], v100 offset0:97 offset1:98
	v_cmp_lt_u32_e32 vcc, 45, v0
	s_waitcnt vmcnt(4) lgkmcnt(0)
	v_fma_f64 v[100:101], v[104:105], v[100:101], 0
	s_waitcnt vmcnt(2)
	v_fmac_f64_e32 v[100:101], v[106:107], v[102:103]
	s_waitcnt vmcnt(0)
	v_add_f64 v[100:101], v[108:109], -v[100:101]
	buffer_store_dword v100, off, s[0:3], 0 offset:368
	buffer_store_dword v101, off, s[0:3], 0 offset:372
	s_and_saveexec_b64 s[4:5], vcc
	s_cbranch_execz .LBB48_211
; %bb.210:
	buffer_load_dword v100, off, s[0:3], 0 offset:360
	buffer_load_dword v101, off, s[0:3], 0 offset:364
	v_mov_b32_e32 v102, 0
	buffer_store_dword v102, off, s[0:3], 0 offset:360
	buffer_store_dword v102, off, s[0:3], 0 offset:364
	s_waitcnt vmcnt(2)
	ds_write_b64 v1, v[100:101]
.LBB48_211:
	s_or_b64 exec, exec, s[4:5]
	s_waitcnt lgkmcnt(0)
	; wave barrier
	s_waitcnt lgkmcnt(0)
	buffer_load_dword v106, off, s[0:3], 0 offset:368
	buffer_load_dword v107, off, s[0:3], 0 offset:372
	;; [unrolled: 1-line block ×8, first 2 shown]
	v_mov_b32_e32 v100, 0
	ds_read_b128 v[102:105], v100 offset:768
	ds_read_b64 v[114:115], v100 offset:784
	v_cmp_lt_u32_e32 vcc, 44, v0
	s_waitcnt vmcnt(6) lgkmcnt(1)
	v_fma_f64 v[102:103], v[106:107], v[102:103], 0
	s_waitcnt vmcnt(4)
	v_fmac_f64_e32 v[102:103], v[108:109], v[104:105]
	s_waitcnt vmcnt(2) lgkmcnt(0)
	v_fmac_f64_e32 v[102:103], v[110:111], v[114:115]
	s_waitcnt vmcnt(0)
	v_add_f64 v[102:103], v[112:113], -v[102:103]
	buffer_store_dword v102, off, s[0:3], 0 offset:360
	buffer_store_dword v103, off, s[0:3], 0 offset:364
	s_and_saveexec_b64 s[4:5], vcc
	s_cbranch_execz .LBB48_213
; %bb.212:
	buffer_load_dword v102, off, s[0:3], 0 offset:352
	buffer_load_dword v103, off, s[0:3], 0 offset:356
	s_waitcnt vmcnt(0)
	ds_write_b64 v1, v[102:103]
	buffer_store_dword v100, off, s[0:3], 0 offset:352
	buffer_store_dword v100, off, s[0:3], 0 offset:356
.LBB48_213:
	s_or_b64 exec, exec, s[4:5]
	s_waitcnt lgkmcnt(0)
	; wave barrier
	s_waitcnt lgkmcnt(0)
	buffer_load_dword v110, off, s[0:3], 0 offset:360
	buffer_load_dword v111, off, s[0:3], 0 offset:364
	;; [unrolled: 1-line block ×10, first 2 shown]
	ds_read2_b64 v[102:105], v100 offset0:95 offset1:96
	ds_read2_b64 v[106:109], v100 offset0:97 offset1:98
	v_cmp_lt_u32_e32 vcc, 43, v0
	s_waitcnt vmcnt(8) lgkmcnt(1)
	v_fma_f64 v[100:101], v[110:111], v[102:103], 0
	s_waitcnt vmcnt(6)
	v_fmac_f64_e32 v[100:101], v[112:113], v[104:105]
	s_waitcnt vmcnt(4) lgkmcnt(0)
	v_fmac_f64_e32 v[100:101], v[114:115], v[106:107]
	s_waitcnt vmcnt(2)
	v_fmac_f64_e32 v[100:101], v[116:117], v[108:109]
	s_waitcnt vmcnt(0)
	v_add_f64 v[100:101], v[118:119], -v[100:101]
	buffer_store_dword v100, off, s[0:3], 0 offset:352
	buffer_store_dword v101, off, s[0:3], 0 offset:356
	s_and_saveexec_b64 s[4:5], vcc
	s_cbranch_execz .LBB48_215
; %bb.214:
	buffer_load_dword v100, off, s[0:3], 0 offset:344
	buffer_load_dword v101, off, s[0:3], 0 offset:348
	v_mov_b32_e32 v102, 0
	buffer_store_dword v102, off, s[0:3], 0 offset:344
	buffer_store_dword v102, off, s[0:3], 0 offset:348
	s_waitcnt vmcnt(2)
	ds_write_b64 v1, v[100:101]
.LBB48_215:
	s_or_b64 exec, exec, s[4:5]
	s_waitcnt lgkmcnt(0)
	; wave barrier
	s_waitcnt lgkmcnt(0)
	buffer_load_dword v110, off, s[0:3], 0 offset:352
	buffer_load_dword v111, off, s[0:3], 0 offset:356
	;; [unrolled: 1-line block ×12, first 2 shown]
	v_mov_b32_e32 v100, 0
	ds_read_b128 v[102:105], v100 offset:752
	ds_read_b128 v[106:109], v100 offset:768
	ds_read_b64 v[122:123], v100 offset:784
	v_cmp_lt_u32_e32 vcc, 42, v0
	s_waitcnt vmcnt(10) lgkmcnt(2)
	v_fma_f64 v[102:103], v[110:111], v[102:103], 0
	s_waitcnt vmcnt(8)
	v_fmac_f64_e32 v[102:103], v[112:113], v[104:105]
	s_waitcnt vmcnt(6) lgkmcnt(1)
	v_fmac_f64_e32 v[102:103], v[114:115], v[106:107]
	s_waitcnt vmcnt(4)
	v_fmac_f64_e32 v[102:103], v[116:117], v[108:109]
	s_waitcnt vmcnt(2) lgkmcnt(0)
	v_fmac_f64_e32 v[102:103], v[118:119], v[122:123]
	s_waitcnt vmcnt(0)
	v_add_f64 v[102:103], v[120:121], -v[102:103]
	buffer_store_dword v102, off, s[0:3], 0 offset:344
	buffer_store_dword v103, off, s[0:3], 0 offset:348
	s_and_saveexec_b64 s[4:5], vcc
	s_cbranch_execz .LBB48_217
; %bb.216:
	buffer_load_dword v102, off, s[0:3], 0 offset:336
	buffer_load_dword v103, off, s[0:3], 0 offset:340
	s_waitcnt vmcnt(0)
	ds_write_b64 v1, v[102:103]
	buffer_store_dword v100, off, s[0:3], 0 offset:336
	buffer_store_dword v100, off, s[0:3], 0 offset:340
.LBB48_217:
	s_or_b64 exec, exec, s[4:5]
	s_waitcnt lgkmcnt(0)
	; wave barrier
	s_waitcnt lgkmcnt(0)
	buffer_load_dword v114, off, s[0:3], 0 offset:344
	buffer_load_dword v115, off, s[0:3], 0 offset:348
	;; [unrolled: 1-line block ×14, first 2 shown]
	ds_read2_b64 v[102:105], v100 offset0:93 offset1:94
	ds_read2_b64 v[106:109], v100 offset0:95 offset1:96
	;; [unrolled: 1-line block ×3, first 2 shown]
	v_cmp_lt_u32_e32 vcc, 41, v0
	s_waitcnt vmcnt(12) lgkmcnt(2)
	v_fma_f64 v[100:101], v[114:115], v[102:103], 0
	s_waitcnt vmcnt(10)
	v_fmac_f64_e32 v[100:101], v[116:117], v[104:105]
	s_waitcnt vmcnt(8) lgkmcnt(1)
	v_fmac_f64_e32 v[100:101], v[118:119], v[106:107]
	s_waitcnt vmcnt(6)
	v_fmac_f64_e32 v[100:101], v[120:121], v[108:109]
	s_waitcnt vmcnt(4) lgkmcnt(0)
	v_fmac_f64_e32 v[100:101], v[122:123], v[110:111]
	s_waitcnt vmcnt(2)
	v_fmac_f64_e32 v[100:101], v[124:125], v[112:113]
	s_waitcnt vmcnt(0)
	v_add_f64 v[100:101], v[126:127], -v[100:101]
	buffer_store_dword v100, off, s[0:3], 0 offset:336
	buffer_store_dword v101, off, s[0:3], 0 offset:340
	s_and_saveexec_b64 s[4:5], vcc
	s_cbranch_execz .LBB48_219
; %bb.218:
	buffer_load_dword v100, off, s[0:3], 0 offset:328
	buffer_load_dword v101, off, s[0:3], 0 offset:332
	v_mov_b32_e32 v102, 0
	buffer_store_dword v102, off, s[0:3], 0 offset:328
	buffer_store_dword v102, off, s[0:3], 0 offset:332
	s_waitcnt vmcnt(2)
	ds_write_b64 v1, v[100:101]
.LBB48_219:
	s_or_b64 exec, exec, s[4:5]
	s_waitcnt lgkmcnt(0)
	; wave barrier
	s_waitcnt lgkmcnt(0)
	buffer_load_dword v114, off, s[0:3], 0 offset:336
	buffer_load_dword v115, off, s[0:3], 0 offset:340
	;; [unrolled: 1-line block ×16, first 2 shown]
	v_mov_b32_e32 v100, 0
	ds_read_b128 v[102:105], v100 offset:736
	ds_read_b128 v[106:109], v100 offset:752
	;; [unrolled: 1-line block ×3, first 2 shown]
	ds_read_b64 v[130:131], v100 offset:784
	v_cmp_lt_u32_e32 vcc, 40, v0
	s_waitcnt vmcnt(14) lgkmcnt(3)
	v_fma_f64 v[102:103], v[114:115], v[102:103], 0
	s_waitcnt vmcnt(12)
	v_fmac_f64_e32 v[102:103], v[116:117], v[104:105]
	s_waitcnt vmcnt(10) lgkmcnt(2)
	v_fmac_f64_e32 v[102:103], v[118:119], v[106:107]
	s_waitcnt vmcnt(8)
	v_fmac_f64_e32 v[102:103], v[120:121], v[108:109]
	s_waitcnt vmcnt(6) lgkmcnt(1)
	v_fmac_f64_e32 v[102:103], v[122:123], v[110:111]
	;; [unrolled: 4-line block ×3, first 2 shown]
	s_waitcnt vmcnt(0)
	v_add_f64 v[102:103], v[128:129], -v[102:103]
	buffer_store_dword v102, off, s[0:3], 0 offset:328
	buffer_store_dword v103, off, s[0:3], 0 offset:332
	s_and_saveexec_b64 s[4:5], vcc
	s_cbranch_execz .LBB48_221
; %bb.220:
	buffer_load_dword v102, off, s[0:3], 0 offset:320
	buffer_load_dword v103, off, s[0:3], 0 offset:324
	s_waitcnt vmcnt(0)
	ds_write_b64 v1, v[102:103]
	buffer_store_dword v100, off, s[0:3], 0 offset:320
	buffer_store_dword v100, off, s[0:3], 0 offset:324
.LBB48_221:
	s_or_b64 exec, exec, s[4:5]
	s_waitcnt lgkmcnt(0)
	; wave barrier
	s_waitcnt lgkmcnt(0)
	buffer_load_dword v118, off, s[0:3], 0 offset:328
	buffer_load_dword v119, off, s[0:3], 0 offset:332
	;; [unrolled: 1-line block ×18, first 2 shown]
	ds_read2_b64 v[102:105], v100 offset0:91 offset1:92
	ds_read2_b64 v[106:109], v100 offset0:93 offset1:94
	;; [unrolled: 1-line block ×4, first 2 shown]
	v_cmp_lt_u32_e32 vcc, 39, v0
	s_waitcnt vmcnt(16) lgkmcnt(3)
	v_fma_f64 v[100:101], v[118:119], v[102:103], 0
	s_waitcnt vmcnt(14)
	v_fmac_f64_e32 v[100:101], v[120:121], v[104:105]
	s_waitcnt vmcnt(12) lgkmcnt(2)
	v_fmac_f64_e32 v[100:101], v[122:123], v[106:107]
	s_waitcnt vmcnt(10)
	v_fmac_f64_e32 v[100:101], v[124:125], v[108:109]
	s_waitcnt vmcnt(8) lgkmcnt(1)
	v_fmac_f64_e32 v[100:101], v[126:127], v[110:111]
	;; [unrolled: 4-line block ×3, first 2 shown]
	s_waitcnt vmcnt(2)
	v_fmac_f64_e32 v[100:101], v[132:133], v[116:117]
	s_waitcnt vmcnt(0)
	v_add_f64 v[100:101], v[134:135], -v[100:101]
	buffer_store_dword v100, off, s[0:3], 0 offset:320
	buffer_store_dword v101, off, s[0:3], 0 offset:324
	s_and_saveexec_b64 s[4:5], vcc
	s_cbranch_execz .LBB48_223
; %bb.222:
	buffer_load_dword v100, off, s[0:3], 0 offset:312
	buffer_load_dword v101, off, s[0:3], 0 offset:316
	v_mov_b32_e32 v102, 0
	buffer_store_dword v102, off, s[0:3], 0 offset:312
	buffer_store_dword v102, off, s[0:3], 0 offset:316
	s_waitcnt vmcnt(2)
	ds_write_b64 v1, v[100:101]
.LBB48_223:
	s_or_b64 exec, exec, s[4:5]
	s_waitcnt lgkmcnt(0)
	; wave barrier
	s_waitcnt lgkmcnt(0)
	buffer_load_dword v118, off, s[0:3], 0 offset:320
	buffer_load_dword v119, off, s[0:3], 0 offset:324
	;; [unrolled: 1-line block ×20, first 2 shown]
	v_mov_b32_e32 v100, 0
	ds_read_b128 v[102:105], v100 offset:720
	ds_read_b128 v[106:109], v100 offset:736
	;; [unrolled: 1-line block ×4, first 2 shown]
	ds_read_b64 v[138:139], v100 offset:784
	v_cmp_lt_u32_e32 vcc, 38, v0
	s_waitcnt vmcnt(18) lgkmcnt(4)
	v_fma_f64 v[102:103], v[118:119], v[102:103], 0
	s_waitcnt vmcnt(16)
	v_fmac_f64_e32 v[102:103], v[120:121], v[104:105]
	s_waitcnt vmcnt(14) lgkmcnt(3)
	v_fmac_f64_e32 v[102:103], v[122:123], v[106:107]
	s_waitcnt vmcnt(12)
	v_fmac_f64_e32 v[102:103], v[124:125], v[108:109]
	s_waitcnt vmcnt(10) lgkmcnt(2)
	v_fmac_f64_e32 v[102:103], v[126:127], v[110:111]
	;; [unrolled: 4-line block ×3, first 2 shown]
	s_waitcnt vmcnt(2)
	v_fmac_f64_e32 v[102:103], v[134:135], v[116:117]
	s_waitcnt lgkmcnt(0)
	v_fmac_f64_e32 v[102:103], v[132:133], v[138:139]
	s_waitcnt vmcnt(0)
	v_add_f64 v[102:103], v[136:137], -v[102:103]
	buffer_store_dword v102, off, s[0:3], 0 offset:312
	buffer_store_dword v103, off, s[0:3], 0 offset:316
	s_and_saveexec_b64 s[4:5], vcc
	s_cbranch_execz .LBB48_225
; %bb.224:
	buffer_load_dword v102, off, s[0:3], 0 offset:304
	buffer_load_dword v103, off, s[0:3], 0 offset:308
	s_waitcnt vmcnt(0)
	ds_write_b64 v1, v[102:103]
	buffer_store_dword v100, off, s[0:3], 0 offset:304
	buffer_store_dword v100, off, s[0:3], 0 offset:308
.LBB48_225:
	s_or_b64 exec, exec, s[4:5]
	s_waitcnt lgkmcnt(0)
	; wave barrier
	s_waitcnt lgkmcnt(0)
	buffer_load_dword v122, off, s[0:3], 0 offset:312
	buffer_load_dword v123, off, s[0:3], 0 offset:316
	;; [unrolled: 1-line block ×22, first 2 shown]
	ds_read2_b64 v[102:105], v100 offset0:89 offset1:90
	ds_read2_b64 v[106:109], v100 offset0:91 offset1:92
	;; [unrolled: 1-line block ×5, first 2 shown]
	v_cmp_lt_u32_e32 vcc, 37, v0
	s_waitcnt vmcnt(20) lgkmcnt(4)
	v_fma_f64 v[100:101], v[122:123], v[102:103], 0
	s_waitcnt vmcnt(18)
	v_fmac_f64_e32 v[100:101], v[124:125], v[104:105]
	s_waitcnt vmcnt(16) lgkmcnt(3)
	v_fmac_f64_e32 v[100:101], v[126:127], v[106:107]
	s_waitcnt vmcnt(14)
	v_fmac_f64_e32 v[100:101], v[128:129], v[108:109]
	s_waitcnt vmcnt(12) lgkmcnt(2)
	v_fmac_f64_e32 v[100:101], v[130:131], v[110:111]
	;; [unrolled: 4-line block ×3, first 2 shown]
	s_waitcnt vmcnt(3)
	v_fmac_f64_e32 v[100:101], v[140:141], v[116:117]
	s_waitcnt lgkmcnt(0)
	v_fmac_f64_e32 v[100:101], v[138:139], v[118:119]
	s_waitcnt vmcnt(2)
	v_fmac_f64_e32 v[100:101], v[136:137], v[120:121]
	s_waitcnt vmcnt(0)
	v_add_f64 v[100:101], v[142:143], -v[100:101]
	buffer_store_dword v100, off, s[0:3], 0 offset:304
	buffer_store_dword v101, off, s[0:3], 0 offset:308
	s_and_saveexec_b64 s[4:5], vcc
	s_cbranch_execz .LBB48_227
; %bb.226:
	buffer_load_dword v100, off, s[0:3], 0 offset:296
	buffer_load_dword v101, off, s[0:3], 0 offset:300
	v_mov_b32_e32 v102, 0
	buffer_store_dword v102, off, s[0:3], 0 offset:296
	buffer_store_dword v102, off, s[0:3], 0 offset:300
	s_waitcnt vmcnt(2)
	ds_write_b64 v1, v[100:101]
.LBB48_227:
	s_or_b64 exec, exec, s[4:5]
	s_waitcnt lgkmcnt(0)
	; wave barrier
	s_waitcnt lgkmcnt(0)
	buffer_load_dword v122, off, s[0:3], 0 offset:304
	buffer_load_dword v123, off, s[0:3], 0 offset:308
	;; [unrolled: 1-line block ×24, first 2 shown]
	v_mov_b32_e32 v100, 0
	ds_read_b128 v[102:105], v100 offset:704
	ds_read_b128 v[106:109], v100 offset:720
	;; [unrolled: 1-line block ×5, first 2 shown]
	ds_read_b64 v[146:147], v100 offset:784
	v_cmp_lt_u32_e32 vcc, 36, v0
	s_waitcnt vmcnt(22) lgkmcnt(5)
	v_fma_f64 v[102:103], v[122:123], v[102:103], 0
	s_waitcnt vmcnt(20)
	v_fmac_f64_e32 v[102:103], v[124:125], v[104:105]
	s_waitcnt vmcnt(18) lgkmcnt(4)
	v_fmac_f64_e32 v[102:103], v[126:127], v[106:107]
	s_waitcnt vmcnt(16)
	v_fmac_f64_e32 v[102:103], v[128:129], v[108:109]
	s_waitcnt vmcnt(14) lgkmcnt(3)
	v_fmac_f64_e32 v[102:103], v[130:131], v[110:111]
	;; [unrolled: 4-line block ×3, first 2 shown]
	s_waitcnt vmcnt(4)
	v_fmac_f64_e32 v[102:103], v[142:143], v[116:117]
	s_waitcnt lgkmcnt(1)
	v_fmac_f64_e32 v[102:103], v[140:141], v[118:119]
	s_waitcnt vmcnt(3)
	v_fmac_f64_e32 v[102:103], v[138:139], v[120:121]
	s_waitcnt vmcnt(2) lgkmcnt(0)
	v_fmac_f64_e32 v[102:103], v[136:137], v[146:147]
	s_waitcnt vmcnt(0)
	v_add_f64 v[102:103], v[144:145], -v[102:103]
	buffer_store_dword v103, off, s[0:3], 0 offset:300
	buffer_store_dword v102, off, s[0:3], 0 offset:296
	s_and_saveexec_b64 s[4:5], vcc
	s_cbranch_execz .LBB48_229
; %bb.228:
	buffer_load_dword v102, off, s[0:3], 0 offset:288
	buffer_load_dword v103, off, s[0:3], 0 offset:292
	s_waitcnt vmcnt(0)
	ds_write_b64 v1, v[102:103]
	buffer_store_dword v100, off, s[0:3], 0 offset:288
	buffer_store_dword v100, off, s[0:3], 0 offset:292
.LBB48_229:
	s_or_b64 exec, exec, s[4:5]
	s_waitcnt lgkmcnt(0)
	; wave barrier
	s_waitcnt lgkmcnt(0)
	buffer_load_dword v126, off, s[0:3], 0 offset:296
	buffer_load_dword v127, off, s[0:3], 0 offset:300
	;; [unrolled: 1-line block ×26, first 2 shown]
	ds_read2_b64 v[102:105], v100 offset0:87 offset1:88
	ds_read2_b64 v[106:109], v100 offset0:89 offset1:90
	;; [unrolled: 1-line block ×6, first 2 shown]
	v_cmp_lt_u32_e32 vcc, 35, v0
	s_waitcnt vmcnt(24) lgkmcnt(5)
	v_fma_f64 v[100:101], v[126:127], v[102:103], 0
	s_waitcnt vmcnt(22)
	v_fmac_f64_e32 v[100:101], v[128:129], v[104:105]
	s_waitcnt vmcnt(20) lgkmcnt(4)
	v_fmac_f64_e32 v[100:101], v[130:131], v[106:107]
	s_waitcnt vmcnt(18)
	v_fmac_f64_e32 v[100:101], v[132:133], v[108:109]
	s_waitcnt vmcnt(16) lgkmcnt(3)
	v_fmac_f64_e32 v[100:101], v[134:135], v[110:111]
	;; [unrolled: 4-line block ×3, first 2 shown]
	s_waitcnt vmcnt(5)
	v_fmac_f64_e32 v[100:101], v[146:147], v[116:117]
	s_waitcnt lgkmcnt(1)
	v_fmac_f64_e32 v[100:101], v[144:145], v[118:119]
	v_fmac_f64_e32 v[100:101], v[142:143], v[120:121]
	s_waitcnt vmcnt(4) lgkmcnt(0)
	v_fmac_f64_e32 v[100:101], v[140:141], v[122:123]
	s_waitcnt vmcnt(2)
	v_fmac_f64_e32 v[100:101], v[148:149], v[124:125]
	s_waitcnt vmcnt(0)
	v_add_f64 v[100:101], v[150:151], -v[100:101]
	buffer_store_dword v101, off, s[0:3], 0 offset:292
	buffer_store_dword v100, off, s[0:3], 0 offset:288
	s_and_saveexec_b64 s[4:5], vcc
	s_cbranch_execz .LBB48_231
; %bb.230:
	buffer_load_dword v100, off, s[0:3], 0 offset:280
	buffer_load_dword v101, off, s[0:3], 0 offset:284
	v_mov_b32_e32 v102, 0
	buffer_store_dword v102, off, s[0:3], 0 offset:280
	buffer_store_dword v102, off, s[0:3], 0 offset:284
	s_waitcnt vmcnt(2)
	ds_write_b64 v1, v[100:101]
.LBB48_231:
	s_or_b64 exec, exec, s[4:5]
	s_waitcnt lgkmcnt(0)
	; wave barrier
	s_waitcnt lgkmcnt(0)
	buffer_load_dword v126, off, s[0:3], 0 offset:288
	buffer_load_dword v127, off, s[0:3], 0 offset:292
	;; [unrolled: 1-line block ×28, first 2 shown]
	v_mov_b32_e32 v100, 0
	ds_read_b128 v[102:105], v100 offset:688
	ds_read_b128 v[106:109], v100 offset:704
	;; [unrolled: 1-line block ×6, first 2 shown]
	ds_read_b64 v[154:155], v100 offset:784
	v_cmp_lt_u32_e32 vcc, 34, v0
	s_waitcnt vmcnt(26) lgkmcnt(6)
	v_fma_f64 v[102:103], v[126:127], v[102:103], 0
	s_waitcnt vmcnt(24)
	v_fmac_f64_e32 v[102:103], v[128:129], v[104:105]
	s_waitcnt vmcnt(22) lgkmcnt(5)
	v_fmac_f64_e32 v[102:103], v[130:131], v[106:107]
	s_waitcnt vmcnt(20)
	v_fmac_f64_e32 v[102:103], v[132:133], v[108:109]
	s_waitcnt vmcnt(18) lgkmcnt(4)
	v_fmac_f64_e32 v[102:103], v[134:135], v[110:111]
	s_waitcnt vmcnt(16)
	v_fmac_f64_e32 v[102:103], v[136:137], v[112:113]
	s_waitcnt vmcnt(14) lgkmcnt(3)
	v_fmac_f64_e32 v[102:103], v[138:139], v[114:115]
	s_waitcnt vmcnt(6)
	v_fmac_f64_e32 v[102:103], v[146:147], v[116:117]
	s_waitcnt lgkmcnt(2)
	v_fmac_f64_e32 v[102:103], v[144:145], v[118:119]
	v_fmac_f64_e32 v[102:103], v[142:143], v[120:121]
	s_waitcnt lgkmcnt(1)
	v_fmac_f64_e32 v[102:103], v[140:141], v[122:123]
	s_waitcnt vmcnt(2)
	v_fmac_f64_e32 v[102:103], v[150:151], v[124:125]
	s_waitcnt lgkmcnt(0)
	v_fmac_f64_e32 v[102:103], v[148:149], v[154:155]
	s_waitcnt vmcnt(0)
	v_add_f64 v[102:103], v[152:153], -v[102:103]
	buffer_store_dword v103, off, s[0:3], 0 offset:284
	buffer_store_dword v102, off, s[0:3], 0 offset:280
	s_and_saveexec_b64 s[4:5], vcc
	s_cbranch_execz .LBB48_233
; %bb.232:
	buffer_load_dword v102, off, s[0:3], 0 offset:272
	buffer_load_dword v103, off, s[0:3], 0 offset:276
	s_waitcnt vmcnt(0)
	ds_write_b64 v1, v[102:103]
	buffer_store_dword v100, off, s[0:3], 0 offset:272
	buffer_store_dword v100, off, s[0:3], 0 offset:276
.LBB48_233:
	s_or_b64 exec, exec, s[4:5]
	s_waitcnt lgkmcnt(0)
	; wave barrier
	s_waitcnt lgkmcnt(0)
	buffer_load_dword v130, off, s[0:3], 0 offset:280
	buffer_load_dword v131, off, s[0:3], 0 offset:284
	;; [unrolled: 1-line block ×30, first 2 shown]
	ds_read2_b64 v[102:105], v100 offset0:85 offset1:86
	ds_read2_b64 v[106:109], v100 offset0:87 offset1:88
	;; [unrolled: 1-line block ×7, first 2 shown]
	v_cmp_lt_u32_e32 vcc, 33, v0
	s_waitcnt vmcnt(28) lgkmcnt(6)
	v_fma_f64 v[100:101], v[130:131], v[102:103], 0
	s_waitcnt vmcnt(26)
	v_fmac_f64_e32 v[100:101], v[132:133], v[104:105]
	s_waitcnt vmcnt(24) lgkmcnt(5)
	v_fmac_f64_e32 v[100:101], v[134:135], v[106:107]
	s_waitcnt vmcnt(22)
	v_fmac_f64_e32 v[100:101], v[136:137], v[108:109]
	s_waitcnt vmcnt(20) lgkmcnt(4)
	v_fmac_f64_e32 v[100:101], v[138:139], v[110:111]
	;; [unrolled: 4-line block ×3, first 2 shown]
	s_waitcnt vmcnt(8)
	v_fmac_f64_e32 v[100:101], v[150:151], v[116:117]
	s_waitcnt lgkmcnt(2)
	v_fmac_f64_e32 v[100:101], v[148:149], v[118:119]
	v_fmac_f64_e32 v[100:101], v[146:147], v[120:121]
	s_waitcnt lgkmcnt(1)
	v_fmac_f64_e32 v[100:101], v[144:145], v[122:123]
	s_waitcnt vmcnt(3)
	v_fmac_f64_e32 v[100:101], v[156:157], v[124:125]
	s_waitcnt lgkmcnt(0)
	v_fmac_f64_e32 v[100:101], v[154:155], v[126:127]
	s_waitcnt vmcnt(2)
	v_fmac_f64_e32 v[100:101], v[152:153], v[128:129]
	s_waitcnt vmcnt(0)
	v_add_f64 v[100:101], v[158:159], -v[100:101]
	buffer_store_dword v101, off, s[0:3], 0 offset:276
	buffer_store_dword v100, off, s[0:3], 0 offset:272
	s_and_saveexec_b64 s[4:5], vcc
	s_cbranch_execz .LBB48_235
; %bb.234:
	buffer_load_dword v100, off, s[0:3], 0 offset:264
	buffer_load_dword v101, off, s[0:3], 0 offset:268
	v_mov_b32_e32 v102, 0
	buffer_store_dword v102, off, s[0:3], 0 offset:264
	buffer_store_dword v102, off, s[0:3], 0 offset:268
	s_waitcnt vmcnt(2)
	ds_write_b64 v1, v[100:101]
.LBB48_235:
	s_or_b64 exec, exec, s[4:5]
	s_waitcnt lgkmcnt(0)
	; wave barrier
	s_waitcnt lgkmcnt(0)
	buffer_load_dword v130, off, s[0:3], 0 offset:272
	buffer_load_dword v131, off, s[0:3], 0 offset:276
	;; [unrolled: 1-line block ×32, first 2 shown]
	v_mov_b32_e32 v100, 0
	ds_read_b128 v[102:105], v100 offset:672
	ds_read_b128 v[106:109], v100 offset:688
	;; [unrolled: 1-line block ×7, first 2 shown]
	ds_read_b64 v[162:163], v100 offset:784
	v_cmp_lt_u32_e32 vcc, 32, v0
	s_waitcnt vmcnt(30) lgkmcnt(7)
	v_fma_f64 v[102:103], v[130:131], v[102:103], 0
	s_waitcnt vmcnt(28)
	v_fmac_f64_e32 v[102:103], v[132:133], v[104:105]
	s_waitcnt vmcnt(26) lgkmcnt(6)
	v_fmac_f64_e32 v[102:103], v[134:135], v[106:107]
	s_waitcnt vmcnt(24)
	v_fmac_f64_e32 v[102:103], v[136:137], v[108:109]
	s_waitcnt vmcnt(22) lgkmcnt(5)
	v_fmac_f64_e32 v[102:103], v[138:139], v[110:111]
	;; [unrolled: 4-line block ×3, first 2 shown]
	s_waitcnt vmcnt(10)
	v_fmac_f64_e32 v[102:103], v[150:151], v[116:117]
	s_waitcnt lgkmcnt(3)
	v_fmac_f64_e32 v[102:103], v[148:149], v[118:119]
	v_fmac_f64_e32 v[102:103], v[146:147], v[120:121]
	s_waitcnt lgkmcnt(2)
	v_fmac_f64_e32 v[102:103], v[144:145], v[122:123]
	s_waitcnt vmcnt(4)
	v_fmac_f64_e32 v[102:103], v[158:159], v[124:125]
	s_waitcnt lgkmcnt(1)
	v_fmac_f64_e32 v[102:103], v[156:157], v[126:127]
	s_waitcnt vmcnt(3)
	v_fmac_f64_e32 v[102:103], v[154:155], v[128:129]
	s_waitcnt vmcnt(2) lgkmcnt(0)
	v_fmac_f64_e32 v[102:103], v[152:153], v[162:163]
	s_waitcnt vmcnt(0)
	v_add_f64 v[102:103], v[160:161], -v[102:103]
	buffer_store_dword v103, off, s[0:3], 0 offset:268
	buffer_store_dword v102, off, s[0:3], 0 offset:264
	s_and_saveexec_b64 s[4:5], vcc
	s_cbranch_execz .LBB48_237
; %bb.236:
	buffer_load_dword v102, off, s[0:3], 0 offset:256
	buffer_load_dword v103, off, s[0:3], 0 offset:260
	s_waitcnt vmcnt(0)
	ds_write_b64 v1, v[102:103]
	buffer_store_dword v100, off, s[0:3], 0 offset:256
	buffer_store_dword v100, off, s[0:3], 0 offset:260
.LBB48_237:
	s_or_b64 exec, exec, s[4:5]
	s_waitcnt lgkmcnt(0)
	; wave barrier
	s_waitcnt lgkmcnt(0)
	buffer_load_dword v134, off, s[0:3], 0 offset:264
	buffer_load_dword v135, off, s[0:3], 0 offset:268
	;; [unrolled: 1-line block ×34, first 2 shown]
	ds_read2_b64 v[102:105], v100 offset0:83 offset1:84
	ds_read2_b64 v[106:109], v100 offset0:85 offset1:86
	;; [unrolled: 1-line block ×8, first 2 shown]
	v_cmp_lt_u32_e32 vcc, 31, v0
	s_waitcnt vmcnt(32) lgkmcnt(7)
	v_fma_f64 v[100:101], v[134:135], v[102:103], 0
	s_waitcnt vmcnt(30)
	v_fmac_f64_e32 v[100:101], v[136:137], v[104:105]
	s_waitcnt vmcnt(28) lgkmcnt(6)
	v_fmac_f64_e32 v[100:101], v[138:139], v[106:107]
	s_waitcnt vmcnt(26)
	v_fmac_f64_e32 v[100:101], v[140:141], v[108:109]
	s_waitcnt vmcnt(24) lgkmcnt(5)
	v_fmac_f64_e32 v[100:101], v[142:143], v[110:111]
	;; [unrolled: 4-line block ×3, first 2 shown]
	s_waitcnt vmcnt(12)
	v_fmac_f64_e32 v[100:101], v[154:155], v[116:117]
	s_waitcnt lgkmcnt(3)
	v_fmac_f64_e32 v[100:101], v[152:153], v[118:119]
	v_fmac_f64_e32 v[100:101], v[150:151], v[120:121]
	s_waitcnt lgkmcnt(2)
	v_fmac_f64_e32 v[100:101], v[148:149], v[122:123]
	s_waitcnt vmcnt(5)
	v_fmac_f64_e32 v[100:101], v[162:163], v[124:125]
	s_waitcnt lgkmcnt(1)
	v_fmac_f64_e32 v[100:101], v[160:161], v[126:127]
	v_fmac_f64_e32 v[100:101], v[158:159], v[128:129]
	s_waitcnt vmcnt(4) lgkmcnt(0)
	v_fmac_f64_e32 v[100:101], v[156:157], v[130:131]
	s_waitcnt vmcnt(2)
	v_fmac_f64_e32 v[100:101], v[164:165], v[132:133]
	s_waitcnt vmcnt(0)
	v_add_f64 v[100:101], v[166:167], -v[100:101]
	buffer_store_dword v101, off, s[0:3], 0 offset:260
	buffer_store_dword v100, off, s[0:3], 0 offset:256
	s_and_saveexec_b64 s[4:5], vcc
	s_cbranch_execz .LBB48_239
; %bb.238:
	buffer_load_dword v100, off, s[0:3], 0 offset:248
	buffer_load_dword v101, off, s[0:3], 0 offset:252
	v_mov_b32_e32 v102, 0
	buffer_store_dword v102, off, s[0:3], 0 offset:248
	buffer_store_dword v102, off, s[0:3], 0 offset:252
	s_waitcnt vmcnt(2)
	ds_write_b64 v1, v[100:101]
.LBB48_239:
	s_or_b64 exec, exec, s[4:5]
	s_waitcnt lgkmcnt(0)
	; wave barrier
	s_waitcnt lgkmcnt(0)
	buffer_load_dword v100, off, s[0:3], 0 offset:248
	buffer_load_dword v101, off, s[0:3], 0 offset:252
	;; [unrolled: 1-line block ×16, first 2 shown]
	v_mov_b32_e32 v104, 0
	ds_read_b128 v[106:109], v104 offset:656
	ds_read_b128 v[110:113], v104 offset:672
	;; [unrolled: 1-line block ×4, first 2 shown]
	v_cmp_lt_u32_e32 vcc, 30, v0
	s_waitcnt vmcnt(12) lgkmcnt(3)
	v_fma_f64 v[102:103], v[102:103], v[106:107], 0
	buffer_load_dword v107, off, s[0:3], 0 offset:316
	buffer_load_dword v106, off, s[0:3], 0 offset:312
	s_waitcnt vmcnt(12)
	v_fmac_f64_e32 v[102:103], v[122:123], v[108:109]
	s_waitcnt vmcnt(10) lgkmcnt(2)
	v_fmac_f64_e32 v[102:103], v[124:125], v[110:111]
	buffer_load_dword v111, off, s[0:3], 0 offset:324
	buffer_load_dword v110, off, s[0:3], 0 offset:320
	s_waitcnt vmcnt(10)
	v_fmac_f64_e32 v[102:103], v[126:127], v[112:113]
	s_waitcnt vmcnt(8) lgkmcnt(1)
	v_fmac_f64_e32 v[102:103], v[128:129], v[114:115]
	s_waitcnt vmcnt(6)
	v_fmac_f64_e32 v[102:103], v[130:131], v[116:117]
	s_waitcnt vmcnt(4) lgkmcnt(0)
	v_fmac_f64_e32 v[102:103], v[132:133], v[118:119]
	s_waitcnt vmcnt(2)
	v_fmac_f64_e32 v[102:103], v[106:107], v[120:121]
	ds_read_b128 v[106:109], v104 offset:720
	s_waitcnt vmcnt(0) lgkmcnt(0)
	v_fmac_f64_e32 v[102:103], v[110:111], v[106:107]
	buffer_load_dword v107, off, s[0:3], 0 offset:332
	buffer_load_dword v106, off, s[0:3], 0 offset:328
	buffer_load_dword v111, off, s[0:3], 0 offset:340
	buffer_load_dword v110, off, s[0:3], 0 offset:336
	s_waitcnt vmcnt(2)
	v_fmac_f64_e32 v[102:103], v[106:107], v[108:109]
	ds_read_b128 v[106:109], v104 offset:736
	s_waitcnt vmcnt(0) lgkmcnt(0)
	v_fmac_f64_e32 v[102:103], v[110:111], v[106:107]
	buffer_load_dword v107, off, s[0:3], 0 offset:348
	buffer_load_dword v106, off, s[0:3], 0 offset:344
	buffer_load_dword v111, off, s[0:3], 0 offset:356
	buffer_load_dword v110, off, s[0:3], 0 offset:352
	;; [unrolled: 9-line block ×3, first 2 shown]
	s_waitcnt vmcnt(2)
	v_fmac_f64_e32 v[102:103], v[106:107], v[108:109]
	ds_read_b128 v[106:109], v104 offset:768
	s_waitcnt vmcnt(0) lgkmcnt(0)
	v_fmac_f64_e32 v[102:103], v[110:111], v[106:107]
	buffer_load_dword v107, off, s[0:3], 0 offset:380
	buffer_load_dword v106, off, s[0:3], 0 offset:376
	s_waitcnt vmcnt(0)
	v_fmac_f64_e32 v[102:103], v[106:107], v[108:109]
	buffer_load_dword v107, off, s[0:3], 0 offset:388
	buffer_load_dword v106, off, s[0:3], 0 offset:384
	ds_read_b64 v[108:109], v104 offset:784
	s_waitcnt vmcnt(0) lgkmcnt(0)
	v_fmac_f64_e32 v[102:103], v[106:107], v[108:109]
	v_add_f64 v[100:101], v[100:101], -v[102:103]
	buffer_store_dword v101, off, s[0:3], 0 offset:252
	buffer_store_dword v100, off, s[0:3], 0 offset:248
	s_and_saveexec_b64 s[4:5], vcc
	s_cbranch_execz .LBB48_241
; %bb.240:
	buffer_load_dword v100, off, s[0:3], 0 offset:240
	buffer_load_dword v101, off, s[0:3], 0 offset:244
	s_waitcnt vmcnt(0)
	ds_write_b64 v1, v[100:101]
	buffer_store_dword v104, off, s[0:3], 0 offset:240
	buffer_store_dword v104, off, s[0:3], 0 offset:244
.LBB48_241:
	s_or_b64 exec, exec, s[4:5]
	s_waitcnt lgkmcnt(0)
	; wave barrier
	s_waitcnt lgkmcnt(0)
	buffer_load_dword v100, off, s[0:3], 0 offset:240
	buffer_load_dword v101, off, s[0:3], 0 offset:244
	;; [unrolled: 1-line block ×16, first 2 shown]
	ds_read2_b64 v[106:109], v104 offset0:81 offset1:82
	v_cmp_lt_u32_e32 vcc, 29, v0
	s_waitcnt vmcnt(12) lgkmcnt(0)
	v_fma_f64 v[102:103], v[102:103], v[106:107], 0
	s_waitcnt vmcnt(10)
	v_fmac_f64_e32 v[102:103], v[110:111], v[108:109]
	ds_read2_b64 v[106:109], v104 offset0:83 offset1:84
	s_waitcnt vmcnt(8) lgkmcnt(0)
	v_fmac_f64_e32 v[102:103], v[112:113], v[106:107]
	s_waitcnt vmcnt(6)
	v_fmac_f64_e32 v[102:103], v[114:115], v[108:109]
	ds_read2_b64 v[106:109], v104 offset0:85 offset1:86
	s_waitcnt vmcnt(4) lgkmcnt(0)
	v_fmac_f64_e32 v[102:103], v[116:117], v[106:107]
	;; [unrolled: 5-line block ×3, first 2 shown]
	buffer_load_dword v107, off, s[0:3], 0 offset:308
	buffer_load_dword v106, off, s[0:3], 0 offset:304
	buffer_load_dword v111, off, s[0:3], 0 offset:316
	buffer_load_dword v110, off, s[0:3], 0 offset:312
	s_waitcnt vmcnt(2)
	v_fmac_f64_e32 v[102:103], v[106:107], v[108:109]
	ds_read2_b64 v[106:109], v104 offset0:89 offset1:90
	s_waitcnt vmcnt(0) lgkmcnt(0)
	v_fmac_f64_e32 v[102:103], v[110:111], v[106:107]
	buffer_load_dword v107, off, s[0:3], 0 offset:324
	buffer_load_dword v106, off, s[0:3], 0 offset:320
	buffer_load_dword v111, off, s[0:3], 0 offset:332
	buffer_load_dword v110, off, s[0:3], 0 offset:328
	s_waitcnt vmcnt(2)
	v_fmac_f64_e32 v[102:103], v[106:107], v[108:109]
	ds_read2_b64 v[106:109], v104 offset0:91 offset1:92
	s_waitcnt vmcnt(0) lgkmcnt(0)
	v_fmac_f64_e32 v[102:103], v[110:111], v[106:107]
	;; [unrolled: 9-line block ×4, first 2 shown]
	buffer_load_dword v107, off, s[0:3], 0 offset:372
	buffer_load_dword v106, off, s[0:3], 0 offset:368
	s_waitcnt vmcnt(0)
	v_fmac_f64_e32 v[102:103], v[106:107], v[108:109]
	buffer_load_dword v109, off, s[0:3], 0 offset:380
	buffer_load_dword v108, off, s[0:3], 0 offset:376
	ds_read2_b64 v[104:107], v104 offset0:97 offset1:98
	s_waitcnt vmcnt(0) lgkmcnt(0)
	v_fmac_f64_e32 v[102:103], v[108:109], v[104:105]
	buffer_load_dword v105, off, s[0:3], 0 offset:388
	buffer_load_dword v104, off, s[0:3], 0 offset:384
	s_waitcnt vmcnt(0)
	v_fmac_f64_e32 v[102:103], v[104:105], v[106:107]
	v_add_f64 v[100:101], v[100:101], -v[102:103]
	buffer_store_dword v101, off, s[0:3], 0 offset:244
	buffer_store_dword v100, off, s[0:3], 0 offset:240
	s_and_saveexec_b64 s[4:5], vcc
	s_cbranch_execz .LBB48_243
; %bb.242:
	buffer_load_dword v100, off, s[0:3], 0 offset:232
	buffer_load_dword v101, off, s[0:3], 0 offset:236
	v_mov_b32_e32 v102, 0
	buffer_store_dword v102, off, s[0:3], 0 offset:232
	buffer_store_dword v102, off, s[0:3], 0 offset:236
	s_waitcnt vmcnt(2)
	ds_write_b64 v1, v[100:101]
.LBB48_243:
	s_or_b64 exec, exec, s[4:5]
	s_waitcnt lgkmcnt(0)
	; wave barrier
	s_waitcnt lgkmcnt(0)
	buffer_load_dword v100, off, s[0:3], 0 offset:232
	buffer_load_dword v101, off, s[0:3], 0 offset:236
	;; [unrolled: 1-line block ×16, first 2 shown]
	v_mov_b32_e32 v104, 0
	ds_read_b128 v[106:109], v104 offset:640
	ds_read_b128 v[110:113], v104 offset:656
	;; [unrolled: 1-line block ×4, first 2 shown]
	v_cmp_lt_u32_e32 vcc, 28, v0
	s_waitcnt vmcnt(12) lgkmcnt(3)
	v_fma_f64 v[102:103], v[102:103], v[106:107], 0
	buffer_load_dword v107, off, s[0:3], 0 offset:300
	buffer_load_dword v106, off, s[0:3], 0 offset:296
	s_waitcnt vmcnt(12)
	v_fmac_f64_e32 v[102:103], v[122:123], v[108:109]
	s_waitcnt vmcnt(10) lgkmcnt(2)
	v_fmac_f64_e32 v[102:103], v[124:125], v[110:111]
	buffer_load_dword v111, off, s[0:3], 0 offset:308
	buffer_load_dword v110, off, s[0:3], 0 offset:304
	s_waitcnt vmcnt(10)
	v_fmac_f64_e32 v[102:103], v[126:127], v[112:113]
	s_waitcnt vmcnt(8) lgkmcnt(1)
	v_fmac_f64_e32 v[102:103], v[128:129], v[114:115]
	s_waitcnt vmcnt(6)
	v_fmac_f64_e32 v[102:103], v[130:131], v[116:117]
	s_waitcnt vmcnt(4) lgkmcnt(0)
	v_fmac_f64_e32 v[102:103], v[132:133], v[118:119]
	s_waitcnt vmcnt(2)
	v_fmac_f64_e32 v[102:103], v[106:107], v[120:121]
	ds_read_b128 v[106:109], v104 offset:704
	s_waitcnt vmcnt(0) lgkmcnt(0)
	v_fmac_f64_e32 v[102:103], v[110:111], v[106:107]
	buffer_load_dword v107, off, s[0:3], 0 offset:316
	buffer_load_dword v106, off, s[0:3], 0 offset:312
	buffer_load_dword v111, off, s[0:3], 0 offset:324
	buffer_load_dword v110, off, s[0:3], 0 offset:320
	s_waitcnt vmcnt(2)
	v_fmac_f64_e32 v[102:103], v[106:107], v[108:109]
	ds_read_b128 v[106:109], v104 offset:720
	s_waitcnt vmcnt(0) lgkmcnt(0)
	v_fmac_f64_e32 v[102:103], v[110:111], v[106:107]
	buffer_load_dword v107, off, s[0:3], 0 offset:332
	buffer_load_dword v106, off, s[0:3], 0 offset:328
	buffer_load_dword v111, off, s[0:3], 0 offset:340
	buffer_load_dword v110, off, s[0:3], 0 offset:336
	;; [unrolled: 9-line block ×4, first 2 shown]
	s_waitcnt vmcnt(2)
	v_fmac_f64_e32 v[102:103], v[106:107], v[108:109]
	ds_read_b128 v[106:109], v104 offset:768
	s_waitcnt vmcnt(0) lgkmcnt(0)
	v_fmac_f64_e32 v[102:103], v[110:111], v[106:107]
	buffer_load_dword v107, off, s[0:3], 0 offset:380
	buffer_load_dword v106, off, s[0:3], 0 offset:376
	s_waitcnt vmcnt(0)
	v_fmac_f64_e32 v[102:103], v[106:107], v[108:109]
	buffer_load_dword v107, off, s[0:3], 0 offset:388
	buffer_load_dword v106, off, s[0:3], 0 offset:384
	ds_read_b64 v[108:109], v104 offset:784
	s_waitcnt vmcnt(0) lgkmcnt(0)
	v_fmac_f64_e32 v[102:103], v[106:107], v[108:109]
	v_add_f64 v[100:101], v[100:101], -v[102:103]
	buffer_store_dword v101, off, s[0:3], 0 offset:236
	buffer_store_dword v100, off, s[0:3], 0 offset:232
	s_and_saveexec_b64 s[4:5], vcc
	s_cbranch_execz .LBB48_245
; %bb.244:
	buffer_load_dword v100, off, s[0:3], 0 offset:224
	buffer_load_dword v101, off, s[0:3], 0 offset:228
	s_waitcnt vmcnt(0)
	ds_write_b64 v1, v[100:101]
	buffer_store_dword v104, off, s[0:3], 0 offset:224
	buffer_store_dword v104, off, s[0:3], 0 offset:228
.LBB48_245:
	s_or_b64 exec, exec, s[4:5]
	s_waitcnt lgkmcnt(0)
	; wave barrier
	s_waitcnt lgkmcnt(0)
	buffer_load_dword v100, off, s[0:3], 0 offset:224
	buffer_load_dword v101, off, s[0:3], 0 offset:228
	;; [unrolled: 1-line block ×16, first 2 shown]
	ds_read2_b64 v[106:109], v104 offset0:79 offset1:80
	v_cmp_lt_u32_e32 vcc, 27, v0
	s_waitcnt vmcnt(12) lgkmcnt(0)
	v_fma_f64 v[102:103], v[102:103], v[106:107], 0
	s_waitcnt vmcnt(10)
	v_fmac_f64_e32 v[102:103], v[110:111], v[108:109]
	ds_read2_b64 v[106:109], v104 offset0:81 offset1:82
	s_waitcnt vmcnt(8) lgkmcnt(0)
	v_fmac_f64_e32 v[102:103], v[112:113], v[106:107]
	s_waitcnt vmcnt(6)
	v_fmac_f64_e32 v[102:103], v[114:115], v[108:109]
	ds_read2_b64 v[106:109], v104 offset0:83 offset1:84
	s_waitcnt vmcnt(4) lgkmcnt(0)
	v_fmac_f64_e32 v[102:103], v[116:117], v[106:107]
	;; [unrolled: 5-line block ×3, first 2 shown]
	buffer_load_dword v107, off, s[0:3], 0 offset:292
	buffer_load_dword v106, off, s[0:3], 0 offset:288
	buffer_load_dword v111, off, s[0:3], 0 offset:300
	buffer_load_dword v110, off, s[0:3], 0 offset:296
	s_waitcnt vmcnt(2)
	v_fmac_f64_e32 v[102:103], v[106:107], v[108:109]
	ds_read2_b64 v[106:109], v104 offset0:87 offset1:88
	s_waitcnt vmcnt(0) lgkmcnt(0)
	v_fmac_f64_e32 v[102:103], v[110:111], v[106:107]
	buffer_load_dword v107, off, s[0:3], 0 offset:308
	buffer_load_dword v106, off, s[0:3], 0 offset:304
	buffer_load_dword v111, off, s[0:3], 0 offset:316
	buffer_load_dword v110, off, s[0:3], 0 offset:312
	s_waitcnt vmcnt(2)
	v_fmac_f64_e32 v[102:103], v[106:107], v[108:109]
	ds_read2_b64 v[106:109], v104 offset0:89 offset1:90
	s_waitcnt vmcnt(0) lgkmcnt(0)
	v_fmac_f64_e32 v[102:103], v[110:111], v[106:107]
	;; [unrolled: 9-line block ×5, first 2 shown]
	buffer_load_dword v107, off, s[0:3], 0 offset:372
	buffer_load_dword v106, off, s[0:3], 0 offset:368
	s_waitcnt vmcnt(0)
	v_fmac_f64_e32 v[102:103], v[106:107], v[108:109]
	buffer_load_dword v109, off, s[0:3], 0 offset:380
	buffer_load_dword v108, off, s[0:3], 0 offset:376
	ds_read2_b64 v[104:107], v104 offset0:97 offset1:98
	s_waitcnt vmcnt(0) lgkmcnt(0)
	v_fmac_f64_e32 v[102:103], v[108:109], v[104:105]
	buffer_load_dword v105, off, s[0:3], 0 offset:388
	buffer_load_dword v104, off, s[0:3], 0 offset:384
	s_waitcnt vmcnt(0)
	v_fmac_f64_e32 v[102:103], v[104:105], v[106:107]
	v_add_f64 v[100:101], v[100:101], -v[102:103]
	buffer_store_dword v101, off, s[0:3], 0 offset:228
	buffer_store_dword v100, off, s[0:3], 0 offset:224
	s_and_saveexec_b64 s[4:5], vcc
	s_cbranch_execz .LBB48_247
; %bb.246:
	buffer_load_dword v100, off, s[0:3], 0 offset:216
	buffer_load_dword v101, off, s[0:3], 0 offset:220
	v_mov_b32_e32 v102, 0
	buffer_store_dword v102, off, s[0:3], 0 offset:216
	buffer_store_dword v102, off, s[0:3], 0 offset:220
	s_waitcnt vmcnt(2)
	ds_write_b64 v1, v[100:101]
.LBB48_247:
	s_or_b64 exec, exec, s[4:5]
	s_waitcnt lgkmcnt(0)
	; wave barrier
	s_waitcnt lgkmcnt(0)
	buffer_load_dword v100, off, s[0:3], 0 offset:216
	buffer_load_dword v101, off, s[0:3], 0 offset:220
	;; [unrolled: 1-line block ×16, first 2 shown]
	v_mov_b32_e32 v104, 0
	ds_read_b128 v[106:109], v104 offset:624
	ds_read_b128 v[110:113], v104 offset:640
	ds_read_b128 v[114:117], v104 offset:656
	ds_read_b128 v[118:121], v104 offset:672
	v_cmp_lt_u32_e32 vcc, 26, v0
	s_waitcnt vmcnt(12) lgkmcnt(3)
	v_fma_f64 v[102:103], v[102:103], v[106:107], 0
	buffer_load_dword v107, off, s[0:3], 0 offset:284
	buffer_load_dword v106, off, s[0:3], 0 offset:280
	s_waitcnt vmcnt(12)
	v_fmac_f64_e32 v[102:103], v[122:123], v[108:109]
	s_waitcnt vmcnt(10) lgkmcnt(2)
	v_fmac_f64_e32 v[102:103], v[124:125], v[110:111]
	buffer_load_dword v111, off, s[0:3], 0 offset:292
	buffer_load_dword v110, off, s[0:3], 0 offset:288
	s_waitcnt vmcnt(10)
	v_fmac_f64_e32 v[102:103], v[126:127], v[112:113]
	s_waitcnt vmcnt(8) lgkmcnt(1)
	v_fmac_f64_e32 v[102:103], v[128:129], v[114:115]
	s_waitcnt vmcnt(6)
	v_fmac_f64_e32 v[102:103], v[130:131], v[116:117]
	s_waitcnt vmcnt(4) lgkmcnt(0)
	v_fmac_f64_e32 v[102:103], v[132:133], v[118:119]
	s_waitcnt vmcnt(2)
	v_fmac_f64_e32 v[102:103], v[106:107], v[120:121]
	ds_read_b128 v[106:109], v104 offset:688
	s_waitcnt vmcnt(0) lgkmcnt(0)
	v_fmac_f64_e32 v[102:103], v[110:111], v[106:107]
	buffer_load_dword v107, off, s[0:3], 0 offset:300
	buffer_load_dword v106, off, s[0:3], 0 offset:296
	buffer_load_dword v111, off, s[0:3], 0 offset:308
	buffer_load_dword v110, off, s[0:3], 0 offset:304
	s_waitcnt vmcnt(2)
	v_fmac_f64_e32 v[102:103], v[106:107], v[108:109]
	ds_read_b128 v[106:109], v104 offset:704
	s_waitcnt vmcnt(0) lgkmcnt(0)
	v_fmac_f64_e32 v[102:103], v[110:111], v[106:107]
	buffer_load_dword v107, off, s[0:3], 0 offset:316
	buffer_load_dword v106, off, s[0:3], 0 offset:312
	buffer_load_dword v111, off, s[0:3], 0 offset:324
	buffer_load_dword v110, off, s[0:3], 0 offset:320
	s_waitcnt vmcnt(2)
	v_fmac_f64_e32 v[102:103], v[106:107], v[108:109]
	ds_read_b128 v[106:109], v104 offset:720
	s_waitcnt vmcnt(0) lgkmcnt(0)
	v_fmac_f64_e32 v[102:103], v[110:111], v[106:107]
	buffer_load_dword v107, off, s[0:3], 0 offset:332
	buffer_load_dword v106, off, s[0:3], 0 offset:328
	buffer_load_dword v111, off, s[0:3], 0 offset:340
	buffer_load_dword v110, off, s[0:3], 0 offset:336
	s_waitcnt vmcnt(2)
	v_fmac_f64_e32 v[102:103], v[106:107], v[108:109]
	ds_read_b128 v[106:109], v104 offset:736
	s_waitcnt vmcnt(0) lgkmcnt(0)
	v_fmac_f64_e32 v[102:103], v[110:111], v[106:107]
	buffer_load_dword v107, off, s[0:3], 0 offset:348
	buffer_load_dword v106, off, s[0:3], 0 offset:344
	buffer_load_dword v111, off, s[0:3], 0 offset:356
	buffer_load_dword v110, off, s[0:3], 0 offset:352
	s_waitcnt vmcnt(2)
	v_fmac_f64_e32 v[102:103], v[106:107], v[108:109]
	ds_read_b128 v[106:109], v104 offset:752
	s_waitcnt vmcnt(0) lgkmcnt(0)
	v_fmac_f64_e32 v[102:103], v[110:111], v[106:107]
	buffer_load_dword v107, off, s[0:3], 0 offset:364
	buffer_load_dword v106, off, s[0:3], 0 offset:360
	buffer_load_dword v111, off, s[0:3], 0 offset:372
	buffer_load_dword v110, off, s[0:3], 0 offset:368
	s_waitcnt vmcnt(2)
	v_fmac_f64_e32 v[102:103], v[106:107], v[108:109]
	ds_read_b128 v[106:109], v104 offset:768
	s_waitcnt vmcnt(0) lgkmcnt(0)
	v_fmac_f64_e32 v[102:103], v[110:111], v[106:107]
	buffer_load_dword v107, off, s[0:3], 0 offset:380
	buffer_load_dword v106, off, s[0:3], 0 offset:376
	s_waitcnt vmcnt(0)
	v_fmac_f64_e32 v[102:103], v[106:107], v[108:109]
	buffer_load_dword v107, off, s[0:3], 0 offset:388
	buffer_load_dword v106, off, s[0:3], 0 offset:384
	ds_read_b64 v[108:109], v104 offset:784
	s_waitcnt vmcnt(0) lgkmcnt(0)
	v_fmac_f64_e32 v[102:103], v[106:107], v[108:109]
	v_add_f64 v[100:101], v[100:101], -v[102:103]
	buffer_store_dword v101, off, s[0:3], 0 offset:220
	buffer_store_dword v100, off, s[0:3], 0 offset:216
	s_and_saveexec_b64 s[4:5], vcc
	s_cbranch_execz .LBB48_249
; %bb.248:
	buffer_load_dword v100, off, s[0:3], 0 offset:208
	buffer_load_dword v101, off, s[0:3], 0 offset:212
	s_waitcnt vmcnt(0)
	ds_write_b64 v1, v[100:101]
	buffer_store_dword v104, off, s[0:3], 0 offset:208
	buffer_store_dword v104, off, s[0:3], 0 offset:212
.LBB48_249:
	s_or_b64 exec, exec, s[4:5]
	s_waitcnt lgkmcnt(0)
	; wave barrier
	s_waitcnt lgkmcnt(0)
	buffer_load_dword v100, off, s[0:3], 0 offset:208
	buffer_load_dword v101, off, s[0:3], 0 offset:212
	;; [unrolled: 1-line block ×16, first 2 shown]
	ds_read2_b64 v[106:109], v104 offset0:77 offset1:78
	v_cmp_lt_u32_e32 vcc, 25, v0
	s_waitcnt vmcnt(12) lgkmcnt(0)
	v_fma_f64 v[102:103], v[102:103], v[106:107], 0
	s_waitcnt vmcnt(10)
	v_fmac_f64_e32 v[102:103], v[110:111], v[108:109]
	ds_read2_b64 v[106:109], v104 offset0:79 offset1:80
	s_waitcnt vmcnt(8) lgkmcnt(0)
	v_fmac_f64_e32 v[102:103], v[112:113], v[106:107]
	s_waitcnt vmcnt(6)
	v_fmac_f64_e32 v[102:103], v[114:115], v[108:109]
	ds_read2_b64 v[106:109], v104 offset0:81 offset1:82
	s_waitcnt vmcnt(4) lgkmcnt(0)
	v_fmac_f64_e32 v[102:103], v[116:117], v[106:107]
	;; [unrolled: 5-line block ×3, first 2 shown]
	buffer_load_dword v107, off, s[0:3], 0 offset:276
	buffer_load_dword v106, off, s[0:3], 0 offset:272
	buffer_load_dword v111, off, s[0:3], 0 offset:284
	buffer_load_dword v110, off, s[0:3], 0 offset:280
	s_waitcnt vmcnt(2)
	v_fmac_f64_e32 v[102:103], v[106:107], v[108:109]
	ds_read2_b64 v[106:109], v104 offset0:85 offset1:86
	s_waitcnt vmcnt(0) lgkmcnt(0)
	v_fmac_f64_e32 v[102:103], v[110:111], v[106:107]
	buffer_load_dword v107, off, s[0:3], 0 offset:292
	buffer_load_dword v106, off, s[0:3], 0 offset:288
	buffer_load_dword v111, off, s[0:3], 0 offset:300
	buffer_load_dword v110, off, s[0:3], 0 offset:296
	s_waitcnt vmcnt(2)
	v_fmac_f64_e32 v[102:103], v[106:107], v[108:109]
	ds_read2_b64 v[106:109], v104 offset0:87 offset1:88
	s_waitcnt vmcnt(0) lgkmcnt(0)
	v_fmac_f64_e32 v[102:103], v[110:111], v[106:107]
	;; [unrolled: 9-line block ×6, first 2 shown]
	buffer_load_dword v107, off, s[0:3], 0 offset:372
	buffer_load_dword v106, off, s[0:3], 0 offset:368
	s_waitcnt vmcnt(0)
	v_fmac_f64_e32 v[102:103], v[106:107], v[108:109]
	buffer_load_dword v109, off, s[0:3], 0 offset:380
	buffer_load_dword v108, off, s[0:3], 0 offset:376
	ds_read2_b64 v[104:107], v104 offset0:97 offset1:98
	s_waitcnt vmcnt(0) lgkmcnt(0)
	v_fmac_f64_e32 v[102:103], v[108:109], v[104:105]
	buffer_load_dword v105, off, s[0:3], 0 offset:388
	buffer_load_dword v104, off, s[0:3], 0 offset:384
	s_waitcnt vmcnt(0)
	v_fmac_f64_e32 v[102:103], v[104:105], v[106:107]
	v_add_f64 v[100:101], v[100:101], -v[102:103]
	buffer_store_dword v101, off, s[0:3], 0 offset:212
	buffer_store_dword v100, off, s[0:3], 0 offset:208
	s_and_saveexec_b64 s[4:5], vcc
	s_cbranch_execz .LBB48_251
; %bb.250:
	buffer_load_dword v100, off, s[0:3], 0 offset:200
	buffer_load_dword v101, off, s[0:3], 0 offset:204
	v_mov_b32_e32 v102, 0
	buffer_store_dword v102, off, s[0:3], 0 offset:200
	buffer_store_dword v102, off, s[0:3], 0 offset:204
	s_waitcnt vmcnt(2)
	ds_write_b64 v1, v[100:101]
.LBB48_251:
	s_or_b64 exec, exec, s[4:5]
	s_waitcnt lgkmcnt(0)
	; wave barrier
	s_waitcnt lgkmcnt(0)
	buffer_load_dword v100, off, s[0:3], 0 offset:200
	buffer_load_dword v101, off, s[0:3], 0 offset:204
	;; [unrolled: 1-line block ×16, first 2 shown]
	v_mov_b32_e32 v104, 0
	ds_read_b128 v[106:109], v104 offset:608
	ds_read_b128 v[110:113], v104 offset:624
	;; [unrolled: 1-line block ×4, first 2 shown]
	v_cmp_lt_u32_e32 vcc, 24, v0
	s_waitcnt vmcnt(12) lgkmcnt(3)
	v_fma_f64 v[102:103], v[102:103], v[106:107], 0
	buffer_load_dword v107, off, s[0:3], 0 offset:268
	buffer_load_dword v106, off, s[0:3], 0 offset:264
	s_waitcnt vmcnt(12)
	v_fmac_f64_e32 v[102:103], v[122:123], v[108:109]
	s_waitcnt vmcnt(10) lgkmcnt(2)
	v_fmac_f64_e32 v[102:103], v[124:125], v[110:111]
	buffer_load_dword v111, off, s[0:3], 0 offset:276
	buffer_load_dword v110, off, s[0:3], 0 offset:272
	s_waitcnt vmcnt(10)
	v_fmac_f64_e32 v[102:103], v[126:127], v[112:113]
	s_waitcnt vmcnt(8) lgkmcnt(1)
	v_fmac_f64_e32 v[102:103], v[128:129], v[114:115]
	s_waitcnt vmcnt(6)
	v_fmac_f64_e32 v[102:103], v[130:131], v[116:117]
	s_waitcnt vmcnt(4) lgkmcnt(0)
	v_fmac_f64_e32 v[102:103], v[132:133], v[118:119]
	s_waitcnt vmcnt(2)
	v_fmac_f64_e32 v[102:103], v[106:107], v[120:121]
	ds_read_b128 v[106:109], v104 offset:672
	s_waitcnt vmcnt(0) lgkmcnt(0)
	v_fmac_f64_e32 v[102:103], v[110:111], v[106:107]
	buffer_load_dword v107, off, s[0:3], 0 offset:284
	buffer_load_dword v106, off, s[0:3], 0 offset:280
	buffer_load_dword v111, off, s[0:3], 0 offset:292
	buffer_load_dword v110, off, s[0:3], 0 offset:288
	s_waitcnt vmcnt(2)
	v_fmac_f64_e32 v[102:103], v[106:107], v[108:109]
	ds_read_b128 v[106:109], v104 offset:688
	s_waitcnt vmcnt(0) lgkmcnt(0)
	v_fmac_f64_e32 v[102:103], v[110:111], v[106:107]
	buffer_load_dword v107, off, s[0:3], 0 offset:300
	buffer_load_dword v106, off, s[0:3], 0 offset:296
	buffer_load_dword v111, off, s[0:3], 0 offset:308
	buffer_load_dword v110, off, s[0:3], 0 offset:304
	;; [unrolled: 9-line block ×6, first 2 shown]
	s_waitcnt vmcnt(2)
	v_fmac_f64_e32 v[102:103], v[106:107], v[108:109]
	ds_read_b128 v[106:109], v104 offset:768
	s_waitcnt vmcnt(0) lgkmcnt(0)
	v_fmac_f64_e32 v[102:103], v[110:111], v[106:107]
	buffer_load_dword v107, off, s[0:3], 0 offset:380
	buffer_load_dword v106, off, s[0:3], 0 offset:376
	s_waitcnt vmcnt(0)
	v_fmac_f64_e32 v[102:103], v[106:107], v[108:109]
	buffer_load_dword v107, off, s[0:3], 0 offset:388
	buffer_load_dword v106, off, s[0:3], 0 offset:384
	ds_read_b64 v[108:109], v104 offset:784
	s_waitcnt vmcnt(0) lgkmcnt(0)
	v_fmac_f64_e32 v[102:103], v[106:107], v[108:109]
	v_add_f64 v[100:101], v[100:101], -v[102:103]
	buffer_store_dword v101, off, s[0:3], 0 offset:204
	buffer_store_dword v100, off, s[0:3], 0 offset:200
	s_and_saveexec_b64 s[4:5], vcc
	s_cbranch_execz .LBB48_253
; %bb.252:
	buffer_load_dword v100, off, s[0:3], 0 offset:192
	buffer_load_dword v101, off, s[0:3], 0 offset:196
	s_waitcnt vmcnt(0)
	ds_write_b64 v1, v[100:101]
	buffer_store_dword v104, off, s[0:3], 0 offset:192
	buffer_store_dword v104, off, s[0:3], 0 offset:196
.LBB48_253:
	s_or_b64 exec, exec, s[4:5]
	s_waitcnt lgkmcnt(0)
	; wave barrier
	s_waitcnt lgkmcnt(0)
	buffer_load_dword v100, off, s[0:3], 0 offset:192
	buffer_load_dword v101, off, s[0:3], 0 offset:196
	;; [unrolled: 1-line block ×16, first 2 shown]
	ds_read2_b64 v[106:109], v104 offset0:75 offset1:76
	v_cmp_lt_u32_e32 vcc, 23, v0
	s_waitcnt vmcnt(12) lgkmcnt(0)
	v_fma_f64 v[102:103], v[102:103], v[106:107], 0
	s_waitcnt vmcnt(10)
	v_fmac_f64_e32 v[102:103], v[110:111], v[108:109]
	ds_read2_b64 v[106:109], v104 offset0:77 offset1:78
	s_waitcnt vmcnt(8) lgkmcnt(0)
	v_fmac_f64_e32 v[102:103], v[112:113], v[106:107]
	s_waitcnt vmcnt(6)
	v_fmac_f64_e32 v[102:103], v[114:115], v[108:109]
	ds_read2_b64 v[106:109], v104 offset0:79 offset1:80
	s_waitcnt vmcnt(4) lgkmcnt(0)
	v_fmac_f64_e32 v[102:103], v[116:117], v[106:107]
	;; [unrolled: 5-line block ×3, first 2 shown]
	buffer_load_dword v107, off, s[0:3], 0 offset:260
	buffer_load_dword v106, off, s[0:3], 0 offset:256
	buffer_load_dword v111, off, s[0:3], 0 offset:268
	buffer_load_dword v110, off, s[0:3], 0 offset:264
	s_waitcnt vmcnt(2)
	v_fmac_f64_e32 v[102:103], v[106:107], v[108:109]
	ds_read2_b64 v[106:109], v104 offset0:83 offset1:84
	s_waitcnt vmcnt(0) lgkmcnt(0)
	v_fmac_f64_e32 v[102:103], v[110:111], v[106:107]
	buffer_load_dword v107, off, s[0:3], 0 offset:276
	buffer_load_dword v106, off, s[0:3], 0 offset:272
	buffer_load_dword v111, off, s[0:3], 0 offset:284
	buffer_load_dword v110, off, s[0:3], 0 offset:280
	s_waitcnt vmcnt(2)
	v_fmac_f64_e32 v[102:103], v[106:107], v[108:109]
	ds_read2_b64 v[106:109], v104 offset0:85 offset1:86
	s_waitcnt vmcnt(0) lgkmcnt(0)
	v_fmac_f64_e32 v[102:103], v[110:111], v[106:107]
	;; [unrolled: 9-line block ×7, first 2 shown]
	buffer_load_dword v107, off, s[0:3], 0 offset:372
	buffer_load_dword v106, off, s[0:3], 0 offset:368
	s_waitcnt vmcnt(0)
	v_fmac_f64_e32 v[102:103], v[106:107], v[108:109]
	buffer_load_dword v109, off, s[0:3], 0 offset:380
	buffer_load_dword v108, off, s[0:3], 0 offset:376
	ds_read2_b64 v[104:107], v104 offset0:97 offset1:98
	s_waitcnt vmcnt(0) lgkmcnt(0)
	v_fmac_f64_e32 v[102:103], v[108:109], v[104:105]
	buffer_load_dword v105, off, s[0:3], 0 offset:388
	buffer_load_dword v104, off, s[0:3], 0 offset:384
	s_waitcnt vmcnt(0)
	v_fmac_f64_e32 v[102:103], v[104:105], v[106:107]
	v_add_f64 v[100:101], v[100:101], -v[102:103]
	buffer_store_dword v101, off, s[0:3], 0 offset:196
	buffer_store_dword v100, off, s[0:3], 0 offset:192
	s_and_saveexec_b64 s[4:5], vcc
	s_cbranch_execz .LBB48_255
; %bb.254:
	buffer_load_dword v100, off, s[0:3], 0 offset:184
	buffer_load_dword v101, off, s[0:3], 0 offset:188
	v_mov_b32_e32 v102, 0
	buffer_store_dword v102, off, s[0:3], 0 offset:184
	buffer_store_dword v102, off, s[0:3], 0 offset:188
	s_waitcnt vmcnt(2)
	ds_write_b64 v1, v[100:101]
.LBB48_255:
	s_or_b64 exec, exec, s[4:5]
	s_waitcnt lgkmcnt(0)
	; wave barrier
	s_waitcnt lgkmcnt(0)
	buffer_load_dword v100, off, s[0:3], 0 offset:184
	buffer_load_dword v101, off, s[0:3], 0 offset:188
	;; [unrolled: 1-line block ×16, first 2 shown]
	v_mov_b32_e32 v104, 0
	ds_read_b128 v[106:109], v104 offset:592
	ds_read_b128 v[110:113], v104 offset:608
	;; [unrolled: 1-line block ×4, first 2 shown]
	v_cmp_lt_u32_e32 vcc, 22, v0
	s_waitcnt vmcnt(12) lgkmcnt(3)
	v_fma_f64 v[102:103], v[102:103], v[106:107], 0
	buffer_load_dword v107, off, s[0:3], 0 offset:252
	buffer_load_dword v106, off, s[0:3], 0 offset:248
	s_waitcnt vmcnt(12)
	v_fmac_f64_e32 v[102:103], v[122:123], v[108:109]
	s_waitcnt vmcnt(10) lgkmcnt(2)
	v_fmac_f64_e32 v[102:103], v[124:125], v[110:111]
	buffer_load_dword v111, off, s[0:3], 0 offset:260
	buffer_load_dword v110, off, s[0:3], 0 offset:256
	s_waitcnt vmcnt(10)
	v_fmac_f64_e32 v[102:103], v[126:127], v[112:113]
	s_waitcnt vmcnt(8) lgkmcnt(1)
	v_fmac_f64_e32 v[102:103], v[128:129], v[114:115]
	s_waitcnt vmcnt(6)
	v_fmac_f64_e32 v[102:103], v[130:131], v[116:117]
	s_waitcnt vmcnt(4) lgkmcnt(0)
	v_fmac_f64_e32 v[102:103], v[132:133], v[118:119]
	s_waitcnt vmcnt(2)
	v_fmac_f64_e32 v[102:103], v[106:107], v[120:121]
	ds_read_b128 v[106:109], v104 offset:656
	s_waitcnt vmcnt(0) lgkmcnt(0)
	v_fmac_f64_e32 v[102:103], v[110:111], v[106:107]
	buffer_load_dword v107, off, s[0:3], 0 offset:268
	buffer_load_dword v106, off, s[0:3], 0 offset:264
	buffer_load_dword v111, off, s[0:3], 0 offset:276
	buffer_load_dword v110, off, s[0:3], 0 offset:272
	s_waitcnt vmcnt(2)
	v_fmac_f64_e32 v[102:103], v[106:107], v[108:109]
	ds_read_b128 v[106:109], v104 offset:672
	s_waitcnt vmcnt(0) lgkmcnt(0)
	v_fmac_f64_e32 v[102:103], v[110:111], v[106:107]
	buffer_load_dword v107, off, s[0:3], 0 offset:284
	buffer_load_dword v106, off, s[0:3], 0 offset:280
	buffer_load_dword v111, off, s[0:3], 0 offset:292
	buffer_load_dword v110, off, s[0:3], 0 offset:288
	s_waitcnt vmcnt(2)
	v_fmac_f64_e32 v[102:103], v[106:107], v[108:109]
	ds_read_b128 v[106:109], v104 offset:688
	s_waitcnt vmcnt(0) lgkmcnt(0)
	v_fmac_f64_e32 v[102:103], v[110:111], v[106:107]
	buffer_load_dword v107, off, s[0:3], 0 offset:300
	buffer_load_dword v106, off, s[0:3], 0 offset:296
	buffer_load_dword v111, off, s[0:3], 0 offset:308
	buffer_load_dword v110, off, s[0:3], 0 offset:304
	s_waitcnt vmcnt(2)
	v_fmac_f64_e32 v[102:103], v[106:107], v[108:109]
	ds_read_b128 v[106:109], v104 offset:704
	s_waitcnt vmcnt(0) lgkmcnt(0)
	v_fmac_f64_e32 v[102:103], v[110:111], v[106:107]
	buffer_load_dword v107, off, s[0:3], 0 offset:316
	buffer_load_dword v106, off, s[0:3], 0 offset:312
	buffer_load_dword v111, off, s[0:3], 0 offset:324
	buffer_load_dword v110, off, s[0:3], 0 offset:320
	s_waitcnt vmcnt(2)
	v_fmac_f64_e32 v[102:103], v[106:107], v[108:109]
	ds_read_b128 v[106:109], v104 offset:720
	s_waitcnt vmcnt(0) lgkmcnt(0)
	v_fmac_f64_e32 v[102:103], v[110:111], v[106:107]
	buffer_load_dword v107, off, s[0:3], 0 offset:332
	buffer_load_dword v106, off, s[0:3], 0 offset:328
	buffer_load_dword v111, off, s[0:3], 0 offset:340
	buffer_load_dword v110, off, s[0:3], 0 offset:336
	s_waitcnt vmcnt(2)
	v_fmac_f64_e32 v[102:103], v[106:107], v[108:109]
	ds_read_b128 v[106:109], v104 offset:736
	s_waitcnt vmcnt(0) lgkmcnt(0)
	v_fmac_f64_e32 v[102:103], v[110:111], v[106:107]
	buffer_load_dword v107, off, s[0:3], 0 offset:348
	buffer_load_dword v106, off, s[0:3], 0 offset:344
	buffer_load_dword v111, off, s[0:3], 0 offset:356
	buffer_load_dword v110, off, s[0:3], 0 offset:352
	s_waitcnt vmcnt(2)
	v_fmac_f64_e32 v[102:103], v[106:107], v[108:109]
	ds_read_b128 v[106:109], v104 offset:752
	s_waitcnt vmcnt(0) lgkmcnt(0)
	v_fmac_f64_e32 v[102:103], v[110:111], v[106:107]
	buffer_load_dword v107, off, s[0:3], 0 offset:364
	buffer_load_dword v106, off, s[0:3], 0 offset:360
	buffer_load_dword v111, off, s[0:3], 0 offset:372
	buffer_load_dword v110, off, s[0:3], 0 offset:368
	s_waitcnt vmcnt(2)
	v_fmac_f64_e32 v[102:103], v[106:107], v[108:109]
	ds_read_b128 v[106:109], v104 offset:768
	s_waitcnt vmcnt(0) lgkmcnt(0)
	v_fmac_f64_e32 v[102:103], v[110:111], v[106:107]
	buffer_load_dword v107, off, s[0:3], 0 offset:380
	buffer_load_dword v106, off, s[0:3], 0 offset:376
	s_waitcnt vmcnt(0)
	v_fmac_f64_e32 v[102:103], v[106:107], v[108:109]
	buffer_load_dword v107, off, s[0:3], 0 offset:388
	buffer_load_dword v106, off, s[0:3], 0 offset:384
	ds_read_b64 v[108:109], v104 offset:784
	s_waitcnt vmcnt(0) lgkmcnt(0)
	v_fmac_f64_e32 v[102:103], v[106:107], v[108:109]
	v_add_f64 v[100:101], v[100:101], -v[102:103]
	buffer_store_dword v101, off, s[0:3], 0 offset:188
	buffer_store_dword v100, off, s[0:3], 0 offset:184
	s_and_saveexec_b64 s[4:5], vcc
	s_cbranch_execz .LBB48_257
; %bb.256:
	buffer_load_dword v100, off, s[0:3], 0 offset:176
	buffer_load_dword v101, off, s[0:3], 0 offset:180
	s_waitcnt vmcnt(0)
	ds_write_b64 v1, v[100:101]
	buffer_store_dword v104, off, s[0:3], 0 offset:176
	buffer_store_dword v104, off, s[0:3], 0 offset:180
.LBB48_257:
	s_or_b64 exec, exec, s[4:5]
	s_waitcnt lgkmcnt(0)
	; wave barrier
	s_waitcnt lgkmcnt(0)
	buffer_load_dword v100, off, s[0:3], 0 offset:176
	buffer_load_dword v101, off, s[0:3], 0 offset:180
	;; [unrolled: 1-line block ×16, first 2 shown]
	ds_read2_b64 v[106:109], v104 offset0:73 offset1:74
	v_cmp_lt_u32_e32 vcc, 21, v0
	s_waitcnt vmcnt(12) lgkmcnt(0)
	v_fma_f64 v[102:103], v[102:103], v[106:107], 0
	s_waitcnt vmcnt(10)
	v_fmac_f64_e32 v[102:103], v[110:111], v[108:109]
	ds_read2_b64 v[106:109], v104 offset0:75 offset1:76
	s_waitcnt vmcnt(8) lgkmcnt(0)
	v_fmac_f64_e32 v[102:103], v[112:113], v[106:107]
	s_waitcnt vmcnt(6)
	v_fmac_f64_e32 v[102:103], v[114:115], v[108:109]
	ds_read2_b64 v[106:109], v104 offset0:77 offset1:78
	s_waitcnt vmcnt(4) lgkmcnt(0)
	v_fmac_f64_e32 v[102:103], v[116:117], v[106:107]
	;; [unrolled: 5-line block ×3, first 2 shown]
	buffer_load_dword v107, off, s[0:3], 0 offset:244
	buffer_load_dword v106, off, s[0:3], 0 offset:240
	buffer_load_dword v111, off, s[0:3], 0 offset:252
	buffer_load_dword v110, off, s[0:3], 0 offset:248
	s_waitcnt vmcnt(2)
	v_fmac_f64_e32 v[102:103], v[106:107], v[108:109]
	ds_read2_b64 v[106:109], v104 offset0:81 offset1:82
	s_waitcnt vmcnt(0) lgkmcnt(0)
	v_fmac_f64_e32 v[102:103], v[110:111], v[106:107]
	buffer_load_dword v107, off, s[0:3], 0 offset:260
	buffer_load_dword v106, off, s[0:3], 0 offset:256
	buffer_load_dword v111, off, s[0:3], 0 offset:268
	buffer_load_dword v110, off, s[0:3], 0 offset:264
	s_waitcnt vmcnt(2)
	v_fmac_f64_e32 v[102:103], v[106:107], v[108:109]
	ds_read2_b64 v[106:109], v104 offset0:83 offset1:84
	s_waitcnt vmcnt(0) lgkmcnt(0)
	v_fmac_f64_e32 v[102:103], v[110:111], v[106:107]
	;; [unrolled: 9-line block ×8, first 2 shown]
	buffer_load_dword v107, off, s[0:3], 0 offset:372
	buffer_load_dword v106, off, s[0:3], 0 offset:368
	s_waitcnt vmcnt(0)
	v_fmac_f64_e32 v[102:103], v[106:107], v[108:109]
	buffer_load_dword v109, off, s[0:3], 0 offset:380
	buffer_load_dword v108, off, s[0:3], 0 offset:376
	ds_read2_b64 v[104:107], v104 offset0:97 offset1:98
	s_waitcnt vmcnt(0) lgkmcnt(0)
	v_fmac_f64_e32 v[102:103], v[108:109], v[104:105]
	buffer_load_dword v105, off, s[0:3], 0 offset:388
	buffer_load_dword v104, off, s[0:3], 0 offset:384
	s_waitcnt vmcnt(0)
	v_fmac_f64_e32 v[102:103], v[104:105], v[106:107]
	v_add_f64 v[100:101], v[100:101], -v[102:103]
	buffer_store_dword v101, off, s[0:3], 0 offset:180
	buffer_store_dword v100, off, s[0:3], 0 offset:176
	s_and_saveexec_b64 s[4:5], vcc
	s_cbranch_execz .LBB48_259
; %bb.258:
	buffer_load_dword v100, off, s[0:3], 0 offset:168
	buffer_load_dword v101, off, s[0:3], 0 offset:172
	v_mov_b32_e32 v102, 0
	buffer_store_dword v102, off, s[0:3], 0 offset:168
	buffer_store_dword v102, off, s[0:3], 0 offset:172
	s_waitcnt vmcnt(2)
	ds_write_b64 v1, v[100:101]
.LBB48_259:
	s_or_b64 exec, exec, s[4:5]
	s_waitcnt lgkmcnt(0)
	; wave barrier
	s_waitcnt lgkmcnt(0)
	buffer_load_dword v100, off, s[0:3], 0 offset:168
	buffer_load_dword v101, off, s[0:3], 0 offset:172
	;; [unrolled: 1-line block ×16, first 2 shown]
	v_mov_b32_e32 v104, 0
	ds_read_b128 v[106:109], v104 offset:576
	ds_read_b128 v[110:113], v104 offset:592
	;; [unrolled: 1-line block ×4, first 2 shown]
	v_cmp_lt_u32_e32 vcc, 20, v0
	s_waitcnt vmcnt(12) lgkmcnt(3)
	v_fma_f64 v[102:103], v[102:103], v[106:107], 0
	buffer_load_dword v107, off, s[0:3], 0 offset:236
	buffer_load_dword v106, off, s[0:3], 0 offset:232
	s_waitcnt vmcnt(12)
	v_fmac_f64_e32 v[102:103], v[122:123], v[108:109]
	s_waitcnt vmcnt(10) lgkmcnt(2)
	v_fmac_f64_e32 v[102:103], v[124:125], v[110:111]
	buffer_load_dword v111, off, s[0:3], 0 offset:244
	buffer_load_dword v110, off, s[0:3], 0 offset:240
	s_waitcnt vmcnt(10)
	v_fmac_f64_e32 v[102:103], v[126:127], v[112:113]
	s_waitcnt vmcnt(8) lgkmcnt(1)
	v_fmac_f64_e32 v[102:103], v[128:129], v[114:115]
	s_waitcnt vmcnt(6)
	v_fmac_f64_e32 v[102:103], v[130:131], v[116:117]
	s_waitcnt vmcnt(4) lgkmcnt(0)
	v_fmac_f64_e32 v[102:103], v[132:133], v[118:119]
	s_waitcnt vmcnt(2)
	v_fmac_f64_e32 v[102:103], v[106:107], v[120:121]
	ds_read_b128 v[106:109], v104 offset:640
	s_waitcnt vmcnt(0) lgkmcnt(0)
	v_fmac_f64_e32 v[102:103], v[110:111], v[106:107]
	buffer_load_dword v107, off, s[0:3], 0 offset:252
	buffer_load_dword v106, off, s[0:3], 0 offset:248
	buffer_load_dword v111, off, s[0:3], 0 offset:260
	buffer_load_dword v110, off, s[0:3], 0 offset:256
	s_waitcnt vmcnt(2)
	v_fmac_f64_e32 v[102:103], v[106:107], v[108:109]
	ds_read_b128 v[106:109], v104 offset:656
	s_waitcnt vmcnt(0) lgkmcnt(0)
	v_fmac_f64_e32 v[102:103], v[110:111], v[106:107]
	buffer_load_dword v107, off, s[0:3], 0 offset:268
	buffer_load_dword v106, off, s[0:3], 0 offset:264
	buffer_load_dword v111, off, s[0:3], 0 offset:276
	buffer_load_dword v110, off, s[0:3], 0 offset:272
	;; [unrolled: 9-line block ×8, first 2 shown]
	s_waitcnt vmcnt(2)
	v_fmac_f64_e32 v[102:103], v[106:107], v[108:109]
	ds_read_b128 v[106:109], v104 offset:768
	s_waitcnt vmcnt(0) lgkmcnt(0)
	v_fmac_f64_e32 v[102:103], v[110:111], v[106:107]
	buffer_load_dword v107, off, s[0:3], 0 offset:380
	buffer_load_dword v106, off, s[0:3], 0 offset:376
	s_waitcnt vmcnt(0)
	v_fmac_f64_e32 v[102:103], v[106:107], v[108:109]
	buffer_load_dword v107, off, s[0:3], 0 offset:388
	buffer_load_dword v106, off, s[0:3], 0 offset:384
	ds_read_b64 v[108:109], v104 offset:784
	s_waitcnt vmcnt(0) lgkmcnt(0)
	v_fmac_f64_e32 v[102:103], v[106:107], v[108:109]
	v_add_f64 v[100:101], v[100:101], -v[102:103]
	buffer_store_dword v101, off, s[0:3], 0 offset:172
	buffer_store_dword v100, off, s[0:3], 0 offset:168
	s_and_saveexec_b64 s[4:5], vcc
	s_cbranch_execz .LBB48_261
; %bb.260:
	buffer_load_dword v100, off, s[0:3], 0 offset:160
	buffer_load_dword v101, off, s[0:3], 0 offset:164
	s_waitcnt vmcnt(0)
	ds_write_b64 v1, v[100:101]
	buffer_store_dword v104, off, s[0:3], 0 offset:160
	buffer_store_dword v104, off, s[0:3], 0 offset:164
.LBB48_261:
	s_or_b64 exec, exec, s[4:5]
	s_waitcnt lgkmcnt(0)
	; wave barrier
	s_waitcnt lgkmcnt(0)
	buffer_load_dword v100, off, s[0:3], 0 offset:160
	buffer_load_dword v101, off, s[0:3], 0 offset:164
	;; [unrolled: 1-line block ×16, first 2 shown]
	ds_read2_b64 v[106:109], v104 offset0:71 offset1:72
	v_cmp_lt_u32_e32 vcc, 19, v0
	s_waitcnt vmcnt(12) lgkmcnt(0)
	v_fma_f64 v[102:103], v[102:103], v[106:107], 0
	s_waitcnt vmcnt(10)
	v_fmac_f64_e32 v[102:103], v[110:111], v[108:109]
	ds_read2_b64 v[106:109], v104 offset0:73 offset1:74
	s_waitcnt vmcnt(8) lgkmcnt(0)
	v_fmac_f64_e32 v[102:103], v[112:113], v[106:107]
	s_waitcnt vmcnt(6)
	v_fmac_f64_e32 v[102:103], v[114:115], v[108:109]
	ds_read2_b64 v[106:109], v104 offset0:75 offset1:76
	s_waitcnt vmcnt(4) lgkmcnt(0)
	v_fmac_f64_e32 v[102:103], v[116:117], v[106:107]
	;; [unrolled: 5-line block ×3, first 2 shown]
	buffer_load_dword v107, off, s[0:3], 0 offset:228
	buffer_load_dword v106, off, s[0:3], 0 offset:224
	buffer_load_dword v111, off, s[0:3], 0 offset:236
	buffer_load_dword v110, off, s[0:3], 0 offset:232
	s_waitcnt vmcnt(2)
	v_fmac_f64_e32 v[102:103], v[106:107], v[108:109]
	ds_read2_b64 v[106:109], v104 offset0:79 offset1:80
	s_waitcnt vmcnt(0) lgkmcnt(0)
	v_fmac_f64_e32 v[102:103], v[110:111], v[106:107]
	buffer_load_dword v107, off, s[0:3], 0 offset:244
	buffer_load_dword v106, off, s[0:3], 0 offset:240
	buffer_load_dword v111, off, s[0:3], 0 offset:252
	buffer_load_dword v110, off, s[0:3], 0 offset:248
	s_waitcnt vmcnt(2)
	v_fmac_f64_e32 v[102:103], v[106:107], v[108:109]
	ds_read2_b64 v[106:109], v104 offset0:81 offset1:82
	s_waitcnt vmcnt(0) lgkmcnt(0)
	v_fmac_f64_e32 v[102:103], v[110:111], v[106:107]
	;; [unrolled: 9-line block ×9, first 2 shown]
	buffer_load_dword v107, off, s[0:3], 0 offset:372
	buffer_load_dword v106, off, s[0:3], 0 offset:368
	s_waitcnt vmcnt(0)
	v_fmac_f64_e32 v[102:103], v[106:107], v[108:109]
	buffer_load_dword v109, off, s[0:3], 0 offset:380
	buffer_load_dword v108, off, s[0:3], 0 offset:376
	ds_read2_b64 v[104:107], v104 offset0:97 offset1:98
	s_waitcnt vmcnt(0) lgkmcnt(0)
	v_fmac_f64_e32 v[102:103], v[108:109], v[104:105]
	buffer_load_dword v105, off, s[0:3], 0 offset:388
	buffer_load_dword v104, off, s[0:3], 0 offset:384
	s_waitcnt vmcnt(0)
	v_fmac_f64_e32 v[102:103], v[104:105], v[106:107]
	v_add_f64 v[100:101], v[100:101], -v[102:103]
	buffer_store_dword v101, off, s[0:3], 0 offset:164
	buffer_store_dword v100, off, s[0:3], 0 offset:160
	s_and_saveexec_b64 s[4:5], vcc
	s_cbranch_execz .LBB48_263
; %bb.262:
	buffer_load_dword v100, off, s[0:3], 0 offset:152
	buffer_load_dword v101, off, s[0:3], 0 offset:156
	v_mov_b32_e32 v102, 0
	buffer_store_dword v102, off, s[0:3], 0 offset:152
	buffer_store_dword v102, off, s[0:3], 0 offset:156
	s_waitcnt vmcnt(2)
	ds_write_b64 v1, v[100:101]
.LBB48_263:
	s_or_b64 exec, exec, s[4:5]
	s_waitcnt lgkmcnt(0)
	; wave barrier
	s_waitcnt lgkmcnt(0)
	buffer_load_dword v100, off, s[0:3], 0 offset:152
	buffer_load_dword v101, off, s[0:3], 0 offset:156
	;; [unrolled: 1-line block ×16, first 2 shown]
	v_mov_b32_e32 v104, 0
	ds_read_b128 v[106:109], v104 offset:560
	ds_read_b128 v[110:113], v104 offset:576
	;; [unrolled: 1-line block ×4, first 2 shown]
	v_cmp_lt_u32_e32 vcc, 18, v0
	s_waitcnt vmcnt(12) lgkmcnt(3)
	v_fma_f64 v[102:103], v[102:103], v[106:107], 0
	buffer_load_dword v107, off, s[0:3], 0 offset:220
	buffer_load_dword v106, off, s[0:3], 0 offset:216
	s_waitcnt vmcnt(12)
	v_fmac_f64_e32 v[102:103], v[122:123], v[108:109]
	s_waitcnt vmcnt(10) lgkmcnt(2)
	v_fmac_f64_e32 v[102:103], v[124:125], v[110:111]
	buffer_load_dword v111, off, s[0:3], 0 offset:228
	buffer_load_dword v110, off, s[0:3], 0 offset:224
	s_waitcnt vmcnt(10)
	v_fmac_f64_e32 v[102:103], v[126:127], v[112:113]
	s_waitcnt vmcnt(8) lgkmcnt(1)
	v_fmac_f64_e32 v[102:103], v[128:129], v[114:115]
	s_waitcnt vmcnt(6)
	v_fmac_f64_e32 v[102:103], v[130:131], v[116:117]
	s_waitcnt vmcnt(4) lgkmcnt(0)
	v_fmac_f64_e32 v[102:103], v[132:133], v[118:119]
	s_waitcnt vmcnt(2)
	v_fmac_f64_e32 v[102:103], v[106:107], v[120:121]
	ds_read_b128 v[106:109], v104 offset:624
	s_waitcnt vmcnt(0) lgkmcnt(0)
	v_fmac_f64_e32 v[102:103], v[110:111], v[106:107]
	buffer_load_dword v107, off, s[0:3], 0 offset:236
	buffer_load_dword v106, off, s[0:3], 0 offset:232
	buffer_load_dword v111, off, s[0:3], 0 offset:244
	buffer_load_dword v110, off, s[0:3], 0 offset:240
	s_waitcnt vmcnt(2)
	v_fmac_f64_e32 v[102:103], v[106:107], v[108:109]
	ds_read_b128 v[106:109], v104 offset:640
	s_waitcnt vmcnt(0) lgkmcnt(0)
	v_fmac_f64_e32 v[102:103], v[110:111], v[106:107]
	buffer_load_dword v107, off, s[0:3], 0 offset:252
	buffer_load_dword v106, off, s[0:3], 0 offset:248
	buffer_load_dword v111, off, s[0:3], 0 offset:260
	buffer_load_dword v110, off, s[0:3], 0 offset:256
	;; [unrolled: 9-line block ×9, first 2 shown]
	s_waitcnt vmcnt(2)
	v_fmac_f64_e32 v[102:103], v[106:107], v[108:109]
	ds_read_b128 v[106:109], v104 offset:768
	s_waitcnt vmcnt(0) lgkmcnt(0)
	v_fmac_f64_e32 v[102:103], v[110:111], v[106:107]
	buffer_load_dword v107, off, s[0:3], 0 offset:380
	buffer_load_dword v106, off, s[0:3], 0 offset:376
	s_waitcnt vmcnt(0)
	v_fmac_f64_e32 v[102:103], v[106:107], v[108:109]
	buffer_load_dword v107, off, s[0:3], 0 offset:388
	buffer_load_dword v106, off, s[0:3], 0 offset:384
	ds_read_b64 v[108:109], v104 offset:784
	s_waitcnt vmcnt(0) lgkmcnt(0)
	v_fmac_f64_e32 v[102:103], v[106:107], v[108:109]
	v_add_f64 v[100:101], v[100:101], -v[102:103]
	buffer_store_dword v101, off, s[0:3], 0 offset:156
	buffer_store_dword v100, off, s[0:3], 0 offset:152
	s_and_saveexec_b64 s[4:5], vcc
	s_cbranch_execz .LBB48_265
; %bb.264:
	buffer_load_dword v100, off, s[0:3], 0 offset:144
	buffer_load_dword v101, off, s[0:3], 0 offset:148
	s_waitcnt vmcnt(0)
	ds_write_b64 v1, v[100:101]
	buffer_store_dword v104, off, s[0:3], 0 offset:144
	buffer_store_dword v104, off, s[0:3], 0 offset:148
.LBB48_265:
	s_or_b64 exec, exec, s[4:5]
	s_waitcnt lgkmcnt(0)
	; wave barrier
	s_waitcnt lgkmcnt(0)
	buffer_load_dword v100, off, s[0:3], 0 offset:144
	buffer_load_dword v101, off, s[0:3], 0 offset:148
	;; [unrolled: 1-line block ×16, first 2 shown]
	ds_read2_b64 v[106:109], v104 offset0:69 offset1:70
	v_cmp_lt_u32_e32 vcc, 17, v0
	s_waitcnt vmcnt(12) lgkmcnt(0)
	v_fma_f64 v[102:103], v[102:103], v[106:107], 0
	s_waitcnt vmcnt(10)
	v_fmac_f64_e32 v[102:103], v[110:111], v[108:109]
	ds_read2_b64 v[106:109], v104 offset0:71 offset1:72
	s_waitcnt vmcnt(8) lgkmcnt(0)
	v_fmac_f64_e32 v[102:103], v[112:113], v[106:107]
	s_waitcnt vmcnt(6)
	v_fmac_f64_e32 v[102:103], v[114:115], v[108:109]
	ds_read2_b64 v[106:109], v104 offset0:73 offset1:74
	s_waitcnt vmcnt(4) lgkmcnt(0)
	v_fmac_f64_e32 v[102:103], v[116:117], v[106:107]
	;; [unrolled: 5-line block ×3, first 2 shown]
	buffer_load_dword v107, off, s[0:3], 0 offset:212
	buffer_load_dword v106, off, s[0:3], 0 offset:208
	buffer_load_dword v111, off, s[0:3], 0 offset:220
	buffer_load_dword v110, off, s[0:3], 0 offset:216
	s_waitcnt vmcnt(2)
	v_fmac_f64_e32 v[102:103], v[106:107], v[108:109]
	ds_read2_b64 v[106:109], v104 offset0:77 offset1:78
	s_waitcnt vmcnt(0) lgkmcnt(0)
	v_fmac_f64_e32 v[102:103], v[110:111], v[106:107]
	buffer_load_dword v107, off, s[0:3], 0 offset:228
	buffer_load_dword v106, off, s[0:3], 0 offset:224
	buffer_load_dword v111, off, s[0:3], 0 offset:236
	buffer_load_dword v110, off, s[0:3], 0 offset:232
	s_waitcnt vmcnt(2)
	v_fmac_f64_e32 v[102:103], v[106:107], v[108:109]
	ds_read2_b64 v[106:109], v104 offset0:79 offset1:80
	s_waitcnt vmcnt(0) lgkmcnt(0)
	v_fmac_f64_e32 v[102:103], v[110:111], v[106:107]
	;; [unrolled: 9-line block ×10, first 2 shown]
	buffer_load_dword v107, off, s[0:3], 0 offset:372
	buffer_load_dword v106, off, s[0:3], 0 offset:368
	s_waitcnt vmcnt(0)
	v_fmac_f64_e32 v[102:103], v[106:107], v[108:109]
	buffer_load_dword v109, off, s[0:3], 0 offset:380
	buffer_load_dword v108, off, s[0:3], 0 offset:376
	ds_read2_b64 v[104:107], v104 offset0:97 offset1:98
	s_waitcnt vmcnt(0) lgkmcnt(0)
	v_fmac_f64_e32 v[102:103], v[108:109], v[104:105]
	buffer_load_dword v105, off, s[0:3], 0 offset:388
	buffer_load_dword v104, off, s[0:3], 0 offset:384
	s_waitcnt vmcnt(0)
	v_fmac_f64_e32 v[102:103], v[104:105], v[106:107]
	v_add_f64 v[100:101], v[100:101], -v[102:103]
	buffer_store_dword v101, off, s[0:3], 0 offset:148
	buffer_store_dword v100, off, s[0:3], 0 offset:144
	s_and_saveexec_b64 s[4:5], vcc
	s_cbranch_execz .LBB48_267
; %bb.266:
	buffer_load_dword v100, off, s[0:3], 0 offset:136
	buffer_load_dword v101, off, s[0:3], 0 offset:140
	v_mov_b32_e32 v102, 0
	buffer_store_dword v102, off, s[0:3], 0 offset:136
	buffer_store_dword v102, off, s[0:3], 0 offset:140
	s_waitcnt vmcnt(2)
	ds_write_b64 v1, v[100:101]
.LBB48_267:
	s_or_b64 exec, exec, s[4:5]
	s_waitcnt lgkmcnt(0)
	; wave barrier
	s_waitcnt lgkmcnt(0)
	buffer_load_dword v100, off, s[0:3], 0 offset:136
	buffer_load_dword v101, off, s[0:3], 0 offset:140
	;; [unrolled: 1-line block ×16, first 2 shown]
	v_mov_b32_e32 v104, 0
	ds_read_b128 v[106:109], v104 offset:544
	ds_read_b128 v[110:113], v104 offset:560
	ds_read_b128 v[114:117], v104 offset:576
	ds_read_b128 v[118:121], v104 offset:592
	v_cmp_lt_u32_e32 vcc, 16, v0
	s_waitcnt vmcnt(12) lgkmcnt(3)
	v_fma_f64 v[102:103], v[102:103], v[106:107], 0
	buffer_load_dword v107, off, s[0:3], 0 offset:204
	buffer_load_dword v106, off, s[0:3], 0 offset:200
	s_waitcnt vmcnt(12)
	v_fmac_f64_e32 v[102:103], v[122:123], v[108:109]
	s_waitcnt vmcnt(10) lgkmcnt(2)
	v_fmac_f64_e32 v[102:103], v[124:125], v[110:111]
	buffer_load_dword v111, off, s[0:3], 0 offset:212
	buffer_load_dword v110, off, s[0:3], 0 offset:208
	s_waitcnt vmcnt(10)
	v_fmac_f64_e32 v[102:103], v[126:127], v[112:113]
	s_waitcnt vmcnt(8) lgkmcnt(1)
	v_fmac_f64_e32 v[102:103], v[128:129], v[114:115]
	s_waitcnt vmcnt(6)
	v_fmac_f64_e32 v[102:103], v[130:131], v[116:117]
	s_waitcnt vmcnt(4) lgkmcnt(0)
	v_fmac_f64_e32 v[102:103], v[132:133], v[118:119]
	s_waitcnt vmcnt(2)
	v_fmac_f64_e32 v[102:103], v[106:107], v[120:121]
	ds_read_b128 v[106:109], v104 offset:608
	s_waitcnt vmcnt(0) lgkmcnt(0)
	v_fmac_f64_e32 v[102:103], v[110:111], v[106:107]
	buffer_load_dword v107, off, s[0:3], 0 offset:220
	buffer_load_dword v106, off, s[0:3], 0 offset:216
	buffer_load_dword v111, off, s[0:3], 0 offset:228
	buffer_load_dword v110, off, s[0:3], 0 offset:224
	s_waitcnt vmcnt(2)
	v_fmac_f64_e32 v[102:103], v[106:107], v[108:109]
	ds_read_b128 v[106:109], v104 offset:624
	s_waitcnt vmcnt(0) lgkmcnt(0)
	v_fmac_f64_e32 v[102:103], v[110:111], v[106:107]
	buffer_load_dword v107, off, s[0:3], 0 offset:236
	buffer_load_dword v106, off, s[0:3], 0 offset:232
	buffer_load_dword v111, off, s[0:3], 0 offset:244
	buffer_load_dword v110, off, s[0:3], 0 offset:240
	;; [unrolled: 9-line block ×10, first 2 shown]
	s_waitcnt vmcnt(2)
	v_fmac_f64_e32 v[102:103], v[106:107], v[108:109]
	ds_read_b128 v[106:109], v104 offset:768
	s_waitcnt vmcnt(0) lgkmcnt(0)
	v_fmac_f64_e32 v[102:103], v[110:111], v[106:107]
	buffer_load_dword v107, off, s[0:3], 0 offset:380
	buffer_load_dword v106, off, s[0:3], 0 offset:376
	s_waitcnt vmcnt(0)
	v_fmac_f64_e32 v[102:103], v[106:107], v[108:109]
	buffer_load_dword v107, off, s[0:3], 0 offset:388
	buffer_load_dword v106, off, s[0:3], 0 offset:384
	ds_read_b64 v[108:109], v104 offset:784
	s_waitcnt vmcnt(0) lgkmcnt(0)
	v_fmac_f64_e32 v[102:103], v[106:107], v[108:109]
	v_add_f64 v[100:101], v[100:101], -v[102:103]
	buffer_store_dword v101, off, s[0:3], 0 offset:140
	buffer_store_dword v100, off, s[0:3], 0 offset:136
	s_and_saveexec_b64 s[4:5], vcc
	s_cbranch_execz .LBB48_269
; %bb.268:
	buffer_load_dword v100, off, s[0:3], 0 offset:128
	buffer_load_dword v101, off, s[0:3], 0 offset:132
	s_waitcnt vmcnt(0)
	ds_write_b64 v1, v[100:101]
	buffer_store_dword v104, off, s[0:3], 0 offset:128
	buffer_store_dword v104, off, s[0:3], 0 offset:132
.LBB48_269:
	s_or_b64 exec, exec, s[4:5]
	s_waitcnt lgkmcnt(0)
	; wave barrier
	s_waitcnt lgkmcnt(0)
	buffer_load_dword v100, off, s[0:3], 0 offset:128
	buffer_load_dword v101, off, s[0:3], 0 offset:132
	buffer_load_dword v102, off, s[0:3], 0 offset:136
	buffer_load_dword v103, off, s[0:3], 0 offset:140
	buffer_load_dword v110, off, s[0:3], 0 offset:144
	buffer_load_dword v111, off, s[0:3], 0 offset:148
	buffer_load_dword v112, off, s[0:3], 0 offset:152
	buffer_load_dword v113, off, s[0:3], 0 offset:156
	buffer_load_dword v114, off, s[0:3], 0 offset:160
	buffer_load_dword v115, off, s[0:3], 0 offset:164
	buffer_load_dword v116, off, s[0:3], 0 offset:168
	buffer_load_dword v117, off, s[0:3], 0 offset:172
	buffer_load_dword v118, off, s[0:3], 0 offset:176
	buffer_load_dword v119, off, s[0:3], 0 offset:180
	buffer_load_dword v120, off, s[0:3], 0 offset:184
	buffer_load_dword v121, off, s[0:3], 0 offset:188
	ds_read2_b64 v[106:109], v104 offset0:67 offset1:68
	v_cmp_lt_u32_e32 vcc, 15, v0
	s_waitcnt vmcnt(12) lgkmcnt(0)
	v_fma_f64 v[102:103], v[102:103], v[106:107], 0
	s_waitcnt vmcnt(10)
	v_fmac_f64_e32 v[102:103], v[110:111], v[108:109]
	ds_read2_b64 v[106:109], v104 offset0:69 offset1:70
	s_waitcnt vmcnt(8) lgkmcnt(0)
	v_fmac_f64_e32 v[102:103], v[112:113], v[106:107]
	s_waitcnt vmcnt(6)
	v_fmac_f64_e32 v[102:103], v[114:115], v[108:109]
	ds_read2_b64 v[106:109], v104 offset0:71 offset1:72
	s_waitcnt vmcnt(4) lgkmcnt(0)
	v_fmac_f64_e32 v[102:103], v[116:117], v[106:107]
	;; [unrolled: 5-line block ×3, first 2 shown]
	buffer_load_dword v107, off, s[0:3], 0 offset:196
	buffer_load_dword v106, off, s[0:3], 0 offset:192
	buffer_load_dword v111, off, s[0:3], 0 offset:204
	buffer_load_dword v110, off, s[0:3], 0 offset:200
	s_waitcnt vmcnt(2)
	v_fmac_f64_e32 v[102:103], v[106:107], v[108:109]
	ds_read2_b64 v[106:109], v104 offset0:75 offset1:76
	s_waitcnt vmcnt(0) lgkmcnt(0)
	v_fmac_f64_e32 v[102:103], v[110:111], v[106:107]
	buffer_load_dword v107, off, s[0:3], 0 offset:212
	buffer_load_dword v106, off, s[0:3], 0 offset:208
	buffer_load_dword v111, off, s[0:3], 0 offset:220
	buffer_load_dword v110, off, s[0:3], 0 offset:216
	s_waitcnt vmcnt(2)
	v_fmac_f64_e32 v[102:103], v[106:107], v[108:109]
	ds_read2_b64 v[106:109], v104 offset0:77 offset1:78
	s_waitcnt vmcnt(0) lgkmcnt(0)
	v_fmac_f64_e32 v[102:103], v[110:111], v[106:107]
	;; [unrolled: 9-line block ×11, first 2 shown]
	buffer_load_dword v107, off, s[0:3], 0 offset:372
	buffer_load_dword v106, off, s[0:3], 0 offset:368
	s_waitcnt vmcnt(0)
	v_fmac_f64_e32 v[102:103], v[106:107], v[108:109]
	buffer_load_dword v109, off, s[0:3], 0 offset:380
	buffer_load_dword v108, off, s[0:3], 0 offset:376
	ds_read2_b64 v[104:107], v104 offset0:97 offset1:98
	s_waitcnt vmcnt(0) lgkmcnt(0)
	v_fmac_f64_e32 v[102:103], v[108:109], v[104:105]
	buffer_load_dword v105, off, s[0:3], 0 offset:388
	buffer_load_dword v104, off, s[0:3], 0 offset:384
	s_waitcnt vmcnt(0)
	v_fmac_f64_e32 v[102:103], v[104:105], v[106:107]
	v_add_f64 v[100:101], v[100:101], -v[102:103]
	buffer_store_dword v101, off, s[0:3], 0 offset:132
	buffer_store_dword v100, off, s[0:3], 0 offset:128
	s_and_saveexec_b64 s[4:5], vcc
	s_cbranch_execz .LBB48_271
; %bb.270:
	buffer_load_dword v100, off, s[0:3], 0 offset:120
	buffer_load_dword v101, off, s[0:3], 0 offset:124
	v_mov_b32_e32 v102, 0
	buffer_store_dword v102, off, s[0:3], 0 offset:120
	buffer_store_dword v102, off, s[0:3], 0 offset:124
	s_waitcnt vmcnt(2)
	ds_write_b64 v1, v[100:101]
.LBB48_271:
	s_or_b64 exec, exec, s[4:5]
	s_waitcnt lgkmcnt(0)
	; wave barrier
	s_waitcnt lgkmcnt(0)
	buffer_load_dword v100, off, s[0:3], 0 offset:120
	buffer_load_dword v101, off, s[0:3], 0 offset:124
	;; [unrolled: 1-line block ×16, first 2 shown]
	v_mov_b32_e32 v104, 0
	ds_read_b128 v[106:109], v104 offset:528
	ds_read_b128 v[110:113], v104 offset:544
	;; [unrolled: 1-line block ×4, first 2 shown]
	v_cmp_lt_u32_e32 vcc, 14, v0
	s_waitcnt vmcnt(12) lgkmcnt(3)
	v_fma_f64 v[102:103], v[102:103], v[106:107], 0
	buffer_load_dword v107, off, s[0:3], 0 offset:188
	buffer_load_dword v106, off, s[0:3], 0 offset:184
	s_waitcnt vmcnt(12)
	v_fmac_f64_e32 v[102:103], v[122:123], v[108:109]
	s_waitcnt vmcnt(10) lgkmcnt(2)
	v_fmac_f64_e32 v[102:103], v[124:125], v[110:111]
	buffer_load_dword v111, off, s[0:3], 0 offset:196
	buffer_load_dword v110, off, s[0:3], 0 offset:192
	s_waitcnt vmcnt(10)
	v_fmac_f64_e32 v[102:103], v[126:127], v[112:113]
	s_waitcnt vmcnt(8) lgkmcnt(1)
	v_fmac_f64_e32 v[102:103], v[128:129], v[114:115]
	s_waitcnt vmcnt(6)
	v_fmac_f64_e32 v[102:103], v[130:131], v[116:117]
	s_waitcnt vmcnt(4) lgkmcnt(0)
	v_fmac_f64_e32 v[102:103], v[132:133], v[118:119]
	s_waitcnt vmcnt(2)
	v_fmac_f64_e32 v[102:103], v[106:107], v[120:121]
	ds_read_b128 v[106:109], v104 offset:592
	s_waitcnt vmcnt(0) lgkmcnt(0)
	v_fmac_f64_e32 v[102:103], v[110:111], v[106:107]
	buffer_load_dword v107, off, s[0:3], 0 offset:204
	buffer_load_dword v106, off, s[0:3], 0 offset:200
	buffer_load_dword v111, off, s[0:3], 0 offset:212
	buffer_load_dword v110, off, s[0:3], 0 offset:208
	s_waitcnt vmcnt(2)
	v_fmac_f64_e32 v[102:103], v[106:107], v[108:109]
	ds_read_b128 v[106:109], v104 offset:608
	s_waitcnt vmcnt(0) lgkmcnt(0)
	v_fmac_f64_e32 v[102:103], v[110:111], v[106:107]
	buffer_load_dword v107, off, s[0:3], 0 offset:220
	buffer_load_dword v106, off, s[0:3], 0 offset:216
	buffer_load_dword v111, off, s[0:3], 0 offset:228
	buffer_load_dword v110, off, s[0:3], 0 offset:224
	;; [unrolled: 9-line block ×11, first 2 shown]
	s_waitcnt vmcnt(2)
	v_fmac_f64_e32 v[102:103], v[106:107], v[108:109]
	ds_read_b128 v[106:109], v104 offset:768
	s_waitcnt vmcnt(0) lgkmcnt(0)
	v_fmac_f64_e32 v[102:103], v[110:111], v[106:107]
	buffer_load_dword v107, off, s[0:3], 0 offset:380
	buffer_load_dword v106, off, s[0:3], 0 offset:376
	s_waitcnt vmcnt(0)
	v_fmac_f64_e32 v[102:103], v[106:107], v[108:109]
	buffer_load_dword v107, off, s[0:3], 0 offset:388
	buffer_load_dword v106, off, s[0:3], 0 offset:384
	ds_read_b64 v[108:109], v104 offset:784
	s_waitcnt vmcnt(0) lgkmcnt(0)
	v_fmac_f64_e32 v[102:103], v[106:107], v[108:109]
	v_add_f64 v[100:101], v[100:101], -v[102:103]
	buffer_store_dword v101, off, s[0:3], 0 offset:124
	buffer_store_dword v100, off, s[0:3], 0 offset:120
	s_and_saveexec_b64 s[4:5], vcc
	s_cbranch_execz .LBB48_273
; %bb.272:
	buffer_load_dword v100, off, s[0:3], 0 offset:112
	buffer_load_dword v101, off, s[0:3], 0 offset:116
	s_waitcnt vmcnt(0)
	ds_write_b64 v1, v[100:101]
	buffer_store_dword v104, off, s[0:3], 0 offset:112
	buffer_store_dword v104, off, s[0:3], 0 offset:116
.LBB48_273:
	s_or_b64 exec, exec, s[4:5]
	s_waitcnt lgkmcnt(0)
	; wave barrier
	s_waitcnt lgkmcnt(0)
	buffer_load_dword v100, off, s[0:3], 0 offset:112
	buffer_load_dword v101, off, s[0:3], 0 offset:116
	;; [unrolled: 1-line block ×16, first 2 shown]
	ds_read2_b64 v[106:109], v104 offset0:65 offset1:66
	v_cmp_lt_u32_e32 vcc, 13, v0
	s_waitcnt vmcnt(12) lgkmcnt(0)
	v_fma_f64 v[102:103], v[102:103], v[106:107], 0
	s_waitcnt vmcnt(10)
	v_fmac_f64_e32 v[102:103], v[110:111], v[108:109]
	ds_read2_b64 v[106:109], v104 offset0:67 offset1:68
	s_waitcnt vmcnt(8) lgkmcnt(0)
	v_fmac_f64_e32 v[102:103], v[112:113], v[106:107]
	s_waitcnt vmcnt(6)
	v_fmac_f64_e32 v[102:103], v[114:115], v[108:109]
	ds_read2_b64 v[106:109], v104 offset0:69 offset1:70
	s_waitcnt vmcnt(4) lgkmcnt(0)
	v_fmac_f64_e32 v[102:103], v[116:117], v[106:107]
	;; [unrolled: 5-line block ×3, first 2 shown]
	buffer_load_dword v107, off, s[0:3], 0 offset:180
	buffer_load_dword v106, off, s[0:3], 0 offset:176
	buffer_load_dword v111, off, s[0:3], 0 offset:188
	buffer_load_dword v110, off, s[0:3], 0 offset:184
	s_waitcnt vmcnt(2)
	v_fmac_f64_e32 v[102:103], v[106:107], v[108:109]
	ds_read2_b64 v[106:109], v104 offset0:73 offset1:74
	s_waitcnt vmcnt(0) lgkmcnt(0)
	v_fmac_f64_e32 v[102:103], v[110:111], v[106:107]
	buffer_load_dword v107, off, s[0:3], 0 offset:196
	buffer_load_dword v106, off, s[0:3], 0 offset:192
	buffer_load_dword v111, off, s[0:3], 0 offset:204
	buffer_load_dword v110, off, s[0:3], 0 offset:200
	s_waitcnt vmcnt(2)
	v_fmac_f64_e32 v[102:103], v[106:107], v[108:109]
	ds_read2_b64 v[106:109], v104 offset0:75 offset1:76
	s_waitcnt vmcnt(0) lgkmcnt(0)
	v_fmac_f64_e32 v[102:103], v[110:111], v[106:107]
	;; [unrolled: 9-line block ×12, first 2 shown]
	buffer_load_dword v107, off, s[0:3], 0 offset:372
	buffer_load_dword v106, off, s[0:3], 0 offset:368
	s_waitcnt vmcnt(0)
	v_fmac_f64_e32 v[102:103], v[106:107], v[108:109]
	buffer_load_dword v109, off, s[0:3], 0 offset:380
	buffer_load_dword v108, off, s[0:3], 0 offset:376
	ds_read2_b64 v[104:107], v104 offset0:97 offset1:98
	s_waitcnt vmcnt(0) lgkmcnt(0)
	v_fmac_f64_e32 v[102:103], v[108:109], v[104:105]
	buffer_load_dword v105, off, s[0:3], 0 offset:388
	buffer_load_dword v104, off, s[0:3], 0 offset:384
	s_waitcnt vmcnt(0)
	v_fmac_f64_e32 v[102:103], v[104:105], v[106:107]
	v_add_f64 v[100:101], v[100:101], -v[102:103]
	buffer_store_dword v101, off, s[0:3], 0 offset:116
	buffer_store_dword v100, off, s[0:3], 0 offset:112
	s_and_saveexec_b64 s[4:5], vcc
	s_cbranch_execz .LBB48_275
; %bb.274:
	buffer_load_dword v100, off, s[0:3], 0 offset:104
	buffer_load_dword v101, off, s[0:3], 0 offset:108
	v_mov_b32_e32 v102, 0
	buffer_store_dword v102, off, s[0:3], 0 offset:104
	buffer_store_dword v102, off, s[0:3], 0 offset:108
	s_waitcnt vmcnt(2)
	ds_write_b64 v1, v[100:101]
.LBB48_275:
	s_or_b64 exec, exec, s[4:5]
	s_waitcnt lgkmcnt(0)
	; wave barrier
	s_waitcnt lgkmcnt(0)
	buffer_load_dword v100, off, s[0:3], 0 offset:104
	buffer_load_dword v101, off, s[0:3], 0 offset:108
	;; [unrolled: 1-line block ×16, first 2 shown]
	v_mov_b32_e32 v104, 0
	ds_read_b128 v[106:109], v104 offset:512
	ds_read_b128 v[110:113], v104 offset:528
	;; [unrolled: 1-line block ×4, first 2 shown]
	v_cmp_lt_u32_e32 vcc, 12, v0
	s_waitcnt vmcnt(12) lgkmcnt(3)
	v_fma_f64 v[102:103], v[102:103], v[106:107], 0
	buffer_load_dword v107, off, s[0:3], 0 offset:172
	buffer_load_dword v106, off, s[0:3], 0 offset:168
	s_waitcnt vmcnt(12)
	v_fmac_f64_e32 v[102:103], v[122:123], v[108:109]
	s_waitcnt vmcnt(10) lgkmcnt(2)
	v_fmac_f64_e32 v[102:103], v[124:125], v[110:111]
	buffer_load_dword v111, off, s[0:3], 0 offset:180
	buffer_load_dword v110, off, s[0:3], 0 offset:176
	s_waitcnt vmcnt(10)
	v_fmac_f64_e32 v[102:103], v[126:127], v[112:113]
	s_waitcnt vmcnt(8) lgkmcnt(1)
	v_fmac_f64_e32 v[102:103], v[128:129], v[114:115]
	s_waitcnt vmcnt(6)
	v_fmac_f64_e32 v[102:103], v[130:131], v[116:117]
	s_waitcnt vmcnt(4) lgkmcnt(0)
	v_fmac_f64_e32 v[102:103], v[132:133], v[118:119]
	s_waitcnt vmcnt(2)
	v_fmac_f64_e32 v[102:103], v[106:107], v[120:121]
	ds_read_b128 v[106:109], v104 offset:576
	s_waitcnt vmcnt(0) lgkmcnt(0)
	v_fmac_f64_e32 v[102:103], v[110:111], v[106:107]
	buffer_load_dword v107, off, s[0:3], 0 offset:188
	buffer_load_dword v106, off, s[0:3], 0 offset:184
	buffer_load_dword v111, off, s[0:3], 0 offset:196
	buffer_load_dword v110, off, s[0:3], 0 offset:192
	s_waitcnt vmcnt(2)
	v_fmac_f64_e32 v[102:103], v[106:107], v[108:109]
	ds_read_b128 v[106:109], v104 offset:592
	s_waitcnt vmcnt(0) lgkmcnt(0)
	v_fmac_f64_e32 v[102:103], v[110:111], v[106:107]
	buffer_load_dword v107, off, s[0:3], 0 offset:204
	buffer_load_dword v106, off, s[0:3], 0 offset:200
	buffer_load_dword v111, off, s[0:3], 0 offset:212
	buffer_load_dword v110, off, s[0:3], 0 offset:208
	;; [unrolled: 9-line block ×12, first 2 shown]
	s_waitcnt vmcnt(2)
	v_fmac_f64_e32 v[102:103], v[106:107], v[108:109]
	ds_read_b128 v[106:109], v104 offset:768
	s_waitcnt vmcnt(0) lgkmcnt(0)
	v_fmac_f64_e32 v[102:103], v[110:111], v[106:107]
	buffer_load_dword v107, off, s[0:3], 0 offset:380
	buffer_load_dword v106, off, s[0:3], 0 offset:376
	s_waitcnt vmcnt(0)
	v_fmac_f64_e32 v[102:103], v[106:107], v[108:109]
	buffer_load_dword v107, off, s[0:3], 0 offset:388
	buffer_load_dword v106, off, s[0:3], 0 offset:384
	ds_read_b64 v[108:109], v104 offset:784
	s_waitcnt vmcnt(0) lgkmcnt(0)
	v_fmac_f64_e32 v[102:103], v[106:107], v[108:109]
	v_add_f64 v[100:101], v[100:101], -v[102:103]
	buffer_store_dword v101, off, s[0:3], 0 offset:108
	buffer_store_dword v100, off, s[0:3], 0 offset:104
	s_and_saveexec_b64 s[4:5], vcc
	s_cbranch_execz .LBB48_277
; %bb.276:
	buffer_load_dword v100, off, s[0:3], 0 offset:96
	buffer_load_dword v101, off, s[0:3], 0 offset:100
	s_waitcnt vmcnt(0)
	ds_write_b64 v1, v[100:101]
	buffer_store_dword v104, off, s[0:3], 0 offset:96
	buffer_store_dword v104, off, s[0:3], 0 offset:100
.LBB48_277:
	s_or_b64 exec, exec, s[4:5]
	s_waitcnt lgkmcnt(0)
	; wave barrier
	s_waitcnt lgkmcnt(0)
	buffer_load_dword v100, off, s[0:3], 0 offset:96
	buffer_load_dword v101, off, s[0:3], 0 offset:100
	;; [unrolled: 1-line block ×16, first 2 shown]
	ds_read2_b64 v[106:109], v104 offset0:63 offset1:64
	v_cmp_lt_u32_e32 vcc, 11, v0
	s_waitcnt vmcnt(12) lgkmcnt(0)
	v_fma_f64 v[102:103], v[102:103], v[106:107], 0
	s_waitcnt vmcnt(10)
	v_fmac_f64_e32 v[102:103], v[110:111], v[108:109]
	ds_read2_b64 v[106:109], v104 offset0:65 offset1:66
	s_waitcnt vmcnt(8) lgkmcnt(0)
	v_fmac_f64_e32 v[102:103], v[112:113], v[106:107]
	s_waitcnt vmcnt(6)
	v_fmac_f64_e32 v[102:103], v[114:115], v[108:109]
	ds_read2_b64 v[106:109], v104 offset0:67 offset1:68
	s_waitcnt vmcnt(4) lgkmcnt(0)
	v_fmac_f64_e32 v[102:103], v[116:117], v[106:107]
	s_waitcnt vmcnt(2)
	v_fmac_f64_e32 v[102:103], v[118:119], v[108:109]
	ds_read2_b64 v[106:109], v104 offset0:69 offset1:70
	s_waitcnt vmcnt(0) lgkmcnt(0)
	v_fmac_f64_e32 v[102:103], v[120:121], v[106:107]
	buffer_load_dword v107, off, s[0:3], 0 offset:164
	buffer_load_dword v106, off, s[0:3], 0 offset:160
	buffer_load_dword v111, off, s[0:3], 0 offset:172
	buffer_load_dword v110, off, s[0:3], 0 offset:168
	s_waitcnt vmcnt(2)
	v_fmac_f64_e32 v[102:103], v[106:107], v[108:109]
	ds_read2_b64 v[106:109], v104 offset0:71 offset1:72
	s_waitcnt vmcnt(0) lgkmcnt(0)
	v_fmac_f64_e32 v[102:103], v[110:111], v[106:107]
	buffer_load_dword v107, off, s[0:3], 0 offset:180
	buffer_load_dword v106, off, s[0:3], 0 offset:176
	buffer_load_dword v111, off, s[0:3], 0 offset:188
	buffer_load_dword v110, off, s[0:3], 0 offset:184
	s_waitcnt vmcnt(2)
	v_fmac_f64_e32 v[102:103], v[106:107], v[108:109]
	ds_read2_b64 v[106:109], v104 offset0:73 offset1:74
	s_waitcnt vmcnt(0) lgkmcnt(0)
	v_fmac_f64_e32 v[102:103], v[110:111], v[106:107]
	;; [unrolled: 9-line block ×13, first 2 shown]
	buffer_load_dword v107, off, s[0:3], 0 offset:372
	buffer_load_dword v106, off, s[0:3], 0 offset:368
	s_waitcnt vmcnt(0)
	v_fmac_f64_e32 v[102:103], v[106:107], v[108:109]
	buffer_load_dword v109, off, s[0:3], 0 offset:380
	buffer_load_dword v108, off, s[0:3], 0 offset:376
	ds_read2_b64 v[104:107], v104 offset0:97 offset1:98
	s_waitcnt vmcnt(0) lgkmcnt(0)
	v_fmac_f64_e32 v[102:103], v[108:109], v[104:105]
	buffer_load_dword v105, off, s[0:3], 0 offset:388
	buffer_load_dword v104, off, s[0:3], 0 offset:384
	s_waitcnt vmcnt(0)
	v_fmac_f64_e32 v[102:103], v[104:105], v[106:107]
	v_add_f64 v[100:101], v[100:101], -v[102:103]
	buffer_store_dword v101, off, s[0:3], 0 offset:100
	buffer_store_dword v100, off, s[0:3], 0 offset:96
	s_and_saveexec_b64 s[4:5], vcc
	s_cbranch_execz .LBB48_279
; %bb.278:
	buffer_load_dword v100, off, s[0:3], 0 offset:88
	buffer_load_dword v101, off, s[0:3], 0 offset:92
	v_mov_b32_e32 v102, 0
	buffer_store_dword v102, off, s[0:3], 0 offset:88
	buffer_store_dword v102, off, s[0:3], 0 offset:92
	s_waitcnt vmcnt(2)
	ds_write_b64 v1, v[100:101]
.LBB48_279:
	s_or_b64 exec, exec, s[4:5]
	s_waitcnt lgkmcnt(0)
	; wave barrier
	s_waitcnt lgkmcnt(0)
	buffer_load_dword v100, off, s[0:3], 0 offset:88
	buffer_load_dword v101, off, s[0:3], 0 offset:92
	;; [unrolled: 1-line block ×16, first 2 shown]
	v_mov_b32_e32 v104, 0
	ds_read_b128 v[106:109], v104 offset:496
	ds_read_b128 v[110:113], v104 offset:512
	;; [unrolled: 1-line block ×4, first 2 shown]
	v_cmp_lt_u32_e32 vcc, 10, v0
	s_waitcnt vmcnt(12) lgkmcnt(3)
	v_fma_f64 v[102:103], v[102:103], v[106:107], 0
	buffer_load_dword v107, off, s[0:3], 0 offset:156
	buffer_load_dword v106, off, s[0:3], 0 offset:152
	s_waitcnt vmcnt(12)
	v_fmac_f64_e32 v[102:103], v[122:123], v[108:109]
	s_waitcnt vmcnt(10) lgkmcnt(2)
	v_fmac_f64_e32 v[102:103], v[124:125], v[110:111]
	buffer_load_dword v111, off, s[0:3], 0 offset:164
	buffer_load_dword v110, off, s[0:3], 0 offset:160
	s_waitcnt vmcnt(10)
	v_fmac_f64_e32 v[102:103], v[126:127], v[112:113]
	s_waitcnt vmcnt(8) lgkmcnt(1)
	v_fmac_f64_e32 v[102:103], v[128:129], v[114:115]
	s_waitcnt vmcnt(6)
	v_fmac_f64_e32 v[102:103], v[130:131], v[116:117]
	s_waitcnt vmcnt(4) lgkmcnt(0)
	v_fmac_f64_e32 v[102:103], v[132:133], v[118:119]
	s_waitcnt vmcnt(2)
	v_fmac_f64_e32 v[102:103], v[106:107], v[120:121]
	ds_read_b128 v[106:109], v104 offset:560
	s_waitcnt vmcnt(0) lgkmcnt(0)
	v_fmac_f64_e32 v[102:103], v[110:111], v[106:107]
	buffer_load_dword v107, off, s[0:3], 0 offset:172
	buffer_load_dword v106, off, s[0:3], 0 offset:168
	buffer_load_dword v111, off, s[0:3], 0 offset:180
	buffer_load_dword v110, off, s[0:3], 0 offset:176
	s_waitcnt vmcnt(2)
	v_fmac_f64_e32 v[102:103], v[106:107], v[108:109]
	ds_read_b128 v[106:109], v104 offset:576
	s_waitcnt vmcnt(0) lgkmcnt(0)
	v_fmac_f64_e32 v[102:103], v[110:111], v[106:107]
	buffer_load_dword v107, off, s[0:3], 0 offset:188
	buffer_load_dword v106, off, s[0:3], 0 offset:184
	buffer_load_dword v111, off, s[0:3], 0 offset:196
	buffer_load_dword v110, off, s[0:3], 0 offset:192
	;; [unrolled: 9-line block ×13, first 2 shown]
	s_waitcnt vmcnt(2)
	v_fmac_f64_e32 v[102:103], v[106:107], v[108:109]
	ds_read_b128 v[106:109], v104 offset:768
	s_waitcnt vmcnt(0) lgkmcnt(0)
	v_fmac_f64_e32 v[102:103], v[110:111], v[106:107]
	buffer_load_dword v107, off, s[0:3], 0 offset:380
	buffer_load_dword v106, off, s[0:3], 0 offset:376
	s_waitcnt vmcnt(0)
	v_fmac_f64_e32 v[102:103], v[106:107], v[108:109]
	buffer_load_dword v107, off, s[0:3], 0 offset:388
	buffer_load_dword v106, off, s[0:3], 0 offset:384
	ds_read_b64 v[108:109], v104 offset:784
	s_waitcnt vmcnt(0) lgkmcnt(0)
	v_fmac_f64_e32 v[102:103], v[106:107], v[108:109]
	v_add_f64 v[100:101], v[100:101], -v[102:103]
	buffer_store_dword v101, off, s[0:3], 0 offset:92
	buffer_store_dword v100, off, s[0:3], 0 offset:88
	s_and_saveexec_b64 s[4:5], vcc
	s_cbranch_execz .LBB48_281
; %bb.280:
	buffer_load_dword v100, off, s[0:3], 0 offset:80
	buffer_load_dword v101, off, s[0:3], 0 offset:84
	s_waitcnt vmcnt(0)
	ds_write_b64 v1, v[100:101]
	buffer_store_dword v104, off, s[0:3], 0 offset:80
	buffer_store_dword v104, off, s[0:3], 0 offset:84
.LBB48_281:
	s_or_b64 exec, exec, s[4:5]
	s_waitcnt lgkmcnt(0)
	; wave barrier
	s_waitcnt lgkmcnt(0)
	buffer_load_dword v100, off, s[0:3], 0 offset:80
	buffer_load_dword v101, off, s[0:3], 0 offset:84
	;; [unrolled: 1-line block ×16, first 2 shown]
	ds_read2_b64 v[106:109], v104 offset0:61 offset1:62
	v_cmp_lt_u32_e32 vcc, 9, v0
	s_waitcnt vmcnt(12) lgkmcnt(0)
	v_fma_f64 v[102:103], v[102:103], v[106:107], 0
	s_waitcnt vmcnt(10)
	v_fmac_f64_e32 v[102:103], v[110:111], v[108:109]
	ds_read2_b64 v[106:109], v104 offset0:63 offset1:64
	s_waitcnt vmcnt(8) lgkmcnt(0)
	v_fmac_f64_e32 v[102:103], v[112:113], v[106:107]
	s_waitcnt vmcnt(6)
	v_fmac_f64_e32 v[102:103], v[114:115], v[108:109]
	ds_read2_b64 v[106:109], v104 offset0:65 offset1:66
	s_waitcnt vmcnt(4) lgkmcnt(0)
	v_fmac_f64_e32 v[102:103], v[116:117], v[106:107]
	;; [unrolled: 5-line block ×3, first 2 shown]
	buffer_load_dword v107, off, s[0:3], 0 offset:148
	buffer_load_dword v106, off, s[0:3], 0 offset:144
	buffer_load_dword v111, off, s[0:3], 0 offset:156
	buffer_load_dword v110, off, s[0:3], 0 offset:152
	s_waitcnt vmcnt(2)
	v_fmac_f64_e32 v[102:103], v[106:107], v[108:109]
	ds_read2_b64 v[106:109], v104 offset0:69 offset1:70
	s_waitcnt vmcnt(0) lgkmcnt(0)
	v_fmac_f64_e32 v[102:103], v[110:111], v[106:107]
	buffer_load_dword v107, off, s[0:3], 0 offset:164
	buffer_load_dword v106, off, s[0:3], 0 offset:160
	buffer_load_dword v111, off, s[0:3], 0 offset:172
	buffer_load_dword v110, off, s[0:3], 0 offset:168
	s_waitcnt vmcnt(2)
	v_fmac_f64_e32 v[102:103], v[106:107], v[108:109]
	ds_read2_b64 v[106:109], v104 offset0:71 offset1:72
	s_waitcnt vmcnt(0) lgkmcnt(0)
	v_fmac_f64_e32 v[102:103], v[110:111], v[106:107]
	;; [unrolled: 9-line block ×14, first 2 shown]
	buffer_load_dword v107, off, s[0:3], 0 offset:372
	buffer_load_dword v106, off, s[0:3], 0 offset:368
	s_waitcnt vmcnt(0)
	v_fmac_f64_e32 v[102:103], v[106:107], v[108:109]
	buffer_load_dword v109, off, s[0:3], 0 offset:380
	buffer_load_dword v108, off, s[0:3], 0 offset:376
	ds_read2_b64 v[104:107], v104 offset0:97 offset1:98
	s_waitcnt vmcnt(0) lgkmcnt(0)
	v_fmac_f64_e32 v[102:103], v[108:109], v[104:105]
	buffer_load_dword v105, off, s[0:3], 0 offset:388
	buffer_load_dword v104, off, s[0:3], 0 offset:384
	s_waitcnt vmcnt(0)
	v_fmac_f64_e32 v[102:103], v[104:105], v[106:107]
	v_add_f64 v[100:101], v[100:101], -v[102:103]
	buffer_store_dword v101, off, s[0:3], 0 offset:84
	buffer_store_dword v100, off, s[0:3], 0 offset:80
	s_and_saveexec_b64 s[4:5], vcc
	s_cbranch_execz .LBB48_283
; %bb.282:
	buffer_load_dword v100, off, s[0:3], 0 offset:72
	buffer_load_dword v101, off, s[0:3], 0 offset:76
	v_mov_b32_e32 v102, 0
	buffer_store_dword v102, off, s[0:3], 0 offset:72
	buffer_store_dword v102, off, s[0:3], 0 offset:76
	s_waitcnt vmcnt(2)
	ds_write_b64 v1, v[100:101]
.LBB48_283:
	s_or_b64 exec, exec, s[4:5]
	s_waitcnt lgkmcnt(0)
	; wave barrier
	s_waitcnt lgkmcnt(0)
	buffer_load_dword v100, off, s[0:3], 0 offset:72
	buffer_load_dword v101, off, s[0:3], 0 offset:76
	;; [unrolled: 1-line block ×16, first 2 shown]
	v_mov_b32_e32 v104, 0
	ds_read_b128 v[106:109], v104 offset:480
	ds_read_b128 v[110:113], v104 offset:496
	ds_read_b128 v[114:117], v104 offset:512
	ds_read_b128 v[118:121], v104 offset:528
	v_cmp_lt_u32_e32 vcc, 8, v0
	s_waitcnt vmcnt(12) lgkmcnt(3)
	v_fma_f64 v[102:103], v[102:103], v[106:107], 0
	buffer_load_dword v107, off, s[0:3], 0 offset:140
	buffer_load_dword v106, off, s[0:3], 0 offset:136
	s_waitcnt vmcnt(12)
	v_fmac_f64_e32 v[102:103], v[122:123], v[108:109]
	s_waitcnt vmcnt(10) lgkmcnt(2)
	v_fmac_f64_e32 v[102:103], v[124:125], v[110:111]
	buffer_load_dword v111, off, s[0:3], 0 offset:148
	buffer_load_dword v110, off, s[0:3], 0 offset:144
	s_waitcnt vmcnt(10)
	v_fmac_f64_e32 v[102:103], v[126:127], v[112:113]
	s_waitcnt vmcnt(8) lgkmcnt(1)
	v_fmac_f64_e32 v[102:103], v[128:129], v[114:115]
	s_waitcnt vmcnt(6)
	v_fmac_f64_e32 v[102:103], v[130:131], v[116:117]
	s_waitcnt vmcnt(4) lgkmcnt(0)
	v_fmac_f64_e32 v[102:103], v[132:133], v[118:119]
	s_waitcnt vmcnt(2)
	v_fmac_f64_e32 v[102:103], v[106:107], v[120:121]
	ds_read_b128 v[106:109], v104 offset:544
	s_waitcnt vmcnt(0) lgkmcnt(0)
	v_fmac_f64_e32 v[102:103], v[110:111], v[106:107]
	buffer_load_dword v107, off, s[0:3], 0 offset:156
	buffer_load_dword v106, off, s[0:3], 0 offset:152
	buffer_load_dword v111, off, s[0:3], 0 offset:164
	buffer_load_dword v110, off, s[0:3], 0 offset:160
	s_waitcnt vmcnt(2)
	v_fmac_f64_e32 v[102:103], v[106:107], v[108:109]
	ds_read_b128 v[106:109], v104 offset:560
	s_waitcnt vmcnt(0) lgkmcnt(0)
	v_fmac_f64_e32 v[102:103], v[110:111], v[106:107]
	buffer_load_dword v107, off, s[0:3], 0 offset:172
	buffer_load_dword v106, off, s[0:3], 0 offset:168
	buffer_load_dword v111, off, s[0:3], 0 offset:180
	buffer_load_dword v110, off, s[0:3], 0 offset:176
	;; [unrolled: 9-line block ×14, first 2 shown]
	s_waitcnt vmcnt(2)
	v_fmac_f64_e32 v[102:103], v[106:107], v[108:109]
	ds_read_b128 v[106:109], v104 offset:768
	s_waitcnt vmcnt(0) lgkmcnt(0)
	v_fmac_f64_e32 v[102:103], v[110:111], v[106:107]
	buffer_load_dword v107, off, s[0:3], 0 offset:380
	buffer_load_dword v106, off, s[0:3], 0 offset:376
	s_waitcnt vmcnt(0)
	v_fmac_f64_e32 v[102:103], v[106:107], v[108:109]
	buffer_load_dword v107, off, s[0:3], 0 offset:388
	buffer_load_dword v106, off, s[0:3], 0 offset:384
	ds_read_b64 v[108:109], v104 offset:784
	s_waitcnt vmcnt(0) lgkmcnt(0)
	v_fmac_f64_e32 v[102:103], v[106:107], v[108:109]
	v_add_f64 v[100:101], v[100:101], -v[102:103]
	buffer_store_dword v101, off, s[0:3], 0 offset:76
	buffer_store_dword v100, off, s[0:3], 0 offset:72
	s_and_saveexec_b64 s[4:5], vcc
	s_cbranch_execz .LBB48_285
; %bb.284:
	buffer_load_dword v100, off, s[0:3], 0 offset:64
	buffer_load_dword v101, off, s[0:3], 0 offset:68
	s_waitcnt vmcnt(0)
	ds_write_b64 v1, v[100:101]
	buffer_store_dword v104, off, s[0:3], 0 offset:64
	buffer_store_dword v104, off, s[0:3], 0 offset:68
.LBB48_285:
	s_or_b64 exec, exec, s[4:5]
	s_waitcnt lgkmcnt(0)
	; wave barrier
	s_waitcnt lgkmcnt(0)
	buffer_load_dword v100, off, s[0:3], 0 offset:64
	buffer_load_dword v101, off, s[0:3], 0 offset:68
	;; [unrolled: 1-line block ×16, first 2 shown]
	ds_read2_b64 v[106:109], v104 offset0:59 offset1:60
	v_cmp_lt_u32_e32 vcc, 7, v0
	s_waitcnt vmcnt(12) lgkmcnt(0)
	v_fma_f64 v[102:103], v[102:103], v[106:107], 0
	s_waitcnt vmcnt(10)
	v_fmac_f64_e32 v[102:103], v[110:111], v[108:109]
	ds_read2_b64 v[106:109], v104 offset0:61 offset1:62
	s_waitcnt vmcnt(8) lgkmcnt(0)
	v_fmac_f64_e32 v[102:103], v[112:113], v[106:107]
	s_waitcnt vmcnt(6)
	v_fmac_f64_e32 v[102:103], v[114:115], v[108:109]
	ds_read2_b64 v[106:109], v104 offset0:63 offset1:64
	s_waitcnt vmcnt(4) lgkmcnt(0)
	v_fmac_f64_e32 v[102:103], v[116:117], v[106:107]
	;; [unrolled: 5-line block ×3, first 2 shown]
	buffer_load_dword v107, off, s[0:3], 0 offset:132
	buffer_load_dword v106, off, s[0:3], 0 offset:128
	buffer_load_dword v111, off, s[0:3], 0 offset:140
	buffer_load_dword v110, off, s[0:3], 0 offset:136
	s_waitcnt vmcnt(2)
	v_fmac_f64_e32 v[102:103], v[106:107], v[108:109]
	ds_read2_b64 v[106:109], v104 offset0:67 offset1:68
	s_waitcnt vmcnt(0) lgkmcnt(0)
	v_fmac_f64_e32 v[102:103], v[110:111], v[106:107]
	buffer_load_dword v107, off, s[0:3], 0 offset:148
	buffer_load_dword v106, off, s[0:3], 0 offset:144
	buffer_load_dword v111, off, s[0:3], 0 offset:156
	buffer_load_dword v110, off, s[0:3], 0 offset:152
	s_waitcnt vmcnt(2)
	v_fmac_f64_e32 v[102:103], v[106:107], v[108:109]
	ds_read2_b64 v[106:109], v104 offset0:69 offset1:70
	s_waitcnt vmcnt(0) lgkmcnt(0)
	v_fmac_f64_e32 v[102:103], v[110:111], v[106:107]
	;; [unrolled: 9-line block ×15, first 2 shown]
	buffer_load_dword v107, off, s[0:3], 0 offset:372
	buffer_load_dword v106, off, s[0:3], 0 offset:368
	s_waitcnt vmcnt(0)
	v_fmac_f64_e32 v[102:103], v[106:107], v[108:109]
	buffer_load_dword v109, off, s[0:3], 0 offset:380
	buffer_load_dword v108, off, s[0:3], 0 offset:376
	ds_read2_b64 v[104:107], v104 offset0:97 offset1:98
	s_waitcnt vmcnt(0) lgkmcnt(0)
	v_fmac_f64_e32 v[102:103], v[108:109], v[104:105]
	buffer_load_dword v105, off, s[0:3], 0 offset:388
	buffer_load_dword v104, off, s[0:3], 0 offset:384
	s_waitcnt vmcnt(0)
	v_fmac_f64_e32 v[102:103], v[104:105], v[106:107]
	v_add_f64 v[100:101], v[100:101], -v[102:103]
	buffer_store_dword v101, off, s[0:3], 0 offset:68
	buffer_store_dword v100, off, s[0:3], 0 offset:64
	s_and_saveexec_b64 s[4:5], vcc
	s_cbranch_execz .LBB48_287
; %bb.286:
	buffer_load_dword v100, off, s[0:3], 0 offset:56
	buffer_load_dword v101, off, s[0:3], 0 offset:60
	v_mov_b32_e32 v102, 0
	buffer_store_dword v102, off, s[0:3], 0 offset:56
	buffer_store_dword v102, off, s[0:3], 0 offset:60
	s_waitcnt vmcnt(2)
	ds_write_b64 v1, v[100:101]
.LBB48_287:
	s_or_b64 exec, exec, s[4:5]
	s_waitcnt lgkmcnt(0)
	; wave barrier
	s_waitcnt lgkmcnt(0)
	buffer_load_dword v100, off, s[0:3], 0 offset:56
	buffer_load_dword v101, off, s[0:3], 0 offset:60
	;; [unrolled: 1-line block ×16, first 2 shown]
	v_mov_b32_e32 v104, 0
	ds_read_b128 v[106:109], v104 offset:464
	ds_read_b128 v[110:113], v104 offset:480
	;; [unrolled: 1-line block ×4, first 2 shown]
	v_cmp_lt_u32_e32 vcc, 6, v0
	s_waitcnt vmcnt(12) lgkmcnt(3)
	v_fma_f64 v[102:103], v[102:103], v[106:107], 0
	buffer_load_dword v107, off, s[0:3], 0 offset:124
	buffer_load_dword v106, off, s[0:3], 0 offset:120
	s_waitcnt vmcnt(12)
	v_fmac_f64_e32 v[102:103], v[122:123], v[108:109]
	s_waitcnt vmcnt(10) lgkmcnt(2)
	v_fmac_f64_e32 v[102:103], v[124:125], v[110:111]
	buffer_load_dword v111, off, s[0:3], 0 offset:132
	buffer_load_dword v110, off, s[0:3], 0 offset:128
	s_waitcnt vmcnt(10)
	v_fmac_f64_e32 v[102:103], v[126:127], v[112:113]
	s_waitcnt vmcnt(8) lgkmcnt(1)
	v_fmac_f64_e32 v[102:103], v[128:129], v[114:115]
	s_waitcnt vmcnt(6)
	v_fmac_f64_e32 v[102:103], v[130:131], v[116:117]
	s_waitcnt vmcnt(4) lgkmcnt(0)
	v_fmac_f64_e32 v[102:103], v[132:133], v[118:119]
	s_waitcnt vmcnt(2)
	v_fmac_f64_e32 v[102:103], v[106:107], v[120:121]
	ds_read_b128 v[106:109], v104 offset:528
	s_waitcnt vmcnt(0) lgkmcnt(0)
	v_fmac_f64_e32 v[102:103], v[110:111], v[106:107]
	buffer_load_dword v107, off, s[0:3], 0 offset:140
	buffer_load_dword v106, off, s[0:3], 0 offset:136
	buffer_load_dword v111, off, s[0:3], 0 offset:148
	buffer_load_dword v110, off, s[0:3], 0 offset:144
	s_waitcnt vmcnt(2)
	v_fmac_f64_e32 v[102:103], v[106:107], v[108:109]
	ds_read_b128 v[106:109], v104 offset:544
	s_waitcnt vmcnt(0) lgkmcnt(0)
	v_fmac_f64_e32 v[102:103], v[110:111], v[106:107]
	buffer_load_dword v107, off, s[0:3], 0 offset:156
	buffer_load_dword v106, off, s[0:3], 0 offset:152
	buffer_load_dword v111, off, s[0:3], 0 offset:164
	buffer_load_dword v110, off, s[0:3], 0 offset:160
	;; [unrolled: 9-line block ×15, first 2 shown]
	s_waitcnt vmcnt(2)
	v_fmac_f64_e32 v[102:103], v[106:107], v[108:109]
	ds_read_b128 v[106:109], v104 offset:768
	s_waitcnt vmcnt(0) lgkmcnt(0)
	v_fmac_f64_e32 v[102:103], v[110:111], v[106:107]
	buffer_load_dword v107, off, s[0:3], 0 offset:380
	buffer_load_dword v106, off, s[0:3], 0 offset:376
	s_waitcnt vmcnt(0)
	v_fmac_f64_e32 v[102:103], v[106:107], v[108:109]
	buffer_load_dword v107, off, s[0:3], 0 offset:388
	buffer_load_dword v106, off, s[0:3], 0 offset:384
	ds_read_b64 v[108:109], v104 offset:784
	s_waitcnt vmcnt(0) lgkmcnt(0)
	v_fmac_f64_e32 v[102:103], v[106:107], v[108:109]
	v_add_f64 v[100:101], v[100:101], -v[102:103]
	buffer_store_dword v101, off, s[0:3], 0 offset:60
	buffer_store_dword v100, off, s[0:3], 0 offset:56
	s_and_saveexec_b64 s[4:5], vcc
	s_cbranch_execz .LBB48_289
; %bb.288:
	buffer_load_dword v100, off, s[0:3], 0 offset:48
	buffer_load_dword v101, off, s[0:3], 0 offset:52
	s_waitcnt vmcnt(0)
	ds_write_b64 v1, v[100:101]
	buffer_store_dword v104, off, s[0:3], 0 offset:48
	buffer_store_dword v104, off, s[0:3], 0 offset:52
.LBB48_289:
	s_or_b64 exec, exec, s[4:5]
	s_waitcnt lgkmcnt(0)
	; wave barrier
	s_waitcnt lgkmcnt(0)
	buffer_load_dword v100, off, s[0:3], 0 offset:48
	buffer_load_dword v101, off, s[0:3], 0 offset:52
	;; [unrolled: 1-line block ×16, first 2 shown]
	ds_read2_b64 v[106:109], v104 offset0:57 offset1:58
	v_cmp_lt_u32_e32 vcc, 5, v0
	s_waitcnt vmcnt(12) lgkmcnt(0)
	v_fma_f64 v[102:103], v[102:103], v[106:107], 0
	s_waitcnt vmcnt(10)
	v_fmac_f64_e32 v[102:103], v[110:111], v[108:109]
	ds_read2_b64 v[106:109], v104 offset0:59 offset1:60
	s_waitcnt vmcnt(8) lgkmcnt(0)
	v_fmac_f64_e32 v[102:103], v[112:113], v[106:107]
	s_waitcnt vmcnt(6)
	v_fmac_f64_e32 v[102:103], v[114:115], v[108:109]
	ds_read2_b64 v[106:109], v104 offset0:61 offset1:62
	s_waitcnt vmcnt(4) lgkmcnt(0)
	v_fmac_f64_e32 v[102:103], v[116:117], v[106:107]
	;; [unrolled: 5-line block ×3, first 2 shown]
	buffer_load_dword v107, off, s[0:3], 0 offset:116
	buffer_load_dword v106, off, s[0:3], 0 offset:112
	buffer_load_dword v111, off, s[0:3], 0 offset:124
	buffer_load_dword v110, off, s[0:3], 0 offset:120
	s_waitcnt vmcnt(2)
	v_fmac_f64_e32 v[102:103], v[106:107], v[108:109]
	ds_read2_b64 v[106:109], v104 offset0:65 offset1:66
	s_waitcnt vmcnt(0) lgkmcnt(0)
	v_fmac_f64_e32 v[102:103], v[110:111], v[106:107]
	buffer_load_dword v107, off, s[0:3], 0 offset:132
	buffer_load_dword v106, off, s[0:3], 0 offset:128
	buffer_load_dword v111, off, s[0:3], 0 offset:140
	buffer_load_dword v110, off, s[0:3], 0 offset:136
	s_waitcnt vmcnt(2)
	v_fmac_f64_e32 v[102:103], v[106:107], v[108:109]
	ds_read2_b64 v[106:109], v104 offset0:67 offset1:68
	s_waitcnt vmcnt(0) lgkmcnt(0)
	v_fmac_f64_e32 v[102:103], v[110:111], v[106:107]
	buffer_load_dword v107, off, s[0:3], 0 offset:148
	buffer_load_dword v106, off, s[0:3], 0 offset:144
	buffer_load_dword v111, off, s[0:3], 0 offset:156
	buffer_load_dword v110, off, s[0:3], 0 offset:152
	s_waitcnt vmcnt(2)
	v_fmac_f64_e32 v[102:103], v[106:107], v[108:109]
	ds_read2_b64 v[106:109], v104 offset0:69 offset1:70
	s_waitcnt vmcnt(0) lgkmcnt(0)
	v_fmac_f64_e32 v[102:103], v[110:111], v[106:107]
	buffer_load_dword v107, off, s[0:3], 0 offset:164
	buffer_load_dword v106, off, s[0:3], 0 offset:160
	buffer_load_dword v111, off, s[0:3], 0 offset:172
	buffer_load_dword v110, off, s[0:3], 0 offset:168
	s_waitcnt vmcnt(2)
	v_fmac_f64_e32 v[102:103], v[106:107], v[108:109]
	ds_read2_b64 v[106:109], v104 offset0:71 offset1:72
	s_waitcnt vmcnt(0) lgkmcnt(0)
	v_fmac_f64_e32 v[102:103], v[110:111], v[106:107]
	buffer_load_dword v107, off, s[0:3], 0 offset:180
	buffer_load_dword v106, off, s[0:3], 0 offset:176
	buffer_load_dword v111, off, s[0:3], 0 offset:188
	buffer_load_dword v110, off, s[0:3], 0 offset:184
	s_waitcnt vmcnt(2)
	v_fmac_f64_e32 v[102:103], v[106:107], v[108:109]
	ds_read2_b64 v[106:109], v104 offset0:73 offset1:74
	s_waitcnt vmcnt(0) lgkmcnt(0)
	v_fmac_f64_e32 v[102:103], v[110:111], v[106:107]
	buffer_load_dword v107, off, s[0:3], 0 offset:196
	buffer_load_dword v106, off, s[0:3], 0 offset:192
	buffer_load_dword v111, off, s[0:3], 0 offset:204
	buffer_load_dword v110, off, s[0:3], 0 offset:200
	s_waitcnt vmcnt(2)
	v_fmac_f64_e32 v[102:103], v[106:107], v[108:109]
	ds_read2_b64 v[106:109], v104 offset0:75 offset1:76
	s_waitcnt vmcnt(0) lgkmcnt(0)
	v_fmac_f64_e32 v[102:103], v[110:111], v[106:107]
	buffer_load_dword v107, off, s[0:3], 0 offset:212
	buffer_load_dword v106, off, s[0:3], 0 offset:208
	buffer_load_dword v111, off, s[0:3], 0 offset:220
	buffer_load_dword v110, off, s[0:3], 0 offset:216
	s_waitcnt vmcnt(2)
	v_fmac_f64_e32 v[102:103], v[106:107], v[108:109]
	ds_read2_b64 v[106:109], v104 offset0:77 offset1:78
	s_waitcnt vmcnt(0) lgkmcnt(0)
	v_fmac_f64_e32 v[102:103], v[110:111], v[106:107]
	buffer_load_dword v107, off, s[0:3], 0 offset:228
	buffer_load_dword v106, off, s[0:3], 0 offset:224
	buffer_load_dword v111, off, s[0:3], 0 offset:236
	buffer_load_dword v110, off, s[0:3], 0 offset:232
	s_waitcnt vmcnt(2)
	v_fmac_f64_e32 v[102:103], v[106:107], v[108:109]
	ds_read2_b64 v[106:109], v104 offset0:79 offset1:80
	s_waitcnt vmcnt(0) lgkmcnt(0)
	v_fmac_f64_e32 v[102:103], v[110:111], v[106:107]
	buffer_load_dword v107, off, s[0:3], 0 offset:244
	buffer_load_dword v106, off, s[0:3], 0 offset:240
	buffer_load_dword v111, off, s[0:3], 0 offset:252
	buffer_load_dword v110, off, s[0:3], 0 offset:248
	s_waitcnt vmcnt(2)
	v_fmac_f64_e32 v[102:103], v[106:107], v[108:109]
	ds_read2_b64 v[106:109], v104 offset0:81 offset1:82
	s_waitcnt vmcnt(0) lgkmcnt(0)
	v_fmac_f64_e32 v[102:103], v[110:111], v[106:107]
	buffer_load_dword v107, off, s[0:3], 0 offset:260
	buffer_load_dword v106, off, s[0:3], 0 offset:256
	buffer_load_dword v111, off, s[0:3], 0 offset:268
	buffer_load_dword v110, off, s[0:3], 0 offset:264
	s_waitcnt vmcnt(2)
	v_fmac_f64_e32 v[102:103], v[106:107], v[108:109]
	ds_read2_b64 v[106:109], v104 offset0:83 offset1:84
	s_waitcnt vmcnt(0) lgkmcnt(0)
	v_fmac_f64_e32 v[102:103], v[110:111], v[106:107]
	buffer_load_dword v107, off, s[0:3], 0 offset:276
	buffer_load_dword v106, off, s[0:3], 0 offset:272
	buffer_load_dword v111, off, s[0:3], 0 offset:284
	buffer_load_dword v110, off, s[0:3], 0 offset:280
	s_waitcnt vmcnt(2)
	v_fmac_f64_e32 v[102:103], v[106:107], v[108:109]
	ds_read2_b64 v[106:109], v104 offset0:85 offset1:86
	s_waitcnt vmcnt(0) lgkmcnt(0)
	v_fmac_f64_e32 v[102:103], v[110:111], v[106:107]
	buffer_load_dword v107, off, s[0:3], 0 offset:292
	buffer_load_dword v106, off, s[0:3], 0 offset:288
	buffer_load_dword v111, off, s[0:3], 0 offset:300
	buffer_load_dword v110, off, s[0:3], 0 offset:296
	s_waitcnt vmcnt(2)
	v_fmac_f64_e32 v[102:103], v[106:107], v[108:109]
	ds_read2_b64 v[106:109], v104 offset0:87 offset1:88
	s_waitcnt vmcnt(0) lgkmcnt(0)
	v_fmac_f64_e32 v[102:103], v[110:111], v[106:107]
	buffer_load_dword v107, off, s[0:3], 0 offset:308
	buffer_load_dword v106, off, s[0:3], 0 offset:304
	buffer_load_dword v111, off, s[0:3], 0 offset:316
	buffer_load_dword v110, off, s[0:3], 0 offset:312
	s_waitcnt vmcnt(2)
	v_fmac_f64_e32 v[102:103], v[106:107], v[108:109]
	ds_read2_b64 v[106:109], v104 offset0:89 offset1:90
	s_waitcnt vmcnt(0) lgkmcnt(0)
	v_fmac_f64_e32 v[102:103], v[110:111], v[106:107]
	buffer_load_dword v107, off, s[0:3], 0 offset:324
	buffer_load_dword v106, off, s[0:3], 0 offset:320
	buffer_load_dword v111, off, s[0:3], 0 offset:332
	buffer_load_dword v110, off, s[0:3], 0 offset:328
	s_waitcnt vmcnt(2)
	v_fmac_f64_e32 v[102:103], v[106:107], v[108:109]
	ds_read2_b64 v[106:109], v104 offset0:91 offset1:92
	s_waitcnt vmcnt(0) lgkmcnt(0)
	v_fmac_f64_e32 v[102:103], v[110:111], v[106:107]
	buffer_load_dword v107, off, s[0:3], 0 offset:340
	buffer_load_dword v106, off, s[0:3], 0 offset:336
	buffer_load_dword v111, off, s[0:3], 0 offset:348
	buffer_load_dword v110, off, s[0:3], 0 offset:344
	s_waitcnt vmcnt(2)
	v_fmac_f64_e32 v[102:103], v[106:107], v[108:109]
	ds_read2_b64 v[106:109], v104 offset0:93 offset1:94
	s_waitcnt vmcnt(0) lgkmcnt(0)
	v_fmac_f64_e32 v[102:103], v[110:111], v[106:107]
	buffer_load_dword v107, off, s[0:3], 0 offset:356
	buffer_load_dword v106, off, s[0:3], 0 offset:352
	buffer_load_dword v111, off, s[0:3], 0 offset:364
	buffer_load_dword v110, off, s[0:3], 0 offset:360
	s_waitcnt vmcnt(2)
	v_fmac_f64_e32 v[102:103], v[106:107], v[108:109]
	ds_read2_b64 v[106:109], v104 offset0:95 offset1:96
	s_waitcnt vmcnt(0) lgkmcnt(0)
	v_fmac_f64_e32 v[102:103], v[110:111], v[106:107]
	buffer_load_dword v107, off, s[0:3], 0 offset:372
	buffer_load_dword v106, off, s[0:3], 0 offset:368
	s_waitcnt vmcnt(0)
	v_fmac_f64_e32 v[102:103], v[106:107], v[108:109]
	buffer_load_dword v109, off, s[0:3], 0 offset:380
	buffer_load_dword v108, off, s[0:3], 0 offset:376
	ds_read2_b64 v[104:107], v104 offset0:97 offset1:98
	s_waitcnt vmcnt(0) lgkmcnt(0)
	v_fmac_f64_e32 v[102:103], v[108:109], v[104:105]
	buffer_load_dword v105, off, s[0:3], 0 offset:388
	buffer_load_dword v104, off, s[0:3], 0 offset:384
	s_waitcnt vmcnt(0)
	v_fmac_f64_e32 v[102:103], v[104:105], v[106:107]
	v_add_f64 v[100:101], v[100:101], -v[102:103]
	buffer_store_dword v101, off, s[0:3], 0 offset:52
	buffer_store_dword v100, off, s[0:3], 0 offset:48
	s_and_saveexec_b64 s[4:5], vcc
	s_cbranch_execz .LBB48_291
; %bb.290:
	buffer_load_dword v100, off, s[0:3], 0 offset:40
	buffer_load_dword v101, off, s[0:3], 0 offset:44
	v_mov_b32_e32 v102, 0
	buffer_store_dword v102, off, s[0:3], 0 offset:40
	buffer_store_dword v102, off, s[0:3], 0 offset:44
	s_waitcnt vmcnt(2)
	ds_write_b64 v1, v[100:101]
.LBB48_291:
	s_or_b64 exec, exec, s[4:5]
	s_waitcnt lgkmcnt(0)
	; wave barrier
	s_waitcnt lgkmcnt(0)
	buffer_load_dword v100, off, s[0:3], 0 offset:40
	buffer_load_dword v101, off, s[0:3], 0 offset:44
	;; [unrolled: 1-line block ×16, first 2 shown]
	v_mov_b32_e32 v104, 0
	ds_read_b128 v[106:109], v104 offset:448
	ds_read_b128 v[110:113], v104 offset:464
	;; [unrolled: 1-line block ×4, first 2 shown]
	v_cmp_lt_u32_e32 vcc, 4, v0
	s_waitcnt vmcnt(12) lgkmcnt(3)
	v_fma_f64 v[102:103], v[102:103], v[106:107], 0
	buffer_load_dword v107, off, s[0:3], 0 offset:108
	buffer_load_dword v106, off, s[0:3], 0 offset:104
	s_waitcnt vmcnt(12)
	v_fmac_f64_e32 v[102:103], v[122:123], v[108:109]
	s_waitcnt vmcnt(10) lgkmcnt(2)
	v_fmac_f64_e32 v[102:103], v[124:125], v[110:111]
	buffer_load_dword v111, off, s[0:3], 0 offset:116
	buffer_load_dword v110, off, s[0:3], 0 offset:112
	s_waitcnt vmcnt(10)
	v_fmac_f64_e32 v[102:103], v[126:127], v[112:113]
	s_waitcnt vmcnt(8) lgkmcnt(1)
	v_fmac_f64_e32 v[102:103], v[128:129], v[114:115]
	s_waitcnt vmcnt(6)
	v_fmac_f64_e32 v[102:103], v[130:131], v[116:117]
	s_waitcnt vmcnt(4) lgkmcnt(0)
	v_fmac_f64_e32 v[102:103], v[132:133], v[118:119]
	s_waitcnt vmcnt(2)
	v_fmac_f64_e32 v[102:103], v[106:107], v[120:121]
	ds_read_b128 v[106:109], v104 offset:512
	s_waitcnt vmcnt(0) lgkmcnt(0)
	v_fmac_f64_e32 v[102:103], v[110:111], v[106:107]
	buffer_load_dword v107, off, s[0:3], 0 offset:124
	buffer_load_dword v106, off, s[0:3], 0 offset:120
	buffer_load_dword v111, off, s[0:3], 0 offset:132
	buffer_load_dword v110, off, s[0:3], 0 offset:128
	s_waitcnt vmcnt(2)
	v_fmac_f64_e32 v[102:103], v[106:107], v[108:109]
	ds_read_b128 v[106:109], v104 offset:528
	s_waitcnt vmcnt(0) lgkmcnt(0)
	v_fmac_f64_e32 v[102:103], v[110:111], v[106:107]
	buffer_load_dword v107, off, s[0:3], 0 offset:140
	buffer_load_dword v106, off, s[0:3], 0 offset:136
	buffer_load_dword v111, off, s[0:3], 0 offset:148
	buffer_load_dword v110, off, s[0:3], 0 offset:144
	;; [unrolled: 9-line block ×16, first 2 shown]
	s_waitcnt vmcnt(2)
	v_fmac_f64_e32 v[102:103], v[106:107], v[108:109]
	ds_read_b128 v[106:109], v104 offset:768
	s_waitcnt vmcnt(0) lgkmcnt(0)
	v_fmac_f64_e32 v[102:103], v[110:111], v[106:107]
	buffer_load_dword v107, off, s[0:3], 0 offset:380
	buffer_load_dword v106, off, s[0:3], 0 offset:376
	s_waitcnt vmcnt(0)
	v_fmac_f64_e32 v[102:103], v[106:107], v[108:109]
	buffer_load_dword v107, off, s[0:3], 0 offset:388
	buffer_load_dword v106, off, s[0:3], 0 offset:384
	ds_read_b64 v[108:109], v104 offset:784
	s_waitcnt vmcnt(0) lgkmcnt(0)
	v_fmac_f64_e32 v[102:103], v[106:107], v[108:109]
	v_add_f64 v[100:101], v[100:101], -v[102:103]
	buffer_store_dword v101, off, s[0:3], 0 offset:44
	buffer_store_dword v100, off, s[0:3], 0 offset:40
	s_and_saveexec_b64 s[4:5], vcc
	s_cbranch_execz .LBB48_293
; %bb.292:
	buffer_load_dword v100, off, s[0:3], 0 offset:32
	buffer_load_dword v101, off, s[0:3], 0 offset:36
	s_waitcnt vmcnt(0)
	ds_write_b64 v1, v[100:101]
	buffer_store_dword v104, off, s[0:3], 0 offset:32
	buffer_store_dword v104, off, s[0:3], 0 offset:36
.LBB48_293:
	s_or_b64 exec, exec, s[4:5]
	s_waitcnt lgkmcnt(0)
	; wave barrier
	s_waitcnt lgkmcnt(0)
	buffer_load_dword v100, off, s[0:3], 0 offset:32
	buffer_load_dword v101, off, s[0:3], 0 offset:36
	;; [unrolled: 1-line block ×16, first 2 shown]
	ds_read2_b64 v[106:109], v104 offset0:55 offset1:56
	v_cmp_lt_u32_e32 vcc, 3, v0
	s_waitcnt vmcnt(12) lgkmcnt(0)
	v_fma_f64 v[102:103], v[102:103], v[106:107], 0
	s_waitcnt vmcnt(10)
	v_fmac_f64_e32 v[102:103], v[110:111], v[108:109]
	ds_read2_b64 v[106:109], v104 offset0:57 offset1:58
	s_waitcnt vmcnt(8) lgkmcnt(0)
	v_fmac_f64_e32 v[102:103], v[112:113], v[106:107]
	s_waitcnt vmcnt(6)
	v_fmac_f64_e32 v[102:103], v[114:115], v[108:109]
	ds_read2_b64 v[106:109], v104 offset0:59 offset1:60
	s_waitcnt vmcnt(4) lgkmcnt(0)
	v_fmac_f64_e32 v[102:103], v[116:117], v[106:107]
	;; [unrolled: 5-line block ×3, first 2 shown]
	buffer_load_dword v107, off, s[0:3], 0 offset:100
	buffer_load_dword v106, off, s[0:3], 0 offset:96
	buffer_load_dword v111, off, s[0:3], 0 offset:108
	buffer_load_dword v110, off, s[0:3], 0 offset:104
	s_waitcnt vmcnt(2)
	v_fmac_f64_e32 v[102:103], v[106:107], v[108:109]
	ds_read2_b64 v[106:109], v104 offset0:63 offset1:64
	s_waitcnt vmcnt(0) lgkmcnt(0)
	v_fmac_f64_e32 v[102:103], v[110:111], v[106:107]
	buffer_load_dword v107, off, s[0:3], 0 offset:116
	buffer_load_dword v106, off, s[0:3], 0 offset:112
	buffer_load_dword v111, off, s[0:3], 0 offset:124
	buffer_load_dword v110, off, s[0:3], 0 offset:120
	s_waitcnt vmcnt(2)
	v_fmac_f64_e32 v[102:103], v[106:107], v[108:109]
	ds_read2_b64 v[106:109], v104 offset0:65 offset1:66
	s_waitcnt vmcnt(0) lgkmcnt(0)
	v_fmac_f64_e32 v[102:103], v[110:111], v[106:107]
	buffer_load_dword v107, off, s[0:3], 0 offset:132
	buffer_load_dword v106, off, s[0:3], 0 offset:128
	buffer_load_dword v111, off, s[0:3], 0 offset:140
	buffer_load_dword v110, off, s[0:3], 0 offset:136
	s_waitcnt vmcnt(2)
	v_fmac_f64_e32 v[102:103], v[106:107], v[108:109]
	ds_read2_b64 v[106:109], v104 offset0:67 offset1:68
	s_waitcnt vmcnt(0) lgkmcnt(0)
	v_fmac_f64_e32 v[102:103], v[110:111], v[106:107]
	buffer_load_dword v107, off, s[0:3], 0 offset:148
	buffer_load_dword v106, off, s[0:3], 0 offset:144
	buffer_load_dword v111, off, s[0:3], 0 offset:156
	buffer_load_dword v110, off, s[0:3], 0 offset:152
	s_waitcnt vmcnt(2)
	v_fmac_f64_e32 v[102:103], v[106:107], v[108:109]
	ds_read2_b64 v[106:109], v104 offset0:69 offset1:70
	s_waitcnt vmcnt(0) lgkmcnt(0)
	v_fmac_f64_e32 v[102:103], v[110:111], v[106:107]
	buffer_load_dword v107, off, s[0:3], 0 offset:164
	buffer_load_dword v106, off, s[0:3], 0 offset:160
	buffer_load_dword v111, off, s[0:3], 0 offset:172
	buffer_load_dword v110, off, s[0:3], 0 offset:168
	s_waitcnt vmcnt(2)
	v_fmac_f64_e32 v[102:103], v[106:107], v[108:109]
	ds_read2_b64 v[106:109], v104 offset0:71 offset1:72
	s_waitcnt vmcnt(0) lgkmcnt(0)
	v_fmac_f64_e32 v[102:103], v[110:111], v[106:107]
	buffer_load_dword v107, off, s[0:3], 0 offset:180
	buffer_load_dword v106, off, s[0:3], 0 offset:176
	buffer_load_dword v111, off, s[0:3], 0 offset:188
	buffer_load_dword v110, off, s[0:3], 0 offset:184
	s_waitcnt vmcnt(2)
	v_fmac_f64_e32 v[102:103], v[106:107], v[108:109]
	ds_read2_b64 v[106:109], v104 offset0:73 offset1:74
	s_waitcnt vmcnt(0) lgkmcnt(0)
	v_fmac_f64_e32 v[102:103], v[110:111], v[106:107]
	buffer_load_dword v107, off, s[0:3], 0 offset:196
	buffer_load_dword v106, off, s[0:3], 0 offset:192
	buffer_load_dword v111, off, s[0:3], 0 offset:204
	buffer_load_dword v110, off, s[0:3], 0 offset:200
	s_waitcnt vmcnt(2)
	v_fmac_f64_e32 v[102:103], v[106:107], v[108:109]
	ds_read2_b64 v[106:109], v104 offset0:75 offset1:76
	s_waitcnt vmcnt(0) lgkmcnt(0)
	v_fmac_f64_e32 v[102:103], v[110:111], v[106:107]
	buffer_load_dword v107, off, s[0:3], 0 offset:212
	buffer_load_dword v106, off, s[0:3], 0 offset:208
	buffer_load_dword v111, off, s[0:3], 0 offset:220
	buffer_load_dword v110, off, s[0:3], 0 offset:216
	s_waitcnt vmcnt(2)
	v_fmac_f64_e32 v[102:103], v[106:107], v[108:109]
	ds_read2_b64 v[106:109], v104 offset0:77 offset1:78
	s_waitcnt vmcnt(0) lgkmcnt(0)
	v_fmac_f64_e32 v[102:103], v[110:111], v[106:107]
	buffer_load_dword v107, off, s[0:3], 0 offset:228
	buffer_load_dword v106, off, s[0:3], 0 offset:224
	buffer_load_dword v111, off, s[0:3], 0 offset:236
	buffer_load_dword v110, off, s[0:3], 0 offset:232
	s_waitcnt vmcnt(2)
	v_fmac_f64_e32 v[102:103], v[106:107], v[108:109]
	ds_read2_b64 v[106:109], v104 offset0:79 offset1:80
	s_waitcnt vmcnt(0) lgkmcnt(0)
	v_fmac_f64_e32 v[102:103], v[110:111], v[106:107]
	buffer_load_dword v107, off, s[0:3], 0 offset:244
	buffer_load_dword v106, off, s[0:3], 0 offset:240
	buffer_load_dword v111, off, s[0:3], 0 offset:252
	buffer_load_dword v110, off, s[0:3], 0 offset:248
	s_waitcnt vmcnt(2)
	v_fmac_f64_e32 v[102:103], v[106:107], v[108:109]
	ds_read2_b64 v[106:109], v104 offset0:81 offset1:82
	s_waitcnt vmcnt(0) lgkmcnt(0)
	v_fmac_f64_e32 v[102:103], v[110:111], v[106:107]
	buffer_load_dword v107, off, s[0:3], 0 offset:260
	buffer_load_dword v106, off, s[0:3], 0 offset:256
	buffer_load_dword v111, off, s[0:3], 0 offset:268
	buffer_load_dword v110, off, s[0:3], 0 offset:264
	s_waitcnt vmcnt(2)
	v_fmac_f64_e32 v[102:103], v[106:107], v[108:109]
	ds_read2_b64 v[106:109], v104 offset0:83 offset1:84
	s_waitcnt vmcnt(0) lgkmcnt(0)
	v_fmac_f64_e32 v[102:103], v[110:111], v[106:107]
	buffer_load_dword v107, off, s[0:3], 0 offset:276
	buffer_load_dword v106, off, s[0:3], 0 offset:272
	buffer_load_dword v111, off, s[0:3], 0 offset:284
	buffer_load_dword v110, off, s[0:3], 0 offset:280
	s_waitcnt vmcnt(2)
	v_fmac_f64_e32 v[102:103], v[106:107], v[108:109]
	ds_read2_b64 v[106:109], v104 offset0:85 offset1:86
	s_waitcnt vmcnt(0) lgkmcnt(0)
	v_fmac_f64_e32 v[102:103], v[110:111], v[106:107]
	buffer_load_dword v107, off, s[0:3], 0 offset:292
	buffer_load_dword v106, off, s[0:3], 0 offset:288
	buffer_load_dword v111, off, s[0:3], 0 offset:300
	buffer_load_dword v110, off, s[0:3], 0 offset:296
	s_waitcnt vmcnt(2)
	v_fmac_f64_e32 v[102:103], v[106:107], v[108:109]
	ds_read2_b64 v[106:109], v104 offset0:87 offset1:88
	s_waitcnt vmcnt(0) lgkmcnt(0)
	v_fmac_f64_e32 v[102:103], v[110:111], v[106:107]
	buffer_load_dword v107, off, s[0:3], 0 offset:308
	buffer_load_dword v106, off, s[0:3], 0 offset:304
	buffer_load_dword v111, off, s[0:3], 0 offset:316
	buffer_load_dword v110, off, s[0:3], 0 offset:312
	s_waitcnt vmcnt(2)
	v_fmac_f64_e32 v[102:103], v[106:107], v[108:109]
	ds_read2_b64 v[106:109], v104 offset0:89 offset1:90
	s_waitcnt vmcnt(0) lgkmcnt(0)
	v_fmac_f64_e32 v[102:103], v[110:111], v[106:107]
	buffer_load_dword v107, off, s[0:3], 0 offset:324
	buffer_load_dword v106, off, s[0:3], 0 offset:320
	buffer_load_dword v111, off, s[0:3], 0 offset:332
	buffer_load_dword v110, off, s[0:3], 0 offset:328
	s_waitcnt vmcnt(2)
	v_fmac_f64_e32 v[102:103], v[106:107], v[108:109]
	ds_read2_b64 v[106:109], v104 offset0:91 offset1:92
	s_waitcnt vmcnt(0) lgkmcnt(0)
	v_fmac_f64_e32 v[102:103], v[110:111], v[106:107]
	buffer_load_dword v107, off, s[0:3], 0 offset:340
	buffer_load_dword v106, off, s[0:3], 0 offset:336
	buffer_load_dword v111, off, s[0:3], 0 offset:348
	buffer_load_dword v110, off, s[0:3], 0 offset:344
	s_waitcnt vmcnt(2)
	v_fmac_f64_e32 v[102:103], v[106:107], v[108:109]
	ds_read2_b64 v[106:109], v104 offset0:93 offset1:94
	s_waitcnt vmcnt(0) lgkmcnt(0)
	v_fmac_f64_e32 v[102:103], v[110:111], v[106:107]
	buffer_load_dword v107, off, s[0:3], 0 offset:356
	buffer_load_dword v106, off, s[0:3], 0 offset:352
	buffer_load_dword v111, off, s[0:3], 0 offset:364
	buffer_load_dword v110, off, s[0:3], 0 offset:360
	s_waitcnt vmcnt(2)
	v_fmac_f64_e32 v[102:103], v[106:107], v[108:109]
	ds_read2_b64 v[106:109], v104 offset0:95 offset1:96
	s_waitcnt vmcnt(0) lgkmcnt(0)
	v_fmac_f64_e32 v[102:103], v[110:111], v[106:107]
	buffer_load_dword v107, off, s[0:3], 0 offset:372
	buffer_load_dword v106, off, s[0:3], 0 offset:368
	s_waitcnt vmcnt(0)
	v_fmac_f64_e32 v[102:103], v[106:107], v[108:109]
	buffer_load_dword v109, off, s[0:3], 0 offset:380
	buffer_load_dword v108, off, s[0:3], 0 offset:376
	ds_read2_b64 v[104:107], v104 offset0:97 offset1:98
	s_waitcnt vmcnt(0) lgkmcnt(0)
	v_fmac_f64_e32 v[102:103], v[108:109], v[104:105]
	buffer_load_dword v105, off, s[0:3], 0 offset:388
	buffer_load_dword v104, off, s[0:3], 0 offset:384
	s_waitcnt vmcnt(0)
	v_fmac_f64_e32 v[102:103], v[104:105], v[106:107]
	v_add_f64 v[100:101], v[100:101], -v[102:103]
	buffer_store_dword v101, off, s[0:3], 0 offset:36
	buffer_store_dword v100, off, s[0:3], 0 offset:32
	s_and_saveexec_b64 s[4:5], vcc
	s_cbranch_execz .LBB48_295
; %bb.294:
	buffer_load_dword v100, off, s[0:3], 0 offset:24
	buffer_load_dword v101, off, s[0:3], 0 offset:28
	v_mov_b32_e32 v102, 0
	buffer_store_dword v102, off, s[0:3], 0 offset:24
	buffer_store_dword v102, off, s[0:3], 0 offset:28
	s_waitcnt vmcnt(2)
	ds_write_b64 v1, v[100:101]
.LBB48_295:
	s_or_b64 exec, exec, s[4:5]
	s_waitcnt lgkmcnt(0)
	; wave barrier
	s_waitcnt lgkmcnt(0)
	buffer_load_dword v100, off, s[0:3], 0 offset:24
	buffer_load_dword v101, off, s[0:3], 0 offset:28
	;; [unrolled: 1-line block ×16, first 2 shown]
	v_mov_b32_e32 v104, 0
	ds_read_b128 v[106:109], v104 offset:432
	ds_read_b128 v[110:113], v104 offset:448
	;; [unrolled: 1-line block ×4, first 2 shown]
	v_cmp_lt_u32_e32 vcc, 2, v0
	s_waitcnt vmcnt(12) lgkmcnt(3)
	v_fma_f64 v[102:103], v[102:103], v[106:107], 0
	buffer_load_dword v107, off, s[0:3], 0 offset:92
	buffer_load_dword v106, off, s[0:3], 0 offset:88
	s_waitcnt vmcnt(12)
	v_fmac_f64_e32 v[102:103], v[122:123], v[108:109]
	s_waitcnt vmcnt(10) lgkmcnt(2)
	v_fmac_f64_e32 v[102:103], v[124:125], v[110:111]
	buffer_load_dword v111, off, s[0:3], 0 offset:100
	buffer_load_dword v110, off, s[0:3], 0 offset:96
	s_waitcnt vmcnt(10)
	v_fmac_f64_e32 v[102:103], v[126:127], v[112:113]
	s_waitcnt vmcnt(8) lgkmcnt(1)
	v_fmac_f64_e32 v[102:103], v[128:129], v[114:115]
	s_waitcnt vmcnt(6)
	v_fmac_f64_e32 v[102:103], v[130:131], v[116:117]
	s_waitcnt vmcnt(4) lgkmcnt(0)
	v_fmac_f64_e32 v[102:103], v[132:133], v[118:119]
	s_waitcnt vmcnt(2)
	v_fmac_f64_e32 v[102:103], v[106:107], v[120:121]
	ds_read_b128 v[106:109], v104 offset:496
	s_waitcnt vmcnt(0) lgkmcnt(0)
	v_fmac_f64_e32 v[102:103], v[110:111], v[106:107]
	buffer_load_dword v107, off, s[0:3], 0 offset:108
	buffer_load_dword v106, off, s[0:3], 0 offset:104
	buffer_load_dword v111, off, s[0:3], 0 offset:116
	buffer_load_dword v110, off, s[0:3], 0 offset:112
	s_waitcnt vmcnt(2)
	v_fmac_f64_e32 v[102:103], v[106:107], v[108:109]
	ds_read_b128 v[106:109], v104 offset:512
	s_waitcnt vmcnt(0) lgkmcnt(0)
	v_fmac_f64_e32 v[102:103], v[110:111], v[106:107]
	buffer_load_dword v107, off, s[0:3], 0 offset:124
	buffer_load_dword v106, off, s[0:3], 0 offset:120
	buffer_load_dword v111, off, s[0:3], 0 offset:132
	buffer_load_dword v110, off, s[0:3], 0 offset:128
	;; [unrolled: 9-line block ×17, first 2 shown]
	s_waitcnt vmcnt(2)
	v_fmac_f64_e32 v[102:103], v[106:107], v[108:109]
	ds_read_b128 v[106:109], v104 offset:768
	s_waitcnt vmcnt(0) lgkmcnt(0)
	v_fmac_f64_e32 v[102:103], v[110:111], v[106:107]
	buffer_load_dword v107, off, s[0:3], 0 offset:380
	buffer_load_dword v106, off, s[0:3], 0 offset:376
	s_waitcnt vmcnt(0)
	v_fmac_f64_e32 v[102:103], v[106:107], v[108:109]
	buffer_load_dword v107, off, s[0:3], 0 offset:388
	buffer_load_dword v106, off, s[0:3], 0 offset:384
	ds_read_b64 v[108:109], v104 offset:784
	s_waitcnt vmcnt(0) lgkmcnt(0)
	v_fmac_f64_e32 v[102:103], v[106:107], v[108:109]
	v_add_f64 v[100:101], v[100:101], -v[102:103]
	buffer_store_dword v101, off, s[0:3], 0 offset:28
	buffer_store_dword v100, off, s[0:3], 0 offset:24
	s_and_saveexec_b64 s[4:5], vcc
	s_cbranch_execz .LBB48_297
; %bb.296:
	buffer_load_dword v100, off, s[0:3], 0 offset:16
	buffer_load_dword v101, off, s[0:3], 0 offset:20
	s_waitcnt vmcnt(0)
	ds_write_b64 v1, v[100:101]
	buffer_store_dword v104, off, s[0:3], 0 offset:16
	buffer_store_dword v104, off, s[0:3], 0 offset:20
.LBB48_297:
	s_or_b64 exec, exec, s[4:5]
	s_waitcnt lgkmcnt(0)
	; wave barrier
	s_waitcnt lgkmcnt(0)
	buffer_load_dword v100, off, s[0:3], 0 offset:16
	buffer_load_dword v101, off, s[0:3], 0 offset:20
	;; [unrolled: 1-line block ×16, first 2 shown]
	ds_read2_b64 v[106:109], v104 offset0:53 offset1:54
	v_cmp_lt_u32_e32 vcc, 1, v0
	s_waitcnt vmcnt(12) lgkmcnt(0)
	v_fma_f64 v[102:103], v[102:103], v[106:107], 0
	s_waitcnt vmcnt(10)
	v_fmac_f64_e32 v[102:103], v[110:111], v[108:109]
	ds_read2_b64 v[106:109], v104 offset0:55 offset1:56
	s_waitcnt vmcnt(8) lgkmcnt(0)
	v_fmac_f64_e32 v[102:103], v[112:113], v[106:107]
	s_waitcnt vmcnt(6)
	v_fmac_f64_e32 v[102:103], v[114:115], v[108:109]
	ds_read2_b64 v[106:109], v104 offset0:57 offset1:58
	s_waitcnt vmcnt(4) lgkmcnt(0)
	v_fmac_f64_e32 v[102:103], v[116:117], v[106:107]
	;; [unrolled: 5-line block ×3, first 2 shown]
	buffer_load_dword v107, off, s[0:3], 0 offset:84
	buffer_load_dword v106, off, s[0:3], 0 offset:80
	buffer_load_dword v111, off, s[0:3], 0 offset:92
	buffer_load_dword v110, off, s[0:3], 0 offset:88
	s_waitcnt vmcnt(2)
	v_fmac_f64_e32 v[102:103], v[106:107], v[108:109]
	ds_read2_b64 v[106:109], v104 offset0:61 offset1:62
	s_waitcnt vmcnt(0) lgkmcnt(0)
	v_fmac_f64_e32 v[102:103], v[110:111], v[106:107]
	buffer_load_dword v107, off, s[0:3], 0 offset:100
	buffer_load_dword v106, off, s[0:3], 0 offset:96
	buffer_load_dword v111, off, s[0:3], 0 offset:108
	buffer_load_dword v110, off, s[0:3], 0 offset:104
	s_waitcnt vmcnt(2)
	v_fmac_f64_e32 v[102:103], v[106:107], v[108:109]
	ds_read2_b64 v[106:109], v104 offset0:63 offset1:64
	s_waitcnt vmcnt(0) lgkmcnt(0)
	v_fmac_f64_e32 v[102:103], v[110:111], v[106:107]
	;; [unrolled: 9-line block ×18, first 2 shown]
	buffer_load_dword v107, off, s[0:3], 0 offset:372
	buffer_load_dword v106, off, s[0:3], 0 offset:368
	s_waitcnt vmcnt(0)
	v_fmac_f64_e32 v[102:103], v[106:107], v[108:109]
	buffer_load_dword v109, off, s[0:3], 0 offset:380
	buffer_load_dword v108, off, s[0:3], 0 offset:376
	ds_read2_b64 v[104:107], v104 offset0:97 offset1:98
	s_waitcnt vmcnt(0) lgkmcnt(0)
	v_fmac_f64_e32 v[102:103], v[108:109], v[104:105]
	buffer_load_dword v105, off, s[0:3], 0 offset:388
	buffer_load_dword v104, off, s[0:3], 0 offset:384
	s_waitcnt vmcnt(0)
	v_fmac_f64_e32 v[102:103], v[104:105], v[106:107]
	v_add_f64 v[100:101], v[100:101], -v[102:103]
	buffer_store_dword v101, off, s[0:3], 0 offset:20
	buffer_store_dword v100, off, s[0:3], 0 offset:16
	s_and_saveexec_b64 s[4:5], vcc
	s_cbranch_execz .LBB48_299
; %bb.298:
	buffer_load_dword v100, off, s[0:3], 0 offset:8
	buffer_load_dword v101, off, s[0:3], 0 offset:12
	v_mov_b32_e32 v102, 0
	buffer_store_dword v102, off, s[0:3], 0 offset:8
	buffer_store_dword v102, off, s[0:3], 0 offset:12
	s_waitcnt vmcnt(2)
	ds_write_b64 v1, v[100:101]
.LBB48_299:
	s_or_b64 exec, exec, s[4:5]
	s_waitcnt lgkmcnt(0)
	; wave barrier
	s_waitcnt lgkmcnt(0)
	buffer_load_dword v100, off, s[0:3], 0 offset:8
	buffer_load_dword v101, off, s[0:3], 0 offset:12
	;; [unrolled: 1-line block ×16, first 2 shown]
	v_mov_b32_e32 v104, 0
	ds_read_b128 v[106:109], v104 offset:416
	ds_read_b128 v[110:113], v104 offset:432
	ds_read_b128 v[114:117], v104 offset:448
	ds_read_b128 v[118:121], v104 offset:464
	v_cmp_ne_u32_e32 vcc, 0, v0
	s_waitcnt vmcnt(12) lgkmcnt(3)
	v_fma_f64 v[102:103], v[102:103], v[106:107], 0
	buffer_load_dword v107, off, s[0:3], 0 offset:76
	buffer_load_dword v106, off, s[0:3], 0 offset:72
	s_waitcnt vmcnt(12)
	v_fmac_f64_e32 v[102:103], v[122:123], v[108:109]
	s_waitcnt vmcnt(10) lgkmcnt(2)
	v_fmac_f64_e32 v[102:103], v[124:125], v[110:111]
	buffer_load_dword v111, off, s[0:3], 0 offset:84
	buffer_load_dword v110, off, s[0:3], 0 offset:80
	s_waitcnt vmcnt(10)
	v_fmac_f64_e32 v[102:103], v[126:127], v[112:113]
	s_waitcnt vmcnt(8) lgkmcnt(1)
	v_fmac_f64_e32 v[102:103], v[128:129], v[114:115]
	s_waitcnt vmcnt(6)
	v_fmac_f64_e32 v[102:103], v[130:131], v[116:117]
	s_waitcnt vmcnt(4) lgkmcnt(0)
	v_fmac_f64_e32 v[102:103], v[132:133], v[118:119]
	s_waitcnt vmcnt(2)
	v_fmac_f64_e32 v[102:103], v[106:107], v[120:121]
	ds_read_b128 v[106:109], v104 offset:480
	s_waitcnt vmcnt(0) lgkmcnt(0)
	v_fmac_f64_e32 v[102:103], v[110:111], v[106:107]
	buffer_load_dword v107, off, s[0:3], 0 offset:92
	buffer_load_dword v106, off, s[0:3], 0 offset:88
	buffer_load_dword v111, off, s[0:3], 0 offset:100
	buffer_load_dword v110, off, s[0:3], 0 offset:96
	s_waitcnt vmcnt(2)
	v_fmac_f64_e32 v[102:103], v[106:107], v[108:109]
	ds_read_b128 v[106:109], v104 offset:496
	s_waitcnt vmcnt(0) lgkmcnt(0)
	v_fmac_f64_e32 v[102:103], v[110:111], v[106:107]
	buffer_load_dword v107, off, s[0:3], 0 offset:108
	buffer_load_dword v106, off, s[0:3], 0 offset:104
	buffer_load_dword v111, off, s[0:3], 0 offset:116
	buffer_load_dword v110, off, s[0:3], 0 offset:112
	;; [unrolled: 9-line block ×18, first 2 shown]
	s_waitcnt vmcnt(2)
	v_fmac_f64_e32 v[102:103], v[106:107], v[108:109]
	ds_read_b128 v[106:109], v104 offset:768
	s_waitcnt vmcnt(0) lgkmcnt(0)
	v_fmac_f64_e32 v[102:103], v[110:111], v[106:107]
	buffer_load_dword v107, off, s[0:3], 0 offset:380
	buffer_load_dword v106, off, s[0:3], 0 offset:376
	s_waitcnt vmcnt(0)
	v_fmac_f64_e32 v[102:103], v[106:107], v[108:109]
	buffer_load_dword v107, off, s[0:3], 0 offset:388
	buffer_load_dword v106, off, s[0:3], 0 offset:384
	ds_read_b64 v[108:109], v104 offset:784
	s_waitcnt vmcnt(0) lgkmcnt(0)
	v_fmac_f64_e32 v[102:103], v[106:107], v[108:109]
	v_add_f64 v[100:101], v[100:101], -v[102:103]
	buffer_store_dword v101, off, s[0:3], 0 offset:12
	buffer_store_dword v100, off, s[0:3], 0 offset:8
	s_and_saveexec_b64 s[4:5], vcc
	s_cbranch_execz .LBB48_301
; %bb.300:
	buffer_load_dword v100, off, s[0:3], 0
	buffer_load_dword v101, off, s[0:3], 0 offset:4
	s_waitcnt vmcnt(0)
	ds_write_b64 v1, v[100:101]
	buffer_store_dword v104, off, s[0:3], 0
	buffer_store_dword v104, off, s[0:3], 0 offset:4
.LBB48_301:
	s_or_b64 exec, exec, s[4:5]
	s_waitcnt lgkmcnt(0)
	; wave barrier
	s_waitcnt lgkmcnt(0)
	buffer_load_dword v0, off, s[0:3], 0
	buffer_load_dword v1, off, s[0:3], 0 offset:4
	buffer_load_dword v106, off, s[0:3], 0 offset:8
	;; [unrolled: 1-line block ×15, first 2 shown]
	ds_read2_b64 v[100:103], v104 offset0:51 offset1:52
	s_and_b64 vcc, exec, s[20:21]
	s_waitcnt vmcnt(12) lgkmcnt(0)
	v_fma_f64 v[100:101], v[106:107], v[100:101], 0
	s_waitcnt vmcnt(10)
	v_fmac_f64_e32 v[100:101], v[108:109], v[102:103]
	ds_read2_b64 v[106:109], v104 offset0:53 offset1:54
	s_waitcnt vmcnt(8) lgkmcnt(0)
	v_fmac_f64_e32 v[100:101], v[110:111], v[106:107]
	s_waitcnt vmcnt(6)
	v_fmac_f64_e32 v[100:101], v[112:113], v[108:109]
	ds_read2_b64 v[106:109], v104 offset0:55 offset1:56
	s_waitcnt vmcnt(4) lgkmcnt(0)
	v_fmac_f64_e32 v[100:101], v[114:115], v[106:107]
	s_waitcnt vmcnt(2)
	v_fmac_f64_e32 v[100:101], v[116:117], v[108:109]
	ds_read2_b64 v[106:109], v104 offset0:57 offset1:58
	buffer_load_dword v103, off, s[0:3], 0 offset:68
	buffer_load_dword v102, off, s[0:3], 0 offset:64
	s_waitcnt vmcnt(2) lgkmcnt(0)
	v_fmac_f64_e32 v[100:101], v[118:119], v[106:107]
	s_waitcnt vmcnt(0)
	v_fmac_f64_e32 v[100:101], v[102:103], v[108:109]
	buffer_load_dword v103, off, s[0:3], 0 offset:76
	buffer_load_dword v102, off, s[0:3], 0 offset:72
	ds_read2_b64 v[106:109], v104 offset0:59 offset1:60
	s_waitcnt vmcnt(0) lgkmcnt(0)
	v_fmac_f64_e32 v[100:101], v[102:103], v[106:107]
	buffer_load_dword v103, off, s[0:3], 0 offset:84
	buffer_load_dword v102, off, s[0:3], 0 offset:80
	s_waitcnt vmcnt(0)
	v_fmac_f64_e32 v[100:101], v[102:103], v[108:109]
	buffer_load_dword v103, off, s[0:3], 0 offset:92
	buffer_load_dword v102, off, s[0:3], 0 offset:88
	ds_read2_b64 v[106:109], v104 offset0:61 offset1:62
	s_waitcnt vmcnt(0) lgkmcnt(0)
	v_fmac_f64_e32 v[100:101], v[102:103], v[106:107]
	buffer_load_dword v103, off, s[0:3], 0 offset:100
	buffer_load_dword v102, off, s[0:3], 0 offset:96
	;; [unrolled: 9-line block ×20, first 2 shown]
	s_waitcnt vmcnt(0)
	v_fmac_f64_e32 v[100:101], v[104:105], v[106:107]
	v_add_f64 v[0:1], v[0:1], -v[100:101]
	buffer_store_dword v1, off, s[0:3], 0 offset:4
	buffer_store_dword v0, off, s[0:3], 0
	s_cbranch_vccz .LBB48_399
; %bb.302:
	v_pk_mov_b32 v[0:1], s[10:11], s[10:11] op_sel:[0,1]
	flat_load_dword v0, v[0:1] offset:188
	s_waitcnt vmcnt(0) lgkmcnt(0)
	v_add_u32_e32 v0, -1, v0
	v_cmp_ne_u32_e32 vcc, 47, v0
	s_and_saveexec_b64 s[4:5], vcc
	s_cbranch_execz .LBB48_304
; %bb.303:
	v_mov_b32_e32 v1, 0
	v_lshl_add_u32 v0, v0, 3, v1
	buffer_load_dword v1, v0, s[0:3], 0 offen
	buffer_load_dword v100, v0, s[0:3], 0 offen offset:4
	s_waitcnt vmcnt(1)
	buffer_store_dword v1, off, s[0:3], 0 offset:376
	s_waitcnt vmcnt(1)
	buffer_store_dword v100, off, s[0:3], 0 offset:380
	buffer_store_dword v102, v0, s[0:3], 0 offen
	buffer_store_dword v103, v0, s[0:3], 0 offen offset:4
.LBB48_304:
	s_or_b64 exec, exec, s[4:5]
	v_pk_mov_b32 v[0:1], s[10:11], s[10:11] op_sel:[0,1]
	flat_load_dword v0, v[0:1] offset:184
	s_waitcnt vmcnt(0) lgkmcnt(0)
	v_add_u32_e32 v0, -1, v0
	v_cmp_ne_u32_e32 vcc, 46, v0
	s_and_saveexec_b64 s[4:5], vcc
	s_cbranch_execz .LBB48_306
; %bb.305:
	v_mov_b32_e32 v1, 0
	v_lshl_add_u32 v0, v0, 3, v1
	buffer_load_dword v1, v0, s[0:3], 0 offen
	buffer_load_dword v100, v0, s[0:3], 0 offen offset:4
	buffer_load_dword v101, off, s[0:3], 0 offset:372
	buffer_load_dword v102, off, s[0:3], 0 offset:368
	s_waitcnt vmcnt(3)
	buffer_store_dword v1, off, s[0:3], 0 offset:368
	s_waitcnt vmcnt(3)
	buffer_store_dword v100, off, s[0:3], 0 offset:372
	s_waitcnt vmcnt(3)
	buffer_store_dword v101, v0, s[0:3], 0 offen offset:4
	s_waitcnt vmcnt(3)
	buffer_store_dword v102, v0, s[0:3], 0 offen
.LBB48_306:
	s_or_b64 exec, exec, s[4:5]
	v_pk_mov_b32 v[0:1], s[10:11], s[10:11] op_sel:[0,1]
	flat_load_dword v0, v[0:1] offset:180
	s_waitcnt vmcnt(0) lgkmcnt(0)
	v_add_u32_e32 v0, -1, v0
	v_cmp_ne_u32_e32 vcc, 45, v0
	s_and_saveexec_b64 s[4:5], vcc
	s_cbranch_execz .LBB48_308
; %bb.307:
	v_mov_b32_e32 v1, 0
	v_lshl_add_u32 v0, v0, 3, v1
	buffer_load_dword v1, v0, s[0:3], 0 offen
	buffer_load_dword v100, v0, s[0:3], 0 offen offset:4
	buffer_load_dword v101, off, s[0:3], 0 offset:360
	buffer_load_dword v102, off, s[0:3], 0 offset:364
	s_waitcnt vmcnt(3)
	buffer_store_dword v1, off, s[0:3], 0 offset:360
	s_waitcnt vmcnt(3)
	buffer_store_dword v100, off, s[0:3], 0 offset:364
	s_waitcnt vmcnt(3)
	buffer_store_dword v101, v0, s[0:3], 0 offen
	s_waitcnt vmcnt(3)
	buffer_store_dword v102, v0, s[0:3], 0 offen offset:4
.LBB48_308:
	s_or_b64 exec, exec, s[4:5]
	v_pk_mov_b32 v[0:1], s[10:11], s[10:11] op_sel:[0,1]
	flat_load_dword v0, v[0:1] offset:176
	s_waitcnt vmcnt(0) lgkmcnt(0)
	v_add_u32_e32 v0, -1, v0
	v_cmp_ne_u32_e32 vcc, 44, v0
	s_and_saveexec_b64 s[4:5], vcc
	s_cbranch_execz .LBB48_310
; %bb.309:
	v_mov_b32_e32 v1, 0
	v_lshl_add_u32 v0, v0, 3, v1
	buffer_load_dword v1, v0, s[0:3], 0 offen
	buffer_load_dword v100, v0, s[0:3], 0 offen offset:4
	buffer_load_dword v101, off, s[0:3], 0 offset:356
	buffer_load_dword v102, off, s[0:3], 0 offset:352
	s_waitcnt vmcnt(3)
	buffer_store_dword v1, off, s[0:3], 0 offset:352
	s_waitcnt vmcnt(3)
	buffer_store_dword v100, off, s[0:3], 0 offset:356
	s_waitcnt vmcnt(3)
	buffer_store_dword v101, v0, s[0:3], 0 offen offset:4
	s_waitcnt vmcnt(3)
	buffer_store_dword v102, v0, s[0:3], 0 offen
.LBB48_310:
	s_or_b64 exec, exec, s[4:5]
	v_pk_mov_b32 v[0:1], s[10:11], s[10:11] op_sel:[0,1]
	flat_load_dword v0, v[0:1] offset:172
	s_waitcnt vmcnt(0) lgkmcnt(0)
	v_add_u32_e32 v0, -1, v0
	v_cmp_ne_u32_e32 vcc, 43, v0
	s_and_saveexec_b64 s[4:5], vcc
	s_cbranch_execz .LBB48_312
; %bb.311:
	v_mov_b32_e32 v1, 0
	v_lshl_add_u32 v0, v0, 3, v1
	buffer_load_dword v1, v0, s[0:3], 0 offen
	buffer_load_dword v100, v0, s[0:3], 0 offen offset:4
	buffer_load_dword v101, off, s[0:3], 0 offset:344
	buffer_load_dword v102, off, s[0:3], 0 offset:348
	s_waitcnt vmcnt(3)
	buffer_store_dword v1, off, s[0:3], 0 offset:344
	s_waitcnt vmcnt(3)
	buffer_store_dword v100, off, s[0:3], 0 offset:348
	s_waitcnt vmcnt(3)
	buffer_store_dword v101, v0, s[0:3], 0 offen
	s_waitcnt vmcnt(3)
	buffer_store_dword v102, v0, s[0:3], 0 offen offset:4
.LBB48_312:
	;; [unrolled: 48-line block ×23, first 2 shown]
	s_or_b64 exec, exec, s[4:5]
	v_pk_mov_b32 v[0:1], s[10:11], s[10:11] op_sel:[0,1]
	flat_load_dword v100, v[0:1]
	s_nop 0
	buffer_load_dword v0, off, s[0:3], 0
	buffer_load_dword v1, off, s[0:3], 0 offset:4
	s_waitcnt vmcnt(0) lgkmcnt(0)
	v_add_u32_e32 v100, -1, v100
	v_cmp_ne_u32_e32 vcc, 0, v100
	s_and_saveexec_b64 s[4:5], vcc
	s_cbranch_execz .LBB48_398
; %bb.397:
	v_mov_b32_e32 v101, 0
	v_lshl_add_u32 v100, v100, 3, v101
	buffer_load_dword v101, v100, s[0:3], 0 offen offset:4
	buffer_load_dword v102, v100, s[0:3], 0 offen
	s_waitcnt vmcnt(1)
	buffer_store_dword v101, off, s[0:3], 0 offset:4
	s_waitcnt vmcnt(1)
	buffer_store_dword v102, off, s[0:3], 0
	buffer_store_dword v1, v100, s[0:3], 0 offen offset:4
	buffer_store_dword v0, v100, s[0:3], 0 offen
	buffer_load_dword v0, off, s[0:3], 0
	s_nop 0
	buffer_load_dword v1, off, s[0:3], 0 offset:4
.LBB48_398:
	s_or_b64 exec, exec, s[4:5]
.LBB48_399:
	s_waitcnt vmcnt(0)
	global_store_dwordx2 v[98:99], v[0:1], off
	buffer_load_dword v0, off, s[0:3], 0 offset:8
	s_nop 0
	buffer_load_dword v1, off, s[0:3], 0 offset:12
	buffer_load_dword v98, off, s[0:3], 0 offset:16
	;; [unrolled: 1-line block ×15, first 2 shown]
	s_waitcnt vmcnt(14)
	global_store_dwordx2 v[96:97], v[0:1], off
	s_waitcnt vmcnt(13)
	global_store_dwordx2 v[2:3], v[98:99], off
	;; [unrolled: 2-line block ×8, first 2 shown]
	buffer_load_dword v0, off, s[0:3], 0 offset:72
	buffer_load_dword v1, off, s[0:3], 0 offset:76
	s_waitcnt vmcnt(0)
	global_store_dwordx2 v[14:15], v[0:1], off
	buffer_load_dword v0, off, s[0:3], 0 offset:80
	s_nop 0
	buffer_load_dword v1, off, s[0:3], 0 offset:84
	s_waitcnt vmcnt(0)
	global_store_dwordx2 v[16:17], v[0:1], off
	buffer_load_dword v0, off, s[0:3], 0 offset:88
	s_nop 0
	;; [unrolled: 5-line block ×39, first 2 shown]
	buffer_load_dword v1, off, s[0:3], 0 offset:388
	s_waitcnt vmcnt(0)
	global_store_dwordx2 v[80:81], v[0:1], off
	s_endpgm
	.section	.rodata,"a",@progbits
	.p2align	6, 0x0
	.amdhsa_kernel _ZN9rocsolver6v33100L18getri_kernel_smallILi49EdPdEEvT1_iilPiilS4_bb
		.amdhsa_group_segment_fixed_size 792
		.amdhsa_private_segment_fixed_size 400
		.amdhsa_kernarg_size 60
		.amdhsa_user_sgpr_count 8
		.amdhsa_user_sgpr_private_segment_buffer 1
		.amdhsa_user_sgpr_dispatch_ptr 0
		.amdhsa_user_sgpr_queue_ptr 0
		.amdhsa_user_sgpr_kernarg_segment_ptr 1
		.amdhsa_user_sgpr_dispatch_id 0
		.amdhsa_user_sgpr_flat_scratch_init 1
		.amdhsa_user_sgpr_kernarg_preload_length 0
		.amdhsa_user_sgpr_kernarg_preload_offset 0
		.amdhsa_user_sgpr_private_segment_size 0
		.amdhsa_uses_dynamic_stack 0
		.amdhsa_system_sgpr_private_segment_wavefront_offset 1
		.amdhsa_system_sgpr_workgroup_id_x 1
		.amdhsa_system_sgpr_workgroup_id_y 0
		.amdhsa_system_sgpr_workgroup_id_z 0
		.amdhsa_system_sgpr_workgroup_info 0
		.amdhsa_system_vgpr_workitem_id 0
		.amdhsa_next_free_vgpr 168
		.amdhsa_next_free_sgpr 23
		.amdhsa_accum_offset 168
		.amdhsa_reserve_vcc 1
		.amdhsa_reserve_flat_scratch 1
		.amdhsa_float_round_mode_32 0
		.amdhsa_float_round_mode_16_64 0
		.amdhsa_float_denorm_mode_32 3
		.amdhsa_float_denorm_mode_16_64 3
		.amdhsa_dx10_clamp 1
		.amdhsa_ieee_mode 1
		.amdhsa_fp16_overflow 0
		.amdhsa_tg_split 0
		.amdhsa_exception_fp_ieee_invalid_op 0
		.amdhsa_exception_fp_denorm_src 0
		.amdhsa_exception_fp_ieee_div_zero 0
		.amdhsa_exception_fp_ieee_overflow 0
		.amdhsa_exception_fp_ieee_underflow 0
		.amdhsa_exception_fp_ieee_inexact 0
		.amdhsa_exception_int_div_zero 0
	.end_amdhsa_kernel
	.section	.text._ZN9rocsolver6v33100L18getri_kernel_smallILi49EdPdEEvT1_iilPiilS4_bb,"axG",@progbits,_ZN9rocsolver6v33100L18getri_kernel_smallILi49EdPdEEvT1_iilPiilS4_bb,comdat
.Lfunc_end48:
	.size	_ZN9rocsolver6v33100L18getri_kernel_smallILi49EdPdEEvT1_iilPiilS4_bb, .Lfunc_end48-_ZN9rocsolver6v33100L18getri_kernel_smallILi49EdPdEEvT1_iilPiilS4_bb
                                        ; -- End function
	.section	.AMDGPU.csdata,"",@progbits
; Kernel info:
; codeLenInByte = 58636
; NumSgprs: 29
; NumVgprs: 168
; NumAgprs: 0
; TotalNumVgprs: 168
; ScratchSize: 400
; MemoryBound: 1
; FloatMode: 240
; IeeeMode: 1
; LDSByteSize: 792 bytes/workgroup (compile time only)
; SGPRBlocks: 3
; VGPRBlocks: 20
; NumSGPRsForWavesPerEU: 29
; NumVGPRsForWavesPerEU: 168
; AccumOffset: 168
; Occupancy: 3
; WaveLimiterHint : 1
; COMPUTE_PGM_RSRC2:SCRATCH_EN: 1
; COMPUTE_PGM_RSRC2:USER_SGPR: 8
; COMPUTE_PGM_RSRC2:TRAP_HANDLER: 0
; COMPUTE_PGM_RSRC2:TGID_X_EN: 1
; COMPUTE_PGM_RSRC2:TGID_Y_EN: 0
; COMPUTE_PGM_RSRC2:TGID_Z_EN: 0
; COMPUTE_PGM_RSRC2:TIDIG_COMP_CNT: 0
; COMPUTE_PGM_RSRC3_GFX90A:ACCUM_OFFSET: 41
; COMPUTE_PGM_RSRC3_GFX90A:TG_SPLIT: 0
	.section	.text._ZN9rocsolver6v33100L18getri_kernel_smallILi50EdPdEEvT1_iilPiilS4_bb,"axG",@progbits,_ZN9rocsolver6v33100L18getri_kernel_smallILi50EdPdEEvT1_iilPiilS4_bb,comdat
	.globl	_ZN9rocsolver6v33100L18getri_kernel_smallILi50EdPdEEvT1_iilPiilS4_bb ; -- Begin function _ZN9rocsolver6v33100L18getri_kernel_smallILi50EdPdEEvT1_iilPiilS4_bb
	.p2align	8
	.type	_ZN9rocsolver6v33100L18getri_kernel_smallILi50EdPdEEvT1_iilPiilS4_bb,@function
_ZN9rocsolver6v33100L18getri_kernel_smallILi50EdPdEEvT1_iilPiilS4_bb: ; @_ZN9rocsolver6v33100L18getri_kernel_smallILi50EdPdEEvT1_iilPiilS4_bb
; %bb.0:
	s_add_u32 flat_scratch_lo, s6, s9
	s_addc_u32 flat_scratch_hi, s7, 0
	s_add_u32 s0, s0, s9
	s_addc_u32 s1, s1, 0
	v_cmp_gt_u32_e32 vcc, 50, v0
	s_and_saveexec_b64 s[6:7], vcc
	s_cbranch_execz .LBB49_208
; %bb.1:
	s_load_dword s22, s[4:5], 0x38
	s_load_dwordx4 s[16:19], s[4:5], 0x10
	s_load_dwordx4 s[12:15], s[4:5], 0x28
                                        ; implicit-def: $sgpr10_sgpr11
	s_waitcnt lgkmcnt(0)
	s_bitcmp1_b32 s22, 8
	s_cselect_b64 s[20:21], -1, 0
	s_ashr_i32 s9, s8, 31
	s_bfe_u32 s6, s22, 0x10008
	s_cmp_eq_u32 s6, 0
	s_cbranch_scc1 .LBB49_3
; %bb.2:
	s_load_dword s6, s[4:5], 0x20
	s_mul_i32 s7, s8, s13
	s_mul_hi_u32 s10, s8, s12
	s_mul_i32 s11, s9, s12
	s_add_i32 s10, s10, s7
	s_add_i32 s11, s10, s11
	s_mul_i32 s10, s8, s12
	s_waitcnt lgkmcnt(0)
	s_ashr_i32 s7, s6, 31
	s_lshl_b64 s[10:11], s[10:11], 2
	s_add_u32 s10, s18, s10
	s_addc_u32 s11, s19, s11
	s_lshl_b64 s[6:7], s[6:7], 2
	s_add_u32 s10, s10, s6
	s_addc_u32 s11, s11, s7
.LBB49_3:
	s_load_dwordx4 s[4:7], s[4:5], 0x0
	s_mul_i32 s12, s8, s17
	s_mul_hi_u32 s13, s8, s16
	s_add_i32 s17, s13, s12
	s_waitcnt lgkmcnt(0)
	s_ashr_i32 s13, s6, 31
	s_mov_b32 s12, s6
	s_mul_i32 s6, s9, s16
	s_add_i32 s17, s17, s6
	s_mul_i32 s16, s8, s16
	s_lshl_b64 s[16:17], s[16:17], 3
	s_add_u32 s6, s4, s16
	s_addc_u32 s16, s5, s17
	s_lshl_b64 s[4:5], s[12:13], 3
	s_add_u32 s4, s6, s4
	s_addc_u32 s5, s16, s5
	s_add_i32 s6, s7, s7
	v_add_u32_e32 v4, s6, v0
	v_ashrrev_i32_e32 v5, 31, v4
	v_lshlrev_b64 v[2:3], 3, v[4:5]
	v_add_u32_e32 v6, s7, v4
	v_mov_b32_e32 v1, s5
	v_add_co_u32_e32 v2, vcc, s4, v2
	v_ashrrev_i32_e32 v7, 31, v6
	v_addc_co_u32_e32 v3, vcc, v1, v3, vcc
	v_lshlrev_b64 v[4:5], 3, v[6:7]
	v_add_u32_e32 v8, s7, v6
	v_add_co_u32_e32 v4, vcc, s4, v4
	v_ashrrev_i32_e32 v9, 31, v8
	v_addc_co_u32_e32 v5, vcc, v1, v5, vcc
	v_lshlrev_b64 v[6:7], 3, v[8:9]
	v_add_u32_e32 v10, s7, v8
	;; [unrolled: 5-line block ×5, first 2 shown]
	v_add_co_u32_e32 v12, vcc, s4, v12
	v_ashrrev_i32_e32 v15, 31, v14
	v_addc_co_u32_e32 v13, vcc, v1, v13, vcc
	v_lshlrev_b64 v[16:17], 3, v[14:15]
	v_add_co_u32_e32 v18, vcc, s4, v16
	v_add_u32_e32 v16, s7, v14
	v_addc_co_u32_e32 v19, vcc, v1, v17, vcc
	v_ashrrev_i32_e32 v17, 31, v16
	v_lshlrev_b64 v[14:15], 3, v[16:17]
	v_add_u32_e32 v20, s7, v16
	v_add_co_u32_e32 v14, vcc, s4, v14
	v_ashrrev_i32_e32 v21, 31, v20
	v_addc_co_u32_e32 v15, vcc, v1, v15, vcc
	v_lshlrev_b64 v[16:17], 3, v[20:21]
	v_add_u32_e32 v22, s7, v20
	v_add_co_u32_e32 v16, vcc, s4, v16
	v_ashrrev_i32_e32 v23, 31, v22
	v_addc_co_u32_e32 v17, vcc, v1, v17, vcc
	;; [unrolled: 5-line block ×32, first 2 shown]
	v_lshlrev_b64 v[80:81], 3, v[82:83]
	v_add_co_u32_e32 v80, vcc, s4, v80
	v_add_u32_e32 v82, s7, v82
	v_addc_co_u32_e32 v81, vcc, v1, v81, vcc
	v_ashrrev_i32_e32 v83, 31, v82
	v_lshlrev_b32_e32 v1, 3, v0
	v_lshlrev_b64 v[84:85], 3, v[82:83]
	v_mov_b32_e32 v83, s5
	v_add_co_u32_e32 v100, vcc, s4, v1
	s_ashr_i32 s13, s7, 31
	s_mov_b32 s12, s7
	v_addc_co_u32_e32 v101, vcc, 0, v83, vcc
	s_lshl_b64 s[12:13], s[12:13], 3
	v_mov_b32_e32 v83, s13
	v_add_co_u32_e32 v98, vcc, s12, v100
	v_addc_co_u32_e32 v99, vcc, v101, v83, vcc
	global_load_dwordx2 v[102:103], v1, s[4:5]
	global_load_dwordx2 v[104:105], v[98:99], off
	global_load_dwordx2 v[106:107], v[2:3], off
	;; [unrolled: 1-line block ×18, first 2 shown]
	v_add_u32_e32 v82, s7, v82
	v_mov_b32_e32 v86, s5
	v_add_co_u32_e32 v84, vcc, s4, v84
	v_ashrrev_i32_e32 v83, 31, v82
	v_addc_co_u32_e32 v85, vcc, v86, v85, vcc
	v_lshlrev_b64 v[86:87], 3, v[82:83]
	v_add_u32_e32 v82, s7, v82
	v_mov_b32_e32 v88, s5
	v_add_co_u32_e32 v86, vcc, s4, v86
	v_ashrrev_i32_e32 v83, 31, v82
	v_addc_co_u32_e32 v87, vcc, v88, v87, vcc
	v_lshlrev_b64 v[88:89], 3, v[82:83]
	;; [unrolled: 6-line block ×7, first 2 shown]
	v_add_co_u32_e32 v82, vcc, s4, v82
	v_addc_co_u32_e32 v83, vcc, v140, v83, vcc
	global_load_dwordx2 v[140:141], v[82:83], off
	s_waitcnt vmcnt(19)
	buffer_store_dword v103, off, s[0:3], 0 offset:4
	buffer_store_dword v102, off, s[0:3], 0
	s_waitcnt vmcnt(20)
	buffer_store_dword v105, off, s[0:3], 0 offset:12
	buffer_store_dword v104, off, s[0:3], 0 offset:8
	s_waitcnt vmcnt(21)
	buffer_store_dword v107, off, s[0:3], 0 offset:20
	buffer_store_dword v106, off, s[0:3], 0 offset:16
	;; [unrolled: 3-line block ×3, first 2 shown]
	s_waitcnt vmcnt(23)
	buffer_store_dword v111, off, s[0:3], 0 offset:36
	global_load_dwordx2 v[102:103], v[36:37], off
	global_load_dwordx2 v[104:105], v[38:39], off
	;; [unrolled: 1-line block ×15, first 2 shown]
	s_bitcmp0_b32 s22, 0
	buffer_store_dword v110, off, s[0:3], 0 offset:32
	global_load_dwordx2 v[110:111], v[44:45], off
	s_mov_b64 s[6:7], -1
	s_waitcnt vmcnt(40)
	buffer_store_dword v113, off, s[0:3], 0 offset:44
	buffer_store_dword v112, off, s[0:3], 0 offset:40
	global_load_dwordx2 v[112:113], v[46:47], off
	s_waitcnt vmcnt(42)
	buffer_store_dword v115, off, s[0:3], 0 offset:52
	buffer_store_dword v114, off, s[0:3], 0 offset:48
	global_load_dwordx2 v[114:115], v[48:49], off
	;; [unrolled: 4-line block ×13, first 2 shown]
	s_nop 0
	buffer_store_dword v138, off, s[0:3], 0 offset:144
	buffer_store_dword v139, off, s[0:3], 0 offset:148
	global_load_dwordx2 v[138:139], v[96:97], off
	s_waitcnt vmcnt(58)
	buffer_store_dword v103, off, s[0:3], 0 offset:156
	buffer_store_dword v102, off, s[0:3], 0 offset:152
	s_waitcnt vmcnt(59)
	buffer_store_dword v105, off, s[0:3], 0 offset:164
	buffer_store_dword v104, off, s[0:3], 0 offset:160
	;; [unrolled: 3-line block ×8, first 2 shown]
	buffer_store_dword v142, off, s[0:3], 0 offset:216
	buffer_store_dword v143, off, s[0:3], 0 offset:220
	s_waitcnt vmcnt(48)
	buffer_store_dword v118, off, s[0:3], 0 offset:224
	buffer_store_dword v119, off, s[0:3], 0 offset:228
	buffer_store_dword v144, off, s[0:3], 0 offset:232
	buffer_store_dword v145, off, s[0:3], 0 offset:236
	s_waitcnt vmcnt(49)
	buffer_store_dword v120, off, s[0:3], 0 offset:240
	buffer_store_dword v121, off, s[0:3], 0 offset:244
	;; [unrolled: 5-line block ×11, first 2 shown]
	buffer_store_dword v141, off, s[0:3], 0 offset:396
	buffer_store_dword v140, off, s[0:3], 0 offset:392
	s_cbranch_scc1 .LBB49_206
; %bb.4:
	v_cmp_eq_u32_e64 s[4:5], 0, v0
	s_and_saveexec_b64 s[6:7], s[4:5]
	s_cbranch_execz .LBB49_6
; %bb.5:
	v_mov_b32_e32 v102, 0
	ds_write_b32 v102, v102 offset:800
.LBB49_6:
	s_or_b64 exec, exec, s[6:7]
	v_mov_b32_e32 v102, 0
	v_lshl_add_u32 v102, v0, 3, v102
	s_waitcnt lgkmcnt(0)
	; wave barrier
	s_waitcnt lgkmcnt(0)
	buffer_load_dword v104, v102, s[0:3], 0 offen
	buffer_load_dword v105, v102, s[0:3], 0 offen offset:4
	s_waitcnt vmcnt(0)
	v_cmp_eq_f64_e32 vcc, 0, v[104:105]
	s_and_saveexec_b64 s[12:13], vcc
	s_cbranch_execz .LBB49_10
; %bb.7:
	v_mov_b32_e32 v103, 0
	ds_read_b32 v105, v103 offset:800
	v_add_u32_e32 v104, 1, v0
	s_waitcnt lgkmcnt(0)
	v_readfirstlane_b32 s6, v105
	s_cmp_eq_u32 s6, 0
	s_cselect_b64 s[16:17], -1, 0
	v_cmp_gt_i32_e32 vcc, s6, v104
	s_or_b64 s[16:17], s[16:17], vcc
	s_and_b64 exec, exec, s[16:17]
	s_cbranch_execz .LBB49_10
; %bb.8:
	s_mov_b64 s[16:17], 0
	v_mov_b32_e32 v105, s6
.LBB49_9:                               ; =>This Inner Loop Header: Depth=1
	ds_cmpst_rtn_b32 v105, v103, v105, v104 offset:800
	s_waitcnt lgkmcnt(0)
	v_cmp_ne_u32_e32 vcc, 0, v105
	v_cmp_le_i32_e64 s[6:7], v105, v104
	s_and_b64 s[6:7], vcc, s[6:7]
	s_and_b64 s[6:7], exec, s[6:7]
	s_or_b64 s[16:17], s[6:7], s[16:17]
	s_andn2_b64 exec, exec, s[16:17]
	s_cbranch_execnz .LBB49_9
.LBB49_10:
	s_or_b64 exec, exec, s[12:13]
	v_mov_b32_e32 v104, 0
	s_waitcnt lgkmcnt(0)
	; wave barrier
	ds_read_b32 v103, v104 offset:800
	s_and_saveexec_b64 s[6:7], s[4:5]
	s_cbranch_execz .LBB49_12
; %bb.11:
	s_lshl_b64 s[12:13], s[8:9], 2
	s_add_u32 s12, s14, s12
	s_addc_u32 s13, s15, s13
	s_waitcnt lgkmcnt(0)
	global_store_dword v104, v103, s[12:13]
.LBB49_12:
	s_or_b64 exec, exec, s[6:7]
	s_waitcnt lgkmcnt(0)
	v_cmp_ne_u32_e32 vcc, 0, v103
	s_mov_b64 s[6:7], 0
	s_cbranch_vccnz .LBB49_206
; %bb.13:
	buffer_load_dword v104, v102, s[0:3], 0 offen
	buffer_load_dword v105, v102, s[0:3], 0 offen offset:4
	s_waitcnt vmcnt(0)
	v_div_scale_f64 v[106:107], s[6:7], v[104:105], v[104:105], 1.0
	v_rcp_f64_e32 v[108:109], v[106:107]
	v_div_scale_f64 v[110:111], vcc, 1.0, v[104:105], 1.0
	v_fma_f64 v[112:113], -v[106:107], v[108:109], 1.0
	v_fmac_f64_e32 v[108:109], v[108:109], v[112:113]
	v_fma_f64 v[112:113], -v[106:107], v[108:109], 1.0
	v_fmac_f64_e32 v[108:109], v[108:109], v[112:113]
	v_mul_f64 v[112:113], v[110:111], v[108:109]
	v_fma_f64 v[106:107], -v[106:107], v[112:113], v[110:111]
	v_div_fmas_f64 v[106:107], v[106:107], v[108:109], v[112:113]
	v_div_fixup_f64 v[106:107], v[106:107], v[104:105], 1.0
	buffer_store_dword v107, v102, s[0:3], 0 offen offset:4
	buffer_store_dword v106, v102, s[0:3], 0 offen
	buffer_load_dword v109, off, s[0:3], 0 offset:12
	buffer_load_dword v108, off, s[0:3], 0 offset:8
	v_add_u32_e32 v104, 0x190, v1
	v_xor_b32_e32 v107, 0x80000000, v107
	s_waitcnt vmcnt(0)
	ds_write2_b64 v1, v[106:107], v[108:109] offset1:50
	s_waitcnt lgkmcnt(0)
	; wave barrier
	s_waitcnt lgkmcnt(0)
	s_and_saveexec_b64 s[6:7], s[4:5]
	s_cbranch_execz .LBB49_15
; %bb.14:
	buffer_load_dword v106, v102, s[0:3], 0 offen
	buffer_load_dword v107, v102, s[0:3], 0 offen offset:4
	v_mov_b32_e32 v103, 0
	ds_read_b64 v[108:109], v104
	ds_read_b64 v[110:111], v103 offset:8
	s_waitcnt vmcnt(0) lgkmcnt(1)
	v_fma_f64 v[106:107], v[106:107], v[108:109], 0
	s_waitcnt lgkmcnt(0)
	v_mul_f64 v[106:107], v[106:107], v[110:111]
	buffer_store_dword v106, off, s[0:3], 0 offset:8
	buffer_store_dword v107, off, s[0:3], 0 offset:12
.LBB49_15:
	s_or_b64 exec, exec, s[6:7]
	s_waitcnt lgkmcnt(0)
	; wave barrier
	buffer_load_dword v106, off, s[0:3], 0 offset:16
	buffer_load_dword v107, off, s[0:3], 0 offset:20
	v_cmp_gt_u32_e32 vcc, 2, v0
	s_waitcnt vmcnt(0)
	ds_write_b64 v104, v[106:107]
	s_waitcnt lgkmcnt(0)
	; wave barrier
	s_waitcnt lgkmcnt(0)
	s_and_saveexec_b64 s[6:7], vcc
	s_cbranch_execz .LBB49_17
; %bb.16:
	buffer_load_dword v103, v102, s[0:3], 0 offen offset:4
	buffer_load_dword v110, off, s[0:3], 0 offset:8
	s_nop 0
	buffer_load_dword v102, v102, s[0:3], 0 offen
	s_nop 0
	buffer_load_dword v111, off, s[0:3], 0 offset:12
	ds_read_b64 v[112:113], v104
	v_mov_b32_e32 v105, 0
	ds_read2_b64 v[106:109], v105 offset0:2 offset1:51
	s_waitcnt vmcnt(1) lgkmcnt(1)
	v_fma_f64 v[102:103], v[102:103], v[112:113], 0
	s_waitcnt vmcnt(0) lgkmcnt(0)
	v_fma_f64 v[108:109], v[110:111], v[108:109], v[102:103]
	v_cndmask_b32_e64 v103, v103, v109, s[4:5]
	v_cndmask_b32_e64 v102, v102, v108, s[4:5]
	v_mul_f64 v[102:103], v[102:103], v[106:107]
	buffer_store_dword v103, off, s[0:3], 0 offset:20
	buffer_store_dword v102, off, s[0:3], 0 offset:16
.LBB49_17:
	s_or_b64 exec, exec, s[6:7]
	s_waitcnt lgkmcnt(0)
	; wave barrier
	buffer_load_dword v102, off, s[0:3], 0 offset:24
	buffer_load_dword v103, off, s[0:3], 0 offset:28
	v_cmp_gt_u32_e32 vcc, 3, v0
	v_add_u32_e32 v105, -1, v0
	s_waitcnt vmcnt(0)
	ds_write_b64 v104, v[102:103]
	s_waitcnt lgkmcnt(0)
	; wave barrier
	s_waitcnt lgkmcnt(0)
	s_and_saveexec_b64 s[4:5], vcc
	s_cbranch_execz .LBB49_21
; %bb.18:
	v_add_u32_e32 v106, -1, v0
	v_add_u32_e32 v107, 0x190, v1
	v_add_u32_e32 v108, 0, v1
	s_mov_b64 s[6:7], 0
	v_pk_mov_b32 v[102:103], 0, 0
.LBB49_19:                              ; =>This Inner Loop Header: Depth=1
	buffer_load_dword v110, v108, s[0:3], 0 offen
	buffer_load_dword v111, v108, s[0:3], 0 offen offset:4
	ds_read_b64 v[112:113], v107
	v_add_u32_e32 v106, 1, v106
	v_cmp_lt_u32_e32 vcc, 1, v106
	v_add_u32_e32 v107, 8, v107
	v_add_u32_e32 v108, 8, v108
	s_or_b64 s[6:7], vcc, s[6:7]
	s_waitcnt vmcnt(0) lgkmcnt(0)
	v_fmac_f64_e32 v[102:103], v[110:111], v[112:113]
	s_andn2_b64 exec, exec, s[6:7]
	s_cbranch_execnz .LBB49_19
; %bb.20:
	s_or_b64 exec, exec, s[6:7]
	v_mov_b32_e32 v106, 0
	ds_read_b64 v[106:107], v106 offset:24
	s_waitcnt lgkmcnt(0)
	v_mul_f64 v[102:103], v[102:103], v[106:107]
	buffer_store_dword v103, off, s[0:3], 0 offset:28
	buffer_store_dword v102, off, s[0:3], 0 offset:24
.LBB49_21:
	s_or_b64 exec, exec, s[4:5]
	s_waitcnt lgkmcnt(0)
	; wave barrier
	buffer_load_dword v102, off, s[0:3], 0 offset:32
	buffer_load_dword v103, off, s[0:3], 0 offset:36
	v_cmp_gt_u32_e32 vcc, 4, v0
	s_waitcnt vmcnt(0)
	ds_write_b64 v104, v[102:103]
	s_waitcnt lgkmcnt(0)
	; wave barrier
	s_waitcnt lgkmcnt(0)
	s_and_saveexec_b64 s[4:5], vcc
	s_cbranch_execz .LBB49_25
; %bb.22:
	v_add_u32_e32 v106, -1, v0
	v_add_u32_e32 v107, 0x190, v1
	v_add_u32_e32 v108, 0, v1
	s_mov_b64 s[6:7], 0
	v_pk_mov_b32 v[102:103], 0, 0
.LBB49_23:                              ; =>This Inner Loop Header: Depth=1
	buffer_load_dword v110, v108, s[0:3], 0 offen
	buffer_load_dword v111, v108, s[0:3], 0 offen offset:4
	ds_read_b64 v[112:113], v107
	v_add_u32_e32 v106, 1, v106
	v_cmp_lt_u32_e32 vcc, 2, v106
	v_add_u32_e32 v107, 8, v107
	v_add_u32_e32 v108, 8, v108
	s_or_b64 s[6:7], vcc, s[6:7]
	s_waitcnt vmcnt(0) lgkmcnt(0)
	v_fmac_f64_e32 v[102:103], v[110:111], v[112:113]
	s_andn2_b64 exec, exec, s[6:7]
	s_cbranch_execnz .LBB49_23
; %bb.24:
	s_or_b64 exec, exec, s[6:7]
	v_mov_b32_e32 v106, 0
	ds_read_b64 v[106:107], v106 offset:32
	s_waitcnt lgkmcnt(0)
	v_mul_f64 v[102:103], v[102:103], v[106:107]
	buffer_store_dword v103, off, s[0:3], 0 offset:36
	buffer_store_dword v102, off, s[0:3], 0 offset:32
.LBB49_25:
	s_or_b64 exec, exec, s[4:5]
	s_waitcnt lgkmcnt(0)
	; wave barrier
	buffer_load_dword v102, off, s[0:3], 0 offset:40
	buffer_load_dword v103, off, s[0:3], 0 offset:44
	v_cmp_gt_u32_e32 vcc, 5, v0
	;; [unrolled: 41-line block ×21, first 2 shown]
	s_waitcnt vmcnt(0)
	ds_write_b64 v104, v[102:103]
	s_waitcnt lgkmcnt(0)
	; wave barrier
	s_waitcnt lgkmcnt(0)
	s_and_saveexec_b64 s[4:5], vcc
	s_cbranch_execz .LBB49_105
; %bb.102:
	v_add_u32_e32 v106, -1, v0
	v_add_u32_e32 v107, 0x190, v1
	v_add_u32_e32 v108, 0, v1
	s_mov_b64 s[6:7], 0
	v_pk_mov_b32 v[102:103], 0, 0
.LBB49_103:                             ; =>This Inner Loop Header: Depth=1
	buffer_load_dword v110, v108, s[0:3], 0 offen
	buffer_load_dword v111, v108, s[0:3], 0 offen offset:4
	ds_read_b64 v[112:113], v107
	v_add_u32_e32 v106, 1, v106
	v_cmp_lt_u32_e32 vcc, 22, v106
	v_add_u32_e32 v107, 8, v107
	v_add_u32_e32 v108, 8, v108
	s_or_b64 s[6:7], vcc, s[6:7]
	s_waitcnt vmcnt(0) lgkmcnt(0)
	v_fmac_f64_e32 v[102:103], v[110:111], v[112:113]
	s_andn2_b64 exec, exec, s[6:7]
	s_cbranch_execnz .LBB49_103
; %bb.104:
	s_or_b64 exec, exec, s[6:7]
	v_mov_b32_e32 v106, 0
	ds_read_b64 v[106:107], v106 offset:192
	s_waitcnt lgkmcnt(0)
	v_mul_f64 v[102:103], v[102:103], v[106:107]
	buffer_store_dword v103, off, s[0:3], 0 offset:196
	buffer_store_dword v102, off, s[0:3], 0 offset:192
.LBB49_105:
	s_or_b64 exec, exec, s[4:5]
	s_waitcnt lgkmcnt(0)
	; wave barrier
	buffer_load_dword v102, off, s[0:3], 0 offset:200
	buffer_load_dword v103, off, s[0:3], 0 offset:204
	v_cmp_gt_u32_e32 vcc, 25, v0
	s_waitcnt vmcnt(0)
	ds_write_b64 v104, v[102:103]
	s_waitcnt lgkmcnt(0)
	; wave barrier
	s_waitcnt lgkmcnt(0)
	s_and_saveexec_b64 s[4:5], vcc
	s_cbranch_execz .LBB49_109
; %bb.106:
	v_add_u32_e32 v106, -1, v0
	v_add_u32_e32 v107, 0x190, v1
	v_add_u32_e32 v108, 0, v1
	s_mov_b64 s[6:7], 0
	v_pk_mov_b32 v[102:103], 0, 0
.LBB49_107:                             ; =>This Inner Loop Header: Depth=1
	buffer_load_dword v110, v108, s[0:3], 0 offen
	buffer_load_dword v111, v108, s[0:3], 0 offen offset:4
	ds_read_b64 v[112:113], v107
	v_add_u32_e32 v106, 1, v106
	v_cmp_lt_u32_e32 vcc, 23, v106
	v_add_u32_e32 v107, 8, v107
	v_add_u32_e32 v108, 8, v108
	s_or_b64 s[6:7], vcc, s[6:7]
	s_waitcnt vmcnt(0) lgkmcnt(0)
	v_fmac_f64_e32 v[102:103], v[110:111], v[112:113]
	s_andn2_b64 exec, exec, s[6:7]
	s_cbranch_execnz .LBB49_107
; %bb.108:
	s_or_b64 exec, exec, s[6:7]
	v_mov_b32_e32 v106, 0
	ds_read_b64 v[106:107], v106 offset:200
	s_waitcnt lgkmcnt(0)
	v_mul_f64 v[102:103], v[102:103], v[106:107]
	buffer_store_dword v103, off, s[0:3], 0 offset:204
	buffer_store_dword v102, off, s[0:3], 0 offset:200
.LBB49_109:
	s_or_b64 exec, exec, s[4:5]
	s_waitcnt lgkmcnt(0)
	; wave barrier
	buffer_load_dword v102, off, s[0:3], 0 offset:208
	buffer_load_dword v103, off, s[0:3], 0 offset:212
	v_cmp_gt_u32_e32 vcc, 26, v0
	s_waitcnt vmcnt(0)
	ds_write_b64 v104, v[102:103]
	s_waitcnt lgkmcnt(0)
	; wave barrier
	s_waitcnt lgkmcnt(0)
	s_and_saveexec_b64 s[4:5], vcc
	s_cbranch_execz .LBB49_113
; %bb.110:
	v_add_u32_e32 v106, -1, v0
	v_add_u32_e32 v107, 0x190, v1
	v_add_u32_e32 v108, 0, v1
	s_mov_b64 s[6:7], 0
	v_pk_mov_b32 v[102:103], 0, 0
.LBB49_111:                             ; =>This Inner Loop Header: Depth=1
	buffer_load_dword v110, v108, s[0:3], 0 offen
	buffer_load_dword v111, v108, s[0:3], 0 offen offset:4
	ds_read_b64 v[112:113], v107
	v_add_u32_e32 v106, 1, v106
	v_cmp_lt_u32_e32 vcc, 24, v106
	v_add_u32_e32 v107, 8, v107
	v_add_u32_e32 v108, 8, v108
	s_or_b64 s[6:7], vcc, s[6:7]
	s_waitcnt vmcnt(0) lgkmcnt(0)
	v_fmac_f64_e32 v[102:103], v[110:111], v[112:113]
	s_andn2_b64 exec, exec, s[6:7]
	s_cbranch_execnz .LBB49_111
; %bb.112:
	s_or_b64 exec, exec, s[6:7]
	v_mov_b32_e32 v106, 0
	ds_read_b64 v[106:107], v106 offset:208
	s_waitcnt lgkmcnt(0)
	v_mul_f64 v[102:103], v[102:103], v[106:107]
	buffer_store_dword v103, off, s[0:3], 0 offset:212
	buffer_store_dword v102, off, s[0:3], 0 offset:208
.LBB49_113:
	s_or_b64 exec, exec, s[4:5]
	s_waitcnt lgkmcnt(0)
	; wave barrier
	buffer_load_dword v102, off, s[0:3], 0 offset:216
	buffer_load_dword v103, off, s[0:3], 0 offset:220
	v_cmp_gt_u32_e32 vcc, 27, v0
	s_waitcnt vmcnt(0)
	ds_write_b64 v104, v[102:103]
	s_waitcnt lgkmcnt(0)
	; wave barrier
	s_waitcnt lgkmcnt(0)
	s_and_saveexec_b64 s[4:5], vcc
	s_cbranch_execz .LBB49_117
; %bb.114:
	v_add_u32_e32 v106, -1, v0
	v_add_u32_e32 v107, 0x190, v1
	v_add_u32_e32 v108, 0, v1
	s_mov_b64 s[6:7], 0
	v_pk_mov_b32 v[102:103], 0, 0
.LBB49_115:                             ; =>This Inner Loop Header: Depth=1
	buffer_load_dword v110, v108, s[0:3], 0 offen
	buffer_load_dword v111, v108, s[0:3], 0 offen offset:4
	ds_read_b64 v[112:113], v107
	v_add_u32_e32 v106, 1, v106
	v_cmp_lt_u32_e32 vcc, 25, v106
	v_add_u32_e32 v107, 8, v107
	v_add_u32_e32 v108, 8, v108
	s_or_b64 s[6:7], vcc, s[6:7]
	s_waitcnt vmcnt(0) lgkmcnt(0)
	v_fmac_f64_e32 v[102:103], v[110:111], v[112:113]
	s_andn2_b64 exec, exec, s[6:7]
	s_cbranch_execnz .LBB49_115
; %bb.116:
	s_or_b64 exec, exec, s[6:7]
	v_mov_b32_e32 v106, 0
	ds_read_b64 v[106:107], v106 offset:216
	s_waitcnt lgkmcnt(0)
	v_mul_f64 v[102:103], v[102:103], v[106:107]
	buffer_store_dword v103, off, s[0:3], 0 offset:220
	buffer_store_dword v102, off, s[0:3], 0 offset:216
.LBB49_117:
	s_or_b64 exec, exec, s[4:5]
	s_waitcnt lgkmcnt(0)
	; wave barrier
	buffer_load_dword v102, off, s[0:3], 0 offset:224
	buffer_load_dword v103, off, s[0:3], 0 offset:228
	v_cmp_gt_u32_e32 vcc, 28, v0
	s_waitcnt vmcnt(0)
	ds_write_b64 v104, v[102:103]
	s_waitcnt lgkmcnt(0)
	; wave barrier
	s_waitcnt lgkmcnt(0)
	s_and_saveexec_b64 s[4:5], vcc
	s_cbranch_execz .LBB49_121
; %bb.118:
	v_add_u32_e32 v106, -1, v0
	v_add_u32_e32 v107, 0x190, v1
	v_add_u32_e32 v108, 0, v1
	s_mov_b64 s[6:7], 0
	v_pk_mov_b32 v[102:103], 0, 0
.LBB49_119:                             ; =>This Inner Loop Header: Depth=1
	buffer_load_dword v110, v108, s[0:3], 0 offen
	buffer_load_dword v111, v108, s[0:3], 0 offen offset:4
	ds_read_b64 v[112:113], v107
	v_add_u32_e32 v106, 1, v106
	v_cmp_lt_u32_e32 vcc, 26, v106
	v_add_u32_e32 v107, 8, v107
	v_add_u32_e32 v108, 8, v108
	s_or_b64 s[6:7], vcc, s[6:7]
	s_waitcnt vmcnt(0) lgkmcnt(0)
	v_fmac_f64_e32 v[102:103], v[110:111], v[112:113]
	s_andn2_b64 exec, exec, s[6:7]
	s_cbranch_execnz .LBB49_119
; %bb.120:
	s_or_b64 exec, exec, s[6:7]
	v_mov_b32_e32 v106, 0
	ds_read_b64 v[106:107], v106 offset:224
	s_waitcnt lgkmcnt(0)
	v_mul_f64 v[102:103], v[102:103], v[106:107]
	buffer_store_dword v103, off, s[0:3], 0 offset:228
	buffer_store_dword v102, off, s[0:3], 0 offset:224
.LBB49_121:
	s_or_b64 exec, exec, s[4:5]
	s_waitcnt lgkmcnt(0)
	; wave barrier
	buffer_load_dword v102, off, s[0:3], 0 offset:232
	buffer_load_dword v103, off, s[0:3], 0 offset:236
	v_cmp_gt_u32_e32 vcc, 29, v0
	s_waitcnt vmcnt(0)
	ds_write_b64 v104, v[102:103]
	s_waitcnt lgkmcnt(0)
	; wave barrier
	s_waitcnt lgkmcnt(0)
	s_and_saveexec_b64 s[4:5], vcc
	s_cbranch_execz .LBB49_125
; %bb.122:
	v_add_u32_e32 v106, -1, v0
	v_add_u32_e32 v107, 0x190, v1
	v_add_u32_e32 v108, 0, v1
	s_mov_b64 s[6:7], 0
	v_pk_mov_b32 v[102:103], 0, 0
.LBB49_123:                             ; =>This Inner Loop Header: Depth=1
	buffer_load_dword v110, v108, s[0:3], 0 offen
	buffer_load_dword v111, v108, s[0:3], 0 offen offset:4
	ds_read_b64 v[112:113], v107
	v_add_u32_e32 v106, 1, v106
	v_cmp_lt_u32_e32 vcc, 27, v106
	v_add_u32_e32 v107, 8, v107
	v_add_u32_e32 v108, 8, v108
	s_or_b64 s[6:7], vcc, s[6:7]
	s_waitcnt vmcnt(0) lgkmcnt(0)
	v_fmac_f64_e32 v[102:103], v[110:111], v[112:113]
	s_andn2_b64 exec, exec, s[6:7]
	s_cbranch_execnz .LBB49_123
; %bb.124:
	s_or_b64 exec, exec, s[6:7]
	v_mov_b32_e32 v106, 0
	ds_read_b64 v[106:107], v106 offset:232
	s_waitcnt lgkmcnt(0)
	v_mul_f64 v[102:103], v[102:103], v[106:107]
	buffer_store_dword v103, off, s[0:3], 0 offset:236
	buffer_store_dword v102, off, s[0:3], 0 offset:232
.LBB49_125:
	s_or_b64 exec, exec, s[4:5]
	s_waitcnt lgkmcnt(0)
	; wave barrier
	buffer_load_dword v102, off, s[0:3], 0 offset:240
	buffer_load_dword v103, off, s[0:3], 0 offset:244
	v_cmp_gt_u32_e32 vcc, 30, v0
	s_waitcnt vmcnt(0)
	ds_write_b64 v104, v[102:103]
	s_waitcnt lgkmcnt(0)
	; wave barrier
	s_waitcnt lgkmcnt(0)
	s_and_saveexec_b64 s[4:5], vcc
	s_cbranch_execz .LBB49_129
; %bb.126:
	v_add_u32_e32 v106, -1, v0
	v_add_u32_e32 v107, 0x190, v1
	v_add_u32_e32 v108, 0, v1
	s_mov_b64 s[6:7], 0
	v_pk_mov_b32 v[102:103], 0, 0
.LBB49_127:                             ; =>This Inner Loop Header: Depth=1
	buffer_load_dword v110, v108, s[0:3], 0 offen
	buffer_load_dword v111, v108, s[0:3], 0 offen offset:4
	ds_read_b64 v[112:113], v107
	v_add_u32_e32 v106, 1, v106
	v_cmp_lt_u32_e32 vcc, 28, v106
	v_add_u32_e32 v107, 8, v107
	v_add_u32_e32 v108, 8, v108
	s_or_b64 s[6:7], vcc, s[6:7]
	s_waitcnt vmcnt(0) lgkmcnt(0)
	v_fmac_f64_e32 v[102:103], v[110:111], v[112:113]
	s_andn2_b64 exec, exec, s[6:7]
	s_cbranch_execnz .LBB49_127
; %bb.128:
	s_or_b64 exec, exec, s[6:7]
	v_mov_b32_e32 v106, 0
	ds_read_b64 v[106:107], v106 offset:240
	s_waitcnt lgkmcnt(0)
	v_mul_f64 v[102:103], v[102:103], v[106:107]
	buffer_store_dword v103, off, s[0:3], 0 offset:244
	buffer_store_dword v102, off, s[0:3], 0 offset:240
.LBB49_129:
	s_or_b64 exec, exec, s[4:5]
	s_waitcnt lgkmcnt(0)
	; wave barrier
	buffer_load_dword v102, off, s[0:3], 0 offset:248
	buffer_load_dword v103, off, s[0:3], 0 offset:252
	v_cmp_gt_u32_e32 vcc, 31, v0
	s_waitcnt vmcnt(0)
	ds_write_b64 v104, v[102:103]
	s_waitcnt lgkmcnt(0)
	; wave barrier
	s_waitcnt lgkmcnt(0)
	s_and_saveexec_b64 s[4:5], vcc
	s_cbranch_execz .LBB49_133
; %bb.130:
	v_add_u32_e32 v106, -1, v0
	v_add_u32_e32 v107, 0x190, v1
	v_add_u32_e32 v108, 0, v1
	s_mov_b64 s[6:7], 0
	v_pk_mov_b32 v[102:103], 0, 0
.LBB49_131:                             ; =>This Inner Loop Header: Depth=1
	buffer_load_dword v110, v108, s[0:3], 0 offen
	buffer_load_dword v111, v108, s[0:3], 0 offen offset:4
	ds_read_b64 v[112:113], v107
	v_add_u32_e32 v106, 1, v106
	v_cmp_lt_u32_e32 vcc, 29, v106
	v_add_u32_e32 v107, 8, v107
	v_add_u32_e32 v108, 8, v108
	s_or_b64 s[6:7], vcc, s[6:7]
	s_waitcnt vmcnt(0) lgkmcnt(0)
	v_fmac_f64_e32 v[102:103], v[110:111], v[112:113]
	s_andn2_b64 exec, exec, s[6:7]
	s_cbranch_execnz .LBB49_131
; %bb.132:
	s_or_b64 exec, exec, s[6:7]
	v_mov_b32_e32 v106, 0
	ds_read_b64 v[106:107], v106 offset:248
	s_waitcnt lgkmcnt(0)
	v_mul_f64 v[102:103], v[102:103], v[106:107]
	buffer_store_dword v103, off, s[0:3], 0 offset:252
	buffer_store_dword v102, off, s[0:3], 0 offset:248
.LBB49_133:
	s_or_b64 exec, exec, s[4:5]
	s_waitcnt lgkmcnt(0)
	; wave barrier
	buffer_load_dword v102, off, s[0:3], 0 offset:256
	buffer_load_dword v103, off, s[0:3], 0 offset:260
	v_cmp_gt_u32_e32 vcc, 32, v0
	s_waitcnt vmcnt(0)
	ds_write_b64 v104, v[102:103]
	s_waitcnt lgkmcnt(0)
	; wave barrier
	s_waitcnt lgkmcnt(0)
	s_and_saveexec_b64 s[4:5], vcc
	s_cbranch_execz .LBB49_137
; %bb.134:
	v_add_u32_e32 v106, -1, v0
	v_add_u32_e32 v107, 0x190, v1
	v_add_u32_e32 v108, 0, v1
	s_mov_b64 s[6:7], 0
	v_pk_mov_b32 v[102:103], 0, 0
.LBB49_135:                             ; =>This Inner Loop Header: Depth=1
	buffer_load_dword v110, v108, s[0:3], 0 offen
	buffer_load_dword v111, v108, s[0:3], 0 offen offset:4
	ds_read_b64 v[112:113], v107
	v_add_u32_e32 v106, 1, v106
	v_cmp_lt_u32_e32 vcc, 30, v106
	v_add_u32_e32 v107, 8, v107
	v_add_u32_e32 v108, 8, v108
	s_or_b64 s[6:7], vcc, s[6:7]
	s_waitcnt vmcnt(0) lgkmcnt(0)
	v_fmac_f64_e32 v[102:103], v[110:111], v[112:113]
	s_andn2_b64 exec, exec, s[6:7]
	s_cbranch_execnz .LBB49_135
; %bb.136:
	s_or_b64 exec, exec, s[6:7]
	v_mov_b32_e32 v106, 0
	ds_read_b64 v[106:107], v106 offset:256
	s_waitcnt lgkmcnt(0)
	v_mul_f64 v[102:103], v[102:103], v[106:107]
	buffer_store_dword v103, off, s[0:3], 0 offset:260
	buffer_store_dword v102, off, s[0:3], 0 offset:256
.LBB49_137:
	s_or_b64 exec, exec, s[4:5]
	s_waitcnt lgkmcnt(0)
	; wave barrier
	buffer_load_dword v102, off, s[0:3], 0 offset:264
	buffer_load_dword v103, off, s[0:3], 0 offset:268
	v_cmp_gt_u32_e32 vcc, 33, v0
	s_waitcnt vmcnt(0)
	ds_write_b64 v104, v[102:103]
	s_waitcnt lgkmcnt(0)
	; wave barrier
	s_waitcnt lgkmcnt(0)
	s_and_saveexec_b64 s[4:5], vcc
	s_cbranch_execz .LBB49_141
; %bb.138:
	v_add_u32_e32 v106, -1, v0
	v_add_u32_e32 v107, 0x190, v1
	v_add_u32_e32 v108, 0, v1
	s_mov_b64 s[6:7], 0
	v_pk_mov_b32 v[102:103], 0, 0
.LBB49_139:                             ; =>This Inner Loop Header: Depth=1
	buffer_load_dword v110, v108, s[0:3], 0 offen
	buffer_load_dword v111, v108, s[0:3], 0 offen offset:4
	ds_read_b64 v[112:113], v107
	v_add_u32_e32 v106, 1, v106
	v_cmp_lt_u32_e32 vcc, 31, v106
	v_add_u32_e32 v107, 8, v107
	v_add_u32_e32 v108, 8, v108
	s_or_b64 s[6:7], vcc, s[6:7]
	s_waitcnt vmcnt(0) lgkmcnt(0)
	v_fmac_f64_e32 v[102:103], v[110:111], v[112:113]
	s_andn2_b64 exec, exec, s[6:7]
	s_cbranch_execnz .LBB49_139
; %bb.140:
	s_or_b64 exec, exec, s[6:7]
	v_mov_b32_e32 v106, 0
	ds_read_b64 v[106:107], v106 offset:264
	s_waitcnt lgkmcnt(0)
	v_mul_f64 v[102:103], v[102:103], v[106:107]
	buffer_store_dword v103, off, s[0:3], 0 offset:268
	buffer_store_dword v102, off, s[0:3], 0 offset:264
.LBB49_141:
	s_or_b64 exec, exec, s[4:5]
	s_waitcnt lgkmcnt(0)
	; wave barrier
	buffer_load_dword v102, off, s[0:3], 0 offset:272
	buffer_load_dword v103, off, s[0:3], 0 offset:276
	v_cmp_gt_u32_e32 vcc, 34, v0
	s_waitcnt vmcnt(0)
	ds_write_b64 v104, v[102:103]
	s_waitcnt lgkmcnt(0)
	; wave barrier
	s_waitcnt lgkmcnt(0)
	s_and_saveexec_b64 s[4:5], vcc
	s_cbranch_execz .LBB49_145
; %bb.142:
	v_add_u32_e32 v106, -1, v0
	v_add_u32_e32 v107, 0x190, v1
	v_add_u32_e32 v108, 0, v1
	s_mov_b64 s[6:7], 0
	v_pk_mov_b32 v[102:103], 0, 0
.LBB49_143:                             ; =>This Inner Loop Header: Depth=1
	buffer_load_dword v110, v108, s[0:3], 0 offen
	buffer_load_dword v111, v108, s[0:3], 0 offen offset:4
	ds_read_b64 v[112:113], v107
	v_add_u32_e32 v106, 1, v106
	v_cmp_lt_u32_e32 vcc, 32, v106
	v_add_u32_e32 v107, 8, v107
	v_add_u32_e32 v108, 8, v108
	s_or_b64 s[6:7], vcc, s[6:7]
	s_waitcnt vmcnt(0) lgkmcnt(0)
	v_fmac_f64_e32 v[102:103], v[110:111], v[112:113]
	s_andn2_b64 exec, exec, s[6:7]
	s_cbranch_execnz .LBB49_143
; %bb.144:
	s_or_b64 exec, exec, s[6:7]
	v_mov_b32_e32 v106, 0
	ds_read_b64 v[106:107], v106 offset:272
	s_waitcnt lgkmcnt(0)
	v_mul_f64 v[102:103], v[102:103], v[106:107]
	buffer_store_dword v103, off, s[0:3], 0 offset:276
	buffer_store_dword v102, off, s[0:3], 0 offset:272
.LBB49_145:
	s_or_b64 exec, exec, s[4:5]
	s_waitcnt lgkmcnt(0)
	; wave barrier
	buffer_load_dword v102, off, s[0:3], 0 offset:280
	buffer_load_dword v103, off, s[0:3], 0 offset:284
	v_cmp_gt_u32_e32 vcc, 35, v0
	s_waitcnt vmcnt(0)
	ds_write_b64 v104, v[102:103]
	s_waitcnt lgkmcnt(0)
	; wave barrier
	s_waitcnt lgkmcnt(0)
	s_and_saveexec_b64 s[4:5], vcc
	s_cbranch_execz .LBB49_149
; %bb.146:
	v_add_u32_e32 v106, -1, v0
	v_add_u32_e32 v107, 0x190, v1
	v_add_u32_e32 v108, 0, v1
	s_mov_b64 s[6:7], 0
	v_pk_mov_b32 v[102:103], 0, 0
.LBB49_147:                             ; =>This Inner Loop Header: Depth=1
	buffer_load_dword v110, v108, s[0:3], 0 offen
	buffer_load_dword v111, v108, s[0:3], 0 offen offset:4
	ds_read_b64 v[112:113], v107
	v_add_u32_e32 v106, 1, v106
	v_cmp_lt_u32_e32 vcc, 33, v106
	v_add_u32_e32 v107, 8, v107
	v_add_u32_e32 v108, 8, v108
	s_or_b64 s[6:7], vcc, s[6:7]
	s_waitcnt vmcnt(0) lgkmcnt(0)
	v_fmac_f64_e32 v[102:103], v[110:111], v[112:113]
	s_andn2_b64 exec, exec, s[6:7]
	s_cbranch_execnz .LBB49_147
; %bb.148:
	s_or_b64 exec, exec, s[6:7]
	v_mov_b32_e32 v106, 0
	ds_read_b64 v[106:107], v106 offset:280
	s_waitcnt lgkmcnt(0)
	v_mul_f64 v[102:103], v[102:103], v[106:107]
	buffer_store_dword v103, off, s[0:3], 0 offset:284
	buffer_store_dword v102, off, s[0:3], 0 offset:280
.LBB49_149:
	s_or_b64 exec, exec, s[4:5]
	s_waitcnt lgkmcnt(0)
	; wave barrier
	buffer_load_dword v102, off, s[0:3], 0 offset:288
	buffer_load_dword v103, off, s[0:3], 0 offset:292
	v_cmp_gt_u32_e32 vcc, 36, v0
	s_waitcnt vmcnt(0)
	ds_write_b64 v104, v[102:103]
	s_waitcnt lgkmcnt(0)
	; wave barrier
	s_waitcnt lgkmcnt(0)
	s_and_saveexec_b64 s[4:5], vcc
	s_cbranch_execz .LBB49_153
; %bb.150:
	v_add_u32_e32 v106, -1, v0
	v_add_u32_e32 v107, 0x190, v1
	v_add_u32_e32 v108, 0, v1
	s_mov_b64 s[6:7], 0
	v_pk_mov_b32 v[102:103], 0, 0
.LBB49_151:                             ; =>This Inner Loop Header: Depth=1
	buffer_load_dword v110, v108, s[0:3], 0 offen
	buffer_load_dword v111, v108, s[0:3], 0 offen offset:4
	ds_read_b64 v[112:113], v107
	v_add_u32_e32 v106, 1, v106
	v_cmp_lt_u32_e32 vcc, 34, v106
	v_add_u32_e32 v107, 8, v107
	v_add_u32_e32 v108, 8, v108
	s_or_b64 s[6:7], vcc, s[6:7]
	s_waitcnt vmcnt(0) lgkmcnt(0)
	v_fmac_f64_e32 v[102:103], v[110:111], v[112:113]
	s_andn2_b64 exec, exec, s[6:7]
	s_cbranch_execnz .LBB49_151
; %bb.152:
	s_or_b64 exec, exec, s[6:7]
	v_mov_b32_e32 v106, 0
	ds_read_b64 v[106:107], v106 offset:288
	s_waitcnt lgkmcnt(0)
	v_mul_f64 v[102:103], v[102:103], v[106:107]
	buffer_store_dword v103, off, s[0:3], 0 offset:292
	buffer_store_dword v102, off, s[0:3], 0 offset:288
.LBB49_153:
	s_or_b64 exec, exec, s[4:5]
	s_waitcnt lgkmcnt(0)
	; wave barrier
	buffer_load_dword v102, off, s[0:3], 0 offset:296
	buffer_load_dword v103, off, s[0:3], 0 offset:300
	v_cmp_gt_u32_e32 vcc, 37, v0
	s_waitcnt vmcnt(0)
	ds_write_b64 v104, v[102:103]
	s_waitcnt lgkmcnt(0)
	; wave barrier
	s_waitcnt lgkmcnt(0)
	s_and_saveexec_b64 s[4:5], vcc
	s_cbranch_execz .LBB49_157
; %bb.154:
	v_add_u32_e32 v106, -1, v0
	v_add_u32_e32 v107, 0x190, v1
	v_add_u32_e32 v108, 0, v1
	s_mov_b64 s[6:7], 0
	v_pk_mov_b32 v[102:103], 0, 0
.LBB49_155:                             ; =>This Inner Loop Header: Depth=1
	buffer_load_dword v110, v108, s[0:3], 0 offen
	buffer_load_dword v111, v108, s[0:3], 0 offen offset:4
	ds_read_b64 v[112:113], v107
	v_add_u32_e32 v106, 1, v106
	v_cmp_lt_u32_e32 vcc, 35, v106
	v_add_u32_e32 v107, 8, v107
	v_add_u32_e32 v108, 8, v108
	s_or_b64 s[6:7], vcc, s[6:7]
	s_waitcnt vmcnt(0) lgkmcnt(0)
	v_fmac_f64_e32 v[102:103], v[110:111], v[112:113]
	s_andn2_b64 exec, exec, s[6:7]
	s_cbranch_execnz .LBB49_155
; %bb.156:
	s_or_b64 exec, exec, s[6:7]
	v_mov_b32_e32 v106, 0
	ds_read_b64 v[106:107], v106 offset:296
	s_waitcnt lgkmcnt(0)
	v_mul_f64 v[102:103], v[102:103], v[106:107]
	buffer_store_dword v103, off, s[0:3], 0 offset:300
	buffer_store_dword v102, off, s[0:3], 0 offset:296
.LBB49_157:
	s_or_b64 exec, exec, s[4:5]
	s_waitcnt lgkmcnt(0)
	; wave barrier
	buffer_load_dword v102, off, s[0:3], 0 offset:304
	buffer_load_dword v103, off, s[0:3], 0 offset:308
	v_cmp_gt_u32_e32 vcc, 38, v0
	s_waitcnt vmcnt(0)
	ds_write_b64 v104, v[102:103]
	s_waitcnt lgkmcnt(0)
	; wave barrier
	s_waitcnt lgkmcnt(0)
	s_and_saveexec_b64 s[4:5], vcc
	s_cbranch_execz .LBB49_161
; %bb.158:
	v_add_u32_e32 v106, -1, v0
	v_add_u32_e32 v107, 0x190, v1
	v_add_u32_e32 v108, 0, v1
	s_mov_b64 s[6:7], 0
	v_pk_mov_b32 v[102:103], 0, 0
.LBB49_159:                             ; =>This Inner Loop Header: Depth=1
	buffer_load_dword v110, v108, s[0:3], 0 offen
	buffer_load_dword v111, v108, s[0:3], 0 offen offset:4
	ds_read_b64 v[112:113], v107
	v_add_u32_e32 v106, 1, v106
	v_cmp_lt_u32_e32 vcc, 36, v106
	v_add_u32_e32 v107, 8, v107
	v_add_u32_e32 v108, 8, v108
	s_or_b64 s[6:7], vcc, s[6:7]
	s_waitcnt vmcnt(0) lgkmcnt(0)
	v_fmac_f64_e32 v[102:103], v[110:111], v[112:113]
	s_andn2_b64 exec, exec, s[6:7]
	s_cbranch_execnz .LBB49_159
; %bb.160:
	s_or_b64 exec, exec, s[6:7]
	v_mov_b32_e32 v106, 0
	ds_read_b64 v[106:107], v106 offset:304
	s_waitcnt lgkmcnt(0)
	v_mul_f64 v[102:103], v[102:103], v[106:107]
	buffer_store_dword v103, off, s[0:3], 0 offset:308
	buffer_store_dword v102, off, s[0:3], 0 offset:304
.LBB49_161:
	s_or_b64 exec, exec, s[4:5]
	s_waitcnt lgkmcnt(0)
	; wave barrier
	buffer_load_dword v102, off, s[0:3], 0 offset:312
	buffer_load_dword v103, off, s[0:3], 0 offset:316
	v_cmp_gt_u32_e32 vcc, 39, v0
	s_waitcnt vmcnt(0)
	ds_write_b64 v104, v[102:103]
	s_waitcnt lgkmcnt(0)
	; wave barrier
	s_waitcnt lgkmcnt(0)
	s_and_saveexec_b64 s[4:5], vcc
	s_cbranch_execz .LBB49_165
; %bb.162:
	v_add_u32_e32 v106, -1, v0
	v_add_u32_e32 v107, 0x190, v1
	v_add_u32_e32 v108, 0, v1
	s_mov_b64 s[6:7], 0
	v_pk_mov_b32 v[102:103], 0, 0
.LBB49_163:                             ; =>This Inner Loop Header: Depth=1
	buffer_load_dword v110, v108, s[0:3], 0 offen
	buffer_load_dword v111, v108, s[0:3], 0 offen offset:4
	ds_read_b64 v[112:113], v107
	v_add_u32_e32 v106, 1, v106
	v_cmp_lt_u32_e32 vcc, 37, v106
	v_add_u32_e32 v107, 8, v107
	v_add_u32_e32 v108, 8, v108
	s_or_b64 s[6:7], vcc, s[6:7]
	s_waitcnt vmcnt(0) lgkmcnt(0)
	v_fmac_f64_e32 v[102:103], v[110:111], v[112:113]
	s_andn2_b64 exec, exec, s[6:7]
	s_cbranch_execnz .LBB49_163
; %bb.164:
	s_or_b64 exec, exec, s[6:7]
	v_mov_b32_e32 v106, 0
	ds_read_b64 v[106:107], v106 offset:312
	s_waitcnt lgkmcnt(0)
	v_mul_f64 v[102:103], v[102:103], v[106:107]
	buffer_store_dword v103, off, s[0:3], 0 offset:316
	buffer_store_dword v102, off, s[0:3], 0 offset:312
.LBB49_165:
	s_or_b64 exec, exec, s[4:5]
	s_waitcnt lgkmcnt(0)
	; wave barrier
	buffer_load_dword v102, off, s[0:3], 0 offset:320
	buffer_load_dword v103, off, s[0:3], 0 offset:324
	v_cmp_gt_u32_e32 vcc, 40, v0
	s_waitcnt vmcnt(0)
	ds_write_b64 v104, v[102:103]
	s_waitcnt lgkmcnt(0)
	; wave barrier
	s_waitcnt lgkmcnt(0)
	s_and_saveexec_b64 s[4:5], vcc
	s_cbranch_execz .LBB49_169
; %bb.166:
	v_add_u32_e32 v106, -1, v0
	v_add_u32_e32 v107, 0x190, v1
	v_add_u32_e32 v108, 0, v1
	s_mov_b64 s[6:7], 0
	v_pk_mov_b32 v[102:103], 0, 0
.LBB49_167:                             ; =>This Inner Loop Header: Depth=1
	buffer_load_dword v110, v108, s[0:3], 0 offen
	buffer_load_dword v111, v108, s[0:3], 0 offen offset:4
	ds_read_b64 v[112:113], v107
	v_add_u32_e32 v106, 1, v106
	v_cmp_lt_u32_e32 vcc, 38, v106
	v_add_u32_e32 v107, 8, v107
	v_add_u32_e32 v108, 8, v108
	s_or_b64 s[6:7], vcc, s[6:7]
	s_waitcnt vmcnt(0) lgkmcnt(0)
	v_fmac_f64_e32 v[102:103], v[110:111], v[112:113]
	s_andn2_b64 exec, exec, s[6:7]
	s_cbranch_execnz .LBB49_167
; %bb.168:
	s_or_b64 exec, exec, s[6:7]
	v_mov_b32_e32 v106, 0
	ds_read_b64 v[106:107], v106 offset:320
	s_waitcnt lgkmcnt(0)
	v_mul_f64 v[102:103], v[102:103], v[106:107]
	buffer_store_dword v103, off, s[0:3], 0 offset:324
	buffer_store_dword v102, off, s[0:3], 0 offset:320
.LBB49_169:
	s_or_b64 exec, exec, s[4:5]
	s_waitcnt lgkmcnt(0)
	; wave barrier
	buffer_load_dword v102, off, s[0:3], 0 offset:328
	buffer_load_dword v103, off, s[0:3], 0 offset:332
	v_cmp_gt_u32_e32 vcc, 41, v0
	s_waitcnt vmcnt(0)
	ds_write_b64 v104, v[102:103]
	s_waitcnt lgkmcnt(0)
	; wave barrier
	s_waitcnt lgkmcnt(0)
	s_and_saveexec_b64 s[4:5], vcc
	s_cbranch_execz .LBB49_173
; %bb.170:
	v_add_u32_e32 v106, -1, v0
	v_add_u32_e32 v107, 0x190, v1
	v_add_u32_e32 v108, 0, v1
	s_mov_b64 s[6:7], 0
	v_pk_mov_b32 v[102:103], 0, 0
.LBB49_171:                             ; =>This Inner Loop Header: Depth=1
	buffer_load_dword v110, v108, s[0:3], 0 offen
	buffer_load_dword v111, v108, s[0:3], 0 offen offset:4
	ds_read_b64 v[112:113], v107
	v_add_u32_e32 v106, 1, v106
	v_cmp_lt_u32_e32 vcc, 39, v106
	v_add_u32_e32 v107, 8, v107
	v_add_u32_e32 v108, 8, v108
	s_or_b64 s[6:7], vcc, s[6:7]
	s_waitcnt vmcnt(0) lgkmcnt(0)
	v_fmac_f64_e32 v[102:103], v[110:111], v[112:113]
	s_andn2_b64 exec, exec, s[6:7]
	s_cbranch_execnz .LBB49_171
; %bb.172:
	s_or_b64 exec, exec, s[6:7]
	v_mov_b32_e32 v106, 0
	ds_read_b64 v[106:107], v106 offset:328
	s_waitcnt lgkmcnt(0)
	v_mul_f64 v[102:103], v[102:103], v[106:107]
	buffer_store_dword v103, off, s[0:3], 0 offset:332
	buffer_store_dword v102, off, s[0:3], 0 offset:328
.LBB49_173:
	s_or_b64 exec, exec, s[4:5]
	s_waitcnt lgkmcnt(0)
	; wave barrier
	buffer_load_dword v102, off, s[0:3], 0 offset:336
	buffer_load_dword v103, off, s[0:3], 0 offset:340
	v_cmp_gt_u32_e32 vcc, 42, v0
	s_waitcnt vmcnt(0)
	ds_write_b64 v104, v[102:103]
	s_waitcnt lgkmcnt(0)
	; wave barrier
	s_waitcnt lgkmcnt(0)
	s_and_saveexec_b64 s[4:5], vcc
	s_cbranch_execz .LBB49_177
; %bb.174:
	v_add_u32_e32 v106, -1, v0
	v_add_u32_e32 v107, 0x190, v1
	v_add_u32_e32 v108, 0, v1
	s_mov_b64 s[6:7], 0
	v_pk_mov_b32 v[102:103], 0, 0
.LBB49_175:                             ; =>This Inner Loop Header: Depth=1
	buffer_load_dword v110, v108, s[0:3], 0 offen
	buffer_load_dword v111, v108, s[0:3], 0 offen offset:4
	ds_read_b64 v[112:113], v107
	v_add_u32_e32 v106, 1, v106
	v_cmp_lt_u32_e32 vcc, 40, v106
	v_add_u32_e32 v107, 8, v107
	v_add_u32_e32 v108, 8, v108
	s_or_b64 s[6:7], vcc, s[6:7]
	s_waitcnt vmcnt(0) lgkmcnt(0)
	v_fmac_f64_e32 v[102:103], v[110:111], v[112:113]
	s_andn2_b64 exec, exec, s[6:7]
	s_cbranch_execnz .LBB49_175
; %bb.176:
	s_or_b64 exec, exec, s[6:7]
	v_mov_b32_e32 v106, 0
	ds_read_b64 v[106:107], v106 offset:336
	s_waitcnt lgkmcnt(0)
	v_mul_f64 v[102:103], v[102:103], v[106:107]
	buffer_store_dword v103, off, s[0:3], 0 offset:340
	buffer_store_dword v102, off, s[0:3], 0 offset:336
.LBB49_177:
	s_or_b64 exec, exec, s[4:5]
	s_waitcnt lgkmcnt(0)
	; wave barrier
	buffer_load_dword v102, off, s[0:3], 0 offset:344
	buffer_load_dword v103, off, s[0:3], 0 offset:348
	v_cmp_gt_u32_e32 vcc, 43, v0
	s_waitcnt vmcnt(0)
	ds_write_b64 v104, v[102:103]
	s_waitcnt lgkmcnt(0)
	; wave barrier
	s_waitcnt lgkmcnt(0)
	s_and_saveexec_b64 s[4:5], vcc
	s_cbranch_execz .LBB49_181
; %bb.178:
	v_add_u32_e32 v106, -1, v0
	v_add_u32_e32 v107, 0x190, v1
	v_add_u32_e32 v108, 0, v1
	s_mov_b64 s[6:7], 0
	v_pk_mov_b32 v[102:103], 0, 0
.LBB49_179:                             ; =>This Inner Loop Header: Depth=1
	buffer_load_dword v110, v108, s[0:3], 0 offen
	buffer_load_dword v111, v108, s[0:3], 0 offen offset:4
	ds_read_b64 v[112:113], v107
	v_add_u32_e32 v106, 1, v106
	v_cmp_lt_u32_e32 vcc, 41, v106
	v_add_u32_e32 v107, 8, v107
	v_add_u32_e32 v108, 8, v108
	s_or_b64 s[6:7], vcc, s[6:7]
	s_waitcnt vmcnt(0) lgkmcnt(0)
	v_fmac_f64_e32 v[102:103], v[110:111], v[112:113]
	s_andn2_b64 exec, exec, s[6:7]
	s_cbranch_execnz .LBB49_179
; %bb.180:
	s_or_b64 exec, exec, s[6:7]
	v_mov_b32_e32 v106, 0
	ds_read_b64 v[106:107], v106 offset:344
	s_waitcnt lgkmcnt(0)
	v_mul_f64 v[102:103], v[102:103], v[106:107]
	buffer_store_dword v103, off, s[0:3], 0 offset:348
	buffer_store_dword v102, off, s[0:3], 0 offset:344
.LBB49_181:
	s_or_b64 exec, exec, s[4:5]
	s_waitcnt lgkmcnt(0)
	; wave barrier
	buffer_load_dword v102, off, s[0:3], 0 offset:352
	buffer_load_dword v103, off, s[0:3], 0 offset:356
	v_cmp_gt_u32_e32 vcc, 44, v0
	s_waitcnt vmcnt(0)
	ds_write_b64 v104, v[102:103]
	s_waitcnt lgkmcnt(0)
	; wave barrier
	s_waitcnt lgkmcnt(0)
	s_and_saveexec_b64 s[4:5], vcc
	s_cbranch_execz .LBB49_185
; %bb.182:
	v_add_u32_e32 v106, -1, v0
	v_add_u32_e32 v107, 0x190, v1
	v_add_u32_e32 v108, 0, v1
	s_mov_b64 s[6:7], 0
	v_pk_mov_b32 v[102:103], 0, 0
.LBB49_183:                             ; =>This Inner Loop Header: Depth=1
	buffer_load_dword v110, v108, s[0:3], 0 offen
	buffer_load_dword v111, v108, s[0:3], 0 offen offset:4
	ds_read_b64 v[112:113], v107
	v_add_u32_e32 v106, 1, v106
	v_cmp_lt_u32_e32 vcc, 42, v106
	v_add_u32_e32 v107, 8, v107
	v_add_u32_e32 v108, 8, v108
	s_or_b64 s[6:7], vcc, s[6:7]
	s_waitcnt vmcnt(0) lgkmcnt(0)
	v_fmac_f64_e32 v[102:103], v[110:111], v[112:113]
	s_andn2_b64 exec, exec, s[6:7]
	s_cbranch_execnz .LBB49_183
; %bb.184:
	s_or_b64 exec, exec, s[6:7]
	v_mov_b32_e32 v106, 0
	ds_read_b64 v[106:107], v106 offset:352
	s_waitcnt lgkmcnt(0)
	v_mul_f64 v[102:103], v[102:103], v[106:107]
	buffer_store_dword v103, off, s[0:3], 0 offset:356
	buffer_store_dword v102, off, s[0:3], 0 offset:352
.LBB49_185:
	s_or_b64 exec, exec, s[4:5]
	s_waitcnt lgkmcnt(0)
	; wave barrier
	buffer_load_dword v102, off, s[0:3], 0 offset:360
	buffer_load_dword v103, off, s[0:3], 0 offset:364
	v_cmp_gt_u32_e32 vcc, 45, v0
	s_waitcnt vmcnt(0)
	ds_write_b64 v104, v[102:103]
	s_waitcnt lgkmcnt(0)
	; wave barrier
	s_waitcnt lgkmcnt(0)
	s_and_saveexec_b64 s[4:5], vcc
	s_cbranch_execz .LBB49_189
; %bb.186:
	v_add_u32_e32 v106, -1, v0
	v_add_u32_e32 v107, 0x190, v1
	v_add_u32_e32 v108, 0, v1
	s_mov_b64 s[6:7], 0
	v_pk_mov_b32 v[102:103], 0, 0
.LBB49_187:                             ; =>This Inner Loop Header: Depth=1
	buffer_load_dword v110, v108, s[0:3], 0 offen
	buffer_load_dword v111, v108, s[0:3], 0 offen offset:4
	ds_read_b64 v[112:113], v107
	v_add_u32_e32 v106, 1, v106
	v_cmp_lt_u32_e32 vcc, 43, v106
	v_add_u32_e32 v107, 8, v107
	v_add_u32_e32 v108, 8, v108
	s_or_b64 s[6:7], vcc, s[6:7]
	s_waitcnt vmcnt(0) lgkmcnt(0)
	v_fmac_f64_e32 v[102:103], v[110:111], v[112:113]
	s_andn2_b64 exec, exec, s[6:7]
	s_cbranch_execnz .LBB49_187
; %bb.188:
	s_or_b64 exec, exec, s[6:7]
	v_mov_b32_e32 v106, 0
	ds_read_b64 v[106:107], v106 offset:360
	s_waitcnt lgkmcnt(0)
	v_mul_f64 v[102:103], v[102:103], v[106:107]
	buffer_store_dword v103, off, s[0:3], 0 offset:364
	buffer_store_dword v102, off, s[0:3], 0 offset:360
.LBB49_189:
	s_or_b64 exec, exec, s[4:5]
	s_waitcnt lgkmcnt(0)
	; wave barrier
	buffer_load_dword v102, off, s[0:3], 0 offset:368
	buffer_load_dword v103, off, s[0:3], 0 offset:372
	v_cmp_gt_u32_e32 vcc, 46, v0
	s_waitcnt vmcnt(0)
	ds_write_b64 v104, v[102:103]
	s_waitcnt lgkmcnt(0)
	; wave barrier
	s_waitcnt lgkmcnt(0)
	s_and_saveexec_b64 s[4:5], vcc
	s_cbranch_execz .LBB49_193
; %bb.190:
	v_add_u32_e32 v106, -1, v0
	v_add_u32_e32 v107, 0x190, v1
	v_add_u32_e32 v108, 0, v1
	s_mov_b64 s[6:7], 0
	v_pk_mov_b32 v[102:103], 0, 0
.LBB49_191:                             ; =>This Inner Loop Header: Depth=1
	buffer_load_dword v110, v108, s[0:3], 0 offen
	buffer_load_dword v111, v108, s[0:3], 0 offen offset:4
	ds_read_b64 v[112:113], v107
	v_add_u32_e32 v106, 1, v106
	v_cmp_lt_u32_e32 vcc, 44, v106
	v_add_u32_e32 v107, 8, v107
	v_add_u32_e32 v108, 8, v108
	s_or_b64 s[6:7], vcc, s[6:7]
	s_waitcnt vmcnt(0) lgkmcnt(0)
	v_fmac_f64_e32 v[102:103], v[110:111], v[112:113]
	s_andn2_b64 exec, exec, s[6:7]
	s_cbranch_execnz .LBB49_191
; %bb.192:
	s_or_b64 exec, exec, s[6:7]
	v_mov_b32_e32 v106, 0
	ds_read_b64 v[106:107], v106 offset:368
	s_waitcnt lgkmcnt(0)
	v_mul_f64 v[102:103], v[102:103], v[106:107]
	buffer_store_dword v103, off, s[0:3], 0 offset:372
	buffer_store_dword v102, off, s[0:3], 0 offset:368
.LBB49_193:
	s_or_b64 exec, exec, s[4:5]
	s_waitcnt lgkmcnt(0)
	; wave barrier
	buffer_load_dword v102, off, s[0:3], 0 offset:376
	buffer_load_dword v103, off, s[0:3], 0 offset:380
	v_cmp_gt_u32_e32 vcc, 47, v0
	s_waitcnt vmcnt(0)
	ds_write_b64 v104, v[102:103]
	s_waitcnt lgkmcnt(0)
	; wave barrier
	s_waitcnt lgkmcnt(0)
	s_and_saveexec_b64 s[4:5], vcc
	s_cbranch_execz .LBB49_197
; %bb.194:
	v_add_u32_e32 v106, -1, v0
	v_add_u32_e32 v107, 0x190, v1
	v_add_u32_e32 v108, 0, v1
	s_mov_b64 s[6:7], 0
	v_pk_mov_b32 v[102:103], 0, 0
.LBB49_195:                             ; =>This Inner Loop Header: Depth=1
	buffer_load_dword v110, v108, s[0:3], 0 offen
	buffer_load_dword v111, v108, s[0:3], 0 offen offset:4
	ds_read_b64 v[112:113], v107
	v_add_u32_e32 v106, 1, v106
	v_cmp_lt_u32_e32 vcc, 45, v106
	v_add_u32_e32 v107, 8, v107
	v_add_u32_e32 v108, 8, v108
	s_or_b64 s[6:7], vcc, s[6:7]
	s_waitcnt vmcnt(0) lgkmcnt(0)
	v_fmac_f64_e32 v[102:103], v[110:111], v[112:113]
	s_andn2_b64 exec, exec, s[6:7]
	s_cbranch_execnz .LBB49_195
; %bb.196:
	s_or_b64 exec, exec, s[6:7]
	v_mov_b32_e32 v106, 0
	ds_read_b64 v[106:107], v106 offset:376
	s_waitcnt lgkmcnt(0)
	v_mul_f64 v[102:103], v[102:103], v[106:107]
	buffer_store_dword v103, off, s[0:3], 0 offset:380
	buffer_store_dword v102, off, s[0:3], 0 offset:376
.LBB49_197:
	s_or_b64 exec, exec, s[4:5]
	s_waitcnt lgkmcnt(0)
	; wave barrier
	buffer_load_dword v102, off, s[0:3], 0 offset:384
	buffer_load_dword v103, off, s[0:3], 0 offset:388
	v_cmp_gt_u32_e32 vcc, 48, v0
	s_waitcnt vmcnt(0)
	ds_write_b64 v104, v[102:103]
	s_waitcnt lgkmcnt(0)
	; wave barrier
	s_waitcnt lgkmcnt(0)
	s_and_saveexec_b64 s[4:5], vcc
	s_cbranch_execz .LBB49_201
; %bb.198:
	v_add_u32_e32 v106, -1, v0
	v_add_u32_e32 v107, 0x190, v1
	v_add_u32_e32 v108, 0, v1
	s_mov_b64 s[6:7], 0
	v_pk_mov_b32 v[102:103], 0, 0
.LBB49_199:                             ; =>This Inner Loop Header: Depth=1
	buffer_load_dword v110, v108, s[0:3], 0 offen
	buffer_load_dword v111, v108, s[0:3], 0 offen offset:4
	ds_read_b64 v[112:113], v107
	v_add_u32_e32 v106, 1, v106
	v_cmp_lt_u32_e32 vcc, 46, v106
	v_add_u32_e32 v107, 8, v107
	v_add_u32_e32 v108, 8, v108
	s_or_b64 s[6:7], vcc, s[6:7]
	s_waitcnt vmcnt(0) lgkmcnt(0)
	v_fmac_f64_e32 v[102:103], v[110:111], v[112:113]
	s_andn2_b64 exec, exec, s[6:7]
	s_cbranch_execnz .LBB49_199
; %bb.200:
	s_or_b64 exec, exec, s[6:7]
	v_mov_b32_e32 v106, 0
	ds_read_b64 v[106:107], v106 offset:384
	s_waitcnt lgkmcnt(0)
	v_mul_f64 v[102:103], v[102:103], v[106:107]
	buffer_store_dword v103, off, s[0:3], 0 offset:388
	buffer_store_dword v102, off, s[0:3], 0 offset:384
.LBB49_201:
	s_or_b64 exec, exec, s[4:5]
	s_waitcnt lgkmcnt(0)
	; wave barrier
	buffer_load_dword v102, off, s[0:3], 0 offset:392
	buffer_load_dword v103, off, s[0:3], 0 offset:396
	v_cmp_ne_u32_e32 vcc, 49, v0
	s_waitcnt vmcnt(0)
	ds_write_b64 v104, v[102:103]
	s_waitcnt lgkmcnt(0)
	; wave barrier
	s_waitcnt lgkmcnt(0)
	s_and_saveexec_b64 s[4:5], vcc
	s_cbranch_execz .LBB49_205
; %bb.202:
	v_add_u32_e32 v104, 0x190, v1
	v_add_u32_e32 v1, 0, v1
	s_mov_b64 s[6:7], 0
	v_pk_mov_b32 v[102:103], 0, 0
.LBB49_203:                             ; =>This Inner Loop Header: Depth=1
	buffer_load_dword v106, v1, s[0:3], 0 offen
	buffer_load_dword v107, v1, s[0:3], 0 offen offset:4
	ds_read_b64 v[108:109], v104
	v_add_u32_e32 v105, 1, v105
	v_cmp_lt_u32_e32 vcc, 47, v105
	v_add_u32_e32 v104, 8, v104
	v_add_u32_e32 v1, 8, v1
	s_or_b64 s[6:7], vcc, s[6:7]
	s_waitcnt vmcnt(0) lgkmcnt(0)
	v_fmac_f64_e32 v[102:103], v[106:107], v[108:109]
	s_andn2_b64 exec, exec, s[6:7]
	s_cbranch_execnz .LBB49_203
; %bb.204:
	s_or_b64 exec, exec, s[6:7]
	v_mov_b32_e32 v1, 0
	ds_read_b64 v[104:105], v1 offset:392
	s_waitcnt lgkmcnt(0)
	v_mul_f64 v[102:103], v[102:103], v[104:105]
	buffer_store_dword v103, off, s[0:3], 0 offset:396
	buffer_store_dword v102, off, s[0:3], 0 offset:392
.LBB49_205:
	s_or_b64 exec, exec, s[4:5]
	s_mov_b64 s[6:7], -1
	s_waitcnt lgkmcnt(0)
	; wave barrier
.LBB49_206:
	s_and_b64 vcc, exec, s[6:7]
	s_cbranch_vccz .LBB49_208
; %bb.207:
	s_lshl_b64 s[4:5], s[8:9], 2
	s_add_u32 s4, s14, s4
	s_addc_u32 s5, s15, s5
	v_mov_b32_e32 v1, 0
	global_load_dword v1, v1, s[4:5]
	s_waitcnt vmcnt(0)
	v_cmp_ne_u32_e32 vcc, 0, v1
	s_cbranch_vccz .LBB49_209
.LBB49_208:
	s_endpgm
.LBB49_209:
	v_mov_b32_e32 v1, 0x190
	v_lshl_add_u32 v1, v0, 3, v1
	v_cmp_eq_u32_e32 vcc, 49, v0
	s_and_saveexec_b64 s[4:5], vcc
	s_cbranch_execz .LBB49_211
; %bb.210:
	buffer_load_dword v102, off, s[0:3], 0 offset:384
	buffer_load_dword v103, off, s[0:3], 0 offset:388
	v_mov_b32_e32 v104, 0
	buffer_store_dword v104, off, s[0:3], 0 offset:384
	buffer_store_dword v104, off, s[0:3], 0 offset:388
	s_waitcnt vmcnt(2)
	ds_write_b64 v1, v[102:103]
.LBB49_211:
	s_or_b64 exec, exec, s[4:5]
	s_waitcnt lgkmcnt(0)
	; wave barrier
	s_waitcnt lgkmcnt(0)
	buffer_load_dword v104, off, s[0:3], 0 offset:392
	buffer_load_dword v105, off, s[0:3], 0 offset:396
	;; [unrolled: 1-line block ×4, first 2 shown]
	v_mov_b32_e32 v102, 0
	ds_read_b64 v[108:109], v102 offset:792
	v_cmp_lt_u32_e32 vcc, 47, v0
	s_waitcnt vmcnt(2) lgkmcnt(0)
	v_fma_f64 v[104:105], v[104:105], v[108:109], 0
	s_waitcnt vmcnt(0)
	v_add_f64 v[104:105], v[106:107], -v[104:105]
	buffer_store_dword v104, off, s[0:3], 0 offset:384
	buffer_store_dword v105, off, s[0:3], 0 offset:388
	s_and_saveexec_b64 s[4:5], vcc
	s_cbranch_execz .LBB49_213
; %bb.212:
	buffer_load_dword v104, off, s[0:3], 0 offset:376
	buffer_load_dword v105, off, s[0:3], 0 offset:380
	s_waitcnt vmcnt(0)
	ds_write_b64 v1, v[104:105]
	buffer_store_dword v102, off, s[0:3], 0 offset:376
	buffer_store_dword v102, off, s[0:3], 0 offset:380
.LBB49_213:
	s_or_b64 exec, exec, s[4:5]
	s_waitcnt lgkmcnt(0)
	; wave barrier
	s_waitcnt lgkmcnt(0)
	buffer_load_dword v106, off, s[0:3], 0 offset:384
	buffer_load_dword v107, off, s[0:3], 0 offset:388
	;; [unrolled: 1-line block ×6, first 2 shown]
	ds_read_b128 v[102:105], v102 offset:784
	v_cmp_lt_u32_e32 vcc, 46, v0
	s_waitcnt vmcnt(4) lgkmcnt(0)
	v_fma_f64 v[102:103], v[106:107], v[102:103], 0
	s_waitcnt vmcnt(2)
	v_fmac_f64_e32 v[102:103], v[108:109], v[104:105]
	s_waitcnt vmcnt(0)
	v_add_f64 v[102:103], v[110:111], -v[102:103]
	buffer_store_dword v102, off, s[0:3], 0 offset:376
	buffer_store_dword v103, off, s[0:3], 0 offset:380
	s_and_saveexec_b64 s[4:5], vcc
	s_cbranch_execz .LBB49_215
; %bb.214:
	buffer_load_dword v102, off, s[0:3], 0 offset:368
	buffer_load_dword v103, off, s[0:3], 0 offset:372
	v_mov_b32_e32 v104, 0
	buffer_store_dword v104, off, s[0:3], 0 offset:368
	buffer_store_dword v104, off, s[0:3], 0 offset:372
	s_waitcnt vmcnt(2)
	ds_write_b64 v1, v[102:103]
.LBB49_215:
	s_or_b64 exec, exec, s[4:5]
	s_waitcnt lgkmcnt(0)
	; wave barrier
	s_waitcnt lgkmcnt(0)
	buffer_load_dword v108, off, s[0:3], 0 offset:376
	buffer_load_dword v109, off, s[0:3], 0 offset:380
	buffer_load_dword v110, off, s[0:3], 0 offset:384
	buffer_load_dword v111, off, s[0:3], 0 offset:388
	buffer_load_dword v112, off, s[0:3], 0 offset:392
	buffer_load_dword v113, off, s[0:3], 0 offset:396
	buffer_load_dword v114, off, s[0:3], 0 offset:368
	buffer_load_dword v115, off, s[0:3], 0 offset:372
	v_mov_b32_e32 v102, 0
	ds_read2_b64 v[104:107], v102 offset0:97 offset1:98
	ds_read_b64 v[116:117], v102 offset:792
	v_cmp_lt_u32_e32 vcc, 45, v0
	s_waitcnt vmcnt(6) lgkmcnt(1)
	v_fma_f64 v[104:105], v[108:109], v[104:105], 0
	s_waitcnt vmcnt(4)
	v_fmac_f64_e32 v[104:105], v[110:111], v[106:107]
	s_waitcnt vmcnt(2) lgkmcnt(0)
	v_fmac_f64_e32 v[104:105], v[112:113], v[116:117]
	s_waitcnt vmcnt(0)
	v_add_f64 v[104:105], v[114:115], -v[104:105]
	buffer_store_dword v104, off, s[0:3], 0 offset:368
	buffer_store_dword v105, off, s[0:3], 0 offset:372
	s_and_saveexec_b64 s[4:5], vcc
	s_cbranch_execz .LBB49_217
; %bb.216:
	buffer_load_dword v104, off, s[0:3], 0 offset:360
	buffer_load_dword v105, off, s[0:3], 0 offset:364
	s_waitcnt vmcnt(0)
	ds_write_b64 v1, v[104:105]
	buffer_store_dword v102, off, s[0:3], 0 offset:360
	buffer_store_dword v102, off, s[0:3], 0 offset:364
.LBB49_217:
	s_or_b64 exec, exec, s[4:5]
	s_waitcnt lgkmcnt(0)
	; wave barrier
	s_waitcnt lgkmcnt(0)
	buffer_load_dword v112, off, s[0:3], 0 offset:368
	buffer_load_dword v113, off, s[0:3], 0 offset:372
	;; [unrolled: 1-line block ×10, first 2 shown]
	ds_read_b128 v[104:107], v102 offset:768
	ds_read_b128 v[108:111], v102 offset:784
	v_cmp_lt_u32_e32 vcc, 44, v0
	s_waitcnt vmcnt(8) lgkmcnt(1)
	v_fma_f64 v[102:103], v[112:113], v[104:105], 0
	s_waitcnt vmcnt(6)
	v_fmac_f64_e32 v[102:103], v[114:115], v[106:107]
	s_waitcnt vmcnt(4) lgkmcnt(0)
	v_fmac_f64_e32 v[102:103], v[116:117], v[108:109]
	s_waitcnt vmcnt(2)
	v_fmac_f64_e32 v[102:103], v[118:119], v[110:111]
	s_waitcnt vmcnt(0)
	v_add_f64 v[102:103], v[120:121], -v[102:103]
	buffer_store_dword v102, off, s[0:3], 0 offset:360
	buffer_store_dword v103, off, s[0:3], 0 offset:364
	s_and_saveexec_b64 s[4:5], vcc
	s_cbranch_execz .LBB49_219
; %bb.218:
	buffer_load_dword v102, off, s[0:3], 0 offset:352
	buffer_load_dword v103, off, s[0:3], 0 offset:356
	v_mov_b32_e32 v104, 0
	buffer_store_dword v104, off, s[0:3], 0 offset:352
	buffer_store_dword v104, off, s[0:3], 0 offset:356
	s_waitcnt vmcnt(2)
	ds_write_b64 v1, v[102:103]
.LBB49_219:
	s_or_b64 exec, exec, s[4:5]
	s_waitcnt lgkmcnt(0)
	; wave barrier
	s_waitcnt lgkmcnt(0)
	buffer_load_dword v112, off, s[0:3], 0 offset:360
	buffer_load_dword v113, off, s[0:3], 0 offset:364
	;; [unrolled: 1-line block ×12, first 2 shown]
	v_mov_b32_e32 v102, 0
	ds_read2_b64 v[104:107], v102 offset0:95 offset1:96
	ds_read2_b64 v[108:111], v102 offset0:97 offset1:98
	ds_read_b64 v[124:125], v102 offset:792
	v_cmp_lt_u32_e32 vcc, 43, v0
	s_waitcnt vmcnt(10) lgkmcnt(2)
	v_fma_f64 v[104:105], v[112:113], v[104:105], 0
	s_waitcnt vmcnt(8)
	v_fmac_f64_e32 v[104:105], v[114:115], v[106:107]
	s_waitcnt vmcnt(6) lgkmcnt(1)
	v_fmac_f64_e32 v[104:105], v[116:117], v[108:109]
	s_waitcnt vmcnt(4)
	v_fmac_f64_e32 v[104:105], v[118:119], v[110:111]
	s_waitcnt vmcnt(2) lgkmcnt(0)
	v_fmac_f64_e32 v[104:105], v[120:121], v[124:125]
	s_waitcnt vmcnt(0)
	v_add_f64 v[104:105], v[122:123], -v[104:105]
	buffer_store_dword v104, off, s[0:3], 0 offset:352
	buffer_store_dword v105, off, s[0:3], 0 offset:356
	s_and_saveexec_b64 s[4:5], vcc
	s_cbranch_execz .LBB49_221
; %bb.220:
	buffer_load_dword v104, off, s[0:3], 0 offset:344
	buffer_load_dword v105, off, s[0:3], 0 offset:348
	s_waitcnt vmcnt(0)
	ds_write_b64 v1, v[104:105]
	buffer_store_dword v102, off, s[0:3], 0 offset:344
	buffer_store_dword v102, off, s[0:3], 0 offset:348
.LBB49_221:
	s_or_b64 exec, exec, s[4:5]
	s_waitcnt lgkmcnt(0)
	; wave barrier
	s_waitcnt lgkmcnt(0)
	buffer_load_dword v116, off, s[0:3], 0 offset:352
	buffer_load_dword v117, off, s[0:3], 0 offset:356
	;; [unrolled: 1-line block ×14, first 2 shown]
	ds_read_b128 v[104:107], v102 offset:752
	ds_read_b128 v[108:111], v102 offset:768
	ds_read_b128 v[112:115], v102 offset:784
	v_cmp_lt_u32_e32 vcc, 42, v0
	s_waitcnt vmcnt(12) lgkmcnt(2)
	v_fma_f64 v[102:103], v[116:117], v[104:105], 0
	s_waitcnt vmcnt(10)
	v_fmac_f64_e32 v[102:103], v[118:119], v[106:107]
	s_waitcnt vmcnt(8) lgkmcnt(1)
	v_fmac_f64_e32 v[102:103], v[120:121], v[108:109]
	s_waitcnt vmcnt(6)
	v_fmac_f64_e32 v[102:103], v[122:123], v[110:111]
	s_waitcnt vmcnt(4) lgkmcnt(0)
	v_fmac_f64_e32 v[102:103], v[124:125], v[112:113]
	s_waitcnt vmcnt(2)
	v_fmac_f64_e32 v[102:103], v[126:127], v[114:115]
	s_waitcnt vmcnt(0)
	v_add_f64 v[102:103], v[128:129], -v[102:103]
	buffer_store_dword v102, off, s[0:3], 0 offset:344
	buffer_store_dword v103, off, s[0:3], 0 offset:348
	s_and_saveexec_b64 s[4:5], vcc
	s_cbranch_execz .LBB49_223
; %bb.222:
	buffer_load_dword v102, off, s[0:3], 0 offset:336
	buffer_load_dword v103, off, s[0:3], 0 offset:340
	v_mov_b32_e32 v104, 0
	buffer_store_dword v104, off, s[0:3], 0 offset:336
	buffer_store_dword v104, off, s[0:3], 0 offset:340
	s_waitcnt vmcnt(2)
	ds_write_b64 v1, v[102:103]
.LBB49_223:
	s_or_b64 exec, exec, s[4:5]
	s_waitcnt lgkmcnt(0)
	; wave barrier
	s_waitcnt lgkmcnt(0)
	buffer_load_dword v116, off, s[0:3], 0 offset:344
	buffer_load_dword v117, off, s[0:3], 0 offset:348
	;; [unrolled: 1-line block ×16, first 2 shown]
	v_mov_b32_e32 v102, 0
	ds_read2_b64 v[104:107], v102 offset0:93 offset1:94
	ds_read2_b64 v[108:111], v102 offset0:95 offset1:96
	ds_read2_b64 v[112:115], v102 offset0:97 offset1:98
	ds_read_b64 v[132:133], v102 offset:792
	v_cmp_lt_u32_e32 vcc, 41, v0
	s_waitcnt vmcnt(14) lgkmcnt(3)
	v_fma_f64 v[104:105], v[116:117], v[104:105], 0
	s_waitcnt vmcnt(12)
	v_fmac_f64_e32 v[104:105], v[118:119], v[106:107]
	s_waitcnt vmcnt(10) lgkmcnt(2)
	v_fmac_f64_e32 v[104:105], v[120:121], v[108:109]
	s_waitcnt vmcnt(8)
	v_fmac_f64_e32 v[104:105], v[122:123], v[110:111]
	s_waitcnt vmcnt(6) lgkmcnt(1)
	v_fmac_f64_e32 v[104:105], v[124:125], v[112:113]
	;; [unrolled: 4-line block ×3, first 2 shown]
	s_waitcnt vmcnt(0)
	v_add_f64 v[104:105], v[130:131], -v[104:105]
	buffer_store_dword v104, off, s[0:3], 0 offset:336
	buffer_store_dword v105, off, s[0:3], 0 offset:340
	s_and_saveexec_b64 s[4:5], vcc
	s_cbranch_execz .LBB49_225
; %bb.224:
	buffer_load_dword v104, off, s[0:3], 0 offset:328
	buffer_load_dword v105, off, s[0:3], 0 offset:332
	s_waitcnt vmcnt(0)
	ds_write_b64 v1, v[104:105]
	buffer_store_dword v102, off, s[0:3], 0 offset:328
	buffer_store_dword v102, off, s[0:3], 0 offset:332
.LBB49_225:
	s_or_b64 exec, exec, s[4:5]
	s_waitcnt lgkmcnt(0)
	; wave barrier
	s_waitcnt lgkmcnt(0)
	buffer_load_dword v120, off, s[0:3], 0 offset:336
	buffer_load_dword v121, off, s[0:3], 0 offset:340
	;; [unrolled: 1-line block ×18, first 2 shown]
	ds_read_b128 v[104:107], v102 offset:736
	ds_read_b128 v[108:111], v102 offset:752
	;; [unrolled: 1-line block ×4, first 2 shown]
	v_cmp_lt_u32_e32 vcc, 40, v0
	s_waitcnt vmcnt(16) lgkmcnt(3)
	v_fma_f64 v[102:103], v[120:121], v[104:105], 0
	s_waitcnt vmcnt(14)
	v_fmac_f64_e32 v[102:103], v[122:123], v[106:107]
	s_waitcnt vmcnt(12) lgkmcnt(2)
	v_fmac_f64_e32 v[102:103], v[124:125], v[108:109]
	s_waitcnt vmcnt(10)
	v_fmac_f64_e32 v[102:103], v[126:127], v[110:111]
	s_waitcnt vmcnt(8) lgkmcnt(1)
	v_fmac_f64_e32 v[102:103], v[128:129], v[112:113]
	;; [unrolled: 4-line block ×3, first 2 shown]
	s_waitcnt vmcnt(2)
	v_fmac_f64_e32 v[102:103], v[134:135], v[118:119]
	s_waitcnt vmcnt(0)
	v_add_f64 v[102:103], v[136:137], -v[102:103]
	buffer_store_dword v102, off, s[0:3], 0 offset:328
	buffer_store_dword v103, off, s[0:3], 0 offset:332
	s_and_saveexec_b64 s[4:5], vcc
	s_cbranch_execz .LBB49_227
; %bb.226:
	buffer_load_dword v102, off, s[0:3], 0 offset:320
	buffer_load_dword v103, off, s[0:3], 0 offset:324
	v_mov_b32_e32 v104, 0
	buffer_store_dword v104, off, s[0:3], 0 offset:320
	buffer_store_dword v104, off, s[0:3], 0 offset:324
	s_waitcnt vmcnt(2)
	ds_write_b64 v1, v[102:103]
.LBB49_227:
	s_or_b64 exec, exec, s[4:5]
	s_waitcnt lgkmcnt(0)
	; wave barrier
	s_waitcnt lgkmcnt(0)
	buffer_load_dword v120, off, s[0:3], 0 offset:328
	buffer_load_dword v121, off, s[0:3], 0 offset:332
	;; [unrolled: 1-line block ×20, first 2 shown]
	v_mov_b32_e32 v102, 0
	ds_read2_b64 v[104:107], v102 offset0:91 offset1:92
	ds_read2_b64 v[108:111], v102 offset0:93 offset1:94
	;; [unrolled: 1-line block ×4, first 2 shown]
	ds_read_b64 v[140:141], v102 offset:792
	v_cmp_lt_u32_e32 vcc, 39, v0
	s_waitcnt vmcnt(18) lgkmcnt(4)
	v_fma_f64 v[104:105], v[120:121], v[104:105], 0
	s_waitcnt vmcnt(16)
	v_fmac_f64_e32 v[104:105], v[122:123], v[106:107]
	s_waitcnt vmcnt(14) lgkmcnt(3)
	v_fmac_f64_e32 v[104:105], v[124:125], v[108:109]
	s_waitcnt vmcnt(12)
	v_fmac_f64_e32 v[104:105], v[126:127], v[110:111]
	s_waitcnt vmcnt(10) lgkmcnt(2)
	v_fmac_f64_e32 v[104:105], v[128:129], v[112:113]
	;; [unrolled: 4-line block ×3, first 2 shown]
	s_waitcnt vmcnt(2)
	v_fmac_f64_e32 v[104:105], v[136:137], v[118:119]
	s_waitcnt lgkmcnt(0)
	v_fmac_f64_e32 v[104:105], v[134:135], v[140:141]
	s_waitcnt vmcnt(0)
	v_add_f64 v[104:105], v[138:139], -v[104:105]
	buffer_store_dword v104, off, s[0:3], 0 offset:320
	buffer_store_dword v105, off, s[0:3], 0 offset:324
	s_and_saveexec_b64 s[4:5], vcc
	s_cbranch_execz .LBB49_229
; %bb.228:
	buffer_load_dword v104, off, s[0:3], 0 offset:312
	buffer_load_dword v105, off, s[0:3], 0 offset:316
	s_waitcnt vmcnt(0)
	ds_write_b64 v1, v[104:105]
	buffer_store_dword v102, off, s[0:3], 0 offset:312
	buffer_store_dword v102, off, s[0:3], 0 offset:316
.LBB49_229:
	s_or_b64 exec, exec, s[4:5]
	s_waitcnt lgkmcnt(0)
	; wave barrier
	s_waitcnt lgkmcnt(0)
	buffer_load_dword v124, off, s[0:3], 0 offset:320
	buffer_load_dword v125, off, s[0:3], 0 offset:324
	;; [unrolled: 1-line block ×22, first 2 shown]
	ds_read_b128 v[104:107], v102 offset:720
	ds_read_b128 v[108:111], v102 offset:736
	;; [unrolled: 1-line block ×5, first 2 shown]
	v_cmp_lt_u32_e32 vcc, 38, v0
	s_waitcnt vmcnt(20) lgkmcnt(4)
	v_fma_f64 v[102:103], v[124:125], v[104:105], 0
	s_waitcnt vmcnt(18)
	v_fmac_f64_e32 v[102:103], v[126:127], v[106:107]
	s_waitcnt vmcnt(16) lgkmcnt(3)
	v_fmac_f64_e32 v[102:103], v[128:129], v[108:109]
	s_waitcnt vmcnt(14)
	v_fmac_f64_e32 v[102:103], v[130:131], v[110:111]
	s_waitcnt vmcnt(12) lgkmcnt(2)
	v_fmac_f64_e32 v[102:103], v[132:133], v[112:113]
	;; [unrolled: 4-line block ×3, first 2 shown]
	s_waitcnt vmcnt(3)
	v_fmac_f64_e32 v[102:103], v[142:143], v[118:119]
	s_waitcnt lgkmcnt(0)
	v_fmac_f64_e32 v[102:103], v[140:141], v[120:121]
	s_waitcnt vmcnt(2)
	v_fmac_f64_e32 v[102:103], v[138:139], v[122:123]
	s_waitcnt vmcnt(0)
	v_add_f64 v[102:103], v[144:145], -v[102:103]
	buffer_store_dword v102, off, s[0:3], 0 offset:312
	buffer_store_dword v103, off, s[0:3], 0 offset:316
	s_and_saveexec_b64 s[4:5], vcc
	s_cbranch_execz .LBB49_231
; %bb.230:
	buffer_load_dword v102, off, s[0:3], 0 offset:304
	buffer_load_dword v103, off, s[0:3], 0 offset:308
	v_mov_b32_e32 v104, 0
	buffer_store_dword v104, off, s[0:3], 0 offset:304
	buffer_store_dword v104, off, s[0:3], 0 offset:308
	s_waitcnt vmcnt(2)
	ds_write_b64 v1, v[102:103]
.LBB49_231:
	s_or_b64 exec, exec, s[4:5]
	s_waitcnt lgkmcnt(0)
	; wave barrier
	s_waitcnt lgkmcnt(0)
	buffer_load_dword v124, off, s[0:3], 0 offset:312
	buffer_load_dword v125, off, s[0:3], 0 offset:316
	;; [unrolled: 1-line block ×24, first 2 shown]
	v_mov_b32_e32 v102, 0
	ds_read2_b64 v[104:107], v102 offset0:89 offset1:90
	ds_read2_b64 v[108:111], v102 offset0:91 offset1:92
	;; [unrolled: 1-line block ×5, first 2 shown]
	ds_read_b64 v[148:149], v102 offset:792
	v_cmp_lt_u32_e32 vcc, 37, v0
	s_waitcnt vmcnt(22) lgkmcnt(5)
	v_fma_f64 v[104:105], v[124:125], v[104:105], 0
	s_waitcnt vmcnt(20)
	v_fmac_f64_e32 v[104:105], v[126:127], v[106:107]
	s_waitcnt vmcnt(18) lgkmcnt(4)
	v_fmac_f64_e32 v[104:105], v[128:129], v[108:109]
	s_waitcnt vmcnt(16)
	v_fmac_f64_e32 v[104:105], v[130:131], v[110:111]
	s_waitcnt vmcnt(14) lgkmcnt(3)
	v_fmac_f64_e32 v[104:105], v[132:133], v[112:113]
	s_waitcnt vmcnt(12)
	v_fmac_f64_e32 v[104:105], v[134:135], v[114:115]
	s_waitcnt vmcnt(10) lgkmcnt(2)
	v_fmac_f64_e32 v[104:105], v[136:137], v[116:117]
	s_waitcnt vmcnt(4)
	v_fmac_f64_e32 v[104:105], v[144:145], v[118:119]
	s_waitcnt lgkmcnt(1)
	v_fmac_f64_e32 v[104:105], v[142:143], v[120:121]
	s_waitcnt vmcnt(3)
	v_fmac_f64_e32 v[104:105], v[140:141], v[122:123]
	s_waitcnt vmcnt(2) lgkmcnt(0)
	v_fmac_f64_e32 v[104:105], v[138:139], v[148:149]
	s_waitcnt vmcnt(0)
	v_add_f64 v[104:105], v[146:147], -v[104:105]
	buffer_store_dword v105, off, s[0:3], 0 offset:308
	buffer_store_dword v104, off, s[0:3], 0 offset:304
	s_and_saveexec_b64 s[4:5], vcc
	s_cbranch_execz .LBB49_233
; %bb.232:
	buffer_load_dword v104, off, s[0:3], 0 offset:296
	buffer_load_dword v105, off, s[0:3], 0 offset:300
	s_waitcnt vmcnt(0)
	ds_write_b64 v1, v[104:105]
	buffer_store_dword v102, off, s[0:3], 0 offset:296
	buffer_store_dword v102, off, s[0:3], 0 offset:300
.LBB49_233:
	s_or_b64 exec, exec, s[4:5]
	s_waitcnt lgkmcnt(0)
	; wave barrier
	s_waitcnt lgkmcnt(0)
	buffer_load_dword v128, off, s[0:3], 0 offset:304
	buffer_load_dword v129, off, s[0:3], 0 offset:308
	;; [unrolled: 1-line block ×26, first 2 shown]
	ds_read_b128 v[104:107], v102 offset:704
	ds_read_b128 v[108:111], v102 offset:720
	;; [unrolled: 1-line block ×6, first 2 shown]
	v_cmp_lt_u32_e32 vcc, 36, v0
	s_waitcnt vmcnt(24) lgkmcnt(5)
	v_fma_f64 v[102:103], v[128:129], v[104:105], 0
	s_waitcnt vmcnt(22)
	v_fmac_f64_e32 v[102:103], v[130:131], v[106:107]
	s_waitcnt vmcnt(20) lgkmcnt(4)
	v_fmac_f64_e32 v[102:103], v[132:133], v[108:109]
	s_waitcnt vmcnt(18)
	v_fmac_f64_e32 v[102:103], v[134:135], v[110:111]
	s_waitcnt vmcnt(16) lgkmcnt(3)
	v_fmac_f64_e32 v[102:103], v[136:137], v[112:113]
	;; [unrolled: 4-line block ×3, first 2 shown]
	s_waitcnt vmcnt(5)
	v_fmac_f64_e32 v[102:103], v[148:149], v[118:119]
	s_waitcnt lgkmcnt(1)
	v_fmac_f64_e32 v[102:103], v[146:147], v[120:121]
	v_fmac_f64_e32 v[102:103], v[144:145], v[122:123]
	s_waitcnt vmcnt(4) lgkmcnt(0)
	v_fmac_f64_e32 v[102:103], v[142:143], v[124:125]
	s_waitcnt vmcnt(2)
	v_fmac_f64_e32 v[102:103], v[150:151], v[126:127]
	s_waitcnt vmcnt(0)
	v_add_f64 v[102:103], v[152:153], -v[102:103]
	buffer_store_dword v103, off, s[0:3], 0 offset:300
	buffer_store_dword v102, off, s[0:3], 0 offset:296
	s_and_saveexec_b64 s[4:5], vcc
	s_cbranch_execz .LBB49_235
; %bb.234:
	buffer_load_dword v102, off, s[0:3], 0 offset:288
	buffer_load_dword v103, off, s[0:3], 0 offset:292
	v_mov_b32_e32 v104, 0
	buffer_store_dword v104, off, s[0:3], 0 offset:288
	buffer_store_dword v104, off, s[0:3], 0 offset:292
	s_waitcnt vmcnt(2)
	ds_write_b64 v1, v[102:103]
.LBB49_235:
	s_or_b64 exec, exec, s[4:5]
	s_waitcnt lgkmcnt(0)
	; wave barrier
	s_waitcnt lgkmcnt(0)
	buffer_load_dword v128, off, s[0:3], 0 offset:296
	buffer_load_dword v129, off, s[0:3], 0 offset:300
	buffer_load_dword v130, off, s[0:3], 0 offset:304
	buffer_load_dword v131, off, s[0:3], 0 offset:308
	buffer_load_dword v132, off, s[0:3], 0 offset:312
	buffer_load_dword v133, off, s[0:3], 0 offset:316
	buffer_load_dword v134, off, s[0:3], 0 offset:320
	buffer_load_dword v135, off, s[0:3], 0 offset:324
	buffer_load_dword v136, off, s[0:3], 0 offset:328
	buffer_load_dword v137, off, s[0:3], 0 offset:332
	buffer_load_dword v138, off, s[0:3], 0 offset:336
	buffer_load_dword v139, off, s[0:3], 0 offset:340
	buffer_load_dword v140, off, s[0:3], 0 offset:344
	buffer_load_dword v141, off, s[0:3], 0 offset:348
	buffer_load_dword v143, off, s[0:3], 0 offset:380
	buffer_load_dword v142, off, s[0:3], 0 offset:376
	buffer_load_dword v145, off, s[0:3], 0 offset:372
	buffer_load_dword v144, off, s[0:3], 0 offset:368
	buffer_load_dword v147, off, s[0:3], 0 offset:364
	buffer_load_dword v146, off, s[0:3], 0 offset:360
	buffer_load_dword v149, off, s[0:3], 0 offset:356
	buffer_load_dword v148, off, s[0:3], 0 offset:352
	buffer_load_dword v151, off, s[0:3], 0 offset:396
	buffer_load_dword v150, off, s[0:3], 0 offset:392
	buffer_load_dword v153, off, s[0:3], 0 offset:388
	buffer_load_dword v152, off, s[0:3], 0 offset:384
	buffer_load_dword v154, off, s[0:3], 0 offset:288
	buffer_load_dword v155, off, s[0:3], 0 offset:292
	v_mov_b32_e32 v102, 0
	ds_read2_b64 v[104:107], v102 offset0:87 offset1:88
	ds_read2_b64 v[108:111], v102 offset0:89 offset1:90
	ds_read2_b64 v[112:115], v102 offset0:91 offset1:92
	ds_read2_b64 v[116:119], v102 offset0:93 offset1:94
	ds_read2_b64 v[120:123], v102 offset0:95 offset1:96
	ds_read2_b64 v[124:127], v102 offset0:97 offset1:98
	ds_read_b64 v[156:157], v102 offset:792
	v_cmp_lt_u32_e32 vcc, 35, v0
	s_waitcnt vmcnt(26) lgkmcnt(6)
	v_fma_f64 v[104:105], v[128:129], v[104:105], 0
	s_waitcnt vmcnt(24)
	v_fmac_f64_e32 v[104:105], v[130:131], v[106:107]
	s_waitcnt vmcnt(22) lgkmcnt(5)
	v_fmac_f64_e32 v[104:105], v[132:133], v[108:109]
	s_waitcnt vmcnt(20)
	v_fmac_f64_e32 v[104:105], v[134:135], v[110:111]
	s_waitcnt vmcnt(18) lgkmcnt(4)
	v_fmac_f64_e32 v[104:105], v[136:137], v[112:113]
	;; [unrolled: 4-line block ×3, first 2 shown]
	s_waitcnt vmcnt(6)
	v_fmac_f64_e32 v[104:105], v[148:149], v[118:119]
	s_waitcnt lgkmcnt(2)
	v_fmac_f64_e32 v[104:105], v[146:147], v[120:121]
	v_fmac_f64_e32 v[104:105], v[144:145], v[122:123]
	s_waitcnt lgkmcnt(1)
	v_fmac_f64_e32 v[104:105], v[142:143], v[124:125]
	s_waitcnt vmcnt(2)
	v_fmac_f64_e32 v[104:105], v[152:153], v[126:127]
	s_waitcnt lgkmcnt(0)
	v_fmac_f64_e32 v[104:105], v[150:151], v[156:157]
	s_waitcnt vmcnt(0)
	v_add_f64 v[104:105], v[154:155], -v[104:105]
	buffer_store_dword v105, off, s[0:3], 0 offset:292
	buffer_store_dword v104, off, s[0:3], 0 offset:288
	s_and_saveexec_b64 s[4:5], vcc
	s_cbranch_execz .LBB49_237
; %bb.236:
	buffer_load_dword v104, off, s[0:3], 0 offset:280
	buffer_load_dword v105, off, s[0:3], 0 offset:284
	s_waitcnt vmcnt(0)
	ds_write_b64 v1, v[104:105]
	buffer_store_dword v102, off, s[0:3], 0 offset:280
	buffer_store_dword v102, off, s[0:3], 0 offset:284
.LBB49_237:
	s_or_b64 exec, exec, s[4:5]
	s_waitcnt lgkmcnt(0)
	; wave barrier
	s_waitcnt lgkmcnt(0)
	buffer_load_dword v132, off, s[0:3], 0 offset:288
	buffer_load_dword v133, off, s[0:3], 0 offset:292
	;; [unrolled: 1-line block ×30, first 2 shown]
	ds_read_b128 v[104:107], v102 offset:688
	ds_read_b128 v[108:111], v102 offset:704
	ds_read_b128 v[112:115], v102 offset:720
	ds_read_b128 v[116:119], v102 offset:736
	ds_read_b128 v[120:123], v102 offset:752
	ds_read_b128 v[124:127], v102 offset:768
	ds_read_b128 v[128:131], v102 offset:784
	v_cmp_lt_u32_e32 vcc, 34, v0
	s_waitcnt vmcnt(28) lgkmcnt(6)
	v_fma_f64 v[102:103], v[132:133], v[104:105], 0
	s_waitcnt vmcnt(26)
	v_fmac_f64_e32 v[102:103], v[134:135], v[106:107]
	s_waitcnt vmcnt(24) lgkmcnt(5)
	v_fmac_f64_e32 v[102:103], v[136:137], v[108:109]
	s_waitcnt vmcnt(22)
	v_fmac_f64_e32 v[102:103], v[138:139], v[110:111]
	s_waitcnt vmcnt(20) lgkmcnt(4)
	v_fmac_f64_e32 v[102:103], v[140:141], v[112:113]
	;; [unrolled: 4-line block ×3, first 2 shown]
	s_waitcnt vmcnt(8)
	v_fmac_f64_e32 v[102:103], v[152:153], v[118:119]
	s_waitcnt lgkmcnt(2)
	v_fmac_f64_e32 v[102:103], v[150:151], v[120:121]
	v_fmac_f64_e32 v[102:103], v[148:149], v[122:123]
	s_waitcnt lgkmcnt(1)
	v_fmac_f64_e32 v[102:103], v[146:147], v[124:125]
	s_waitcnt vmcnt(3)
	v_fmac_f64_e32 v[102:103], v[158:159], v[126:127]
	s_waitcnt lgkmcnt(0)
	v_fmac_f64_e32 v[102:103], v[156:157], v[128:129]
	s_waitcnt vmcnt(2)
	v_fmac_f64_e32 v[102:103], v[154:155], v[130:131]
	s_waitcnt vmcnt(0)
	v_add_f64 v[102:103], v[160:161], -v[102:103]
	buffer_store_dword v103, off, s[0:3], 0 offset:284
	buffer_store_dword v102, off, s[0:3], 0 offset:280
	s_and_saveexec_b64 s[4:5], vcc
	s_cbranch_execz .LBB49_239
; %bb.238:
	buffer_load_dword v102, off, s[0:3], 0 offset:272
	buffer_load_dword v103, off, s[0:3], 0 offset:276
	v_mov_b32_e32 v104, 0
	buffer_store_dword v104, off, s[0:3], 0 offset:272
	buffer_store_dword v104, off, s[0:3], 0 offset:276
	s_waitcnt vmcnt(2)
	ds_write_b64 v1, v[102:103]
.LBB49_239:
	s_or_b64 exec, exec, s[4:5]
	s_waitcnt lgkmcnt(0)
	; wave barrier
	s_waitcnt lgkmcnt(0)
	buffer_load_dword v132, off, s[0:3], 0 offset:280
	buffer_load_dword v133, off, s[0:3], 0 offset:284
	buffer_load_dword v134, off, s[0:3], 0 offset:288
	buffer_load_dword v135, off, s[0:3], 0 offset:292
	buffer_load_dword v136, off, s[0:3], 0 offset:296
	buffer_load_dword v137, off, s[0:3], 0 offset:300
	buffer_load_dword v138, off, s[0:3], 0 offset:304
	buffer_load_dword v139, off, s[0:3], 0 offset:308
	buffer_load_dword v140, off, s[0:3], 0 offset:312
	buffer_load_dword v141, off, s[0:3], 0 offset:316
	buffer_load_dword v142, off, s[0:3], 0 offset:320
	buffer_load_dword v143, off, s[0:3], 0 offset:324
	buffer_load_dword v144, off, s[0:3], 0 offset:328
	buffer_load_dword v145, off, s[0:3], 0 offset:332
	buffer_load_dword v147, off, s[0:3], 0 offset:364
	buffer_load_dword v146, off, s[0:3], 0 offset:360
	buffer_load_dword v149, off, s[0:3], 0 offset:356
	buffer_load_dword v148, off, s[0:3], 0 offset:352
	buffer_load_dword v151, off, s[0:3], 0 offset:348
	buffer_load_dword v150, off, s[0:3], 0 offset:344
	buffer_load_dword v153, off, s[0:3], 0 offset:340
	buffer_load_dword v152, off, s[0:3], 0 offset:336
	buffer_load_dword v154, off, s[0:3], 0 offset:392
	buffer_load_dword v156, off, s[0:3], 0 offset:384
	buffer_load_dword v159, off, s[0:3], 0 offset:380
	buffer_load_dword v158, off, s[0:3], 0 offset:376
	buffer_load_dword v161, off, s[0:3], 0 offset:372
	buffer_load_dword v160, off, s[0:3], 0 offset:368
	buffer_load_dword v157, off, s[0:3], 0 offset:388
	buffer_load_dword v155, off, s[0:3], 0 offset:396
	buffer_load_dword v162, off, s[0:3], 0 offset:272
	buffer_load_dword v163, off, s[0:3], 0 offset:276
	v_mov_b32_e32 v102, 0
	ds_read2_b64 v[104:107], v102 offset0:85 offset1:86
	ds_read2_b64 v[108:111], v102 offset0:87 offset1:88
	;; [unrolled: 1-line block ×7, first 2 shown]
	ds_read_b64 v[164:165], v102 offset:792
	v_cmp_lt_u32_e32 vcc, 33, v0
	s_waitcnt vmcnt(30) lgkmcnt(7)
	v_fma_f64 v[104:105], v[132:133], v[104:105], 0
	s_waitcnt vmcnt(28)
	v_fmac_f64_e32 v[104:105], v[134:135], v[106:107]
	s_waitcnt vmcnt(26) lgkmcnt(6)
	v_fmac_f64_e32 v[104:105], v[136:137], v[108:109]
	s_waitcnt vmcnt(24)
	v_fmac_f64_e32 v[104:105], v[138:139], v[110:111]
	s_waitcnt vmcnt(22) lgkmcnt(5)
	v_fmac_f64_e32 v[104:105], v[140:141], v[112:113]
	;; [unrolled: 4-line block ×3, first 2 shown]
	s_waitcnt vmcnt(10)
	v_fmac_f64_e32 v[104:105], v[152:153], v[118:119]
	s_waitcnt lgkmcnt(3)
	v_fmac_f64_e32 v[104:105], v[150:151], v[120:121]
	v_fmac_f64_e32 v[104:105], v[148:149], v[122:123]
	s_waitcnt lgkmcnt(2)
	v_fmac_f64_e32 v[104:105], v[146:147], v[124:125]
	s_waitcnt vmcnt(4)
	v_fmac_f64_e32 v[104:105], v[160:161], v[126:127]
	s_waitcnt lgkmcnt(1)
	v_fmac_f64_e32 v[104:105], v[158:159], v[128:129]
	s_waitcnt vmcnt(3)
	v_fmac_f64_e32 v[104:105], v[156:157], v[130:131]
	s_waitcnt vmcnt(2) lgkmcnt(0)
	v_fmac_f64_e32 v[104:105], v[154:155], v[164:165]
	s_waitcnt vmcnt(0)
	v_add_f64 v[104:105], v[162:163], -v[104:105]
	buffer_store_dword v105, off, s[0:3], 0 offset:276
	buffer_store_dword v104, off, s[0:3], 0 offset:272
	s_and_saveexec_b64 s[4:5], vcc
	s_cbranch_execz .LBB49_241
; %bb.240:
	buffer_load_dword v104, off, s[0:3], 0 offset:264
	buffer_load_dword v105, off, s[0:3], 0 offset:268
	s_waitcnt vmcnt(0)
	ds_write_b64 v1, v[104:105]
	buffer_store_dword v102, off, s[0:3], 0 offset:264
	buffer_store_dword v102, off, s[0:3], 0 offset:268
.LBB49_241:
	s_or_b64 exec, exec, s[4:5]
	s_waitcnt lgkmcnt(0)
	; wave barrier
	s_waitcnt lgkmcnt(0)
	buffer_load_dword v120, off, s[0:3], 0 offset:264
	buffer_load_dword v121, off, s[0:3], 0 offset:268
	;; [unrolled: 1-line block ×16, first 2 shown]
	ds_read_b128 v[104:107], v102 offset:672
	ds_read_b128 v[108:111], v102 offset:688
	;; [unrolled: 1-line block ×4, first 2 shown]
	v_cmp_lt_u32_e32 vcc, 32, v0
	s_waitcnt vmcnt(12) lgkmcnt(3)
	v_fma_f64 v[122:123], v[122:123], v[104:105], 0
	buffer_load_dword v105, off, s[0:3], 0 offset:332
	buffer_load_dword v104, off, s[0:3], 0 offset:328
	s_waitcnt vmcnt(12)
	v_fmac_f64_e32 v[122:123], v[124:125], v[106:107]
	s_waitcnt vmcnt(10) lgkmcnt(2)
	v_fmac_f64_e32 v[122:123], v[126:127], v[108:109]
	buffer_load_dword v109, off, s[0:3], 0 offset:340
	buffer_load_dword v108, off, s[0:3], 0 offset:336
	s_waitcnt vmcnt(10)
	v_fmac_f64_e32 v[122:123], v[128:129], v[110:111]
	s_waitcnt vmcnt(8) lgkmcnt(1)
	v_fmac_f64_e32 v[122:123], v[130:131], v[112:113]
	s_waitcnt vmcnt(6)
	v_fmac_f64_e32 v[122:123], v[132:133], v[114:115]
	s_waitcnt vmcnt(4) lgkmcnt(0)
	v_fmac_f64_e32 v[122:123], v[134:135], v[116:117]
	s_waitcnt vmcnt(2)
	v_fmac_f64_e32 v[122:123], v[104:105], v[118:119]
	ds_read_b128 v[104:107], v102 offset:736
	s_waitcnt vmcnt(0) lgkmcnt(0)
	v_fmac_f64_e32 v[122:123], v[108:109], v[104:105]
	buffer_load_dword v105, off, s[0:3], 0 offset:348
	buffer_load_dword v104, off, s[0:3], 0 offset:344
	;; [unrolled: 1-line block ×4, first 2 shown]
	s_waitcnt vmcnt(2)
	v_fmac_f64_e32 v[122:123], v[104:105], v[106:107]
	ds_read_b128 v[104:107], v102 offset:752
	s_waitcnt vmcnt(0) lgkmcnt(0)
	v_fmac_f64_e32 v[122:123], v[108:109], v[104:105]
	buffer_load_dword v105, off, s[0:3], 0 offset:364
	buffer_load_dword v104, off, s[0:3], 0 offset:360
	;; [unrolled: 1-line block ×4, first 2 shown]
	s_waitcnt vmcnt(2)
	v_fmac_f64_e32 v[122:123], v[104:105], v[106:107]
	ds_read_b128 v[104:107], v102 offset:768
	s_waitcnt vmcnt(0) lgkmcnt(0)
	v_fmac_f64_e32 v[122:123], v[108:109], v[104:105]
	buffer_load_dword v105, off, s[0:3], 0 offset:380
	buffer_load_dword v104, off, s[0:3], 0 offset:376
	s_waitcnt vmcnt(0)
	v_fmac_f64_e32 v[122:123], v[104:105], v[106:107]
	buffer_load_dword v107, off, s[0:3], 0 offset:388
	buffer_load_dword v106, off, s[0:3], 0 offset:384
	ds_read_b128 v[102:105], v102 offset:784
	s_waitcnt vmcnt(0) lgkmcnt(0)
	v_fmac_f64_e32 v[122:123], v[106:107], v[102:103]
	buffer_load_dword v103, off, s[0:3], 0 offset:396
	buffer_load_dword v102, off, s[0:3], 0 offset:392
	s_waitcnt vmcnt(0)
	v_fmac_f64_e32 v[122:123], v[102:103], v[104:105]
	v_add_f64 v[102:103], v[120:121], -v[122:123]
	buffer_store_dword v103, off, s[0:3], 0 offset:268
	buffer_store_dword v102, off, s[0:3], 0 offset:264
	s_and_saveexec_b64 s[4:5], vcc
	s_cbranch_execz .LBB49_243
; %bb.242:
	buffer_load_dword v102, off, s[0:3], 0 offset:256
	buffer_load_dword v103, off, s[0:3], 0 offset:260
	v_mov_b32_e32 v104, 0
	buffer_store_dword v104, off, s[0:3], 0 offset:256
	buffer_store_dword v104, off, s[0:3], 0 offset:260
	s_waitcnt vmcnt(2)
	ds_write_b64 v1, v[102:103]
.LBB49_243:
	s_or_b64 exec, exec, s[4:5]
	s_waitcnt lgkmcnt(0)
	; wave barrier
	s_waitcnt lgkmcnt(0)
	buffer_load_dword v102, off, s[0:3], 0 offset:256
	buffer_load_dword v103, off, s[0:3], 0 offset:260
	;; [unrolled: 1-line block ×16, first 2 shown]
	v_mov_b32_e32 v106, 0
	ds_read2_b64 v[108:111], v106 offset0:83 offset1:84
	v_cmp_lt_u32_e32 vcc, 31, v0
	s_waitcnt vmcnt(12) lgkmcnt(0)
	v_fma_f64 v[104:105], v[104:105], v[108:109], 0
	s_waitcnt vmcnt(10)
	v_fmac_f64_e32 v[104:105], v[112:113], v[110:111]
	ds_read2_b64 v[108:111], v106 offset0:85 offset1:86
	s_waitcnt vmcnt(8) lgkmcnt(0)
	v_fmac_f64_e32 v[104:105], v[114:115], v[108:109]
	s_waitcnt vmcnt(6)
	v_fmac_f64_e32 v[104:105], v[116:117], v[110:111]
	ds_read2_b64 v[108:111], v106 offset0:87 offset1:88
	s_waitcnt vmcnt(4) lgkmcnt(0)
	v_fmac_f64_e32 v[104:105], v[118:119], v[108:109]
	;; [unrolled: 5-line block ×3, first 2 shown]
	buffer_load_dword v109, off, s[0:3], 0 offset:324
	buffer_load_dword v108, off, s[0:3], 0 offset:320
	buffer_load_dword v113, off, s[0:3], 0 offset:332
	buffer_load_dword v112, off, s[0:3], 0 offset:328
	s_waitcnt vmcnt(2)
	v_fmac_f64_e32 v[104:105], v[108:109], v[110:111]
	ds_read2_b64 v[108:111], v106 offset0:91 offset1:92
	s_waitcnt vmcnt(0) lgkmcnt(0)
	v_fmac_f64_e32 v[104:105], v[112:113], v[108:109]
	buffer_load_dword v109, off, s[0:3], 0 offset:340
	buffer_load_dword v108, off, s[0:3], 0 offset:336
	buffer_load_dword v113, off, s[0:3], 0 offset:348
	buffer_load_dword v112, off, s[0:3], 0 offset:344
	s_waitcnt vmcnt(2)
	v_fmac_f64_e32 v[104:105], v[108:109], v[110:111]
	ds_read2_b64 v[108:111], v106 offset0:93 offset1:94
	s_waitcnt vmcnt(0) lgkmcnt(0)
	v_fmac_f64_e32 v[104:105], v[112:113], v[108:109]
	;; [unrolled: 9-line block ×4, first 2 shown]
	buffer_load_dword v109, off, s[0:3], 0 offset:388
	buffer_load_dword v108, off, s[0:3], 0 offset:384
	s_waitcnt vmcnt(0)
	v_fmac_f64_e32 v[104:105], v[108:109], v[110:111]
	buffer_load_dword v109, off, s[0:3], 0 offset:396
	buffer_load_dword v108, off, s[0:3], 0 offset:392
	ds_read_b64 v[110:111], v106 offset:792
	s_waitcnt vmcnt(0) lgkmcnt(0)
	v_fmac_f64_e32 v[104:105], v[108:109], v[110:111]
	v_add_f64 v[102:103], v[102:103], -v[104:105]
	buffer_store_dword v103, off, s[0:3], 0 offset:260
	buffer_store_dword v102, off, s[0:3], 0 offset:256
	s_and_saveexec_b64 s[4:5], vcc
	s_cbranch_execz .LBB49_245
; %bb.244:
	buffer_load_dword v102, off, s[0:3], 0 offset:248
	buffer_load_dword v103, off, s[0:3], 0 offset:252
	s_waitcnt vmcnt(0)
	ds_write_b64 v1, v[102:103]
	buffer_store_dword v106, off, s[0:3], 0 offset:248
	buffer_store_dword v106, off, s[0:3], 0 offset:252
.LBB49_245:
	s_or_b64 exec, exec, s[4:5]
	s_waitcnt lgkmcnt(0)
	; wave barrier
	s_waitcnt lgkmcnt(0)
	buffer_load_dword v102, off, s[0:3], 0 offset:248
	buffer_load_dword v103, off, s[0:3], 0 offset:252
	;; [unrolled: 1-line block ×16, first 2 shown]
	ds_read_b128 v[108:111], v106 offset:656
	ds_read_b128 v[112:115], v106 offset:672
	;; [unrolled: 1-line block ×4, first 2 shown]
	v_cmp_lt_u32_e32 vcc, 30, v0
	s_waitcnt vmcnt(12) lgkmcnt(3)
	v_fma_f64 v[104:105], v[104:105], v[108:109], 0
	buffer_load_dword v109, off, s[0:3], 0 offset:316
	buffer_load_dword v108, off, s[0:3], 0 offset:312
	s_waitcnt vmcnt(12)
	v_fmac_f64_e32 v[104:105], v[124:125], v[110:111]
	s_waitcnt vmcnt(10) lgkmcnt(2)
	v_fmac_f64_e32 v[104:105], v[126:127], v[112:113]
	buffer_load_dword v113, off, s[0:3], 0 offset:324
	buffer_load_dword v112, off, s[0:3], 0 offset:320
	s_waitcnt vmcnt(10)
	v_fmac_f64_e32 v[104:105], v[128:129], v[114:115]
	s_waitcnt vmcnt(8) lgkmcnt(1)
	v_fmac_f64_e32 v[104:105], v[130:131], v[116:117]
	s_waitcnt vmcnt(6)
	v_fmac_f64_e32 v[104:105], v[132:133], v[118:119]
	s_waitcnt vmcnt(4) lgkmcnt(0)
	v_fmac_f64_e32 v[104:105], v[134:135], v[120:121]
	s_waitcnt vmcnt(2)
	v_fmac_f64_e32 v[104:105], v[108:109], v[122:123]
	ds_read_b128 v[108:111], v106 offset:720
	s_waitcnt vmcnt(0) lgkmcnt(0)
	v_fmac_f64_e32 v[104:105], v[112:113], v[108:109]
	buffer_load_dword v109, off, s[0:3], 0 offset:332
	buffer_load_dword v108, off, s[0:3], 0 offset:328
	buffer_load_dword v113, off, s[0:3], 0 offset:340
	buffer_load_dword v112, off, s[0:3], 0 offset:336
	s_waitcnt vmcnt(2)
	v_fmac_f64_e32 v[104:105], v[108:109], v[110:111]
	ds_read_b128 v[108:111], v106 offset:736
	s_waitcnt vmcnt(0) lgkmcnt(0)
	v_fmac_f64_e32 v[104:105], v[112:113], v[108:109]
	buffer_load_dword v109, off, s[0:3], 0 offset:348
	buffer_load_dword v108, off, s[0:3], 0 offset:344
	buffer_load_dword v113, off, s[0:3], 0 offset:356
	buffer_load_dword v112, off, s[0:3], 0 offset:352
	;; [unrolled: 9-line block ×3, first 2 shown]
	s_waitcnt vmcnt(2)
	v_fmac_f64_e32 v[104:105], v[108:109], v[110:111]
	ds_read_b128 v[108:111], v106 offset:768
	s_waitcnt vmcnt(0) lgkmcnt(0)
	v_fmac_f64_e32 v[104:105], v[112:113], v[108:109]
	buffer_load_dword v109, off, s[0:3], 0 offset:380
	buffer_load_dword v108, off, s[0:3], 0 offset:376
	s_waitcnt vmcnt(0)
	v_fmac_f64_e32 v[104:105], v[108:109], v[110:111]
	buffer_load_dword v111, off, s[0:3], 0 offset:388
	buffer_load_dword v110, off, s[0:3], 0 offset:384
	ds_read_b128 v[106:109], v106 offset:784
	s_waitcnt vmcnt(0) lgkmcnt(0)
	v_fmac_f64_e32 v[104:105], v[110:111], v[106:107]
	buffer_load_dword v107, off, s[0:3], 0 offset:396
	buffer_load_dword v106, off, s[0:3], 0 offset:392
	s_waitcnt vmcnt(0)
	v_fmac_f64_e32 v[104:105], v[106:107], v[108:109]
	v_add_f64 v[102:103], v[102:103], -v[104:105]
	buffer_store_dword v103, off, s[0:3], 0 offset:252
	buffer_store_dword v102, off, s[0:3], 0 offset:248
	s_and_saveexec_b64 s[4:5], vcc
	s_cbranch_execz .LBB49_247
; %bb.246:
	buffer_load_dword v102, off, s[0:3], 0 offset:240
	buffer_load_dword v103, off, s[0:3], 0 offset:244
	v_mov_b32_e32 v104, 0
	buffer_store_dword v104, off, s[0:3], 0 offset:240
	buffer_store_dword v104, off, s[0:3], 0 offset:244
	s_waitcnt vmcnt(2)
	ds_write_b64 v1, v[102:103]
.LBB49_247:
	s_or_b64 exec, exec, s[4:5]
	s_waitcnt lgkmcnt(0)
	; wave barrier
	s_waitcnt lgkmcnt(0)
	buffer_load_dword v102, off, s[0:3], 0 offset:240
	buffer_load_dword v103, off, s[0:3], 0 offset:244
	;; [unrolled: 1-line block ×16, first 2 shown]
	v_mov_b32_e32 v106, 0
	ds_read2_b64 v[108:111], v106 offset0:81 offset1:82
	v_cmp_lt_u32_e32 vcc, 29, v0
	s_waitcnt vmcnt(12) lgkmcnt(0)
	v_fma_f64 v[104:105], v[104:105], v[108:109], 0
	s_waitcnt vmcnt(10)
	v_fmac_f64_e32 v[104:105], v[112:113], v[110:111]
	ds_read2_b64 v[108:111], v106 offset0:83 offset1:84
	s_waitcnt vmcnt(8) lgkmcnt(0)
	v_fmac_f64_e32 v[104:105], v[114:115], v[108:109]
	s_waitcnt vmcnt(6)
	v_fmac_f64_e32 v[104:105], v[116:117], v[110:111]
	ds_read2_b64 v[108:111], v106 offset0:85 offset1:86
	s_waitcnt vmcnt(4) lgkmcnt(0)
	v_fmac_f64_e32 v[104:105], v[118:119], v[108:109]
	;; [unrolled: 5-line block ×3, first 2 shown]
	buffer_load_dword v109, off, s[0:3], 0 offset:308
	buffer_load_dword v108, off, s[0:3], 0 offset:304
	buffer_load_dword v113, off, s[0:3], 0 offset:316
	buffer_load_dword v112, off, s[0:3], 0 offset:312
	s_waitcnt vmcnt(2)
	v_fmac_f64_e32 v[104:105], v[108:109], v[110:111]
	ds_read2_b64 v[108:111], v106 offset0:89 offset1:90
	s_waitcnt vmcnt(0) lgkmcnt(0)
	v_fmac_f64_e32 v[104:105], v[112:113], v[108:109]
	buffer_load_dword v109, off, s[0:3], 0 offset:324
	buffer_load_dword v108, off, s[0:3], 0 offset:320
	buffer_load_dword v113, off, s[0:3], 0 offset:332
	buffer_load_dword v112, off, s[0:3], 0 offset:328
	s_waitcnt vmcnt(2)
	v_fmac_f64_e32 v[104:105], v[108:109], v[110:111]
	ds_read2_b64 v[108:111], v106 offset0:91 offset1:92
	s_waitcnt vmcnt(0) lgkmcnt(0)
	v_fmac_f64_e32 v[104:105], v[112:113], v[108:109]
	;; [unrolled: 9-line block ×5, first 2 shown]
	buffer_load_dword v109, off, s[0:3], 0 offset:388
	buffer_load_dword v108, off, s[0:3], 0 offset:384
	s_waitcnt vmcnt(0)
	v_fmac_f64_e32 v[104:105], v[108:109], v[110:111]
	buffer_load_dword v109, off, s[0:3], 0 offset:396
	buffer_load_dword v108, off, s[0:3], 0 offset:392
	ds_read_b64 v[110:111], v106 offset:792
	s_waitcnt vmcnt(0) lgkmcnt(0)
	v_fmac_f64_e32 v[104:105], v[108:109], v[110:111]
	v_add_f64 v[102:103], v[102:103], -v[104:105]
	buffer_store_dword v103, off, s[0:3], 0 offset:244
	buffer_store_dword v102, off, s[0:3], 0 offset:240
	s_and_saveexec_b64 s[4:5], vcc
	s_cbranch_execz .LBB49_249
; %bb.248:
	buffer_load_dword v102, off, s[0:3], 0 offset:232
	buffer_load_dword v103, off, s[0:3], 0 offset:236
	s_waitcnt vmcnt(0)
	ds_write_b64 v1, v[102:103]
	buffer_store_dword v106, off, s[0:3], 0 offset:232
	buffer_store_dword v106, off, s[0:3], 0 offset:236
.LBB49_249:
	s_or_b64 exec, exec, s[4:5]
	s_waitcnt lgkmcnt(0)
	; wave barrier
	s_waitcnt lgkmcnt(0)
	buffer_load_dword v102, off, s[0:3], 0 offset:232
	buffer_load_dword v103, off, s[0:3], 0 offset:236
	;; [unrolled: 1-line block ×16, first 2 shown]
	ds_read_b128 v[108:111], v106 offset:640
	ds_read_b128 v[112:115], v106 offset:656
	;; [unrolled: 1-line block ×4, first 2 shown]
	v_cmp_lt_u32_e32 vcc, 28, v0
	s_waitcnt vmcnt(12) lgkmcnt(3)
	v_fma_f64 v[104:105], v[104:105], v[108:109], 0
	buffer_load_dword v109, off, s[0:3], 0 offset:300
	buffer_load_dword v108, off, s[0:3], 0 offset:296
	s_waitcnt vmcnt(12)
	v_fmac_f64_e32 v[104:105], v[124:125], v[110:111]
	s_waitcnt vmcnt(10) lgkmcnt(2)
	v_fmac_f64_e32 v[104:105], v[126:127], v[112:113]
	buffer_load_dword v113, off, s[0:3], 0 offset:308
	buffer_load_dword v112, off, s[0:3], 0 offset:304
	s_waitcnt vmcnt(10)
	v_fmac_f64_e32 v[104:105], v[128:129], v[114:115]
	s_waitcnt vmcnt(8) lgkmcnt(1)
	v_fmac_f64_e32 v[104:105], v[130:131], v[116:117]
	s_waitcnt vmcnt(6)
	v_fmac_f64_e32 v[104:105], v[132:133], v[118:119]
	s_waitcnt vmcnt(4) lgkmcnt(0)
	v_fmac_f64_e32 v[104:105], v[134:135], v[120:121]
	s_waitcnt vmcnt(2)
	v_fmac_f64_e32 v[104:105], v[108:109], v[122:123]
	ds_read_b128 v[108:111], v106 offset:704
	s_waitcnt vmcnt(0) lgkmcnt(0)
	v_fmac_f64_e32 v[104:105], v[112:113], v[108:109]
	buffer_load_dword v109, off, s[0:3], 0 offset:316
	buffer_load_dword v108, off, s[0:3], 0 offset:312
	buffer_load_dword v113, off, s[0:3], 0 offset:324
	buffer_load_dword v112, off, s[0:3], 0 offset:320
	s_waitcnt vmcnt(2)
	v_fmac_f64_e32 v[104:105], v[108:109], v[110:111]
	ds_read_b128 v[108:111], v106 offset:720
	s_waitcnt vmcnt(0) lgkmcnt(0)
	v_fmac_f64_e32 v[104:105], v[112:113], v[108:109]
	buffer_load_dword v109, off, s[0:3], 0 offset:332
	buffer_load_dword v108, off, s[0:3], 0 offset:328
	buffer_load_dword v113, off, s[0:3], 0 offset:340
	buffer_load_dword v112, off, s[0:3], 0 offset:336
	;; [unrolled: 9-line block ×4, first 2 shown]
	s_waitcnt vmcnt(2)
	v_fmac_f64_e32 v[104:105], v[108:109], v[110:111]
	ds_read_b128 v[108:111], v106 offset:768
	s_waitcnt vmcnt(0) lgkmcnt(0)
	v_fmac_f64_e32 v[104:105], v[112:113], v[108:109]
	buffer_load_dword v109, off, s[0:3], 0 offset:380
	buffer_load_dword v108, off, s[0:3], 0 offset:376
	s_waitcnt vmcnt(0)
	v_fmac_f64_e32 v[104:105], v[108:109], v[110:111]
	buffer_load_dword v111, off, s[0:3], 0 offset:388
	buffer_load_dword v110, off, s[0:3], 0 offset:384
	ds_read_b128 v[106:109], v106 offset:784
	s_waitcnt vmcnt(0) lgkmcnt(0)
	v_fmac_f64_e32 v[104:105], v[110:111], v[106:107]
	buffer_load_dword v107, off, s[0:3], 0 offset:396
	buffer_load_dword v106, off, s[0:3], 0 offset:392
	s_waitcnt vmcnt(0)
	v_fmac_f64_e32 v[104:105], v[106:107], v[108:109]
	v_add_f64 v[102:103], v[102:103], -v[104:105]
	buffer_store_dword v103, off, s[0:3], 0 offset:236
	buffer_store_dword v102, off, s[0:3], 0 offset:232
	s_and_saveexec_b64 s[4:5], vcc
	s_cbranch_execz .LBB49_251
; %bb.250:
	buffer_load_dword v102, off, s[0:3], 0 offset:224
	buffer_load_dword v103, off, s[0:3], 0 offset:228
	v_mov_b32_e32 v104, 0
	buffer_store_dword v104, off, s[0:3], 0 offset:224
	buffer_store_dword v104, off, s[0:3], 0 offset:228
	s_waitcnt vmcnt(2)
	ds_write_b64 v1, v[102:103]
.LBB49_251:
	s_or_b64 exec, exec, s[4:5]
	s_waitcnt lgkmcnt(0)
	; wave barrier
	s_waitcnt lgkmcnt(0)
	buffer_load_dword v102, off, s[0:3], 0 offset:224
	buffer_load_dword v103, off, s[0:3], 0 offset:228
	;; [unrolled: 1-line block ×16, first 2 shown]
	v_mov_b32_e32 v106, 0
	ds_read2_b64 v[108:111], v106 offset0:79 offset1:80
	v_cmp_lt_u32_e32 vcc, 27, v0
	s_waitcnt vmcnt(12) lgkmcnt(0)
	v_fma_f64 v[104:105], v[104:105], v[108:109], 0
	s_waitcnt vmcnt(10)
	v_fmac_f64_e32 v[104:105], v[112:113], v[110:111]
	ds_read2_b64 v[108:111], v106 offset0:81 offset1:82
	s_waitcnt vmcnt(8) lgkmcnt(0)
	v_fmac_f64_e32 v[104:105], v[114:115], v[108:109]
	s_waitcnt vmcnt(6)
	v_fmac_f64_e32 v[104:105], v[116:117], v[110:111]
	ds_read2_b64 v[108:111], v106 offset0:83 offset1:84
	s_waitcnt vmcnt(4) lgkmcnt(0)
	v_fmac_f64_e32 v[104:105], v[118:119], v[108:109]
	;; [unrolled: 5-line block ×3, first 2 shown]
	buffer_load_dword v109, off, s[0:3], 0 offset:292
	buffer_load_dword v108, off, s[0:3], 0 offset:288
	buffer_load_dword v113, off, s[0:3], 0 offset:300
	buffer_load_dword v112, off, s[0:3], 0 offset:296
	s_waitcnt vmcnt(2)
	v_fmac_f64_e32 v[104:105], v[108:109], v[110:111]
	ds_read2_b64 v[108:111], v106 offset0:87 offset1:88
	s_waitcnt vmcnt(0) lgkmcnt(0)
	v_fmac_f64_e32 v[104:105], v[112:113], v[108:109]
	buffer_load_dword v109, off, s[0:3], 0 offset:308
	buffer_load_dword v108, off, s[0:3], 0 offset:304
	buffer_load_dword v113, off, s[0:3], 0 offset:316
	buffer_load_dword v112, off, s[0:3], 0 offset:312
	s_waitcnt vmcnt(2)
	v_fmac_f64_e32 v[104:105], v[108:109], v[110:111]
	ds_read2_b64 v[108:111], v106 offset0:89 offset1:90
	s_waitcnt vmcnt(0) lgkmcnt(0)
	v_fmac_f64_e32 v[104:105], v[112:113], v[108:109]
	;; [unrolled: 9-line block ×6, first 2 shown]
	buffer_load_dword v109, off, s[0:3], 0 offset:388
	buffer_load_dword v108, off, s[0:3], 0 offset:384
	s_waitcnt vmcnt(0)
	v_fmac_f64_e32 v[104:105], v[108:109], v[110:111]
	buffer_load_dword v109, off, s[0:3], 0 offset:396
	buffer_load_dword v108, off, s[0:3], 0 offset:392
	ds_read_b64 v[110:111], v106 offset:792
	s_waitcnt vmcnt(0) lgkmcnt(0)
	v_fmac_f64_e32 v[104:105], v[108:109], v[110:111]
	v_add_f64 v[102:103], v[102:103], -v[104:105]
	buffer_store_dword v103, off, s[0:3], 0 offset:228
	buffer_store_dword v102, off, s[0:3], 0 offset:224
	s_and_saveexec_b64 s[4:5], vcc
	s_cbranch_execz .LBB49_253
; %bb.252:
	buffer_load_dword v102, off, s[0:3], 0 offset:216
	buffer_load_dword v103, off, s[0:3], 0 offset:220
	s_waitcnt vmcnt(0)
	ds_write_b64 v1, v[102:103]
	buffer_store_dword v106, off, s[0:3], 0 offset:216
	buffer_store_dword v106, off, s[0:3], 0 offset:220
.LBB49_253:
	s_or_b64 exec, exec, s[4:5]
	s_waitcnt lgkmcnt(0)
	; wave barrier
	s_waitcnt lgkmcnt(0)
	buffer_load_dword v102, off, s[0:3], 0 offset:216
	buffer_load_dword v103, off, s[0:3], 0 offset:220
	;; [unrolled: 1-line block ×16, first 2 shown]
	ds_read_b128 v[108:111], v106 offset:624
	ds_read_b128 v[112:115], v106 offset:640
	;; [unrolled: 1-line block ×4, first 2 shown]
	v_cmp_lt_u32_e32 vcc, 26, v0
	s_waitcnt vmcnt(12) lgkmcnt(3)
	v_fma_f64 v[104:105], v[104:105], v[108:109], 0
	buffer_load_dword v109, off, s[0:3], 0 offset:284
	buffer_load_dword v108, off, s[0:3], 0 offset:280
	s_waitcnt vmcnt(12)
	v_fmac_f64_e32 v[104:105], v[124:125], v[110:111]
	s_waitcnt vmcnt(10) lgkmcnt(2)
	v_fmac_f64_e32 v[104:105], v[126:127], v[112:113]
	buffer_load_dword v113, off, s[0:3], 0 offset:292
	buffer_load_dword v112, off, s[0:3], 0 offset:288
	s_waitcnt vmcnt(10)
	v_fmac_f64_e32 v[104:105], v[128:129], v[114:115]
	s_waitcnt vmcnt(8) lgkmcnt(1)
	v_fmac_f64_e32 v[104:105], v[130:131], v[116:117]
	s_waitcnt vmcnt(6)
	v_fmac_f64_e32 v[104:105], v[132:133], v[118:119]
	s_waitcnt vmcnt(4) lgkmcnt(0)
	v_fmac_f64_e32 v[104:105], v[134:135], v[120:121]
	s_waitcnt vmcnt(2)
	v_fmac_f64_e32 v[104:105], v[108:109], v[122:123]
	ds_read_b128 v[108:111], v106 offset:688
	s_waitcnt vmcnt(0) lgkmcnt(0)
	v_fmac_f64_e32 v[104:105], v[112:113], v[108:109]
	buffer_load_dword v109, off, s[0:3], 0 offset:300
	buffer_load_dword v108, off, s[0:3], 0 offset:296
	buffer_load_dword v113, off, s[0:3], 0 offset:308
	buffer_load_dword v112, off, s[0:3], 0 offset:304
	s_waitcnt vmcnt(2)
	v_fmac_f64_e32 v[104:105], v[108:109], v[110:111]
	ds_read_b128 v[108:111], v106 offset:704
	s_waitcnt vmcnt(0) lgkmcnt(0)
	v_fmac_f64_e32 v[104:105], v[112:113], v[108:109]
	buffer_load_dword v109, off, s[0:3], 0 offset:316
	buffer_load_dword v108, off, s[0:3], 0 offset:312
	buffer_load_dword v113, off, s[0:3], 0 offset:324
	buffer_load_dword v112, off, s[0:3], 0 offset:320
	;; [unrolled: 9-line block ×5, first 2 shown]
	s_waitcnt vmcnt(2)
	v_fmac_f64_e32 v[104:105], v[108:109], v[110:111]
	ds_read_b128 v[108:111], v106 offset:768
	s_waitcnt vmcnt(0) lgkmcnt(0)
	v_fmac_f64_e32 v[104:105], v[112:113], v[108:109]
	buffer_load_dword v109, off, s[0:3], 0 offset:380
	buffer_load_dword v108, off, s[0:3], 0 offset:376
	s_waitcnt vmcnt(0)
	v_fmac_f64_e32 v[104:105], v[108:109], v[110:111]
	buffer_load_dword v111, off, s[0:3], 0 offset:388
	buffer_load_dword v110, off, s[0:3], 0 offset:384
	ds_read_b128 v[106:109], v106 offset:784
	s_waitcnt vmcnt(0) lgkmcnt(0)
	v_fmac_f64_e32 v[104:105], v[110:111], v[106:107]
	buffer_load_dword v107, off, s[0:3], 0 offset:396
	buffer_load_dword v106, off, s[0:3], 0 offset:392
	s_waitcnt vmcnt(0)
	v_fmac_f64_e32 v[104:105], v[106:107], v[108:109]
	v_add_f64 v[102:103], v[102:103], -v[104:105]
	buffer_store_dword v103, off, s[0:3], 0 offset:220
	buffer_store_dword v102, off, s[0:3], 0 offset:216
	s_and_saveexec_b64 s[4:5], vcc
	s_cbranch_execz .LBB49_255
; %bb.254:
	buffer_load_dword v102, off, s[0:3], 0 offset:208
	buffer_load_dword v103, off, s[0:3], 0 offset:212
	v_mov_b32_e32 v104, 0
	buffer_store_dword v104, off, s[0:3], 0 offset:208
	buffer_store_dword v104, off, s[0:3], 0 offset:212
	s_waitcnt vmcnt(2)
	ds_write_b64 v1, v[102:103]
.LBB49_255:
	s_or_b64 exec, exec, s[4:5]
	s_waitcnt lgkmcnt(0)
	; wave barrier
	s_waitcnt lgkmcnt(0)
	buffer_load_dword v102, off, s[0:3], 0 offset:208
	buffer_load_dword v103, off, s[0:3], 0 offset:212
	;; [unrolled: 1-line block ×16, first 2 shown]
	v_mov_b32_e32 v106, 0
	ds_read2_b64 v[108:111], v106 offset0:77 offset1:78
	v_cmp_lt_u32_e32 vcc, 25, v0
	s_waitcnt vmcnt(12) lgkmcnt(0)
	v_fma_f64 v[104:105], v[104:105], v[108:109], 0
	s_waitcnt vmcnt(10)
	v_fmac_f64_e32 v[104:105], v[112:113], v[110:111]
	ds_read2_b64 v[108:111], v106 offset0:79 offset1:80
	s_waitcnt vmcnt(8) lgkmcnt(0)
	v_fmac_f64_e32 v[104:105], v[114:115], v[108:109]
	s_waitcnt vmcnt(6)
	v_fmac_f64_e32 v[104:105], v[116:117], v[110:111]
	ds_read2_b64 v[108:111], v106 offset0:81 offset1:82
	s_waitcnt vmcnt(4) lgkmcnt(0)
	v_fmac_f64_e32 v[104:105], v[118:119], v[108:109]
	;; [unrolled: 5-line block ×3, first 2 shown]
	buffer_load_dword v109, off, s[0:3], 0 offset:276
	buffer_load_dword v108, off, s[0:3], 0 offset:272
	buffer_load_dword v113, off, s[0:3], 0 offset:284
	buffer_load_dword v112, off, s[0:3], 0 offset:280
	s_waitcnt vmcnt(2)
	v_fmac_f64_e32 v[104:105], v[108:109], v[110:111]
	ds_read2_b64 v[108:111], v106 offset0:85 offset1:86
	s_waitcnt vmcnt(0) lgkmcnt(0)
	v_fmac_f64_e32 v[104:105], v[112:113], v[108:109]
	buffer_load_dword v109, off, s[0:3], 0 offset:292
	buffer_load_dword v108, off, s[0:3], 0 offset:288
	buffer_load_dword v113, off, s[0:3], 0 offset:300
	buffer_load_dword v112, off, s[0:3], 0 offset:296
	s_waitcnt vmcnt(2)
	v_fmac_f64_e32 v[104:105], v[108:109], v[110:111]
	ds_read2_b64 v[108:111], v106 offset0:87 offset1:88
	s_waitcnt vmcnt(0) lgkmcnt(0)
	v_fmac_f64_e32 v[104:105], v[112:113], v[108:109]
	;; [unrolled: 9-line block ×7, first 2 shown]
	buffer_load_dword v109, off, s[0:3], 0 offset:388
	buffer_load_dword v108, off, s[0:3], 0 offset:384
	s_waitcnt vmcnt(0)
	v_fmac_f64_e32 v[104:105], v[108:109], v[110:111]
	buffer_load_dword v109, off, s[0:3], 0 offset:396
	buffer_load_dword v108, off, s[0:3], 0 offset:392
	ds_read_b64 v[110:111], v106 offset:792
	s_waitcnt vmcnt(0) lgkmcnt(0)
	v_fmac_f64_e32 v[104:105], v[108:109], v[110:111]
	v_add_f64 v[102:103], v[102:103], -v[104:105]
	buffer_store_dword v103, off, s[0:3], 0 offset:212
	buffer_store_dword v102, off, s[0:3], 0 offset:208
	s_and_saveexec_b64 s[4:5], vcc
	s_cbranch_execz .LBB49_257
; %bb.256:
	buffer_load_dword v102, off, s[0:3], 0 offset:200
	buffer_load_dword v103, off, s[0:3], 0 offset:204
	s_waitcnt vmcnt(0)
	ds_write_b64 v1, v[102:103]
	buffer_store_dword v106, off, s[0:3], 0 offset:200
	buffer_store_dword v106, off, s[0:3], 0 offset:204
.LBB49_257:
	s_or_b64 exec, exec, s[4:5]
	s_waitcnt lgkmcnt(0)
	; wave barrier
	s_waitcnt lgkmcnt(0)
	buffer_load_dword v102, off, s[0:3], 0 offset:200
	buffer_load_dword v103, off, s[0:3], 0 offset:204
	;; [unrolled: 1-line block ×16, first 2 shown]
	ds_read_b128 v[108:111], v106 offset:608
	ds_read_b128 v[112:115], v106 offset:624
	;; [unrolled: 1-line block ×4, first 2 shown]
	v_cmp_lt_u32_e32 vcc, 24, v0
	s_waitcnt vmcnt(12) lgkmcnt(3)
	v_fma_f64 v[104:105], v[104:105], v[108:109], 0
	buffer_load_dword v109, off, s[0:3], 0 offset:268
	buffer_load_dword v108, off, s[0:3], 0 offset:264
	s_waitcnt vmcnt(12)
	v_fmac_f64_e32 v[104:105], v[124:125], v[110:111]
	s_waitcnt vmcnt(10) lgkmcnt(2)
	v_fmac_f64_e32 v[104:105], v[126:127], v[112:113]
	buffer_load_dword v113, off, s[0:3], 0 offset:276
	buffer_load_dword v112, off, s[0:3], 0 offset:272
	s_waitcnt vmcnt(10)
	v_fmac_f64_e32 v[104:105], v[128:129], v[114:115]
	s_waitcnt vmcnt(8) lgkmcnt(1)
	v_fmac_f64_e32 v[104:105], v[130:131], v[116:117]
	s_waitcnt vmcnt(6)
	v_fmac_f64_e32 v[104:105], v[132:133], v[118:119]
	s_waitcnt vmcnt(4) lgkmcnt(0)
	v_fmac_f64_e32 v[104:105], v[134:135], v[120:121]
	s_waitcnt vmcnt(2)
	v_fmac_f64_e32 v[104:105], v[108:109], v[122:123]
	ds_read_b128 v[108:111], v106 offset:672
	s_waitcnt vmcnt(0) lgkmcnt(0)
	v_fmac_f64_e32 v[104:105], v[112:113], v[108:109]
	buffer_load_dword v109, off, s[0:3], 0 offset:284
	buffer_load_dword v108, off, s[0:3], 0 offset:280
	buffer_load_dword v113, off, s[0:3], 0 offset:292
	buffer_load_dword v112, off, s[0:3], 0 offset:288
	s_waitcnt vmcnt(2)
	v_fmac_f64_e32 v[104:105], v[108:109], v[110:111]
	ds_read_b128 v[108:111], v106 offset:688
	s_waitcnt vmcnt(0) lgkmcnt(0)
	v_fmac_f64_e32 v[104:105], v[112:113], v[108:109]
	buffer_load_dword v109, off, s[0:3], 0 offset:300
	buffer_load_dword v108, off, s[0:3], 0 offset:296
	buffer_load_dword v113, off, s[0:3], 0 offset:308
	buffer_load_dword v112, off, s[0:3], 0 offset:304
	;; [unrolled: 9-line block ×6, first 2 shown]
	s_waitcnt vmcnt(2)
	v_fmac_f64_e32 v[104:105], v[108:109], v[110:111]
	ds_read_b128 v[108:111], v106 offset:768
	s_waitcnt vmcnt(0) lgkmcnt(0)
	v_fmac_f64_e32 v[104:105], v[112:113], v[108:109]
	buffer_load_dword v109, off, s[0:3], 0 offset:380
	buffer_load_dword v108, off, s[0:3], 0 offset:376
	s_waitcnt vmcnt(0)
	v_fmac_f64_e32 v[104:105], v[108:109], v[110:111]
	buffer_load_dword v111, off, s[0:3], 0 offset:388
	buffer_load_dword v110, off, s[0:3], 0 offset:384
	ds_read_b128 v[106:109], v106 offset:784
	s_waitcnt vmcnt(0) lgkmcnt(0)
	v_fmac_f64_e32 v[104:105], v[110:111], v[106:107]
	buffer_load_dword v107, off, s[0:3], 0 offset:396
	buffer_load_dword v106, off, s[0:3], 0 offset:392
	s_waitcnt vmcnt(0)
	v_fmac_f64_e32 v[104:105], v[106:107], v[108:109]
	v_add_f64 v[102:103], v[102:103], -v[104:105]
	buffer_store_dword v103, off, s[0:3], 0 offset:204
	buffer_store_dword v102, off, s[0:3], 0 offset:200
	s_and_saveexec_b64 s[4:5], vcc
	s_cbranch_execz .LBB49_259
; %bb.258:
	buffer_load_dword v102, off, s[0:3], 0 offset:192
	buffer_load_dword v103, off, s[0:3], 0 offset:196
	v_mov_b32_e32 v104, 0
	buffer_store_dword v104, off, s[0:3], 0 offset:192
	buffer_store_dword v104, off, s[0:3], 0 offset:196
	s_waitcnt vmcnt(2)
	ds_write_b64 v1, v[102:103]
.LBB49_259:
	s_or_b64 exec, exec, s[4:5]
	s_waitcnt lgkmcnt(0)
	; wave barrier
	s_waitcnt lgkmcnt(0)
	buffer_load_dword v102, off, s[0:3], 0 offset:192
	buffer_load_dword v103, off, s[0:3], 0 offset:196
	;; [unrolled: 1-line block ×16, first 2 shown]
	v_mov_b32_e32 v106, 0
	ds_read2_b64 v[108:111], v106 offset0:75 offset1:76
	v_cmp_lt_u32_e32 vcc, 23, v0
	s_waitcnt vmcnt(12) lgkmcnt(0)
	v_fma_f64 v[104:105], v[104:105], v[108:109], 0
	s_waitcnt vmcnt(10)
	v_fmac_f64_e32 v[104:105], v[112:113], v[110:111]
	ds_read2_b64 v[108:111], v106 offset0:77 offset1:78
	s_waitcnt vmcnt(8) lgkmcnt(0)
	v_fmac_f64_e32 v[104:105], v[114:115], v[108:109]
	s_waitcnt vmcnt(6)
	v_fmac_f64_e32 v[104:105], v[116:117], v[110:111]
	ds_read2_b64 v[108:111], v106 offset0:79 offset1:80
	s_waitcnt vmcnt(4) lgkmcnt(0)
	v_fmac_f64_e32 v[104:105], v[118:119], v[108:109]
	;; [unrolled: 5-line block ×3, first 2 shown]
	buffer_load_dword v109, off, s[0:3], 0 offset:260
	buffer_load_dword v108, off, s[0:3], 0 offset:256
	buffer_load_dword v113, off, s[0:3], 0 offset:268
	buffer_load_dword v112, off, s[0:3], 0 offset:264
	s_waitcnt vmcnt(2)
	v_fmac_f64_e32 v[104:105], v[108:109], v[110:111]
	ds_read2_b64 v[108:111], v106 offset0:83 offset1:84
	s_waitcnt vmcnt(0) lgkmcnt(0)
	v_fmac_f64_e32 v[104:105], v[112:113], v[108:109]
	buffer_load_dword v109, off, s[0:3], 0 offset:276
	buffer_load_dword v108, off, s[0:3], 0 offset:272
	buffer_load_dword v113, off, s[0:3], 0 offset:284
	buffer_load_dword v112, off, s[0:3], 0 offset:280
	s_waitcnt vmcnt(2)
	v_fmac_f64_e32 v[104:105], v[108:109], v[110:111]
	ds_read2_b64 v[108:111], v106 offset0:85 offset1:86
	s_waitcnt vmcnt(0) lgkmcnt(0)
	v_fmac_f64_e32 v[104:105], v[112:113], v[108:109]
	;; [unrolled: 9-line block ×8, first 2 shown]
	buffer_load_dword v109, off, s[0:3], 0 offset:388
	buffer_load_dword v108, off, s[0:3], 0 offset:384
	s_waitcnt vmcnt(0)
	v_fmac_f64_e32 v[104:105], v[108:109], v[110:111]
	buffer_load_dword v109, off, s[0:3], 0 offset:396
	buffer_load_dword v108, off, s[0:3], 0 offset:392
	ds_read_b64 v[110:111], v106 offset:792
	s_waitcnt vmcnt(0) lgkmcnt(0)
	v_fmac_f64_e32 v[104:105], v[108:109], v[110:111]
	v_add_f64 v[102:103], v[102:103], -v[104:105]
	buffer_store_dword v103, off, s[0:3], 0 offset:196
	buffer_store_dword v102, off, s[0:3], 0 offset:192
	s_and_saveexec_b64 s[4:5], vcc
	s_cbranch_execz .LBB49_261
; %bb.260:
	buffer_load_dword v102, off, s[0:3], 0 offset:184
	buffer_load_dword v103, off, s[0:3], 0 offset:188
	s_waitcnt vmcnt(0)
	ds_write_b64 v1, v[102:103]
	buffer_store_dword v106, off, s[0:3], 0 offset:184
	buffer_store_dword v106, off, s[0:3], 0 offset:188
.LBB49_261:
	s_or_b64 exec, exec, s[4:5]
	s_waitcnt lgkmcnt(0)
	; wave barrier
	s_waitcnt lgkmcnt(0)
	buffer_load_dword v102, off, s[0:3], 0 offset:184
	buffer_load_dword v103, off, s[0:3], 0 offset:188
	;; [unrolled: 1-line block ×16, first 2 shown]
	ds_read_b128 v[108:111], v106 offset:592
	ds_read_b128 v[112:115], v106 offset:608
	;; [unrolled: 1-line block ×4, first 2 shown]
	v_cmp_lt_u32_e32 vcc, 22, v0
	s_waitcnt vmcnt(12) lgkmcnt(3)
	v_fma_f64 v[104:105], v[104:105], v[108:109], 0
	buffer_load_dword v109, off, s[0:3], 0 offset:252
	buffer_load_dword v108, off, s[0:3], 0 offset:248
	s_waitcnt vmcnt(12)
	v_fmac_f64_e32 v[104:105], v[124:125], v[110:111]
	s_waitcnt vmcnt(10) lgkmcnt(2)
	v_fmac_f64_e32 v[104:105], v[126:127], v[112:113]
	buffer_load_dword v113, off, s[0:3], 0 offset:260
	buffer_load_dword v112, off, s[0:3], 0 offset:256
	s_waitcnt vmcnt(10)
	v_fmac_f64_e32 v[104:105], v[128:129], v[114:115]
	s_waitcnt vmcnt(8) lgkmcnt(1)
	v_fmac_f64_e32 v[104:105], v[130:131], v[116:117]
	s_waitcnt vmcnt(6)
	v_fmac_f64_e32 v[104:105], v[132:133], v[118:119]
	s_waitcnt vmcnt(4) lgkmcnt(0)
	v_fmac_f64_e32 v[104:105], v[134:135], v[120:121]
	s_waitcnt vmcnt(2)
	v_fmac_f64_e32 v[104:105], v[108:109], v[122:123]
	ds_read_b128 v[108:111], v106 offset:656
	s_waitcnt vmcnt(0) lgkmcnt(0)
	v_fmac_f64_e32 v[104:105], v[112:113], v[108:109]
	buffer_load_dword v109, off, s[0:3], 0 offset:268
	buffer_load_dword v108, off, s[0:3], 0 offset:264
	buffer_load_dword v113, off, s[0:3], 0 offset:276
	buffer_load_dword v112, off, s[0:3], 0 offset:272
	s_waitcnt vmcnt(2)
	v_fmac_f64_e32 v[104:105], v[108:109], v[110:111]
	ds_read_b128 v[108:111], v106 offset:672
	s_waitcnt vmcnt(0) lgkmcnt(0)
	v_fmac_f64_e32 v[104:105], v[112:113], v[108:109]
	buffer_load_dword v109, off, s[0:3], 0 offset:284
	buffer_load_dword v108, off, s[0:3], 0 offset:280
	buffer_load_dword v113, off, s[0:3], 0 offset:292
	buffer_load_dword v112, off, s[0:3], 0 offset:288
	;; [unrolled: 9-line block ×7, first 2 shown]
	s_waitcnt vmcnt(2)
	v_fmac_f64_e32 v[104:105], v[108:109], v[110:111]
	ds_read_b128 v[108:111], v106 offset:768
	s_waitcnt vmcnt(0) lgkmcnt(0)
	v_fmac_f64_e32 v[104:105], v[112:113], v[108:109]
	buffer_load_dword v109, off, s[0:3], 0 offset:380
	buffer_load_dword v108, off, s[0:3], 0 offset:376
	s_waitcnt vmcnt(0)
	v_fmac_f64_e32 v[104:105], v[108:109], v[110:111]
	buffer_load_dword v111, off, s[0:3], 0 offset:388
	buffer_load_dword v110, off, s[0:3], 0 offset:384
	ds_read_b128 v[106:109], v106 offset:784
	s_waitcnt vmcnt(0) lgkmcnt(0)
	v_fmac_f64_e32 v[104:105], v[110:111], v[106:107]
	buffer_load_dword v107, off, s[0:3], 0 offset:396
	buffer_load_dword v106, off, s[0:3], 0 offset:392
	s_waitcnt vmcnt(0)
	v_fmac_f64_e32 v[104:105], v[106:107], v[108:109]
	v_add_f64 v[102:103], v[102:103], -v[104:105]
	buffer_store_dword v103, off, s[0:3], 0 offset:188
	buffer_store_dword v102, off, s[0:3], 0 offset:184
	s_and_saveexec_b64 s[4:5], vcc
	s_cbranch_execz .LBB49_263
; %bb.262:
	buffer_load_dword v102, off, s[0:3], 0 offset:176
	buffer_load_dword v103, off, s[0:3], 0 offset:180
	v_mov_b32_e32 v104, 0
	buffer_store_dword v104, off, s[0:3], 0 offset:176
	buffer_store_dword v104, off, s[0:3], 0 offset:180
	s_waitcnt vmcnt(2)
	ds_write_b64 v1, v[102:103]
.LBB49_263:
	s_or_b64 exec, exec, s[4:5]
	s_waitcnt lgkmcnt(0)
	; wave barrier
	s_waitcnt lgkmcnt(0)
	buffer_load_dword v102, off, s[0:3], 0 offset:176
	buffer_load_dword v103, off, s[0:3], 0 offset:180
	;; [unrolled: 1-line block ×16, first 2 shown]
	v_mov_b32_e32 v106, 0
	ds_read2_b64 v[108:111], v106 offset0:73 offset1:74
	v_cmp_lt_u32_e32 vcc, 21, v0
	s_waitcnt vmcnt(12) lgkmcnt(0)
	v_fma_f64 v[104:105], v[104:105], v[108:109], 0
	s_waitcnt vmcnt(10)
	v_fmac_f64_e32 v[104:105], v[112:113], v[110:111]
	ds_read2_b64 v[108:111], v106 offset0:75 offset1:76
	s_waitcnt vmcnt(8) lgkmcnt(0)
	v_fmac_f64_e32 v[104:105], v[114:115], v[108:109]
	s_waitcnt vmcnt(6)
	v_fmac_f64_e32 v[104:105], v[116:117], v[110:111]
	ds_read2_b64 v[108:111], v106 offset0:77 offset1:78
	s_waitcnt vmcnt(4) lgkmcnt(0)
	v_fmac_f64_e32 v[104:105], v[118:119], v[108:109]
	;; [unrolled: 5-line block ×3, first 2 shown]
	buffer_load_dword v109, off, s[0:3], 0 offset:244
	buffer_load_dword v108, off, s[0:3], 0 offset:240
	buffer_load_dword v113, off, s[0:3], 0 offset:252
	buffer_load_dword v112, off, s[0:3], 0 offset:248
	s_waitcnt vmcnt(2)
	v_fmac_f64_e32 v[104:105], v[108:109], v[110:111]
	ds_read2_b64 v[108:111], v106 offset0:81 offset1:82
	s_waitcnt vmcnt(0) lgkmcnt(0)
	v_fmac_f64_e32 v[104:105], v[112:113], v[108:109]
	buffer_load_dword v109, off, s[0:3], 0 offset:260
	buffer_load_dword v108, off, s[0:3], 0 offset:256
	buffer_load_dword v113, off, s[0:3], 0 offset:268
	buffer_load_dword v112, off, s[0:3], 0 offset:264
	s_waitcnt vmcnt(2)
	v_fmac_f64_e32 v[104:105], v[108:109], v[110:111]
	ds_read2_b64 v[108:111], v106 offset0:83 offset1:84
	s_waitcnt vmcnt(0) lgkmcnt(0)
	v_fmac_f64_e32 v[104:105], v[112:113], v[108:109]
	;; [unrolled: 9-line block ×9, first 2 shown]
	buffer_load_dword v109, off, s[0:3], 0 offset:388
	buffer_load_dword v108, off, s[0:3], 0 offset:384
	s_waitcnt vmcnt(0)
	v_fmac_f64_e32 v[104:105], v[108:109], v[110:111]
	buffer_load_dword v109, off, s[0:3], 0 offset:396
	buffer_load_dword v108, off, s[0:3], 0 offset:392
	ds_read_b64 v[110:111], v106 offset:792
	s_waitcnt vmcnt(0) lgkmcnt(0)
	v_fmac_f64_e32 v[104:105], v[108:109], v[110:111]
	v_add_f64 v[102:103], v[102:103], -v[104:105]
	buffer_store_dword v103, off, s[0:3], 0 offset:180
	buffer_store_dword v102, off, s[0:3], 0 offset:176
	s_and_saveexec_b64 s[4:5], vcc
	s_cbranch_execz .LBB49_265
; %bb.264:
	buffer_load_dword v102, off, s[0:3], 0 offset:168
	buffer_load_dword v103, off, s[0:3], 0 offset:172
	s_waitcnt vmcnt(0)
	ds_write_b64 v1, v[102:103]
	buffer_store_dword v106, off, s[0:3], 0 offset:168
	buffer_store_dword v106, off, s[0:3], 0 offset:172
.LBB49_265:
	s_or_b64 exec, exec, s[4:5]
	s_waitcnt lgkmcnt(0)
	; wave barrier
	s_waitcnt lgkmcnt(0)
	buffer_load_dword v102, off, s[0:3], 0 offset:168
	buffer_load_dword v103, off, s[0:3], 0 offset:172
	;; [unrolled: 1-line block ×16, first 2 shown]
	ds_read_b128 v[108:111], v106 offset:576
	ds_read_b128 v[112:115], v106 offset:592
	;; [unrolled: 1-line block ×4, first 2 shown]
	v_cmp_lt_u32_e32 vcc, 20, v0
	s_waitcnt vmcnt(12) lgkmcnt(3)
	v_fma_f64 v[104:105], v[104:105], v[108:109], 0
	buffer_load_dword v109, off, s[0:3], 0 offset:236
	buffer_load_dword v108, off, s[0:3], 0 offset:232
	s_waitcnt vmcnt(12)
	v_fmac_f64_e32 v[104:105], v[124:125], v[110:111]
	s_waitcnt vmcnt(10) lgkmcnt(2)
	v_fmac_f64_e32 v[104:105], v[126:127], v[112:113]
	buffer_load_dword v113, off, s[0:3], 0 offset:244
	buffer_load_dword v112, off, s[0:3], 0 offset:240
	s_waitcnt vmcnt(10)
	v_fmac_f64_e32 v[104:105], v[128:129], v[114:115]
	s_waitcnt vmcnt(8) lgkmcnt(1)
	v_fmac_f64_e32 v[104:105], v[130:131], v[116:117]
	s_waitcnt vmcnt(6)
	v_fmac_f64_e32 v[104:105], v[132:133], v[118:119]
	s_waitcnt vmcnt(4) lgkmcnt(0)
	v_fmac_f64_e32 v[104:105], v[134:135], v[120:121]
	s_waitcnt vmcnt(2)
	v_fmac_f64_e32 v[104:105], v[108:109], v[122:123]
	ds_read_b128 v[108:111], v106 offset:640
	s_waitcnt vmcnt(0) lgkmcnt(0)
	v_fmac_f64_e32 v[104:105], v[112:113], v[108:109]
	buffer_load_dword v109, off, s[0:3], 0 offset:252
	buffer_load_dword v108, off, s[0:3], 0 offset:248
	buffer_load_dword v113, off, s[0:3], 0 offset:260
	buffer_load_dword v112, off, s[0:3], 0 offset:256
	s_waitcnt vmcnt(2)
	v_fmac_f64_e32 v[104:105], v[108:109], v[110:111]
	ds_read_b128 v[108:111], v106 offset:656
	s_waitcnt vmcnt(0) lgkmcnt(0)
	v_fmac_f64_e32 v[104:105], v[112:113], v[108:109]
	buffer_load_dword v109, off, s[0:3], 0 offset:268
	buffer_load_dword v108, off, s[0:3], 0 offset:264
	buffer_load_dword v113, off, s[0:3], 0 offset:276
	buffer_load_dword v112, off, s[0:3], 0 offset:272
	;; [unrolled: 9-line block ×8, first 2 shown]
	s_waitcnt vmcnt(2)
	v_fmac_f64_e32 v[104:105], v[108:109], v[110:111]
	ds_read_b128 v[108:111], v106 offset:768
	s_waitcnt vmcnt(0) lgkmcnt(0)
	v_fmac_f64_e32 v[104:105], v[112:113], v[108:109]
	buffer_load_dword v109, off, s[0:3], 0 offset:380
	buffer_load_dword v108, off, s[0:3], 0 offset:376
	s_waitcnt vmcnt(0)
	v_fmac_f64_e32 v[104:105], v[108:109], v[110:111]
	buffer_load_dword v111, off, s[0:3], 0 offset:388
	buffer_load_dword v110, off, s[0:3], 0 offset:384
	ds_read_b128 v[106:109], v106 offset:784
	s_waitcnt vmcnt(0) lgkmcnt(0)
	v_fmac_f64_e32 v[104:105], v[110:111], v[106:107]
	buffer_load_dword v107, off, s[0:3], 0 offset:396
	buffer_load_dword v106, off, s[0:3], 0 offset:392
	s_waitcnt vmcnt(0)
	v_fmac_f64_e32 v[104:105], v[106:107], v[108:109]
	v_add_f64 v[102:103], v[102:103], -v[104:105]
	buffer_store_dword v103, off, s[0:3], 0 offset:172
	buffer_store_dword v102, off, s[0:3], 0 offset:168
	s_and_saveexec_b64 s[4:5], vcc
	s_cbranch_execz .LBB49_267
; %bb.266:
	buffer_load_dword v102, off, s[0:3], 0 offset:160
	buffer_load_dword v103, off, s[0:3], 0 offset:164
	v_mov_b32_e32 v104, 0
	buffer_store_dword v104, off, s[0:3], 0 offset:160
	buffer_store_dword v104, off, s[0:3], 0 offset:164
	s_waitcnt vmcnt(2)
	ds_write_b64 v1, v[102:103]
.LBB49_267:
	s_or_b64 exec, exec, s[4:5]
	s_waitcnt lgkmcnt(0)
	; wave barrier
	s_waitcnt lgkmcnt(0)
	buffer_load_dword v102, off, s[0:3], 0 offset:160
	buffer_load_dword v103, off, s[0:3], 0 offset:164
	;; [unrolled: 1-line block ×16, first 2 shown]
	v_mov_b32_e32 v106, 0
	ds_read2_b64 v[108:111], v106 offset0:71 offset1:72
	v_cmp_lt_u32_e32 vcc, 19, v0
	s_waitcnt vmcnt(12) lgkmcnt(0)
	v_fma_f64 v[104:105], v[104:105], v[108:109], 0
	s_waitcnt vmcnt(10)
	v_fmac_f64_e32 v[104:105], v[112:113], v[110:111]
	ds_read2_b64 v[108:111], v106 offset0:73 offset1:74
	s_waitcnt vmcnt(8) lgkmcnt(0)
	v_fmac_f64_e32 v[104:105], v[114:115], v[108:109]
	s_waitcnt vmcnt(6)
	v_fmac_f64_e32 v[104:105], v[116:117], v[110:111]
	ds_read2_b64 v[108:111], v106 offset0:75 offset1:76
	s_waitcnt vmcnt(4) lgkmcnt(0)
	v_fmac_f64_e32 v[104:105], v[118:119], v[108:109]
	;; [unrolled: 5-line block ×3, first 2 shown]
	buffer_load_dword v109, off, s[0:3], 0 offset:228
	buffer_load_dword v108, off, s[0:3], 0 offset:224
	buffer_load_dword v113, off, s[0:3], 0 offset:236
	buffer_load_dword v112, off, s[0:3], 0 offset:232
	s_waitcnt vmcnt(2)
	v_fmac_f64_e32 v[104:105], v[108:109], v[110:111]
	ds_read2_b64 v[108:111], v106 offset0:79 offset1:80
	s_waitcnt vmcnt(0) lgkmcnt(0)
	v_fmac_f64_e32 v[104:105], v[112:113], v[108:109]
	buffer_load_dword v109, off, s[0:3], 0 offset:244
	buffer_load_dword v108, off, s[0:3], 0 offset:240
	buffer_load_dword v113, off, s[0:3], 0 offset:252
	buffer_load_dword v112, off, s[0:3], 0 offset:248
	s_waitcnt vmcnt(2)
	v_fmac_f64_e32 v[104:105], v[108:109], v[110:111]
	ds_read2_b64 v[108:111], v106 offset0:81 offset1:82
	s_waitcnt vmcnt(0) lgkmcnt(0)
	v_fmac_f64_e32 v[104:105], v[112:113], v[108:109]
	;; [unrolled: 9-line block ×10, first 2 shown]
	buffer_load_dword v109, off, s[0:3], 0 offset:388
	buffer_load_dword v108, off, s[0:3], 0 offset:384
	s_waitcnt vmcnt(0)
	v_fmac_f64_e32 v[104:105], v[108:109], v[110:111]
	buffer_load_dword v109, off, s[0:3], 0 offset:396
	buffer_load_dword v108, off, s[0:3], 0 offset:392
	ds_read_b64 v[110:111], v106 offset:792
	s_waitcnt vmcnt(0) lgkmcnt(0)
	v_fmac_f64_e32 v[104:105], v[108:109], v[110:111]
	v_add_f64 v[102:103], v[102:103], -v[104:105]
	buffer_store_dword v103, off, s[0:3], 0 offset:164
	buffer_store_dword v102, off, s[0:3], 0 offset:160
	s_and_saveexec_b64 s[4:5], vcc
	s_cbranch_execz .LBB49_269
; %bb.268:
	buffer_load_dword v102, off, s[0:3], 0 offset:152
	buffer_load_dword v103, off, s[0:3], 0 offset:156
	s_waitcnt vmcnt(0)
	ds_write_b64 v1, v[102:103]
	buffer_store_dword v106, off, s[0:3], 0 offset:152
	buffer_store_dword v106, off, s[0:3], 0 offset:156
.LBB49_269:
	s_or_b64 exec, exec, s[4:5]
	s_waitcnt lgkmcnt(0)
	; wave barrier
	s_waitcnt lgkmcnt(0)
	buffer_load_dword v102, off, s[0:3], 0 offset:152
	buffer_load_dword v103, off, s[0:3], 0 offset:156
	;; [unrolled: 1-line block ×16, first 2 shown]
	ds_read_b128 v[108:111], v106 offset:560
	ds_read_b128 v[112:115], v106 offset:576
	;; [unrolled: 1-line block ×4, first 2 shown]
	v_cmp_lt_u32_e32 vcc, 18, v0
	s_waitcnt vmcnt(12) lgkmcnt(3)
	v_fma_f64 v[104:105], v[104:105], v[108:109], 0
	buffer_load_dword v109, off, s[0:3], 0 offset:220
	buffer_load_dword v108, off, s[0:3], 0 offset:216
	s_waitcnt vmcnt(12)
	v_fmac_f64_e32 v[104:105], v[124:125], v[110:111]
	s_waitcnt vmcnt(10) lgkmcnt(2)
	v_fmac_f64_e32 v[104:105], v[126:127], v[112:113]
	buffer_load_dword v113, off, s[0:3], 0 offset:228
	buffer_load_dword v112, off, s[0:3], 0 offset:224
	s_waitcnt vmcnt(10)
	v_fmac_f64_e32 v[104:105], v[128:129], v[114:115]
	s_waitcnt vmcnt(8) lgkmcnt(1)
	v_fmac_f64_e32 v[104:105], v[130:131], v[116:117]
	s_waitcnt vmcnt(6)
	v_fmac_f64_e32 v[104:105], v[132:133], v[118:119]
	s_waitcnt vmcnt(4) lgkmcnt(0)
	v_fmac_f64_e32 v[104:105], v[134:135], v[120:121]
	s_waitcnt vmcnt(2)
	v_fmac_f64_e32 v[104:105], v[108:109], v[122:123]
	ds_read_b128 v[108:111], v106 offset:624
	s_waitcnt vmcnt(0) lgkmcnt(0)
	v_fmac_f64_e32 v[104:105], v[112:113], v[108:109]
	buffer_load_dword v109, off, s[0:3], 0 offset:236
	buffer_load_dword v108, off, s[0:3], 0 offset:232
	buffer_load_dword v113, off, s[0:3], 0 offset:244
	buffer_load_dword v112, off, s[0:3], 0 offset:240
	s_waitcnt vmcnt(2)
	v_fmac_f64_e32 v[104:105], v[108:109], v[110:111]
	ds_read_b128 v[108:111], v106 offset:640
	s_waitcnt vmcnt(0) lgkmcnt(0)
	v_fmac_f64_e32 v[104:105], v[112:113], v[108:109]
	buffer_load_dword v109, off, s[0:3], 0 offset:252
	buffer_load_dword v108, off, s[0:3], 0 offset:248
	buffer_load_dword v113, off, s[0:3], 0 offset:260
	buffer_load_dword v112, off, s[0:3], 0 offset:256
	;; [unrolled: 9-line block ×9, first 2 shown]
	s_waitcnt vmcnt(2)
	v_fmac_f64_e32 v[104:105], v[108:109], v[110:111]
	ds_read_b128 v[108:111], v106 offset:768
	s_waitcnt vmcnt(0) lgkmcnt(0)
	v_fmac_f64_e32 v[104:105], v[112:113], v[108:109]
	buffer_load_dword v109, off, s[0:3], 0 offset:380
	buffer_load_dword v108, off, s[0:3], 0 offset:376
	s_waitcnt vmcnt(0)
	v_fmac_f64_e32 v[104:105], v[108:109], v[110:111]
	buffer_load_dword v111, off, s[0:3], 0 offset:388
	buffer_load_dword v110, off, s[0:3], 0 offset:384
	ds_read_b128 v[106:109], v106 offset:784
	s_waitcnt vmcnt(0) lgkmcnt(0)
	v_fmac_f64_e32 v[104:105], v[110:111], v[106:107]
	buffer_load_dword v107, off, s[0:3], 0 offset:396
	buffer_load_dword v106, off, s[0:3], 0 offset:392
	s_waitcnt vmcnt(0)
	v_fmac_f64_e32 v[104:105], v[106:107], v[108:109]
	v_add_f64 v[102:103], v[102:103], -v[104:105]
	buffer_store_dword v103, off, s[0:3], 0 offset:156
	buffer_store_dword v102, off, s[0:3], 0 offset:152
	s_and_saveexec_b64 s[4:5], vcc
	s_cbranch_execz .LBB49_271
; %bb.270:
	buffer_load_dword v102, off, s[0:3], 0 offset:144
	buffer_load_dword v103, off, s[0:3], 0 offset:148
	v_mov_b32_e32 v104, 0
	buffer_store_dword v104, off, s[0:3], 0 offset:144
	buffer_store_dword v104, off, s[0:3], 0 offset:148
	s_waitcnt vmcnt(2)
	ds_write_b64 v1, v[102:103]
.LBB49_271:
	s_or_b64 exec, exec, s[4:5]
	s_waitcnt lgkmcnt(0)
	; wave barrier
	s_waitcnt lgkmcnt(0)
	buffer_load_dword v102, off, s[0:3], 0 offset:144
	buffer_load_dword v103, off, s[0:3], 0 offset:148
	;; [unrolled: 1-line block ×16, first 2 shown]
	v_mov_b32_e32 v106, 0
	ds_read2_b64 v[108:111], v106 offset0:69 offset1:70
	v_cmp_lt_u32_e32 vcc, 17, v0
	s_waitcnt vmcnt(12) lgkmcnt(0)
	v_fma_f64 v[104:105], v[104:105], v[108:109], 0
	s_waitcnt vmcnt(10)
	v_fmac_f64_e32 v[104:105], v[112:113], v[110:111]
	ds_read2_b64 v[108:111], v106 offset0:71 offset1:72
	s_waitcnt vmcnt(8) lgkmcnt(0)
	v_fmac_f64_e32 v[104:105], v[114:115], v[108:109]
	s_waitcnt vmcnt(6)
	v_fmac_f64_e32 v[104:105], v[116:117], v[110:111]
	ds_read2_b64 v[108:111], v106 offset0:73 offset1:74
	s_waitcnt vmcnt(4) lgkmcnt(0)
	v_fmac_f64_e32 v[104:105], v[118:119], v[108:109]
	;; [unrolled: 5-line block ×3, first 2 shown]
	buffer_load_dword v109, off, s[0:3], 0 offset:212
	buffer_load_dword v108, off, s[0:3], 0 offset:208
	buffer_load_dword v113, off, s[0:3], 0 offset:220
	buffer_load_dword v112, off, s[0:3], 0 offset:216
	s_waitcnt vmcnt(2)
	v_fmac_f64_e32 v[104:105], v[108:109], v[110:111]
	ds_read2_b64 v[108:111], v106 offset0:77 offset1:78
	s_waitcnt vmcnt(0) lgkmcnt(0)
	v_fmac_f64_e32 v[104:105], v[112:113], v[108:109]
	buffer_load_dword v109, off, s[0:3], 0 offset:228
	buffer_load_dword v108, off, s[0:3], 0 offset:224
	buffer_load_dword v113, off, s[0:3], 0 offset:236
	buffer_load_dword v112, off, s[0:3], 0 offset:232
	s_waitcnt vmcnt(2)
	v_fmac_f64_e32 v[104:105], v[108:109], v[110:111]
	ds_read2_b64 v[108:111], v106 offset0:79 offset1:80
	s_waitcnt vmcnt(0) lgkmcnt(0)
	v_fmac_f64_e32 v[104:105], v[112:113], v[108:109]
	;; [unrolled: 9-line block ×11, first 2 shown]
	buffer_load_dword v109, off, s[0:3], 0 offset:388
	buffer_load_dword v108, off, s[0:3], 0 offset:384
	s_waitcnt vmcnt(0)
	v_fmac_f64_e32 v[104:105], v[108:109], v[110:111]
	buffer_load_dword v109, off, s[0:3], 0 offset:396
	buffer_load_dword v108, off, s[0:3], 0 offset:392
	ds_read_b64 v[110:111], v106 offset:792
	s_waitcnt vmcnt(0) lgkmcnt(0)
	v_fmac_f64_e32 v[104:105], v[108:109], v[110:111]
	v_add_f64 v[102:103], v[102:103], -v[104:105]
	buffer_store_dword v103, off, s[0:3], 0 offset:148
	buffer_store_dword v102, off, s[0:3], 0 offset:144
	s_and_saveexec_b64 s[4:5], vcc
	s_cbranch_execz .LBB49_273
; %bb.272:
	buffer_load_dword v102, off, s[0:3], 0 offset:136
	buffer_load_dword v103, off, s[0:3], 0 offset:140
	s_waitcnt vmcnt(0)
	ds_write_b64 v1, v[102:103]
	buffer_store_dword v106, off, s[0:3], 0 offset:136
	buffer_store_dword v106, off, s[0:3], 0 offset:140
.LBB49_273:
	s_or_b64 exec, exec, s[4:5]
	s_waitcnt lgkmcnt(0)
	; wave barrier
	s_waitcnt lgkmcnt(0)
	buffer_load_dword v102, off, s[0:3], 0 offset:136
	buffer_load_dword v103, off, s[0:3], 0 offset:140
	;; [unrolled: 1-line block ×16, first 2 shown]
	ds_read_b128 v[108:111], v106 offset:544
	ds_read_b128 v[112:115], v106 offset:560
	;; [unrolled: 1-line block ×4, first 2 shown]
	v_cmp_lt_u32_e32 vcc, 16, v0
	s_waitcnt vmcnt(12) lgkmcnt(3)
	v_fma_f64 v[104:105], v[104:105], v[108:109], 0
	buffer_load_dword v109, off, s[0:3], 0 offset:204
	buffer_load_dword v108, off, s[0:3], 0 offset:200
	s_waitcnt vmcnt(12)
	v_fmac_f64_e32 v[104:105], v[124:125], v[110:111]
	s_waitcnt vmcnt(10) lgkmcnt(2)
	v_fmac_f64_e32 v[104:105], v[126:127], v[112:113]
	buffer_load_dword v113, off, s[0:3], 0 offset:212
	buffer_load_dword v112, off, s[0:3], 0 offset:208
	s_waitcnt vmcnt(10)
	v_fmac_f64_e32 v[104:105], v[128:129], v[114:115]
	s_waitcnt vmcnt(8) lgkmcnt(1)
	v_fmac_f64_e32 v[104:105], v[130:131], v[116:117]
	s_waitcnt vmcnt(6)
	v_fmac_f64_e32 v[104:105], v[132:133], v[118:119]
	s_waitcnt vmcnt(4) lgkmcnt(0)
	v_fmac_f64_e32 v[104:105], v[134:135], v[120:121]
	s_waitcnt vmcnt(2)
	v_fmac_f64_e32 v[104:105], v[108:109], v[122:123]
	ds_read_b128 v[108:111], v106 offset:608
	s_waitcnt vmcnt(0) lgkmcnt(0)
	v_fmac_f64_e32 v[104:105], v[112:113], v[108:109]
	buffer_load_dword v109, off, s[0:3], 0 offset:220
	buffer_load_dword v108, off, s[0:3], 0 offset:216
	buffer_load_dword v113, off, s[0:3], 0 offset:228
	buffer_load_dword v112, off, s[0:3], 0 offset:224
	s_waitcnt vmcnt(2)
	v_fmac_f64_e32 v[104:105], v[108:109], v[110:111]
	ds_read_b128 v[108:111], v106 offset:624
	s_waitcnt vmcnt(0) lgkmcnt(0)
	v_fmac_f64_e32 v[104:105], v[112:113], v[108:109]
	buffer_load_dword v109, off, s[0:3], 0 offset:236
	buffer_load_dword v108, off, s[0:3], 0 offset:232
	buffer_load_dword v113, off, s[0:3], 0 offset:244
	buffer_load_dword v112, off, s[0:3], 0 offset:240
	;; [unrolled: 9-line block ×10, first 2 shown]
	s_waitcnt vmcnt(2)
	v_fmac_f64_e32 v[104:105], v[108:109], v[110:111]
	ds_read_b128 v[108:111], v106 offset:768
	s_waitcnt vmcnt(0) lgkmcnt(0)
	v_fmac_f64_e32 v[104:105], v[112:113], v[108:109]
	buffer_load_dword v109, off, s[0:3], 0 offset:380
	buffer_load_dword v108, off, s[0:3], 0 offset:376
	s_waitcnt vmcnt(0)
	v_fmac_f64_e32 v[104:105], v[108:109], v[110:111]
	buffer_load_dword v111, off, s[0:3], 0 offset:388
	buffer_load_dword v110, off, s[0:3], 0 offset:384
	ds_read_b128 v[106:109], v106 offset:784
	s_waitcnt vmcnt(0) lgkmcnt(0)
	v_fmac_f64_e32 v[104:105], v[110:111], v[106:107]
	buffer_load_dword v107, off, s[0:3], 0 offset:396
	buffer_load_dword v106, off, s[0:3], 0 offset:392
	s_waitcnt vmcnt(0)
	v_fmac_f64_e32 v[104:105], v[106:107], v[108:109]
	v_add_f64 v[102:103], v[102:103], -v[104:105]
	buffer_store_dword v103, off, s[0:3], 0 offset:140
	buffer_store_dword v102, off, s[0:3], 0 offset:136
	s_and_saveexec_b64 s[4:5], vcc
	s_cbranch_execz .LBB49_275
; %bb.274:
	buffer_load_dword v102, off, s[0:3], 0 offset:128
	buffer_load_dword v103, off, s[0:3], 0 offset:132
	v_mov_b32_e32 v104, 0
	buffer_store_dword v104, off, s[0:3], 0 offset:128
	buffer_store_dword v104, off, s[0:3], 0 offset:132
	s_waitcnt vmcnt(2)
	ds_write_b64 v1, v[102:103]
.LBB49_275:
	s_or_b64 exec, exec, s[4:5]
	s_waitcnt lgkmcnt(0)
	; wave barrier
	s_waitcnt lgkmcnt(0)
	buffer_load_dword v102, off, s[0:3], 0 offset:128
	buffer_load_dword v103, off, s[0:3], 0 offset:132
	;; [unrolled: 1-line block ×16, first 2 shown]
	v_mov_b32_e32 v106, 0
	ds_read2_b64 v[108:111], v106 offset0:67 offset1:68
	v_cmp_lt_u32_e32 vcc, 15, v0
	s_waitcnt vmcnt(12) lgkmcnt(0)
	v_fma_f64 v[104:105], v[104:105], v[108:109], 0
	s_waitcnt vmcnt(10)
	v_fmac_f64_e32 v[104:105], v[112:113], v[110:111]
	ds_read2_b64 v[108:111], v106 offset0:69 offset1:70
	s_waitcnt vmcnt(8) lgkmcnt(0)
	v_fmac_f64_e32 v[104:105], v[114:115], v[108:109]
	s_waitcnt vmcnt(6)
	v_fmac_f64_e32 v[104:105], v[116:117], v[110:111]
	ds_read2_b64 v[108:111], v106 offset0:71 offset1:72
	s_waitcnt vmcnt(4) lgkmcnt(0)
	v_fmac_f64_e32 v[104:105], v[118:119], v[108:109]
	;; [unrolled: 5-line block ×3, first 2 shown]
	buffer_load_dword v109, off, s[0:3], 0 offset:196
	buffer_load_dword v108, off, s[0:3], 0 offset:192
	buffer_load_dword v113, off, s[0:3], 0 offset:204
	buffer_load_dword v112, off, s[0:3], 0 offset:200
	s_waitcnt vmcnt(2)
	v_fmac_f64_e32 v[104:105], v[108:109], v[110:111]
	ds_read2_b64 v[108:111], v106 offset0:75 offset1:76
	s_waitcnt vmcnt(0) lgkmcnt(0)
	v_fmac_f64_e32 v[104:105], v[112:113], v[108:109]
	buffer_load_dword v109, off, s[0:3], 0 offset:212
	buffer_load_dword v108, off, s[0:3], 0 offset:208
	buffer_load_dword v113, off, s[0:3], 0 offset:220
	buffer_load_dword v112, off, s[0:3], 0 offset:216
	s_waitcnt vmcnt(2)
	v_fmac_f64_e32 v[104:105], v[108:109], v[110:111]
	ds_read2_b64 v[108:111], v106 offset0:77 offset1:78
	s_waitcnt vmcnt(0) lgkmcnt(0)
	v_fmac_f64_e32 v[104:105], v[112:113], v[108:109]
	;; [unrolled: 9-line block ×12, first 2 shown]
	buffer_load_dword v109, off, s[0:3], 0 offset:388
	buffer_load_dword v108, off, s[0:3], 0 offset:384
	s_waitcnt vmcnt(0)
	v_fmac_f64_e32 v[104:105], v[108:109], v[110:111]
	buffer_load_dword v109, off, s[0:3], 0 offset:396
	buffer_load_dword v108, off, s[0:3], 0 offset:392
	ds_read_b64 v[110:111], v106 offset:792
	s_waitcnt vmcnt(0) lgkmcnt(0)
	v_fmac_f64_e32 v[104:105], v[108:109], v[110:111]
	v_add_f64 v[102:103], v[102:103], -v[104:105]
	buffer_store_dword v103, off, s[0:3], 0 offset:132
	buffer_store_dword v102, off, s[0:3], 0 offset:128
	s_and_saveexec_b64 s[4:5], vcc
	s_cbranch_execz .LBB49_277
; %bb.276:
	buffer_load_dword v102, off, s[0:3], 0 offset:120
	buffer_load_dword v103, off, s[0:3], 0 offset:124
	s_waitcnt vmcnt(0)
	ds_write_b64 v1, v[102:103]
	buffer_store_dword v106, off, s[0:3], 0 offset:120
	buffer_store_dword v106, off, s[0:3], 0 offset:124
.LBB49_277:
	s_or_b64 exec, exec, s[4:5]
	s_waitcnt lgkmcnt(0)
	; wave barrier
	s_waitcnt lgkmcnt(0)
	buffer_load_dword v102, off, s[0:3], 0 offset:120
	buffer_load_dword v103, off, s[0:3], 0 offset:124
	;; [unrolled: 1-line block ×16, first 2 shown]
	ds_read_b128 v[108:111], v106 offset:528
	ds_read_b128 v[112:115], v106 offset:544
	;; [unrolled: 1-line block ×4, first 2 shown]
	v_cmp_lt_u32_e32 vcc, 14, v0
	s_waitcnt vmcnt(12) lgkmcnt(3)
	v_fma_f64 v[104:105], v[104:105], v[108:109], 0
	buffer_load_dword v109, off, s[0:3], 0 offset:188
	buffer_load_dword v108, off, s[0:3], 0 offset:184
	s_waitcnt vmcnt(12)
	v_fmac_f64_e32 v[104:105], v[124:125], v[110:111]
	s_waitcnt vmcnt(10) lgkmcnt(2)
	v_fmac_f64_e32 v[104:105], v[126:127], v[112:113]
	buffer_load_dword v113, off, s[0:3], 0 offset:196
	buffer_load_dword v112, off, s[0:3], 0 offset:192
	s_waitcnt vmcnt(10)
	v_fmac_f64_e32 v[104:105], v[128:129], v[114:115]
	s_waitcnt vmcnt(8) lgkmcnt(1)
	v_fmac_f64_e32 v[104:105], v[130:131], v[116:117]
	s_waitcnt vmcnt(6)
	v_fmac_f64_e32 v[104:105], v[132:133], v[118:119]
	s_waitcnt vmcnt(4) lgkmcnt(0)
	v_fmac_f64_e32 v[104:105], v[134:135], v[120:121]
	s_waitcnt vmcnt(2)
	v_fmac_f64_e32 v[104:105], v[108:109], v[122:123]
	ds_read_b128 v[108:111], v106 offset:592
	s_waitcnt vmcnt(0) lgkmcnt(0)
	v_fmac_f64_e32 v[104:105], v[112:113], v[108:109]
	buffer_load_dword v109, off, s[0:3], 0 offset:204
	buffer_load_dword v108, off, s[0:3], 0 offset:200
	buffer_load_dword v113, off, s[0:3], 0 offset:212
	buffer_load_dword v112, off, s[0:3], 0 offset:208
	s_waitcnt vmcnt(2)
	v_fmac_f64_e32 v[104:105], v[108:109], v[110:111]
	ds_read_b128 v[108:111], v106 offset:608
	s_waitcnt vmcnt(0) lgkmcnt(0)
	v_fmac_f64_e32 v[104:105], v[112:113], v[108:109]
	buffer_load_dword v109, off, s[0:3], 0 offset:220
	buffer_load_dword v108, off, s[0:3], 0 offset:216
	buffer_load_dword v113, off, s[0:3], 0 offset:228
	buffer_load_dword v112, off, s[0:3], 0 offset:224
	;; [unrolled: 9-line block ×11, first 2 shown]
	s_waitcnt vmcnt(2)
	v_fmac_f64_e32 v[104:105], v[108:109], v[110:111]
	ds_read_b128 v[108:111], v106 offset:768
	s_waitcnt vmcnt(0) lgkmcnt(0)
	v_fmac_f64_e32 v[104:105], v[112:113], v[108:109]
	buffer_load_dword v109, off, s[0:3], 0 offset:380
	buffer_load_dword v108, off, s[0:3], 0 offset:376
	s_waitcnt vmcnt(0)
	v_fmac_f64_e32 v[104:105], v[108:109], v[110:111]
	buffer_load_dword v111, off, s[0:3], 0 offset:388
	buffer_load_dword v110, off, s[0:3], 0 offset:384
	ds_read_b128 v[106:109], v106 offset:784
	s_waitcnt vmcnt(0) lgkmcnt(0)
	v_fmac_f64_e32 v[104:105], v[110:111], v[106:107]
	buffer_load_dword v107, off, s[0:3], 0 offset:396
	buffer_load_dword v106, off, s[0:3], 0 offset:392
	s_waitcnt vmcnt(0)
	v_fmac_f64_e32 v[104:105], v[106:107], v[108:109]
	v_add_f64 v[102:103], v[102:103], -v[104:105]
	buffer_store_dword v103, off, s[0:3], 0 offset:124
	buffer_store_dword v102, off, s[0:3], 0 offset:120
	s_and_saveexec_b64 s[4:5], vcc
	s_cbranch_execz .LBB49_279
; %bb.278:
	buffer_load_dword v102, off, s[0:3], 0 offset:112
	buffer_load_dword v103, off, s[0:3], 0 offset:116
	v_mov_b32_e32 v104, 0
	buffer_store_dword v104, off, s[0:3], 0 offset:112
	buffer_store_dword v104, off, s[0:3], 0 offset:116
	s_waitcnt vmcnt(2)
	ds_write_b64 v1, v[102:103]
.LBB49_279:
	s_or_b64 exec, exec, s[4:5]
	s_waitcnt lgkmcnt(0)
	; wave barrier
	s_waitcnt lgkmcnt(0)
	buffer_load_dword v102, off, s[0:3], 0 offset:112
	buffer_load_dword v103, off, s[0:3], 0 offset:116
	;; [unrolled: 1-line block ×16, first 2 shown]
	v_mov_b32_e32 v106, 0
	ds_read2_b64 v[108:111], v106 offset0:65 offset1:66
	v_cmp_lt_u32_e32 vcc, 13, v0
	s_waitcnt vmcnt(12) lgkmcnt(0)
	v_fma_f64 v[104:105], v[104:105], v[108:109], 0
	s_waitcnt vmcnt(10)
	v_fmac_f64_e32 v[104:105], v[112:113], v[110:111]
	ds_read2_b64 v[108:111], v106 offset0:67 offset1:68
	s_waitcnt vmcnt(8) lgkmcnt(0)
	v_fmac_f64_e32 v[104:105], v[114:115], v[108:109]
	s_waitcnt vmcnt(6)
	v_fmac_f64_e32 v[104:105], v[116:117], v[110:111]
	ds_read2_b64 v[108:111], v106 offset0:69 offset1:70
	s_waitcnt vmcnt(4) lgkmcnt(0)
	v_fmac_f64_e32 v[104:105], v[118:119], v[108:109]
	s_waitcnt vmcnt(2)
	v_fmac_f64_e32 v[104:105], v[120:121], v[110:111]
	ds_read2_b64 v[108:111], v106 offset0:71 offset1:72
	s_waitcnt vmcnt(0) lgkmcnt(0)
	v_fmac_f64_e32 v[104:105], v[122:123], v[108:109]
	buffer_load_dword v109, off, s[0:3], 0 offset:180
	buffer_load_dword v108, off, s[0:3], 0 offset:176
	buffer_load_dword v113, off, s[0:3], 0 offset:188
	buffer_load_dword v112, off, s[0:3], 0 offset:184
	s_waitcnt vmcnt(2)
	v_fmac_f64_e32 v[104:105], v[108:109], v[110:111]
	ds_read2_b64 v[108:111], v106 offset0:73 offset1:74
	s_waitcnt vmcnt(0) lgkmcnt(0)
	v_fmac_f64_e32 v[104:105], v[112:113], v[108:109]
	buffer_load_dword v109, off, s[0:3], 0 offset:196
	buffer_load_dword v108, off, s[0:3], 0 offset:192
	buffer_load_dword v113, off, s[0:3], 0 offset:204
	buffer_load_dword v112, off, s[0:3], 0 offset:200
	s_waitcnt vmcnt(2)
	v_fmac_f64_e32 v[104:105], v[108:109], v[110:111]
	ds_read2_b64 v[108:111], v106 offset0:75 offset1:76
	s_waitcnt vmcnt(0) lgkmcnt(0)
	v_fmac_f64_e32 v[104:105], v[112:113], v[108:109]
	;; [unrolled: 9-line block ×13, first 2 shown]
	buffer_load_dword v109, off, s[0:3], 0 offset:388
	buffer_load_dword v108, off, s[0:3], 0 offset:384
	s_waitcnt vmcnt(0)
	v_fmac_f64_e32 v[104:105], v[108:109], v[110:111]
	buffer_load_dword v109, off, s[0:3], 0 offset:396
	buffer_load_dword v108, off, s[0:3], 0 offset:392
	ds_read_b64 v[110:111], v106 offset:792
	s_waitcnt vmcnt(0) lgkmcnt(0)
	v_fmac_f64_e32 v[104:105], v[108:109], v[110:111]
	v_add_f64 v[102:103], v[102:103], -v[104:105]
	buffer_store_dword v103, off, s[0:3], 0 offset:116
	buffer_store_dword v102, off, s[0:3], 0 offset:112
	s_and_saveexec_b64 s[4:5], vcc
	s_cbranch_execz .LBB49_281
; %bb.280:
	buffer_load_dword v102, off, s[0:3], 0 offset:104
	buffer_load_dword v103, off, s[0:3], 0 offset:108
	s_waitcnt vmcnt(0)
	ds_write_b64 v1, v[102:103]
	buffer_store_dword v106, off, s[0:3], 0 offset:104
	buffer_store_dword v106, off, s[0:3], 0 offset:108
.LBB49_281:
	s_or_b64 exec, exec, s[4:5]
	s_waitcnt lgkmcnt(0)
	; wave barrier
	s_waitcnt lgkmcnt(0)
	buffer_load_dword v102, off, s[0:3], 0 offset:104
	buffer_load_dword v103, off, s[0:3], 0 offset:108
	buffer_load_dword v104, off, s[0:3], 0 offset:112
	buffer_load_dword v105, off, s[0:3], 0 offset:116
	buffer_load_dword v124, off, s[0:3], 0 offset:120
	buffer_load_dword v125, off, s[0:3], 0 offset:124
	buffer_load_dword v126, off, s[0:3], 0 offset:128
	buffer_load_dword v127, off, s[0:3], 0 offset:132
	buffer_load_dword v128, off, s[0:3], 0 offset:136
	buffer_load_dword v129, off, s[0:3], 0 offset:140
	buffer_load_dword v130, off, s[0:3], 0 offset:144
	buffer_load_dword v131, off, s[0:3], 0 offset:148
	buffer_load_dword v132, off, s[0:3], 0 offset:152
	buffer_load_dword v133, off, s[0:3], 0 offset:156
	buffer_load_dword v134, off, s[0:3], 0 offset:160
	buffer_load_dword v135, off, s[0:3], 0 offset:164
	ds_read_b128 v[108:111], v106 offset:512
	ds_read_b128 v[112:115], v106 offset:528
	;; [unrolled: 1-line block ×4, first 2 shown]
	v_cmp_lt_u32_e32 vcc, 12, v0
	s_waitcnt vmcnt(12) lgkmcnt(3)
	v_fma_f64 v[104:105], v[104:105], v[108:109], 0
	buffer_load_dword v109, off, s[0:3], 0 offset:172
	buffer_load_dword v108, off, s[0:3], 0 offset:168
	s_waitcnt vmcnt(12)
	v_fmac_f64_e32 v[104:105], v[124:125], v[110:111]
	s_waitcnt vmcnt(10) lgkmcnt(2)
	v_fmac_f64_e32 v[104:105], v[126:127], v[112:113]
	buffer_load_dword v113, off, s[0:3], 0 offset:180
	buffer_load_dword v112, off, s[0:3], 0 offset:176
	s_waitcnt vmcnt(10)
	v_fmac_f64_e32 v[104:105], v[128:129], v[114:115]
	s_waitcnt vmcnt(8) lgkmcnt(1)
	v_fmac_f64_e32 v[104:105], v[130:131], v[116:117]
	s_waitcnt vmcnt(6)
	v_fmac_f64_e32 v[104:105], v[132:133], v[118:119]
	s_waitcnt vmcnt(4) lgkmcnt(0)
	v_fmac_f64_e32 v[104:105], v[134:135], v[120:121]
	s_waitcnt vmcnt(2)
	v_fmac_f64_e32 v[104:105], v[108:109], v[122:123]
	ds_read_b128 v[108:111], v106 offset:576
	s_waitcnt vmcnt(0) lgkmcnt(0)
	v_fmac_f64_e32 v[104:105], v[112:113], v[108:109]
	buffer_load_dword v109, off, s[0:3], 0 offset:188
	buffer_load_dword v108, off, s[0:3], 0 offset:184
	buffer_load_dword v113, off, s[0:3], 0 offset:196
	buffer_load_dword v112, off, s[0:3], 0 offset:192
	s_waitcnt vmcnt(2)
	v_fmac_f64_e32 v[104:105], v[108:109], v[110:111]
	ds_read_b128 v[108:111], v106 offset:592
	s_waitcnt vmcnt(0) lgkmcnt(0)
	v_fmac_f64_e32 v[104:105], v[112:113], v[108:109]
	buffer_load_dword v109, off, s[0:3], 0 offset:204
	buffer_load_dword v108, off, s[0:3], 0 offset:200
	buffer_load_dword v113, off, s[0:3], 0 offset:212
	buffer_load_dword v112, off, s[0:3], 0 offset:208
	;; [unrolled: 9-line block ×12, first 2 shown]
	s_waitcnt vmcnt(2)
	v_fmac_f64_e32 v[104:105], v[108:109], v[110:111]
	ds_read_b128 v[108:111], v106 offset:768
	s_waitcnt vmcnt(0) lgkmcnt(0)
	v_fmac_f64_e32 v[104:105], v[112:113], v[108:109]
	buffer_load_dword v109, off, s[0:3], 0 offset:380
	buffer_load_dword v108, off, s[0:3], 0 offset:376
	s_waitcnt vmcnt(0)
	v_fmac_f64_e32 v[104:105], v[108:109], v[110:111]
	buffer_load_dword v111, off, s[0:3], 0 offset:388
	buffer_load_dword v110, off, s[0:3], 0 offset:384
	ds_read_b128 v[106:109], v106 offset:784
	s_waitcnt vmcnt(0) lgkmcnt(0)
	v_fmac_f64_e32 v[104:105], v[110:111], v[106:107]
	buffer_load_dword v107, off, s[0:3], 0 offset:396
	buffer_load_dword v106, off, s[0:3], 0 offset:392
	s_waitcnt vmcnt(0)
	v_fmac_f64_e32 v[104:105], v[106:107], v[108:109]
	v_add_f64 v[102:103], v[102:103], -v[104:105]
	buffer_store_dword v103, off, s[0:3], 0 offset:108
	buffer_store_dword v102, off, s[0:3], 0 offset:104
	s_and_saveexec_b64 s[4:5], vcc
	s_cbranch_execz .LBB49_283
; %bb.282:
	buffer_load_dword v102, off, s[0:3], 0 offset:96
	buffer_load_dword v103, off, s[0:3], 0 offset:100
	v_mov_b32_e32 v104, 0
	buffer_store_dword v104, off, s[0:3], 0 offset:96
	buffer_store_dword v104, off, s[0:3], 0 offset:100
	s_waitcnt vmcnt(2)
	ds_write_b64 v1, v[102:103]
.LBB49_283:
	s_or_b64 exec, exec, s[4:5]
	s_waitcnt lgkmcnt(0)
	; wave barrier
	s_waitcnt lgkmcnt(0)
	buffer_load_dword v102, off, s[0:3], 0 offset:96
	buffer_load_dword v103, off, s[0:3], 0 offset:100
	buffer_load_dword v104, off, s[0:3], 0 offset:104
	buffer_load_dword v105, off, s[0:3], 0 offset:108
	buffer_load_dword v112, off, s[0:3], 0 offset:112
	buffer_load_dword v113, off, s[0:3], 0 offset:116
	buffer_load_dword v114, off, s[0:3], 0 offset:120
	buffer_load_dword v115, off, s[0:3], 0 offset:124
	buffer_load_dword v116, off, s[0:3], 0 offset:128
	buffer_load_dword v117, off, s[0:3], 0 offset:132
	buffer_load_dword v118, off, s[0:3], 0 offset:136
	buffer_load_dword v119, off, s[0:3], 0 offset:140
	buffer_load_dword v120, off, s[0:3], 0 offset:144
	buffer_load_dword v121, off, s[0:3], 0 offset:148
	buffer_load_dword v122, off, s[0:3], 0 offset:152
	buffer_load_dword v123, off, s[0:3], 0 offset:156
	v_mov_b32_e32 v106, 0
	ds_read2_b64 v[108:111], v106 offset0:63 offset1:64
	v_cmp_lt_u32_e32 vcc, 11, v0
	s_waitcnt vmcnt(12) lgkmcnt(0)
	v_fma_f64 v[104:105], v[104:105], v[108:109], 0
	s_waitcnt vmcnt(10)
	v_fmac_f64_e32 v[104:105], v[112:113], v[110:111]
	ds_read2_b64 v[108:111], v106 offset0:65 offset1:66
	s_waitcnt vmcnt(8) lgkmcnt(0)
	v_fmac_f64_e32 v[104:105], v[114:115], v[108:109]
	s_waitcnt vmcnt(6)
	v_fmac_f64_e32 v[104:105], v[116:117], v[110:111]
	ds_read2_b64 v[108:111], v106 offset0:67 offset1:68
	s_waitcnt vmcnt(4) lgkmcnt(0)
	v_fmac_f64_e32 v[104:105], v[118:119], v[108:109]
	;; [unrolled: 5-line block ×3, first 2 shown]
	buffer_load_dword v109, off, s[0:3], 0 offset:164
	buffer_load_dword v108, off, s[0:3], 0 offset:160
	buffer_load_dword v113, off, s[0:3], 0 offset:172
	buffer_load_dword v112, off, s[0:3], 0 offset:168
	s_waitcnt vmcnt(2)
	v_fmac_f64_e32 v[104:105], v[108:109], v[110:111]
	ds_read2_b64 v[108:111], v106 offset0:71 offset1:72
	s_waitcnt vmcnt(0) lgkmcnt(0)
	v_fmac_f64_e32 v[104:105], v[112:113], v[108:109]
	buffer_load_dword v109, off, s[0:3], 0 offset:180
	buffer_load_dword v108, off, s[0:3], 0 offset:176
	buffer_load_dword v113, off, s[0:3], 0 offset:188
	buffer_load_dword v112, off, s[0:3], 0 offset:184
	s_waitcnt vmcnt(2)
	v_fmac_f64_e32 v[104:105], v[108:109], v[110:111]
	ds_read2_b64 v[108:111], v106 offset0:73 offset1:74
	s_waitcnt vmcnt(0) lgkmcnt(0)
	v_fmac_f64_e32 v[104:105], v[112:113], v[108:109]
	;; [unrolled: 9-line block ×14, first 2 shown]
	buffer_load_dword v109, off, s[0:3], 0 offset:388
	buffer_load_dword v108, off, s[0:3], 0 offset:384
	s_waitcnt vmcnt(0)
	v_fmac_f64_e32 v[104:105], v[108:109], v[110:111]
	buffer_load_dword v109, off, s[0:3], 0 offset:396
	buffer_load_dword v108, off, s[0:3], 0 offset:392
	ds_read_b64 v[110:111], v106 offset:792
	s_waitcnt vmcnt(0) lgkmcnt(0)
	v_fmac_f64_e32 v[104:105], v[108:109], v[110:111]
	v_add_f64 v[102:103], v[102:103], -v[104:105]
	buffer_store_dword v103, off, s[0:3], 0 offset:100
	buffer_store_dword v102, off, s[0:3], 0 offset:96
	s_and_saveexec_b64 s[4:5], vcc
	s_cbranch_execz .LBB49_285
; %bb.284:
	buffer_load_dword v102, off, s[0:3], 0 offset:88
	buffer_load_dword v103, off, s[0:3], 0 offset:92
	s_waitcnt vmcnt(0)
	ds_write_b64 v1, v[102:103]
	buffer_store_dword v106, off, s[0:3], 0 offset:88
	buffer_store_dword v106, off, s[0:3], 0 offset:92
.LBB49_285:
	s_or_b64 exec, exec, s[4:5]
	s_waitcnt lgkmcnt(0)
	; wave barrier
	s_waitcnt lgkmcnt(0)
	buffer_load_dword v102, off, s[0:3], 0 offset:88
	buffer_load_dword v103, off, s[0:3], 0 offset:92
	;; [unrolled: 1-line block ×16, first 2 shown]
	ds_read_b128 v[108:111], v106 offset:496
	ds_read_b128 v[112:115], v106 offset:512
	;; [unrolled: 1-line block ×4, first 2 shown]
	v_cmp_lt_u32_e32 vcc, 10, v0
	s_waitcnt vmcnt(12) lgkmcnt(3)
	v_fma_f64 v[104:105], v[104:105], v[108:109], 0
	buffer_load_dword v109, off, s[0:3], 0 offset:156
	buffer_load_dword v108, off, s[0:3], 0 offset:152
	s_waitcnt vmcnt(12)
	v_fmac_f64_e32 v[104:105], v[124:125], v[110:111]
	s_waitcnt vmcnt(10) lgkmcnt(2)
	v_fmac_f64_e32 v[104:105], v[126:127], v[112:113]
	buffer_load_dword v113, off, s[0:3], 0 offset:164
	buffer_load_dword v112, off, s[0:3], 0 offset:160
	s_waitcnt vmcnt(10)
	v_fmac_f64_e32 v[104:105], v[128:129], v[114:115]
	s_waitcnt vmcnt(8) lgkmcnt(1)
	v_fmac_f64_e32 v[104:105], v[130:131], v[116:117]
	s_waitcnt vmcnt(6)
	v_fmac_f64_e32 v[104:105], v[132:133], v[118:119]
	s_waitcnt vmcnt(4) lgkmcnt(0)
	v_fmac_f64_e32 v[104:105], v[134:135], v[120:121]
	s_waitcnt vmcnt(2)
	v_fmac_f64_e32 v[104:105], v[108:109], v[122:123]
	ds_read_b128 v[108:111], v106 offset:560
	s_waitcnt vmcnt(0) lgkmcnt(0)
	v_fmac_f64_e32 v[104:105], v[112:113], v[108:109]
	buffer_load_dword v109, off, s[0:3], 0 offset:172
	buffer_load_dword v108, off, s[0:3], 0 offset:168
	buffer_load_dword v113, off, s[0:3], 0 offset:180
	buffer_load_dword v112, off, s[0:3], 0 offset:176
	s_waitcnt vmcnt(2)
	v_fmac_f64_e32 v[104:105], v[108:109], v[110:111]
	ds_read_b128 v[108:111], v106 offset:576
	s_waitcnt vmcnt(0) lgkmcnt(0)
	v_fmac_f64_e32 v[104:105], v[112:113], v[108:109]
	buffer_load_dword v109, off, s[0:3], 0 offset:188
	buffer_load_dword v108, off, s[0:3], 0 offset:184
	buffer_load_dword v113, off, s[0:3], 0 offset:196
	buffer_load_dword v112, off, s[0:3], 0 offset:192
	s_waitcnt vmcnt(2)
	v_fmac_f64_e32 v[104:105], v[108:109], v[110:111]
	ds_read_b128 v[108:111], v106 offset:592
	s_waitcnt vmcnt(0) lgkmcnt(0)
	v_fmac_f64_e32 v[104:105], v[112:113], v[108:109]
	buffer_load_dword v109, off, s[0:3], 0 offset:204
	buffer_load_dword v108, off, s[0:3], 0 offset:200
	buffer_load_dword v113, off, s[0:3], 0 offset:212
	buffer_load_dword v112, off, s[0:3], 0 offset:208
	s_waitcnt vmcnt(2)
	v_fmac_f64_e32 v[104:105], v[108:109], v[110:111]
	ds_read_b128 v[108:111], v106 offset:608
	s_waitcnt vmcnt(0) lgkmcnt(0)
	v_fmac_f64_e32 v[104:105], v[112:113], v[108:109]
	buffer_load_dword v109, off, s[0:3], 0 offset:220
	buffer_load_dword v108, off, s[0:3], 0 offset:216
	buffer_load_dword v113, off, s[0:3], 0 offset:228
	buffer_load_dword v112, off, s[0:3], 0 offset:224
	s_waitcnt vmcnt(2)
	v_fmac_f64_e32 v[104:105], v[108:109], v[110:111]
	ds_read_b128 v[108:111], v106 offset:624
	s_waitcnt vmcnt(0) lgkmcnt(0)
	v_fmac_f64_e32 v[104:105], v[112:113], v[108:109]
	buffer_load_dword v109, off, s[0:3], 0 offset:236
	buffer_load_dword v108, off, s[0:3], 0 offset:232
	buffer_load_dword v113, off, s[0:3], 0 offset:244
	buffer_load_dword v112, off, s[0:3], 0 offset:240
	s_waitcnt vmcnt(2)
	v_fmac_f64_e32 v[104:105], v[108:109], v[110:111]
	ds_read_b128 v[108:111], v106 offset:640
	s_waitcnt vmcnt(0) lgkmcnt(0)
	v_fmac_f64_e32 v[104:105], v[112:113], v[108:109]
	buffer_load_dword v109, off, s[0:3], 0 offset:252
	buffer_load_dword v108, off, s[0:3], 0 offset:248
	buffer_load_dword v113, off, s[0:3], 0 offset:260
	buffer_load_dword v112, off, s[0:3], 0 offset:256
	s_waitcnt vmcnt(2)
	v_fmac_f64_e32 v[104:105], v[108:109], v[110:111]
	ds_read_b128 v[108:111], v106 offset:656
	s_waitcnt vmcnt(0) lgkmcnt(0)
	v_fmac_f64_e32 v[104:105], v[112:113], v[108:109]
	buffer_load_dword v109, off, s[0:3], 0 offset:268
	buffer_load_dword v108, off, s[0:3], 0 offset:264
	buffer_load_dword v113, off, s[0:3], 0 offset:276
	buffer_load_dword v112, off, s[0:3], 0 offset:272
	s_waitcnt vmcnt(2)
	v_fmac_f64_e32 v[104:105], v[108:109], v[110:111]
	ds_read_b128 v[108:111], v106 offset:672
	s_waitcnt vmcnt(0) lgkmcnt(0)
	v_fmac_f64_e32 v[104:105], v[112:113], v[108:109]
	buffer_load_dword v109, off, s[0:3], 0 offset:284
	buffer_load_dword v108, off, s[0:3], 0 offset:280
	buffer_load_dword v113, off, s[0:3], 0 offset:292
	buffer_load_dword v112, off, s[0:3], 0 offset:288
	s_waitcnt vmcnt(2)
	v_fmac_f64_e32 v[104:105], v[108:109], v[110:111]
	ds_read_b128 v[108:111], v106 offset:688
	s_waitcnt vmcnt(0) lgkmcnt(0)
	v_fmac_f64_e32 v[104:105], v[112:113], v[108:109]
	buffer_load_dword v109, off, s[0:3], 0 offset:300
	buffer_load_dword v108, off, s[0:3], 0 offset:296
	buffer_load_dword v113, off, s[0:3], 0 offset:308
	buffer_load_dword v112, off, s[0:3], 0 offset:304
	s_waitcnt vmcnt(2)
	v_fmac_f64_e32 v[104:105], v[108:109], v[110:111]
	ds_read_b128 v[108:111], v106 offset:704
	s_waitcnt vmcnt(0) lgkmcnt(0)
	v_fmac_f64_e32 v[104:105], v[112:113], v[108:109]
	buffer_load_dword v109, off, s[0:3], 0 offset:316
	buffer_load_dword v108, off, s[0:3], 0 offset:312
	buffer_load_dword v113, off, s[0:3], 0 offset:324
	buffer_load_dword v112, off, s[0:3], 0 offset:320
	s_waitcnt vmcnt(2)
	v_fmac_f64_e32 v[104:105], v[108:109], v[110:111]
	ds_read_b128 v[108:111], v106 offset:720
	s_waitcnt vmcnt(0) lgkmcnt(0)
	v_fmac_f64_e32 v[104:105], v[112:113], v[108:109]
	buffer_load_dword v109, off, s[0:3], 0 offset:332
	buffer_load_dword v108, off, s[0:3], 0 offset:328
	buffer_load_dword v113, off, s[0:3], 0 offset:340
	buffer_load_dword v112, off, s[0:3], 0 offset:336
	s_waitcnt vmcnt(2)
	v_fmac_f64_e32 v[104:105], v[108:109], v[110:111]
	ds_read_b128 v[108:111], v106 offset:736
	s_waitcnt vmcnt(0) lgkmcnt(0)
	v_fmac_f64_e32 v[104:105], v[112:113], v[108:109]
	buffer_load_dword v109, off, s[0:3], 0 offset:348
	buffer_load_dword v108, off, s[0:3], 0 offset:344
	buffer_load_dword v113, off, s[0:3], 0 offset:356
	buffer_load_dword v112, off, s[0:3], 0 offset:352
	s_waitcnt vmcnt(2)
	v_fmac_f64_e32 v[104:105], v[108:109], v[110:111]
	ds_read_b128 v[108:111], v106 offset:752
	s_waitcnt vmcnt(0) lgkmcnt(0)
	v_fmac_f64_e32 v[104:105], v[112:113], v[108:109]
	buffer_load_dword v109, off, s[0:3], 0 offset:364
	buffer_load_dword v108, off, s[0:3], 0 offset:360
	buffer_load_dword v113, off, s[0:3], 0 offset:372
	buffer_load_dword v112, off, s[0:3], 0 offset:368
	s_waitcnt vmcnt(2)
	v_fmac_f64_e32 v[104:105], v[108:109], v[110:111]
	ds_read_b128 v[108:111], v106 offset:768
	s_waitcnt vmcnt(0) lgkmcnt(0)
	v_fmac_f64_e32 v[104:105], v[112:113], v[108:109]
	buffer_load_dword v109, off, s[0:3], 0 offset:380
	buffer_load_dword v108, off, s[0:3], 0 offset:376
	s_waitcnt vmcnt(0)
	v_fmac_f64_e32 v[104:105], v[108:109], v[110:111]
	buffer_load_dword v111, off, s[0:3], 0 offset:388
	buffer_load_dword v110, off, s[0:3], 0 offset:384
	ds_read_b128 v[106:109], v106 offset:784
	s_waitcnt vmcnt(0) lgkmcnt(0)
	v_fmac_f64_e32 v[104:105], v[110:111], v[106:107]
	buffer_load_dword v107, off, s[0:3], 0 offset:396
	buffer_load_dword v106, off, s[0:3], 0 offset:392
	s_waitcnt vmcnt(0)
	v_fmac_f64_e32 v[104:105], v[106:107], v[108:109]
	v_add_f64 v[102:103], v[102:103], -v[104:105]
	buffer_store_dword v103, off, s[0:3], 0 offset:92
	buffer_store_dword v102, off, s[0:3], 0 offset:88
	s_and_saveexec_b64 s[4:5], vcc
	s_cbranch_execz .LBB49_287
; %bb.286:
	buffer_load_dword v102, off, s[0:3], 0 offset:80
	buffer_load_dword v103, off, s[0:3], 0 offset:84
	v_mov_b32_e32 v104, 0
	buffer_store_dword v104, off, s[0:3], 0 offset:80
	buffer_store_dword v104, off, s[0:3], 0 offset:84
	s_waitcnt vmcnt(2)
	ds_write_b64 v1, v[102:103]
.LBB49_287:
	s_or_b64 exec, exec, s[4:5]
	s_waitcnt lgkmcnt(0)
	; wave barrier
	s_waitcnt lgkmcnt(0)
	buffer_load_dword v102, off, s[0:3], 0 offset:80
	buffer_load_dword v103, off, s[0:3], 0 offset:84
	;; [unrolled: 1-line block ×16, first 2 shown]
	v_mov_b32_e32 v106, 0
	ds_read2_b64 v[108:111], v106 offset0:61 offset1:62
	v_cmp_lt_u32_e32 vcc, 9, v0
	s_waitcnt vmcnt(12) lgkmcnt(0)
	v_fma_f64 v[104:105], v[104:105], v[108:109], 0
	s_waitcnt vmcnt(10)
	v_fmac_f64_e32 v[104:105], v[112:113], v[110:111]
	ds_read2_b64 v[108:111], v106 offset0:63 offset1:64
	s_waitcnt vmcnt(8) lgkmcnt(0)
	v_fmac_f64_e32 v[104:105], v[114:115], v[108:109]
	s_waitcnt vmcnt(6)
	v_fmac_f64_e32 v[104:105], v[116:117], v[110:111]
	ds_read2_b64 v[108:111], v106 offset0:65 offset1:66
	s_waitcnt vmcnt(4) lgkmcnt(0)
	v_fmac_f64_e32 v[104:105], v[118:119], v[108:109]
	;; [unrolled: 5-line block ×3, first 2 shown]
	buffer_load_dword v109, off, s[0:3], 0 offset:148
	buffer_load_dword v108, off, s[0:3], 0 offset:144
	buffer_load_dword v113, off, s[0:3], 0 offset:156
	buffer_load_dword v112, off, s[0:3], 0 offset:152
	s_waitcnt vmcnt(2)
	v_fmac_f64_e32 v[104:105], v[108:109], v[110:111]
	ds_read2_b64 v[108:111], v106 offset0:69 offset1:70
	s_waitcnt vmcnt(0) lgkmcnt(0)
	v_fmac_f64_e32 v[104:105], v[112:113], v[108:109]
	buffer_load_dword v109, off, s[0:3], 0 offset:164
	buffer_load_dword v108, off, s[0:3], 0 offset:160
	buffer_load_dword v113, off, s[0:3], 0 offset:172
	buffer_load_dword v112, off, s[0:3], 0 offset:168
	s_waitcnt vmcnt(2)
	v_fmac_f64_e32 v[104:105], v[108:109], v[110:111]
	ds_read2_b64 v[108:111], v106 offset0:71 offset1:72
	s_waitcnt vmcnt(0) lgkmcnt(0)
	v_fmac_f64_e32 v[104:105], v[112:113], v[108:109]
	;; [unrolled: 9-line block ×15, first 2 shown]
	buffer_load_dword v109, off, s[0:3], 0 offset:388
	buffer_load_dword v108, off, s[0:3], 0 offset:384
	s_waitcnt vmcnt(0)
	v_fmac_f64_e32 v[104:105], v[108:109], v[110:111]
	buffer_load_dword v109, off, s[0:3], 0 offset:396
	buffer_load_dword v108, off, s[0:3], 0 offset:392
	ds_read_b64 v[110:111], v106 offset:792
	s_waitcnt vmcnt(0) lgkmcnt(0)
	v_fmac_f64_e32 v[104:105], v[108:109], v[110:111]
	v_add_f64 v[102:103], v[102:103], -v[104:105]
	buffer_store_dword v103, off, s[0:3], 0 offset:84
	buffer_store_dword v102, off, s[0:3], 0 offset:80
	s_and_saveexec_b64 s[4:5], vcc
	s_cbranch_execz .LBB49_289
; %bb.288:
	buffer_load_dword v102, off, s[0:3], 0 offset:72
	buffer_load_dword v103, off, s[0:3], 0 offset:76
	s_waitcnt vmcnt(0)
	ds_write_b64 v1, v[102:103]
	buffer_store_dword v106, off, s[0:3], 0 offset:72
	buffer_store_dword v106, off, s[0:3], 0 offset:76
.LBB49_289:
	s_or_b64 exec, exec, s[4:5]
	s_waitcnt lgkmcnt(0)
	; wave barrier
	s_waitcnt lgkmcnt(0)
	buffer_load_dword v102, off, s[0:3], 0 offset:72
	buffer_load_dword v103, off, s[0:3], 0 offset:76
	;; [unrolled: 1-line block ×16, first 2 shown]
	ds_read_b128 v[108:111], v106 offset:480
	ds_read_b128 v[112:115], v106 offset:496
	;; [unrolled: 1-line block ×4, first 2 shown]
	v_cmp_lt_u32_e32 vcc, 8, v0
	s_waitcnt vmcnt(12) lgkmcnt(3)
	v_fma_f64 v[104:105], v[104:105], v[108:109], 0
	buffer_load_dword v109, off, s[0:3], 0 offset:140
	buffer_load_dword v108, off, s[0:3], 0 offset:136
	s_waitcnt vmcnt(12)
	v_fmac_f64_e32 v[104:105], v[124:125], v[110:111]
	s_waitcnt vmcnt(10) lgkmcnt(2)
	v_fmac_f64_e32 v[104:105], v[126:127], v[112:113]
	buffer_load_dword v113, off, s[0:3], 0 offset:148
	buffer_load_dword v112, off, s[0:3], 0 offset:144
	s_waitcnt vmcnt(10)
	v_fmac_f64_e32 v[104:105], v[128:129], v[114:115]
	s_waitcnt vmcnt(8) lgkmcnt(1)
	v_fmac_f64_e32 v[104:105], v[130:131], v[116:117]
	s_waitcnt vmcnt(6)
	v_fmac_f64_e32 v[104:105], v[132:133], v[118:119]
	s_waitcnt vmcnt(4) lgkmcnt(0)
	v_fmac_f64_e32 v[104:105], v[134:135], v[120:121]
	s_waitcnt vmcnt(2)
	v_fmac_f64_e32 v[104:105], v[108:109], v[122:123]
	ds_read_b128 v[108:111], v106 offset:544
	s_waitcnt vmcnt(0) lgkmcnt(0)
	v_fmac_f64_e32 v[104:105], v[112:113], v[108:109]
	buffer_load_dword v109, off, s[0:3], 0 offset:156
	buffer_load_dword v108, off, s[0:3], 0 offset:152
	buffer_load_dword v113, off, s[0:3], 0 offset:164
	buffer_load_dword v112, off, s[0:3], 0 offset:160
	s_waitcnt vmcnt(2)
	v_fmac_f64_e32 v[104:105], v[108:109], v[110:111]
	ds_read_b128 v[108:111], v106 offset:560
	s_waitcnt vmcnt(0) lgkmcnt(0)
	v_fmac_f64_e32 v[104:105], v[112:113], v[108:109]
	buffer_load_dword v109, off, s[0:3], 0 offset:172
	buffer_load_dword v108, off, s[0:3], 0 offset:168
	buffer_load_dword v113, off, s[0:3], 0 offset:180
	buffer_load_dword v112, off, s[0:3], 0 offset:176
	;; [unrolled: 9-line block ×14, first 2 shown]
	s_waitcnt vmcnt(2)
	v_fmac_f64_e32 v[104:105], v[108:109], v[110:111]
	ds_read_b128 v[108:111], v106 offset:768
	s_waitcnt vmcnt(0) lgkmcnt(0)
	v_fmac_f64_e32 v[104:105], v[112:113], v[108:109]
	buffer_load_dword v109, off, s[0:3], 0 offset:380
	buffer_load_dword v108, off, s[0:3], 0 offset:376
	s_waitcnt vmcnt(0)
	v_fmac_f64_e32 v[104:105], v[108:109], v[110:111]
	buffer_load_dword v111, off, s[0:3], 0 offset:388
	buffer_load_dword v110, off, s[0:3], 0 offset:384
	ds_read_b128 v[106:109], v106 offset:784
	s_waitcnt vmcnt(0) lgkmcnt(0)
	v_fmac_f64_e32 v[104:105], v[110:111], v[106:107]
	buffer_load_dword v107, off, s[0:3], 0 offset:396
	buffer_load_dword v106, off, s[0:3], 0 offset:392
	s_waitcnt vmcnt(0)
	v_fmac_f64_e32 v[104:105], v[106:107], v[108:109]
	v_add_f64 v[102:103], v[102:103], -v[104:105]
	buffer_store_dword v103, off, s[0:3], 0 offset:76
	buffer_store_dword v102, off, s[0:3], 0 offset:72
	s_and_saveexec_b64 s[4:5], vcc
	s_cbranch_execz .LBB49_291
; %bb.290:
	buffer_load_dword v102, off, s[0:3], 0 offset:64
	buffer_load_dword v103, off, s[0:3], 0 offset:68
	v_mov_b32_e32 v104, 0
	buffer_store_dword v104, off, s[0:3], 0 offset:64
	buffer_store_dword v104, off, s[0:3], 0 offset:68
	s_waitcnt vmcnt(2)
	ds_write_b64 v1, v[102:103]
.LBB49_291:
	s_or_b64 exec, exec, s[4:5]
	s_waitcnt lgkmcnt(0)
	; wave barrier
	s_waitcnt lgkmcnt(0)
	buffer_load_dword v102, off, s[0:3], 0 offset:64
	buffer_load_dword v103, off, s[0:3], 0 offset:68
	;; [unrolled: 1-line block ×16, first 2 shown]
	v_mov_b32_e32 v106, 0
	ds_read2_b64 v[108:111], v106 offset0:59 offset1:60
	v_cmp_lt_u32_e32 vcc, 7, v0
	s_waitcnt vmcnt(12) lgkmcnt(0)
	v_fma_f64 v[104:105], v[104:105], v[108:109], 0
	s_waitcnt vmcnt(10)
	v_fmac_f64_e32 v[104:105], v[112:113], v[110:111]
	ds_read2_b64 v[108:111], v106 offset0:61 offset1:62
	s_waitcnt vmcnt(8) lgkmcnt(0)
	v_fmac_f64_e32 v[104:105], v[114:115], v[108:109]
	s_waitcnt vmcnt(6)
	v_fmac_f64_e32 v[104:105], v[116:117], v[110:111]
	ds_read2_b64 v[108:111], v106 offset0:63 offset1:64
	s_waitcnt vmcnt(4) lgkmcnt(0)
	v_fmac_f64_e32 v[104:105], v[118:119], v[108:109]
	;; [unrolled: 5-line block ×3, first 2 shown]
	buffer_load_dword v109, off, s[0:3], 0 offset:132
	buffer_load_dword v108, off, s[0:3], 0 offset:128
	buffer_load_dword v113, off, s[0:3], 0 offset:140
	buffer_load_dword v112, off, s[0:3], 0 offset:136
	s_waitcnt vmcnt(2)
	v_fmac_f64_e32 v[104:105], v[108:109], v[110:111]
	ds_read2_b64 v[108:111], v106 offset0:67 offset1:68
	s_waitcnt vmcnt(0) lgkmcnt(0)
	v_fmac_f64_e32 v[104:105], v[112:113], v[108:109]
	buffer_load_dword v109, off, s[0:3], 0 offset:148
	buffer_load_dword v108, off, s[0:3], 0 offset:144
	buffer_load_dword v113, off, s[0:3], 0 offset:156
	buffer_load_dword v112, off, s[0:3], 0 offset:152
	s_waitcnt vmcnt(2)
	v_fmac_f64_e32 v[104:105], v[108:109], v[110:111]
	ds_read2_b64 v[108:111], v106 offset0:69 offset1:70
	s_waitcnt vmcnt(0) lgkmcnt(0)
	v_fmac_f64_e32 v[104:105], v[112:113], v[108:109]
	;; [unrolled: 9-line block ×16, first 2 shown]
	buffer_load_dword v109, off, s[0:3], 0 offset:388
	buffer_load_dword v108, off, s[0:3], 0 offset:384
	s_waitcnt vmcnt(0)
	v_fmac_f64_e32 v[104:105], v[108:109], v[110:111]
	buffer_load_dword v109, off, s[0:3], 0 offset:396
	buffer_load_dword v108, off, s[0:3], 0 offset:392
	ds_read_b64 v[110:111], v106 offset:792
	s_waitcnt vmcnt(0) lgkmcnt(0)
	v_fmac_f64_e32 v[104:105], v[108:109], v[110:111]
	v_add_f64 v[102:103], v[102:103], -v[104:105]
	buffer_store_dword v103, off, s[0:3], 0 offset:68
	buffer_store_dword v102, off, s[0:3], 0 offset:64
	s_and_saveexec_b64 s[4:5], vcc
	s_cbranch_execz .LBB49_293
; %bb.292:
	buffer_load_dword v102, off, s[0:3], 0 offset:56
	buffer_load_dword v103, off, s[0:3], 0 offset:60
	s_waitcnt vmcnt(0)
	ds_write_b64 v1, v[102:103]
	buffer_store_dword v106, off, s[0:3], 0 offset:56
	buffer_store_dword v106, off, s[0:3], 0 offset:60
.LBB49_293:
	s_or_b64 exec, exec, s[4:5]
	s_waitcnt lgkmcnt(0)
	; wave barrier
	s_waitcnt lgkmcnt(0)
	buffer_load_dword v102, off, s[0:3], 0 offset:56
	buffer_load_dword v103, off, s[0:3], 0 offset:60
	;; [unrolled: 1-line block ×16, first 2 shown]
	ds_read_b128 v[108:111], v106 offset:464
	ds_read_b128 v[112:115], v106 offset:480
	;; [unrolled: 1-line block ×4, first 2 shown]
	v_cmp_lt_u32_e32 vcc, 6, v0
	s_waitcnt vmcnt(12) lgkmcnt(3)
	v_fma_f64 v[104:105], v[104:105], v[108:109], 0
	buffer_load_dword v109, off, s[0:3], 0 offset:124
	buffer_load_dword v108, off, s[0:3], 0 offset:120
	s_waitcnt vmcnt(12)
	v_fmac_f64_e32 v[104:105], v[124:125], v[110:111]
	s_waitcnt vmcnt(10) lgkmcnt(2)
	v_fmac_f64_e32 v[104:105], v[126:127], v[112:113]
	buffer_load_dword v113, off, s[0:3], 0 offset:132
	buffer_load_dword v112, off, s[0:3], 0 offset:128
	s_waitcnt vmcnt(10)
	v_fmac_f64_e32 v[104:105], v[128:129], v[114:115]
	s_waitcnt vmcnt(8) lgkmcnt(1)
	v_fmac_f64_e32 v[104:105], v[130:131], v[116:117]
	s_waitcnt vmcnt(6)
	v_fmac_f64_e32 v[104:105], v[132:133], v[118:119]
	s_waitcnt vmcnt(4) lgkmcnt(0)
	v_fmac_f64_e32 v[104:105], v[134:135], v[120:121]
	s_waitcnt vmcnt(2)
	v_fmac_f64_e32 v[104:105], v[108:109], v[122:123]
	ds_read_b128 v[108:111], v106 offset:528
	s_waitcnt vmcnt(0) lgkmcnt(0)
	v_fmac_f64_e32 v[104:105], v[112:113], v[108:109]
	buffer_load_dword v109, off, s[0:3], 0 offset:140
	buffer_load_dword v108, off, s[0:3], 0 offset:136
	buffer_load_dword v113, off, s[0:3], 0 offset:148
	buffer_load_dword v112, off, s[0:3], 0 offset:144
	s_waitcnt vmcnt(2)
	v_fmac_f64_e32 v[104:105], v[108:109], v[110:111]
	ds_read_b128 v[108:111], v106 offset:544
	s_waitcnt vmcnt(0) lgkmcnt(0)
	v_fmac_f64_e32 v[104:105], v[112:113], v[108:109]
	buffer_load_dword v109, off, s[0:3], 0 offset:156
	buffer_load_dword v108, off, s[0:3], 0 offset:152
	buffer_load_dword v113, off, s[0:3], 0 offset:164
	buffer_load_dword v112, off, s[0:3], 0 offset:160
	;; [unrolled: 9-line block ×15, first 2 shown]
	s_waitcnt vmcnt(2)
	v_fmac_f64_e32 v[104:105], v[108:109], v[110:111]
	ds_read_b128 v[108:111], v106 offset:768
	s_waitcnt vmcnt(0) lgkmcnt(0)
	v_fmac_f64_e32 v[104:105], v[112:113], v[108:109]
	buffer_load_dword v109, off, s[0:3], 0 offset:380
	buffer_load_dword v108, off, s[0:3], 0 offset:376
	s_waitcnt vmcnt(0)
	v_fmac_f64_e32 v[104:105], v[108:109], v[110:111]
	buffer_load_dword v111, off, s[0:3], 0 offset:388
	buffer_load_dword v110, off, s[0:3], 0 offset:384
	ds_read_b128 v[106:109], v106 offset:784
	s_waitcnt vmcnt(0) lgkmcnt(0)
	v_fmac_f64_e32 v[104:105], v[110:111], v[106:107]
	buffer_load_dword v107, off, s[0:3], 0 offset:396
	buffer_load_dword v106, off, s[0:3], 0 offset:392
	s_waitcnt vmcnt(0)
	v_fmac_f64_e32 v[104:105], v[106:107], v[108:109]
	v_add_f64 v[102:103], v[102:103], -v[104:105]
	buffer_store_dword v103, off, s[0:3], 0 offset:60
	buffer_store_dword v102, off, s[0:3], 0 offset:56
	s_and_saveexec_b64 s[4:5], vcc
	s_cbranch_execz .LBB49_295
; %bb.294:
	buffer_load_dword v102, off, s[0:3], 0 offset:48
	buffer_load_dword v103, off, s[0:3], 0 offset:52
	v_mov_b32_e32 v104, 0
	buffer_store_dword v104, off, s[0:3], 0 offset:48
	buffer_store_dword v104, off, s[0:3], 0 offset:52
	s_waitcnt vmcnt(2)
	ds_write_b64 v1, v[102:103]
.LBB49_295:
	s_or_b64 exec, exec, s[4:5]
	s_waitcnt lgkmcnt(0)
	; wave barrier
	s_waitcnt lgkmcnt(0)
	buffer_load_dword v102, off, s[0:3], 0 offset:48
	buffer_load_dword v103, off, s[0:3], 0 offset:52
	;; [unrolled: 1-line block ×16, first 2 shown]
	v_mov_b32_e32 v106, 0
	ds_read2_b64 v[108:111], v106 offset0:57 offset1:58
	v_cmp_lt_u32_e32 vcc, 5, v0
	s_waitcnt vmcnt(12) lgkmcnt(0)
	v_fma_f64 v[104:105], v[104:105], v[108:109], 0
	s_waitcnt vmcnt(10)
	v_fmac_f64_e32 v[104:105], v[112:113], v[110:111]
	ds_read2_b64 v[108:111], v106 offset0:59 offset1:60
	s_waitcnt vmcnt(8) lgkmcnt(0)
	v_fmac_f64_e32 v[104:105], v[114:115], v[108:109]
	s_waitcnt vmcnt(6)
	v_fmac_f64_e32 v[104:105], v[116:117], v[110:111]
	ds_read2_b64 v[108:111], v106 offset0:61 offset1:62
	s_waitcnt vmcnt(4) lgkmcnt(0)
	v_fmac_f64_e32 v[104:105], v[118:119], v[108:109]
	;; [unrolled: 5-line block ×3, first 2 shown]
	buffer_load_dword v109, off, s[0:3], 0 offset:116
	buffer_load_dword v108, off, s[0:3], 0 offset:112
	buffer_load_dword v113, off, s[0:3], 0 offset:124
	buffer_load_dword v112, off, s[0:3], 0 offset:120
	s_waitcnt vmcnt(2)
	v_fmac_f64_e32 v[104:105], v[108:109], v[110:111]
	ds_read2_b64 v[108:111], v106 offset0:65 offset1:66
	s_waitcnt vmcnt(0) lgkmcnt(0)
	v_fmac_f64_e32 v[104:105], v[112:113], v[108:109]
	buffer_load_dword v109, off, s[0:3], 0 offset:132
	buffer_load_dword v108, off, s[0:3], 0 offset:128
	buffer_load_dword v113, off, s[0:3], 0 offset:140
	buffer_load_dword v112, off, s[0:3], 0 offset:136
	s_waitcnt vmcnt(2)
	v_fmac_f64_e32 v[104:105], v[108:109], v[110:111]
	ds_read2_b64 v[108:111], v106 offset0:67 offset1:68
	s_waitcnt vmcnt(0) lgkmcnt(0)
	v_fmac_f64_e32 v[104:105], v[112:113], v[108:109]
	;; [unrolled: 9-line block ×17, first 2 shown]
	buffer_load_dword v109, off, s[0:3], 0 offset:388
	buffer_load_dword v108, off, s[0:3], 0 offset:384
	s_waitcnt vmcnt(0)
	v_fmac_f64_e32 v[104:105], v[108:109], v[110:111]
	buffer_load_dword v109, off, s[0:3], 0 offset:396
	buffer_load_dword v108, off, s[0:3], 0 offset:392
	ds_read_b64 v[110:111], v106 offset:792
	s_waitcnt vmcnt(0) lgkmcnt(0)
	v_fmac_f64_e32 v[104:105], v[108:109], v[110:111]
	v_add_f64 v[102:103], v[102:103], -v[104:105]
	buffer_store_dword v103, off, s[0:3], 0 offset:52
	buffer_store_dword v102, off, s[0:3], 0 offset:48
	s_and_saveexec_b64 s[4:5], vcc
	s_cbranch_execz .LBB49_297
; %bb.296:
	buffer_load_dword v102, off, s[0:3], 0 offset:40
	buffer_load_dword v103, off, s[0:3], 0 offset:44
	s_waitcnt vmcnt(0)
	ds_write_b64 v1, v[102:103]
	buffer_store_dword v106, off, s[0:3], 0 offset:40
	buffer_store_dword v106, off, s[0:3], 0 offset:44
.LBB49_297:
	s_or_b64 exec, exec, s[4:5]
	s_waitcnt lgkmcnt(0)
	; wave barrier
	s_waitcnt lgkmcnt(0)
	buffer_load_dword v102, off, s[0:3], 0 offset:40
	buffer_load_dword v103, off, s[0:3], 0 offset:44
	;; [unrolled: 1-line block ×16, first 2 shown]
	ds_read_b128 v[108:111], v106 offset:448
	ds_read_b128 v[112:115], v106 offset:464
	;; [unrolled: 1-line block ×4, first 2 shown]
	v_cmp_lt_u32_e32 vcc, 4, v0
	s_waitcnt vmcnt(12) lgkmcnt(3)
	v_fma_f64 v[104:105], v[104:105], v[108:109], 0
	buffer_load_dword v109, off, s[0:3], 0 offset:108
	buffer_load_dword v108, off, s[0:3], 0 offset:104
	s_waitcnt vmcnt(12)
	v_fmac_f64_e32 v[104:105], v[124:125], v[110:111]
	s_waitcnt vmcnt(10) lgkmcnt(2)
	v_fmac_f64_e32 v[104:105], v[126:127], v[112:113]
	buffer_load_dword v113, off, s[0:3], 0 offset:116
	buffer_load_dword v112, off, s[0:3], 0 offset:112
	s_waitcnt vmcnt(10)
	v_fmac_f64_e32 v[104:105], v[128:129], v[114:115]
	s_waitcnt vmcnt(8) lgkmcnt(1)
	v_fmac_f64_e32 v[104:105], v[130:131], v[116:117]
	s_waitcnt vmcnt(6)
	v_fmac_f64_e32 v[104:105], v[132:133], v[118:119]
	s_waitcnt vmcnt(4) lgkmcnt(0)
	v_fmac_f64_e32 v[104:105], v[134:135], v[120:121]
	s_waitcnt vmcnt(2)
	v_fmac_f64_e32 v[104:105], v[108:109], v[122:123]
	ds_read_b128 v[108:111], v106 offset:512
	s_waitcnt vmcnt(0) lgkmcnt(0)
	v_fmac_f64_e32 v[104:105], v[112:113], v[108:109]
	buffer_load_dword v109, off, s[0:3], 0 offset:124
	buffer_load_dword v108, off, s[0:3], 0 offset:120
	buffer_load_dword v113, off, s[0:3], 0 offset:132
	buffer_load_dword v112, off, s[0:3], 0 offset:128
	s_waitcnt vmcnt(2)
	v_fmac_f64_e32 v[104:105], v[108:109], v[110:111]
	ds_read_b128 v[108:111], v106 offset:528
	s_waitcnt vmcnt(0) lgkmcnt(0)
	v_fmac_f64_e32 v[104:105], v[112:113], v[108:109]
	buffer_load_dword v109, off, s[0:3], 0 offset:140
	buffer_load_dword v108, off, s[0:3], 0 offset:136
	buffer_load_dword v113, off, s[0:3], 0 offset:148
	buffer_load_dword v112, off, s[0:3], 0 offset:144
	;; [unrolled: 9-line block ×16, first 2 shown]
	s_waitcnt vmcnt(2)
	v_fmac_f64_e32 v[104:105], v[108:109], v[110:111]
	ds_read_b128 v[108:111], v106 offset:768
	s_waitcnt vmcnt(0) lgkmcnt(0)
	v_fmac_f64_e32 v[104:105], v[112:113], v[108:109]
	buffer_load_dword v109, off, s[0:3], 0 offset:380
	buffer_load_dword v108, off, s[0:3], 0 offset:376
	s_waitcnt vmcnt(0)
	v_fmac_f64_e32 v[104:105], v[108:109], v[110:111]
	buffer_load_dword v111, off, s[0:3], 0 offset:388
	buffer_load_dword v110, off, s[0:3], 0 offset:384
	ds_read_b128 v[106:109], v106 offset:784
	s_waitcnt vmcnt(0) lgkmcnt(0)
	v_fmac_f64_e32 v[104:105], v[110:111], v[106:107]
	buffer_load_dword v107, off, s[0:3], 0 offset:396
	buffer_load_dword v106, off, s[0:3], 0 offset:392
	s_waitcnt vmcnt(0)
	v_fmac_f64_e32 v[104:105], v[106:107], v[108:109]
	v_add_f64 v[102:103], v[102:103], -v[104:105]
	buffer_store_dword v103, off, s[0:3], 0 offset:44
	buffer_store_dword v102, off, s[0:3], 0 offset:40
	s_and_saveexec_b64 s[4:5], vcc
	s_cbranch_execz .LBB49_299
; %bb.298:
	buffer_load_dword v102, off, s[0:3], 0 offset:32
	buffer_load_dword v103, off, s[0:3], 0 offset:36
	v_mov_b32_e32 v104, 0
	buffer_store_dword v104, off, s[0:3], 0 offset:32
	buffer_store_dword v104, off, s[0:3], 0 offset:36
	s_waitcnt vmcnt(2)
	ds_write_b64 v1, v[102:103]
.LBB49_299:
	s_or_b64 exec, exec, s[4:5]
	s_waitcnt lgkmcnt(0)
	; wave barrier
	s_waitcnt lgkmcnt(0)
	buffer_load_dword v102, off, s[0:3], 0 offset:32
	buffer_load_dword v103, off, s[0:3], 0 offset:36
	;; [unrolled: 1-line block ×16, first 2 shown]
	v_mov_b32_e32 v106, 0
	ds_read2_b64 v[108:111], v106 offset0:55 offset1:56
	v_cmp_lt_u32_e32 vcc, 3, v0
	s_waitcnt vmcnt(12) lgkmcnt(0)
	v_fma_f64 v[104:105], v[104:105], v[108:109], 0
	s_waitcnt vmcnt(10)
	v_fmac_f64_e32 v[104:105], v[112:113], v[110:111]
	ds_read2_b64 v[108:111], v106 offset0:57 offset1:58
	s_waitcnt vmcnt(8) lgkmcnt(0)
	v_fmac_f64_e32 v[104:105], v[114:115], v[108:109]
	s_waitcnt vmcnt(6)
	v_fmac_f64_e32 v[104:105], v[116:117], v[110:111]
	ds_read2_b64 v[108:111], v106 offset0:59 offset1:60
	s_waitcnt vmcnt(4) lgkmcnt(0)
	v_fmac_f64_e32 v[104:105], v[118:119], v[108:109]
	;; [unrolled: 5-line block ×3, first 2 shown]
	buffer_load_dword v109, off, s[0:3], 0 offset:100
	buffer_load_dword v108, off, s[0:3], 0 offset:96
	buffer_load_dword v113, off, s[0:3], 0 offset:108
	buffer_load_dword v112, off, s[0:3], 0 offset:104
	s_waitcnt vmcnt(2)
	v_fmac_f64_e32 v[104:105], v[108:109], v[110:111]
	ds_read2_b64 v[108:111], v106 offset0:63 offset1:64
	s_waitcnt vmcnt(0) lgkmcnt(0)
	v_fmac_f64_e32 v[104:105], v[112:113], v[108:109]
	buffer_load_dword v109, off, s[0:3], 0 offset:116
	buffer_load_dword v108, off, s[0:3], 0 offset:112
	buffer_load_dword v113, off, s[0:3], 0 offset:124
	buffer_load_dword v112, off, s[0:3], 0 offset:120
	s_waitcnt vmcnt(2)
	v_fmac_f64_e32 v[104:105], v[108:109], v[110:111]
	ds_read2_b64 v[108:111], v106 offset0:65 offset1:66
	s_waitcnt vmcnt(0) lgkmcnt(0)
	v_fmac_f64_e32 v[104:105], v[112:113], v[108:109]
	;; [unrolled: 9-line block ×18, first 2 shown]
	buffer_load_dword v109, off, s[0:3], 0 offset:388
	buffer_load_dword v108, off, s[0:3], 0 offset:384
	s_waitcnt vmcnt(0)
	v_fmac_f64_e32 v[104:105], v[108:109], v[110:111]
	buffer_load_dword v109, off, s[0:3], 0 offset:396
	buffer_load_dword v108, off, s[0:3], 0 offset:392
	ds_read_b64 v[110:111], v106 offset:792
	s_waitcnt vmcnt(0) lgkmcnt(0)
	v_fmac_f64_e32 v[104:105], v[108:109], v[110:111]
	v_add_f64 v[102:103], v[102:103], -v[104:105]
	buffer_store_dword v103, off, s[0:3], 0 offset:36
	buffer_store_dword v102, off, s[0:3], 0 offset:32
	s_and_saveexec_b64 s[4:5], vcc
	s_cbranch_execz .LBB49_301
; %bb.300:
	buffer_load_dword v102, off, s[0:3], 0 offset:24
	buffer_load_dword v103, off, s[0:3], 0 offset:28
	s_waitcnt vmcnt(0)
	ds_write_b64 v1, v[102:103]
	buffer_store_dword v106, off, s[0:3], 0 offset:24
	buffer_store_dword v106, off, s[0:3], 0 offset:28
.LBB49_301:
	s_or_b64 exec, exec, s[4:5]
	s_waitcnt lgkmcnt(0)
	; wave barrier
	s_waitcnt lgkmcnt(0)
	buffer_load_dword v102, off, s[0:3], 0 offset:24
	buffer_load_dword v103, off, s[0:3], 0 offset:28
	;; [unrolled: 1-line block ×16, first 2 shown]
	ds_read_b128 v[108:111], v106 offset:432
	ds_read_b128 v[112:115], v106 offset:448
	;; [unrolled: 1-line block ×4, first 2 shown]
	v_cmp_lt_u32_e32 vcc, 2, v0
	s_waitcnt vmcnt(12) lgkmcnt(3)
	v_fma_f64 v[104:105], v[104:105], v[108:109], 0
	buffer_load_dword v109, off, s[0:3], 0 offset:92
	buffer_load_dword v108, off, s[0:3], 0 offset:88
	s_waitcnt vmcnt(12)
	v_fmac_f64_e32 v[104:105], v[124:125], v[110:111]
	s_waitcnt vmcnt(10) lgkmcnt(2)
	v_fmac_f64_e32 v[104:105], v[126:127], v[112:113]
	buffer_load_dword v113, off, s[0:3], 0 offset:100
	buffer_load_dword v112, off, s[0:3], 0 offset:96
	s_waitcnt vmcnt(10)
	v_fmac_f64_e32 v[104:105], v[128:129], v[114:115]
	s_waitcnt vmcnt(8) lgkmcnt(1)
	v_fmac_f64_e32 v[104:105], v[130:131], v[116:117]
	s_waitcnt vmcnt(6)
	v_fmac_f64_e32 v[104:105], v[132:133], v[118:119]
	s_waitcnt vmcnt(4) lgkmcnt(0)
	v_fmac_f64_e32 v[104:105], v[134:135], v[120:121]
	s_waitcnt vmcnt(2)
	v_fmac_f64_e32 v[104:105], v[108:109], v[122:123]
	ds_read_b128 v[108:111], v106 offset:496
	s_waitcnt vmcnt(0) lgkmcnt(0)
	v_fmac_f64_e32 v[104:105], v[112:113], v[108:109]
	buffer_load_dword v109, off, s[0:3], 0 offset:108
	buffer_load_dword v108, off, s[0:3], 0 offset:104
	buffer_load_dword v113, off, s[0:3], 0 offset:116
	buffer_load_dword v112, off, s[0:3], 0 offset:112
	s_waitcnt vmcnt(2)
	v_fmac_f64_e32 v[104:105], v[108:109], v[110:111]
	ds_read_b128 v[108:111], v106 offset:512
	s_waitcnt vmcnt(0) lgkmcnt(0)
	v_fmac_f64_e32 v[104:105], v[112:113], v[108:109]
	buffer_load_dword v109, off, s[0:3], 0 offset:124
	buffer_load_dword v108, off, s[0:3], 0 offset:120
	buffer_load_dword v113, off, s[0:3], 0 offset:132
	buffer_load_dword v112, off, s[0:3], 0 offset:128
	;; [unrolled: 9-line block ×17, first 2 shown]
	s_waitcnt vmcnt(2)
	v_fmac_f64_e32 v[104:105], v[108:109], v[110:111]
	ds_read_b128 v[108:111], v106 offset:768
	s_waitcnt vmcnt(0) lgkmcnt(0)
	v_fmac_f64_e32 v[104:105], v[112:113], v[108:109]
	buffer_load_dword v109, off, s[0:3], 0 offset:380
	buffer_load_dword v108, off, s[0:3], 0 offset:376
	s_waitcnt vmcnt(0)
	v_fmac_f64_e32 v[104:105], v[108:109], v[110:111]
	buffer_load_dword v111, off, s[0:3], 0 offset:388
	buffer_load_dword v110, off, s[0:3], 0 offset:384
	ds_read_b128 v[106:109], v106 offset:784
	s_waitcnt vmcnt(0) lgkmcnt(0)
	v_fmac_f64_e32 v[104:105], v[110:111], v[106:107]
	buffer_load_dword v107, off, s[0:3], 0 offset:396
	buffer_load_dword v106, off, s[0:3], 0 offset:392
	s_waitcnt vmcnt(0)
	v_fmac_f64_e32 v[104:105], v[106:107], v[108:109]
	v_add_f64 v[102:103], v[102:103], -v[104:105]
	buffer_store_dword v103, off, s[0:3], 0 offset:28
	buffer_store_dword v102, off, s[0:3], 0 offset:24
	s_and_saveexec_b64 s[4:5], vcc
	s_cbranch_execz .LBB49_303
; %bb.302:
	buffer_load_dword v102, off, s[0:3], 0 offset:16
	buffer_load_dword v103, off, s[0:3], 0 offset:20
	v_mov_b32_e32 v104, 0
	buffer_store_dword v104, off, s[0:3], 0 offset:16
	buffer_store_dword v104, off, s[0:3], 0 offset:20
	s_waitcnt vmcnt(2)
	ds_write_b64 v1, v[102:103]
.LBB49_303:
	s_or_b64 exec, exec, s[4:5]
	s_waitcnt lgkmcnt(0)
	; wave barrier
	s_waitcnt lgkmcnt(0)
	buffer_load_dword v102, off, s[0:3], 0 offset:16
	buffer_load_dword v103, off, s[0:3], 0 offset:20
	;; [unrolled: 1-line block ×16, first 2 shown]
	v_mov_b32_e32 v106, 0
	ds_read2_b64 v[108:111], v106 offset0:53 offset1:54
	v_cmp_lt_u32_e32 vcc, 1, v0
	s_waitcnt vmcnt(12) lgkmcnt(0)
	v_fma_f64 v[104:105], v[104:105], v[108:109], 0
	s_waitcnt vmcnt(10)
	v_fmac_f64_e32 v[104:105], v[112:113], v[110:111]
	ds_read2_b64 v[108:111], v106 offset0:55 offset1:56
	s_waitcnt vmcnt(8) lgkmcnt(0)
	v_fmac_f64_e32 v[104:105], v[114:115], v[108:109]
	s_waitcnt vmcnt(6)
	v_fmac_f64_e32 v[104:105], v[116:117], v[110:111]
	ds_read2_b64 v[108:111], v106 offset0:57 offset1:58
	s_waitcnt vmcnt(4) lgkmcnt(0)
	v_fmac_f64_e32 v[104:105], v[118:119], v[108:109]
	;; [unrolled: 5-line block ×3, first 2 shown]
	buffer_load_dword v109, off, s[0:3], 0 offset:84
	buffer_load_dword v108, off, s[0:3], 0 offset:80
	buffer_load_dword v113, off, s[0:3], 0 offset:92
	buffer_load_dword v112, off, s[0:3], 0 offset:88
	s_waitcnt vmcnt(2)
	v_fmac_f64_e32 v[104:105], v[108:109], v[110:111]
	ds_read2_b64 v[108:111], v106 offset0:61 offset1:62
	s_waitcnt vmcnt(0) lgkmcnt(0)
	v_fmac_f64_e32 v[104:105], v[112:113], v[108:109]
	buffer_load_dword v109, off, s[0:3], 0 offset:100
	buffer_load_dword v108, off, s[0:3], 0 offset:96
	buffer_load_dword v113, off, s[0:3], 0 offset:108
	buffer_load_dword v112, off, s[0:3], 0 offset:104
	s_waitcnt vmcnt(2)
	v_fmac_f64_e32 v[104:105], v[108:109], v[110:111]
	ds_read2_b64 v[108:111], v106 offset0:63 offset1:64
	s_waitcnt vmcnt(0) lgkmcnt(0)
	v_fmac_f64_e32 v[104:105], v[112:113], v[108:109]
	buffer_load_dword v109, off, s[0:3], 0 offset:116
	buffer_load_dword v108, off, s[0:3], 0 offset:112
	buffer_load_dword v113, off, s[0:3], 0 offset:124
	buffer_load_dword v112, off, s[0:3], 0 offset:120
	s_waitcnt vmcnt(2)
	v_fmac_f64_e32 v[104:105], v[108:109], v[110:111]
	ds_read2_b64 v[108:111], v106 offset0:65 offset1:66
	s_waitcnt vmcnt(0) lgkmcnt(0)
	v_fmac_f64_e32 v[104:105], v[112:113], v[108:109]
	buffer_load_dword v109, off, s[0:3], 0 offset:132
	buffer_load_dword v108, off, s[0:3], 0 offset:128
	buffer_load_dword v113, off, s[0:3], 0 offset:140
	buffer_load_dword v112, off, s[0:3], 0 offset:136
	s_waitcnt vmcnt(2)
	v_fmac_f64_e32 v[104:105], v[108:109], v[110:111]
	ds_read2_b64 v[108:111], v106 offset0:67 offset1:68
	s_waitcnt vmcnt(0) lgkmcnt(0)
	v_fmac_f64_e32 v[104:105], v[112:113], v[108:109]
	buffer_load_dword v109, off, s[0:3], 0 offset:148
	buffer_load_dword v108, off, s[0:3], 0 offset:144
	buffer_load_dword v113, off, s[0:3], 0 offset:156
	buffer_load_dword v112, off, s[0:3], 0 offset:152
	s_waitcnt vmcnt(2)
	v_fmac_f64_e32 v[104:105], v[108:109], v[110:111]
	ds_read2_b64 v[108:111], v106 offset0:69 offset1:70
	s_waitcnt vmcnt(0) lgkmcnt(0)
	v_fmac_f64_e32 v[104:105], v[112:113], v[108:109]
	buffer_load_dword v109, off, s[0:3], 0 offset:164
	buffer_load_dword v108, off, s[0:3], 0 offset:160
	buffer_load_dword v113, off, s[0:3], 0 offset:172
	buffer_load_dword v112, off, s[0:3], 0 offset:168
	s_waitcnt vmcnt(2)
	v_fmac_f64_e32 v[104:105], v[108:109], v[110:111]
	ds_read2_b64 v[108:111], v106 offset0:71 offset1:72
	s_waitcnt vmcnt(0) lgkmcnt(0)
	v_fmac_f64_e32 v[104:105], v[112:113], v[108:109]
	buffer_load_dword v109, off, s[0:3], 0 offset:180
	buffer_load_dword v108, off, s[0:3], 0 offset:176
	buffer_load_dword v113, off, s[0:3], 0 offset:188
	buffer_load_dword v112, off, s[0:3], 0 offset:184
	s_waitcnt vmcnt(2)
	v_fmac_f64_e32 v[104:105], v[108:109], v[110:111]
	ds_read2_b64 v[108:111], v106 offset0:73 offset1:74
	s_waitcnt vmcnt(0) lgkmcnt(0)
	v_fmac_f64_e32 v[104:105], v[112:113], v[108:109]
	buffer_load_dword v109, off, s[0:3], 0 offset:196
	buffer_load_dword v108, off, s[0:3], 0 offset:192
	buffer_load_dword v113, off, s[0:3], 0 offset:204
	buffer_load_dword v112, off, s[0:3], 0 offset:200
	s_waitcnt vmcnt(2)
	v_fmac_f64_e32 v[104:105], v[108:109], v[110:111]
	ds_read2_b64 v[108:111], v106 offset0:75 offset1:76
	s_waitcnt vmcnt(0) lgkmcnt(0)
	v_fmac_f64_e32 v[104:105], v[112:113], v[108:109]
	buffer_load_dword v109, off, s[0:3], 0 offset:212
	buffer_load_dword v108, off, s[0:3], 0 offset:208
	buffer_load_dword v113, off, s[0:3], 0 offset:220
	buffer_load_dword v112, off, s[0:3], 0 offset:216
	s_waitcnt vmcnt(2)
	v_fmac_f64_e32 v[104:105], v[108:109], v[110:111]
	ds_read2_b64 v[108:111], v106 offset0:77 offset1:78
	s_waitcnt vmcnt(0) lgkmcnt(0)
	v_fmac_f64_e32 v[104:105], v[112:113], v[108:109]
	buffer_load_dword v109, off, s[0:3], 0 offset:228
	buffer_load_dword v108, off, s[0:3], 0 offset:224
	buffer_load_dword v113, off, s[0:3], 0 offset:236
	buffer_load_dword v112, off, s[0:3], 0 offset:232
	s_waitcnt vmcnt(2)
	v_fmac_f64_e32 v[104:105], v[108:109], v[110:111]
	ds_read2_b64 v[108:111], v106 offset0:79 offset1:80
	s_waitcnt vmcnt(0) lgkmcnt(0)
	v_fmac_f64_e32 v[104:105], v[112:113], v[108:109]
	buffer_load_dword v109, off, s[0:3], 0 offset:244
	buffer_load_dword v108, off, s[0:3], 0 offset:240
	buffer_load_dword v113, off, s[0:3], 0 offset:252
	buffer_load_dword v112, off, s[0:3], 0 offset:248
	s_waitcnt vmcnt(2)
	v_fmac_f64_e32 v[104:105], v[108:109], v[110:111]
	ds_read2_b64 v[108:111], v106 offset0:81 offset1:82
	s_waitcnt vmcnt(0) lgkmcnt(0)
	v_fmac_f64_e32 v[104:105], v[112:113], v[108:109]
	buffer_load_dword v109, off, s[0:3], 0 offset:260
	buffer_load_dword v108, off, s[0:3], 0 offset:256
	buffer_load_dword v113, off, s[0:3], 0 offset:268
	buffer_load_dword v112, off, s[0:3], 0 offset:264
	s_waitcnt vmcnt(2)
	v_fmac_f64_e32 v[104:105], v[108:109], v[110:111]
	ds_read2_b64 v[108:111], v106 offset0:83 offset1:84
	s_waitcnt vmcnt(0) lgkmcnt(0)
	v_fmac_f64_e32 v[104:105], v[112:113], v[108:109]
	buffer_load_dword v109, off, s[0:3], 0 offset:276
	buffer_load_dword v108, off, s[0:3], 0 offset:272
	buffer_load_dword v113, off, s[0:3], 0 offset:284
	buffer_load_dword v112, off, s[0:3], 0 offset:280
	s_waitcnt vmcnt(2)
	v_fmac_f64_e32 v[104:105], v[108:109], v[110:111]
	ds_read2_b64 v[108:111], v106 offset0:85 offset1:86
	s_waitcnt vmcnt(0) lgkmcnt(0)
	v_fmac_f64_e32 v[104:105], v[112:113], v[108:109]
	buffer_load_dword v109, off, s[0:3], 0 offset:292
	buffer_load_dword v108, off, s[0:3], 0 offset:288
	buffer_load_dword v113, off, s[0:3], 0 offset:300
	buffer_load_dword v112, off, s[0:3], 0 offset:296
	s_waitcnt vmcnt(2)
	v_fmac_f64_e32 v[104:105], v[108:109], v[110:111]
	ds_read2_b64 v[108:111], v106 offset0:87 offset1:88
	s_waitcnt vmcnt(0) lgkmcnt(0)
	v_fmac_f64_e32 v[104:105], v[112:113], v[108:109]
	buffer_load_dword v109, off, s[0:3], 0 offset:308
	buffer_load_dword v108, off, s[0:3], 0 offset:304
	buffer_load_dword v113, off, s[0:3], 0 offset:316
	buffer_load_dword v112, off, s[0:3], 0 offset:312
	s_waitcnt vmcnt(2)
	v_fmac_f64_e32 v[104:105], v[108:109], v[110:111]
	ds_read2_b64 v[108:111], v106 offset0:89 offset1:90
	s_waitcnt vmcnt(0) lgkmcnt(0)
	v_fmac_f64_e32 v[104:105], v[112:113], v[108:109]
	buffer_load_dword v109, off, s[0:3], 0 offset:324
	buffer_load_dword v108, off, s[0:3], 0 offset:320
	buffer_load_dword v113, off, s[0:3], 0 offset:332
	buffer_load_dword v112, off, s[0:3], 0 offset:328
	s_waitcnt vmcnt(2)
	v_fmac_f64_e32 v[104:105], v[108:109], v[110:111]
	ds_read2_b64 v[108:111], v106 offset0:91 offset1:92
	s_waitcnt vmcnt(0) lgkmcnt(0)
	v_fmac_f64_e32 v[104:105], v[112:113], v[108:109]
	buffer_load_dword v109, off, s[0:3], 0 offset:340
	buffer_load_dword v108, off, s[0:3], 0 offset:336
	buffer_load_dword v113, off, s[0:3], 0 offset:348
	buffer_load_dword v112, off, s[0:3], 0 offset:344
	s_waitcnt vmcnt(2)
	v_fmac_f64_e32 v[104:105], v[108:109], v[110:111]
	ds_read2_b64 v[108:111], v106 offset0:93 offset1:94
	s_waitcnt vmcnt(0) lgkmcnt(0)
	v_fmac_f64_e32 v[104:105], v[112:113], v[108:109]
	buffer_load_dword v109, off, s[0:3], 0 offset:356
	buffer_load_dword v108, off, s[0:3], 0 offset:352
	buffer_load_dword v113, off, s[0:3], 0 offset:364
	buffer_load_dword v112, off, s[0:3], 0 offset:360
	s_waitcnt vmcnt(2)
	v_fmac_f64_e32 v[104:105], v[108:109], v[110:111]
	ds_read2_b64 v[108:111], v106 offset0:95 offset1:96
	s_waitcnt vmcnt(0) lgkmcnt(0)
	v_fmac_f64_e32 v[104:105], v[112:113], v[108:109]
	buffer_load_dword v109, off, s[0:3], 0 offset:372
	buffer_load_dword v108, off, s[0:3], 0 offset:368
	buffer_load_dword v113, off, s[0:3], 0 offset:380
	buffer_load_dword v112, off, s[0:3], 0 offset:376
	s_waitcnt vmcnt(2)
	v_fmac_f64_e32 v[104:105], v[108:109], v[110:111]
	ds_read2_b64 v[108:111], v106 offset0:97 offset1:98
	s_waitcnt vmcnt(0) lgkmcnt(0)
	v_fmac_f64_e32 v[104:105], v[112:113], v[108:109]
	buffer_load_dword v109, off, s[0:3], 0 offset:388
	buffer_load_dword v108, off, s[0:3], 0 offset:384
	s_waitcnt vmcnt(0)
	v_fmac_f64_e32 v[104:105], v[108:109], v[110:111]
	buffer_load_dword v109, off, s[0:3], 0 offset:396
	buffer_load_dword v108, off, s[0:3], 0 offset:392
	ds_read_b64 v[110:111], v106 offset:792
	s_waitcnt vmcnt(0) lgkmcnt(0)
	v_fmac_f64_e32 v[104:105], v[108:109], v[110:111]
	v_add_f64 v[102:103], v[102:103], -v[104:105]
	buffer_store_dword v103, off, s[0:3], 0 offset:20
	buffer_store_dword v102, off, s[0:3], 0 offset:16
	s_and_saveexec_b64 s[4:5], vcc
	s_cbranch_execz .LBB49_305
; %bb.304:
	buffer_load_dword v102, off, s[0:3], 0 offset:8
	buffer_load_dword v103, off, s[0:3], 0 offset:12
	s_waitcnt vmcnt(0)
	ds_write_b64 v1, v[102:103]
	buffer_store_dword v106, off, s[0:3], 0 offset:8
	buffer_store_dword v106, off, s[0:3], 0 offset:12
.LBB49_305:
	s_or_b64 exec, exec, s[4:5]
	s_waitcnt lgkmcnt(0)
	; wave barrier
	s_waitcnt lgkmcnt(0)
	buffer_load_dword v102, off, s[0:3], 0 offset:8
	buffer_load_dword v103, off, s[0:3], 0 offset:12
	buffer_load_dword v104, off, s[0:3], 0 offset:16
	buffer_load_dword v105, off, s[0:3], 0 offset:20
	buffer_load_dword v124, off, s[0:3], 0 offset:24
	buffer_load_dword v125, off, s[0:3], 0 offset:28
	buffer_load_dword v126, off, s[0:3], 0 offset:32
	buffer_load_dword v127, off, s[0:3], 0 offset:36
	buffer_load_dword v128, off, s[0:3], 0 offset:40
	buffer_load_dword v129, off, s[0:3], 0 offset:44
	buffer_load_dword v130, off, s[0:3], 0 offset:48
	buffer_load_dword v131, off, s[0:3], 0 offset:52
	buffer_load_dword v132, off, s[0:3], 0 offset:56
	buffer_load_dword v133, off, s[0:3], 0 offset:60
	buffer_load_dword v134, off, s[0:3], 0 offset:64
	buffer_load_dword v135, off, s[0:3], 0 offset:68
	ds_read_b128 v[108:111], v106 offset:416
	ds_read_b128 v[112:115], v106 offset:432
	ds_read_b128 v[116:119], v106 offset:448
	ds_read_b128 v[120:123], v106 offset:464
	v_cmp_ne_u32_e32 vcc, 0, v0
	s_waitcnt vmcnt(12) lgkmcnt(3)
	v_fma_f64 v[104:105], v[104:105], v[108:109], 0
	buffer_load_dword v109, off, s[0:3], 0 offset:76
	buffer_load_dword v108, off, s[0:3], 0 offset:72
	s_waitcnt vmcnt(12)
	v_fmac_f64_e32 v[104:105], v[124:125], v[110:111]
	s_waitcnt vmcnt(10) lgkmcnt(2)
	v_fmac_f64_e32 v[104:105], v[126:127], v[112:113]
	buffer_load_dword v113, off, s[0:3], 0 offset:84
	buffer_load_dword v112, off, s[0:3], 0 offset:80
	s_waitcnt vmcnt(10)
	v_fmac_f64_e32 v[104:105], v[128:129], v[114:115]
	s_waitcnt vmcnt(8) lgkmcnt(1)
	v_fmac_f64_e32 v[104:105], v[130:131], v[116:117]
	s_waitcnt vmcnt(6)
	v_fmac_f64_e32 v[104:105], v[132:133], v[118:119]
	s_waitcnt vmcnt(4) lgkmcnt(0)
	v_fmac_f64_e32 v[104:105], v[134:135], v[120:121]
	s_waitcnt vmcnt(2)
	v_fmac_f64_e32 v[104:105], v[108:109], v[122:123]
	ds_read_b128 v[108:111], v106 offset:480
	s_waitcnt vmcnt(0) lgkmcnt(0)
	v_fmac_f64_e32 v[104:105], v[112:113], v[108:109]
	buffer_load_dword v109, off, s[0:3], 0 offset:92
	buffer_load_dword v108, off, s[0:3], 0 offset:88
	buffer_load_dword v113, off, s[0:3], 0 offset:100
	buffer_load_dword v112, off, s[0:3], 0 offset:96
	s_waitcnt vmcnt(2)
	v_fmac_f64_e32 v[104:105], v[108:109], v[110:111]
	ds_read_b128 v[108:111], v106 offset:496
	s_waitcnt vmcnt(0) lgkmcnt(0)
	v_fmac_f64_e32 v[104:105], v[112:113], v[108:109]
	buffer_load_dword v109, off, s[0:3], 0 offset:108
	buffer_load_dword v108, off, s[0:3], 0 offset:104
	buffer_load_dword v113, off, s[0:3], 0 offset:116
	buffer_load_dword v112, off, s[0:3], 0 offset:112
	;; [unrolled: 9-line block ×18, first 2 shown]
	s_waitcnt vmcnt(2)
	v_fmac_f64_e32 v[104:105], v[108:109], v[110:111]
	ds_read_b128 v[108:111], v106 offset:768
	s_waitcnt vmcnt(0) lgkmcnt(0)
	v_fmac_f64_e32 v[104:105], v[112:113], v[108:109]
	buffer_load_dword v109, off, s[0:3], 0 offset:380
	buffer_load_dword v108, off, s[0:3], 0 offset:376
	s_waitcnt vmcnt(0)
	v_fmac_f64_e32 v[104:105], v[108:109], v[110:111]
	buffer_load_dword v111, off, s[0:3], 0 offset:388
	buffer_load_dword v110, off, s[0:3], 0 offset:384
	ds_read_b128 v[106:109], v106 offset:784
	s_waitcnt vmcnt(0) lgkmcnt(0)
	v_fmac_f64_e32 v[104:105], v[110:111], v[106:107]
	buffer_load_dword v107, off, s[0:3], 0 offset:396
	buffer_load_dword v106, off, s[0:3], 0 offset:392
	s_waitcnt vmcnt(0)
	v_fmac_f64_e32 v[104:105], v[106:107], v[108:109]
	v_add_f64 v[102:103], v[102:103], -v[104:105]
	buffer_store_dword v103, off, s[0:3], 0 offset:12
	buffer_store_dword v102, off, s[0:3], 0 offset:8
	s_and_saveexec_b64 s[4:5], vcc
	s_cbranch_execz .LBB49_307
; %bb.306:
	buffer_load_dword v102, off, s[0:3], 0
	buffer_load_dword v103, off, s[0:3], 0 offset:4
	v_mov_b32_e32 v0, 0
	buffer_store_dword v0, off, s[0:3], 0
	buffer_store_dword v0, off, s[0:3], 0 offset:4
	s_waitcnt vmcnt(2)
	ds_write_b64 v1, v[102:103]
.LBB49_307:
	s_or_b64 exec, exec, s[4:5]
	s_waitcnt lgkmcnt(0)
	; wave barrier
	s_waitcnt lgkmcnt(0)
	buffer_load_dword v0, off, s[0:3], 0
	buffer_load_dword v1, off, s[0:3], 0 offset:4
	buffer_load_dword v108, off, s[0:3], 0 offset:8
	;; [unrolled: 1-line block ×15, first 2 shown]
	v_mov_b32_e32 v106, 0
	ds_read2_b64 v[102:105], v106 offset0:51 offset1:52
	s_and_b64 vcc, exec, s[20:21]
	s_waitcnt vmcnt(12) lgkmcnt(0)
	v_fma_f64 v[102:103], v[108:109], v[102:103], 0
	s_waitcnt vmcnt(10)
	v_fmac_f64_e32 v[102:103], v[110:111], v[104:105]
	ds_read2_b64 v[108:111], v106 offset0:53 offset1:54
	s_waitcnt vmcnt(8) lgkmcnt(0)
	v_fmac_f64_e32 v[102:103], v[112:113], v[108:109]
	s_waitcnt vmcnt(6)
	v_fmac_f64_e32 v[102:103], v[114:115], v[110:111]
	ds_read2_b64 v[108:111], v106 offset0:55 offset1:56
	s_waitcnt vmcnt(4) lgkmcnt(0)
	v_fmac_f64_e32 v[102:103], v[116:117], v[108:109]
	s_waitcnt vmcnt(2)
	v_fmac_f64_e32 v[102:103], v[118:119], v[110:111]
	ds_read2_b64 v[108:111], v106 offset0:57 offset1:58
	buffer_load_dword v105, off, s[0:3], 0 offset:68
	buffer_load_dword v104, off, s[0:3], 0 offset:64
	s_waitcnt vmcnt(2) lgkmcnt(0)
	v_fmac_f64_e32 v[102:103], v[120:121], v[108:109]
	s_waitcnt vmcnt(0)
	v_fmac_f64_e32 v[102:103], v[104:105], v[110:111]
	buffer_load_dword v105, off, s[0:3], 0 offset:76
	buffer_load_dword v104, off, s[0:3], 0 offset:72
	ds_read2_b64 v[108:111], v106 offset0:59 offset1:60
	s_waitcnt vmcnt(0) lgkmcnt(0)
	v_fmac_f64_e32 v[102:103], v[104:105], v[108:109]
	buffer_load_dword v105, off, s[0:3], 0 offset:84
	buffer_load_dword v104, off, s[0:3], 0 offset:80
	s_waitcnt vmcnt(0)
	v_fmac_f64_e32 v[102:103], v[104:105], v[110:111]
	buffer_load_dword v105, off, s[0:3], 0 offset:92
	buffer_load_dword v104, off, s[0:3], 0 offset:88
	ds_read2_b64 v[108:111], v106 offset0:61 offset1:62
	s_waitcnt vmcnt(0) lgkmcnt(0)
	v_fmac_f64_e32 v[102:103], v[104:105], v[108:109]
	buffer_load_dword v105, off, s[0:3], 0 offset:100
	buffer_load_dword v104, off, s[0:3], 0 offset:96
	;; [unrolled: 9-line block ×20, first 2 shown]
	buffer_load_dword v109, off, s[0:3], 0 offset:396
	buffer_load_dword v108, off, s[0:3], 0 offset:392
	ds_read_b64 v[106:107], v106 offset:792
	s_waitcnt vmcnt(2)
	v_fmac_f64_e32 v[102:103], v[104:105], v[110:111]
	s_waitcnt vmcnt(0) lgkmcnt(0)
	v_fmac_f64_e32 v[102:103], v[108:109], v[106:107]
	v_add_f64 v[0:1], v[0:1], -v[102:103]
	buffer_store_dword v1, off, s[0:3], 0 offset:4
	buffer_store_dword v0, off, s[0:3], 0
	s_cbranch_vccz .LBB49_407
; %bb.308:
	v_pk_mov_b32 v[0:1], s[10:11], s[10:11] op_sel:[0,1]
	flat_load_dword v0, v[0:1] offset:192
	s_waitcnt vmcnt(0) lgkmcnt(0)
	v_add_u32_e32 v0, -1, v0
	v_cmp_ne_u32_e32 vcc, 48, v0
	s_and_saveexec_b64 s[4:5], vcc
	s_cbranch_execz .LBB49_310
; %bb.309:
	v_mov_b32_e32 v1, 0
	v_lshl_add_u32 v0, v0, 3, v1
	buffer_load_dword v1, v0, s[0:3], 0 offen offset:4
	buffer_load_dword v102, v0, s[0:3], 0 offen
	s_waitcnt vmcnt(1)
	buffer_store_dword v1, off, s[0:3], 0 offset:388
	s_waitcnt vmcnt(1)
	buffer_store_dword v102, off, s[0:3], 0 offset:384
	buffer_store_dword v105, v0, s[0:3], 0 offen offset:4
	buffer_store_dword v104, v0, s[0:3], 0 offen
.LBB49_310:
	s_or_b64 exec, exec, s[4:5]
	v_pk_mov_b32 v[0:1], s[10:11], s[10:11] op_sel:[0,1]
	flat_load_dword v0, v[0:1] offset:188
	s_waitcnt vmcnt(0) lgkmcnt(0)
	v_add_u32_e32 v0, -1, v0
	v_cmp_ne_u32_e32 vcc, 47, v0
	s_and_saveexec_b64 s[4:5], vcc
	s_cbranch_execz .LBB49_312
; %bb.311:
	v_mov_b32_e32 v1, 0
	v_lshl_add_u32 v0, v0, 3, v1
	buffer_load_dword v1, v0, s[0:3], 0 offen
	buffer_load_dword v102, v0, s[0:3], 0 offen offset:4
	buffer_load_dword v103, off, s[0:3], 0 offset:376
	buffer_load_dword v104, off, s[0:3], 0 offset:380
	s_waitcnt vmcnt(3)
	buffer_store_dword v1, off, s[0:3], 0 offset:376
	s_waitcnt vmcnt(3)
	buffer_store_dword v102, off, s[0:3], 0 offset:380
	s_waitcnt vmcnt(3)
	buffer_store_dword v103, v0, s[0:3], 0 offen
	s_waitcnt vmcnt(3)
	buffer_store_dword v104, v0, s[0:3], 0 offen offset:4
.LBB49_312:
	s_or_b64 exec, exec, s[4:5]
	v_pk_mov_b32 v[0:1], s[10:11], s[10:11] op_sel:[0,1]
	flat_load_dword v0, v[0:1] offset:184
	s_waitcnt vmcnt(0) lgkmcnt(0)
	v_add_u32_e32 v0, -1, v0
	v_cmp_ne_u32_e32 vcc, 46, v0
	s_and_saveexec_b64 s[4:5], vcc
	s_cbranch_execz .LBB49_314
; %bb.313:
	v_mov_b32_e32 v1, 0
	v_lshl_add_u32 v0, v0, 3, v1
	buffer_load_dword v1, v0, s[0:3], 0 offen
	buffer_load_dword v102, v0, s[0:3], 0 offen offset:4
	buffer_load_dword v103, off, s[0:3], 0 offset:372
	buffer_load_dword v104, off, s[0:3], 0 offset:368
	s_waitcnt vmcnt(3)
	buffer_store_dword v1, off, s[0:3], 0 offset:368
	s_waitcnt vmcnt(3)
	buffer_store_dword v102, off, s[0:3], 0 offset:372
	s_waitcnt vmcnt(3)
	buffer_store_dword v103, v0, s[0:3], 0 offen offset:4
	s_waitcnt vmcnt(3)
	buffer_store_dword v104, v0, s[0:3], 0 offen
.LBB49_314:
	s_or_b64 exec, exec, s[4:5]
	v_pk_mov_b32 v[0:1], s[10:11], s[10:11] op_sel:[0,1]
	flat_load_dword v0, v[0:1] offset:180
	s_waitcnt vmcnt(0) lgkmcnt(0)
	v_add_u32_e32 v0, -1, v0
	v_cmp_ne_u32_e32 vcc, 45, v0
	s_and_saveexec_b64 s[4:5], vcc
	s_cbranch_execz .LBB49_316
; %bb.315:
	v_mov_b32_e32 v1, 0
	v_lshl_add_u32 v0, v0, 3, v1
	buffer_load_dword v1, v0, s[0:3], 0 offen
	buffer_load_dword v102, v0, s[0:3], 0 offen offset:4
	buffer_load_dword v103, off, s[0:3], 0 offset:360
	buffer_load_dword v104, off, s[0:3], 0 offset:364
	s_waitcnt vmcnt(3)
	buffer_store_dword v1, off, s[0:3], 0 offset:360
	s_waitcnt vmcnt(3)
	buffer_store_dword v102, off, s[0:3], 0 offset:364
	s_waitcnt vmcnt(3)
	buffer_store_dword v103, v0, s[0:3], 0 offen
	s_waitcnt vmcnt(3)
	buffer_store_dword v104, v0, s[0:3], 0 offen offset:4
.LBB49_316:
	s_or_b64 exec, exec, s[4:5]
	v_pk_mov_b32 v[0:1], s[10:11], s[10:11] op_sel:[0,1]
	flat_load_dword v0, v[0:1] offset:176
	s_waitcnt vmcnt(0) lgkmcnt(0)
	v_add_u32_e32 v0, -1, v0
	v_cmp_ne_u32_e32 vcc, 44, v0
	s_and_saveexec_b64 s[4:5], vcc
	s_cbranch_execz .LBB49_318
; %bb.317:
	v_mov_b32_e32 v1, 0
	v_lshl_add_u32 v0, v0, 3, v1
	buffer_load_dword v1, v0, s[0:3], 0 offen
	buffer_load_dword v102, v0, s[0:3], 0 offen offset:4
	buffer_load_dword v103, off, s[0:3], 0 offset:356
	buffer_load_dword v104, off, s[0:3], 0 offset:352
	s_waitcnt vmcnt(3)
	buffer_store_dword v1, off, s[0:3], 0 offset:352
	s_waitcnt vmcnt(3)
	buffer_store_dword v102, off, s[0:3], 0 offset:356
	s_waitcnt vmcnt(3)
	buffer_store_dword v103, v0, s[0:3], 0 offen offset:4
	s_waitcnt vmcnt(3)
	buffer_store_dword v104, v0, s[0:3], 0 offen
.LBB49_318:
	;; [unrolled: 48-line block ×23, first 2 shown]
	s_or_b64 exec, exec, s[4:5]
	v_pk_mov_b32 v[0:1], s[10:11], s[10:11] op_sel:[0,1]
	flat_load_dword v0, v[0:1] offset:4
	s_waitcnt vmcnt(0) lgkmcnt(0)
	v_add_u32_e32 v0, -1, v0
	v_cmp_ne_u32_e32 vcc, 1, v0
	s_and_saveexec_b64 s[4:5], vcc
	s_cbranch_execz .LBB49_404
; %bb.403:
	v_mov_b32_e32 v1, 0
	v_lshl_add_u32 v0, v0, 3, v1
	buffer_load_dword v1, v0, s[0:3], 0 offen
	buffer_load_dword v102, v0, s[0:3], 0 offen offset:4
	buffer_load_dword v103, off, s[0:3], 0 offset:8
	buffer_load_dword v104, off, s[0:3], 0 offset:12
	s_waitcnt vmcnt(3)
	buffer_store_dword v1, off, s[0:3], 0 offset:8
	s_waitcnt vmcnt(3)
	buffer_store_dword v102, off, s[0:3], 0 offset:12
	s_waitcnt vmcnt(3)
	buffer_store_dword v103, v0, s[0:3], 0 offen
	s_waitcnt vmcnt(3)
	buffer_store_dword v104, v0, s[0:3], 0 offen offset:4
.LBB49_404:
	s_or_b64 exec, exec, s[4:5]
	v_pk_mov_b32 v[0:1], s[10:11], s[10:11] op_sel:[0,1]
	flat_load_dword v102, v[0:1]
	s_nop 0
	buffer_load_dword v0, off, s[0:3], 0
	buffer_load_dword v1, off, s[0:3], 0 offset:4
	s_waitcnt vmcnt(0) lgkmcnt(0)
	v_add_u32_e32 v102, -1, v102
	v_cmp_ne_u32_e32 vcc, 0, v102
	s_and_saveexec_b64 s[4:5], vcc
	s_cbranch_execz .LBB49_406
; %bb.405:
	v_mov_b32_e32 v103, 0
	v_lshl_add_u32 v102, v102, 3, v103
	buffer_load_dword v103, v102, s[0:3], 0 offen offset:4
	buffer_load_dword v104, v102, s[0:3], 0 offen
	s_waitcnt vmcnt(1)
	buffer_store_dword v103, off, s[0:3], 0 offset:4
	s_waitcnt vmcnt(1)
	buffer_store_dword v104, off, s[0:3], 0
	buffer_store_dword v1, v102, s[0:3], 0 offen offset:4
	buffer_store_dword v0, v102, s[0:3], 0 offen
	buffer_load_dword v0, off, s[0:3], 0
	s_nop 0
	buffer_load_dword v1, off, s[0:3], 0 offset:4
.LBB49_406:
	s_or_b64 exec, exec, s[4:5]
.LBB49_407:
	s_waitcnt vmcnt(0)
	global_store_dwordx2 v[100:101], v[0:1], off
	buffer_load_dword v0, off, s[0:3], 0 offset:8
	s_nop 0
	buffer_load_dword v1, off, s[0:3], 0 offset:12
	buffer_load_dword v100, off, s[0:3], 0 offset:16
	;; [unrolled: 1-line block ×15, first 2 shown]
	s_waitcnt vmcnt(14)
	global_store_dwordx2 v[98:99], v[0:1], off
	s_waitcnt vmcnt(13)
	global_store_dwordx2 v[2:3], v[100:101], off
	;; [unrolled: 2-line block ×8, first 2 shown]
	buffer_load_dword v0, off, s[0:3], 0 offset:72
	buffer_load_dword v1, off, s[0:3], 0 offset:76
	s_waitcnt vmcnt(0)
	global_store_dwordx2 v[14:15], v[0:1], off
	buffer_load_dword v0, off, s[0:3], 0 offset:80
	s_nop 0
	buffer_load_dword v1, off, s[0:3], 0 offset:84
	s_waitcnt vmcnt(0)
	global_store_dwordx2 v[16:17], v[0:1], off
	buffer_load_dword v0, off, s[0:3], 0 offset:88
	s_nop 0
	;; [unrolled: 5-line block ×40, first 2 shown]
	buffer_load_dword v1, off, s[0:3], 0 offset:396
	s_waitcnt vmcnt(0)
	global_store_dwordx2 v[82:83], v[0:1], off
	s_endpgm
	.section	.rodata,"a",@progbits
	.p2align	6, 0x0
	.amdhsa_kernel _ZN9rocsolver6v33100L18getri_kernel_smallILi50EdPdEEvT1_iilPiilS4_bb
		.amdhsa_group_segment_fixed_size 808
		.amdhsa_private_segment_fixed_size 416
		.amdhsa_kernarg_size 60
		.amdhsa_user_sgpr_count 8
		.amdhsa_user_sgpr_private_segment_buffer 1
		.amdhsa_user_sgpr_dispatch_ptr 0
		.amdhsa_user_sgpr_queue_ptr 0
		.amdhsa_user_sgpr_kernarg_segment_ptr 1
		.amdhsa_user_sgpr_dispatch_id 0
		.amdhsa_user_sgpr_flat_scratch_init 1
		.amdhsa_user_sgpr_kernarg_preload_length 0
		.amdhsa_user_sgpr_kernarg_preload_offset 0
		.amdhsa_user_sgpr_private_segment_size 0
		.amdhsa_uses_dynamic_stack 0
		.amdhsa_system_sgpr_private_segment_wavefront_offset 1
		.amdhsa_system_sgpr_workgroup_id_x 1
		.amdhsa_system_sgpr_workgroup_id_y 0
		.amdhsa_system_sgpr_workgroup_id_z 0
		.amdhsa_system_sgpr_workgroup_info 0
		.amdhsa_system_vgpr_workitem_id 0
		.amdhsa_next_free_vgpr 166
		.amdhsa_next_free_sgpr 23
		.amdhsa_accum_offset 168
		.amdhsa_reserve_vcc 1
		.amdhsa_reserve_flat_scratch 1
		.amdhsa_float_round_mode_32 0
		.amdhsa_float_round_mode_16_64 0
		.amdhsa_float_denorm_mode_32 3
		.amdhsa_float_denorm_mode_16_64 3
		.amdhsa_dx10_clamp 1
		.amdhsa_ieee_mode 1
		.amdhsa_fp16_overflow 0
		.amdhsa_tg_split 0
		.amdhsa_exception_fp_ieee_invalid_op 0
		.amdhsa_exception_fp_denorm_src 0
		.amdhsa_exception_fp_ieee_div_zero 0
		.amdhsa_exception_fp_ieee_overflow 0
		.amdhsa_exception_fp_ieee_underflow 0
		.amdhsa_exception_fp_ieee_inexact 0
		.amdhsa_exception_int_div_zero 0
	.end_amdhsa_kernel
	.section	.text._ZN9rocsolver6v33100L18getri_kernel_smallILi50EdPdEEvT1_iilPiilS4_bb,"axG",@progbits,_ZN9rocsolver6v33100L18getri_kernel_smallILi50EdPdEEvT1_iilPiilS4_bb,comdat
.Lfunc_end49:
	.size	_ZN9rocsolver6v33100L18getri_kernel_smallILi50EdPdEEvT1_iilPiilS4_bb, .Lfunc_end49-_ZN9rocsolver6v33100L18getri_kernel_smallILi50EdPdEEvT1_iilPiilS4_bb
                                        ; -- End function
	.section	.AMDGPU.csdata,"",@progbits
; Kernel info:
; codeLenInByte = 60556
; NumSgprs: 29
; NumVgprs: 166
; NumAgprs: 0
; TotalNumVgprs: 166
; ScratchSize: 416
; MemoryBound: 1
; FloatMode: 240
; IeeeMode: 1
; LDSByteSize: 808 bytes/workgroup (compile time only)
; SGPRBlocks: 3
; VGPRBlocks: 20
; NumSGPRsForWavesPerEU: 29
; NumVGPRsForWavesPerEU: 166
; AccumOffset: 168
; Occupancy: 3
; WaveLimiterHint : 1
; COMPUTE_PGM_RSRC2:SCRATCH_EN: 1
; COMPUTE_PGM_RSRC2:USER_SGPR: 8
; COMPUTE_PGM_RSRC2:TRAP_HANDLER: 0
; COMPUTE_PGM_RSRC2:TGID_X_EN: 1
; COMPUTE_PGM_RSRC2:TGID_Y_EN: 0
; COMPUTE_PGM_RSRC2:TGID_Z_EN: 0
; COMPUTE_PGM_RSRC2:TIDIG_COMP_CNT: 0
; COMPUTE_PGM_RSRC3_GFX90A:ACCUM_OFFSET: 41
; COMPUTE_PGM_RSRC3_GFX90A:TG_SPLIT: 0
	.section	.text._ZN9rocsolver6v33100L18getri_kernel_smallILi51EdPdEEvT1_iilPiilS4_bb,"axG",@progbits,_ZN9rocsolver6v33100L18getri_kernel_smallILi51EdPdEEvT1_iilPiilS4_bb,comdat
	.globl	_ZN9rocsolver6v33100L18getri_kernel_smallILi51EdPdEEvT1_iilPiilS4_bb ; -- Begin function _ZN9rocsolver6v33100L18getri_kernel_smallILi51EdPdEEvT1_iilPiilS4_bb
	.p2align	8
	.type	_ZN9rocsolver6v33100L18getri_kernel_smallILi51EdPdEEvT1_iilPiilS4_bb,@function
_ZN9rocsolver6v33100L18getri_kernel_smallILi51EdPdEEvT1_iilPiilS4_bb: ; @_ZN9rocsolver6v33100L18getri_kernel_smallILi51EdPdEEvT1_iilPiilS4_bb
; %bb.0:
	s_add_u32 flat_scratch_lo, s6, s9
	s_addc_u32 flat_scratch_hi, s7, 0
	s_add_u32 s0, s0, s9
	s_addc_u32 s1, s1, 0
	v_cmp_gt_u32_e32 vcc, 51, v0
	s_and_saveexec_b64 s[6:7], vcc
	s_cbranch_execz .LBB50_212
; %bb.1:
	s_load_dword s22, s[4:5], 0x38
	s_load_dwordx4 s[16:19], s[4:5], 0x10
	s_load_dwordx4 s[12:15], s[4:5], 0x28
                                        ; implicit-def: $sgpr10_sgpr11
	s_waitcnt lgkmcnt(0)
	s_bitcmp1_b32 s22, 8
	s_cselect_b64 s[20:21], -1, 0
	s_ashr_i32 s9, s8, 31
	s_bfe_u32 s6, s22, 0x10008
	s_cmp_eq_u32 s6, 0
	s_cbranch_scc1 .LBB50_3
; %bb.2:
	s_load_dword s6, s[4:5], 0x20
	s_mul_i32 s7, s8, s13
	s_mul_hi_u32 s10, s8, s12
	s_mul_i32 s11, s9, s12
	s_add_i32 s10, s10, s7
	s_add_i32 s11, s10, s11
	s_mul_i32 s10, s8, s12
	s_waitcnt lgkmcnt(0)
	s_ashr_i32 s7, s6, 31
	s_lshl_b64 s[10:11], s[10:11], 2
	s_add_u32 s10, s18, s10
	s_addc_u32 s11, s19, s11
	s_lshl_b64 s[6:7], s[6:7], 2
	s_add_u32 s10, s10, s6
	s_addc_u32 s11, s11, s7
.LBB50_3:
	s_load_dwordx4 s[4:7], s[4:5], 0x0
	s_mul_i32 s12, s8, s17
	s_mul_hi_u32 s13, s8, s16
	s_add_i32 s17, s13, s12
	s_waitcnt lgkmcnt(0)
	s_ashr_i32 s13, s6, 31
	s_mov_b32 s12, s6
	s_mul_i32 s6, s9, s16
	s_add_i32 s17, s17, s6
	s_mul_i32 s16, s8, s16
	s_lshl_b64 s[16:17], s[16:17], 3
	s_add_u32 s6, s4, s16
	s_addc_u32 s16, s5, s17
	s_lshl_b64 s[4:5], s[12:13], 3
	s_add_u32 s4, s6, s4
	s_addc_u32 s5, s16, s5
	s_add_i32 s6, s7, s7
	v_add_u32_e32 v4, s6, v0
	v_ashrrev_i32_e32 v5, 31, v4
	v_lshlrev_b64 v[2:3], 3, v[4:5]
	v_add_u32_e32 v6, s7, v4
	v_mov_b32_e32 v1, s5
	v_add_co_u32_e32 v2, vcc, s4, v2
	v_ashrrev_i32_e32 v7, 31, v6
	v_addc_co_u32_e32 v3, vcc, v1, v3, vcc
	v_lshlrev_b64 v[4:5], 3, v[6:7]
	v_add_u32_e32 v8, s7, v6
	v_add_co_u32_e32 v4, vcc, s4, v4
	v_ashrrev_i32_e32 v9, 31, v8
	v_addc_co_u32_e32 v5, vcc, v1, v5, vcc
	v_lshlrev_b64 v[6:7], 3, v[8:9]
	v_add_u32_e32 v10, s7, v8
	v_add_co_u32_e32 v6, vcc, s4, v6
	v_ashrrev_i32_e32 v11, 31, v10
	v_addc_co_u32_e32 v7, vcc, v1, v7, vcc
	v_lshlrev_b64 v[8:9], 3, v[10:11]
	v_add_u32_e32 v12, s7, v10
	v_add_co_u32_e32 v8, vcc, s4, v8
	v_ashrrev_i32_e32 v13, 31, v12
	v_addc_co_u32_e32 v9, vcc, v1, v9, vcc
	v_lshlrev_b64 v[10:11], 3, v[12:13]
	v_add_u32_e32 v14, s7, v12
	v_add_co_u32_e32 v10, vcc, s4, v10
	v_ashrrev_i32_e32 v15, 31, v14
	v_addc_co_u32_e32 v11, vcc, v1, v11, vcc
	v_lshlrev_b64 v[12:13], 3, v[14:15]
	v_add_u32_e32 v14, s7, v14
	v_add_co_u32_e32 v12, vcc, s4, v12
	v_ashrrev_i32_e32 v15, 31, v14
	v_addc_co_u32_e32 v13, vcc, v1, v13, vcc
	v_lshlrev_b64 v[16:17], 3, v[14:15]
	v_add_co_u32_e32 v18, vcc, s4, v16
	v_add_u32_e32 v16, s7, v14
	v_addc_co_u32_e32 v19, vcc, v1, v17, vcc
	v_ashrrev_i32_e32 v17, 31, v16
	v_lshlrev_b64 v[14:15], 3, v[16:17]
	v_add_u32_e32 v20, s7, v16
	v_add_co_u32_e32 v14, vcc, s4, v14
	v_ashrrev_i32_e32 v21, 31, v20
	v_addc_co_u32_e32 v15, vcc, v1, v15, vcc
	v_lshlrev_b64 v[16:17], 3, v[20:21]
	v_add_u32_e32 v22, s7, v20
	v_add_co_u32_e32 v16, vcc, s4, v16
	v_ashrrev_i32_e32 v23, 31, v22
	v_addc_co_u32_e32 v17, vcc, v1, v17, vcc
	;; [unrolled: 5-line block ×33, first 2 shown]
	v_lshlrev_b64 v[82:83], 3, v[84:85]
	v_add_co_u32_e32 v82, vcc, s4, v82
	v_add_u32_e32 v84, s7, v84
	v_addc_co_u32_e32 v83, vcc, v1, v83, vcc
	v_ashrrev_i32_e32 v85, 31, v84
	v_lshlrev_b32_e32 v1, 3, v0
	v_lshlrev_b64 v[86:87], 3, v[84:85]
	v_mov_b32_e32 v85, s5
	v_add_co_u32_e32 v102, vcc, s4, v1
	s_ashr_i32 s13, s7, 31
	s_mov_b32 s12, s7
	v_addc_co_u32_e32 v103, vcc, 0, v85, vcc
	s_lshl_b64 s[12:13], s[12:13], 3
	v_mov_b32_e32 v85, s13
	v_add_co_u32_e32 v100, vcc, s12, v102
	global_load_dwordx2 v[104:105], v1, s[4:5]
	global_load_dwordx2 v[108:109], v[2:3], off
	global_load_dwordx2 v[110:111], v[4:5], off
	;; [unrolled: 1-line block ×3, first 2 shown]
	v_addc_co_u32_e32 v101, vcc, v103, v85, vcc
	global_load_dwordx2 v[106:107], v[100:101], off
	global_load_dwordx2 v[114:115], v[8:9], off
	;; [unrolled: 1-line block ×17, first 2 shown]
	v_add_u32_e32 v84, s7, v84
	v_mov_b32_e32 v88, s5
	v_add_co_u32_e32 v86, vcc, s4, v86
	v_ashrrev_i32_e32 v85, 31, v84
	v_addc_co_u32_e32 v87, vcc, v88, v87, vcc
	v_lshlrev_b64 v[88:89], 3, v[84:85]
	v_add_u32_e32 v84, s7, v84
	v_mov_b32_e32 v90, s5
	v_add_co_u32_e32 v88, vcc, s4, v88
	v_ashrrev_i32_e32 v85, 31, v84
	v_addc_co_u32_e32 v89, vcc, v90, v89, vcc
	v_lshlrev_b64 v[90:91], 3, v[84:85]
	;; [unrolled: 6-line block ×7, first 2 shown]
	v_add_co_u32_e32 v84, vcc, s4, v84
	v_addc_co_u32_e32 v85, vcc, v146, v85, vcc
	global_load_dwordx2 v[146:147], v[84:85], off
	s_waitcnt vmcnt(21)
	buffer_store_dword v105, off, s[0:3], 0 offset:4
	buffer_store_dword v104, off, s[0:3], 0
	s_waitcnt vmcnt(19)
	buffer_store_dword v107, off, s[0:3], 0 offset:12
	buffer_store_dword v106, off, s[0:3], 0 offset:8
	;; [unrolled: 1-line block ×8, first 2 shown]
	s_waitcnt vmcnt(26)
	buffer_store_dword v115, off, s[0:3], 0 offset:44
	buffer_store_dword v114, off, s[0:3], 0 offset:40
	s_waitcnt vmcnt(27)
	buffer_store_dword v117, off, s[0:3], 0 offset:52
	buffer_store_dword v116, off, s[0:3], 0 offset:48
	global_load_dwordx2 v[104:105], v[40:41], off
	global_load_dwordx2 v[106:107], v[42:43], off
	;; [unrolled: 1-line block ×15, first 2 shown]
	s_bitcmp0_b32 s22, 0
	s_waitcnt vmcnt(43)
	buffer_store_dword v119, off, s[0:3], 0 offset:60
	buffer_store_dword v118, off, s[0:3], 0 offset:56
	global_load_dwordx2 v[118:119], v[54:55], off
	s_mov_b64 s[6:7], -1
	s_waitcnt vmcnt(45)
	buffer_store_dword v121, off, s[0:3], 0 offset:68
	buffer_store_dword v120, off, s[0:3], 0 offset:64
	global_load_dwordx2 v[120:121], v[56:57], off
	s_waitcnt vmcnt(47)
	buffer_store_dword v122, off, s[0:3], 0 offset:72
	buffer_store_dword v123, off, s[0:3], 0 offset:76
	global_load_dwordx2 v[122:123], v[58:59], off
	;; [unrolled: 4-line block ×10, first 2 shown]
	s_nop 0
	buffer_store_dword v140, off, s[0:3], 0 offset:144
	buffer_store_dword v141, off, s[0:3], 0 offset:148
	global_load_dwordx2 v[140:141], v[90:91], off
	s_waitcnt vmcnt(62)
	buffer_store_dword v143, off, s[0:3], 0 offset:156
	buffer_store_dword v142, off, s[0:3], 0 offset:152
	global_load_dwordx2 v[142:143], v[94:95], off
	s_nop 0
	buffer_store_dword v145, off, s[0:3], 0 offset:164
	buffer_store_dword v144, off, s[0:3], 0 offset:160
	global_load_dwordx2 v[144:145], v[98:99], off
	s_waitcnt vmcnt(56)
	buffer_store_dword v104, off, s[0:3], 0 offset:168
	buffer_store_dword v105, off, s[0:3], 0 offset:172
	s_waitcnt vmcnt(57)
	buffer_store_dword v106, off, s[0:3], 0 offset:176
	buffer_store_dword v107, off, s[0:3], 0 offset:180
	;; [unrolled: 3-line block ×13, first 2 shown]
	buffer_store_dword v148, off, s[0:3], 0 offset:272
	buffer_store_dword v149, off, s[0:3], 0 offset:276
	s_waitcnt vmcnt(49)
	buffer_store_dword v130, off, s[0:3], 0 offset:280
	buffer_store_dword v131, off, s[0:3], 0 offset:284
	buffer_store_dword v150, off, s[0:3], 0 offset:288
	buffer_store_dword v151, off, s[0:3], 0 offset:292
	s_waitcnt vmcnt(50)
	buffer_store_dword v133, off, s[0:3], 0 offset:300
	buffer_store_dword v132, off, s[0:3], 0 offset:296
	;; [unrolled: 5-line block ×8, first 2 shown]
	buffer_store_dword v147, off, s[0:3], 0 offset:404
	buffer_store_dword v146, off, s[0:3], 0 offset:400
	s_cbranch_scc1 .LBB50_210
; %bb.4:
	v_cmp_eq_u32_e64 s[4:5], 0, v0
	s_and_saveexec_b64 s[6:7], s[4:5]
	s_cbranch_execz .LBB50_6
; %bb.5:
	v_mov_b32_e32 v104, 0
	ds_write_b32 v104, v104 offset:408
.LBB50_6:
	s_or_b64 exec, exec, s[6:7]
	v_mov_b32_e32 v104, 0
	v_lshl_add_u32 v104, v0, 3, v104
	s_waitcnt lgkmcnt(0)
	; wave barrier
	s_waitcnt lgkmcnt(0)
	buffer_load_dword v106, v104, s[0:3], 0 offen
	buffer_load_dword v107, v104, s[0:3], 0 offen offset:4
	s_waitcnt vmcnt(0)
	v_cmp_eq_f64_e32 vcc, 0, v[106:107]
	s_and_saveexec_b64 s[12:13], vcc
	s_cbranch_execz .LBB50_10
; %bb.7:
	v_mov_b32_e32 v105, 0
	ds_read_b32 v107, v105 offset:408
	v_add_u32_e32 v106, 1, v0
	s_waitcnt lgkmcnt(0)
	v_readfirstlane_b32 s6, v107
	s_cmp_eq_u32 s6, 0
	s_cselect_b64 s[16:17], -1, 0
	v_cmp_gt_i32_e32 vcc, s6, v106
	s_or_b64 s[16:17], s[16:17], vcc
	s_and_b64 exec, exec, s[16:17]
	s_cbranch_execz .LBB50_10
; %bb.8:
	s_mov_b64 s[16:17], 0
	v_mov_b32_e32 v107, s6
.LBB50_9:                               ; =>This Inner Loop Header: Depth=1
	ds_cmpst_rtn_b32 v107, v105, v107, v106 offset:408
	s_waitcnt lgkmcnt(0)
	v_cmp_ne_u32_e32 vcc, 0, v107
	v_cmp_le_i32_e64 s[6:7], v107, v106
	s_and_b64 s[6:7], vcc, s[6:7]
	s_and_b64 s[6:7], exec, s[6:7]
	s_or_b64 s[16:17], s[6:7], s[16:17]
	s_andn2_b64 exec, exec, s[16:17]
	s_cbranch_execnz .LBB50_9
.LBB50_10:
	s_or_b64 exec, exec, s[12:13]
	v_mov_b32_e32 v106, 0
	s_waitcnt lgkmcnt(0)
	; wave barrier
	ds_read_b32 v105, v106 offset:408
	s_and_saveexec_b64 s[6:7], s[4:5]
	s_cbranch_execz .LBB50_12
; %bb.11:
	s_lshl_b64 s[12:13], s[8:9], 2
	s_add_u32 s12, s14, s12
	s_addc_u32 s13, s15, s13
	s_waitcnt lgkmcnt(0)
	global_store_dword v106, v105, s[12:13]
.LBB50_12:
	s_or_b64 exec, exec, s[6:7]
	s_waitcnt lgkmcnt(0)
	v_cmp_ne_u32_e32 vcc, 0, v105
	s_mov_b64 s[6:7], 0
	s_cbranch_vccnz .LBB50_210
; %bb.13:
	buffer_load_dword v106, v104, s[0:3], 0 offen
	buffer_load_dword v107, v104, s[0:3], 0 offen offset:4
	s_waitcnt vmcnt(0)
	v_div_scale_f64 v[108:109], s[6:7], v[106:107], v[106:107], 1.0
	v_rcp_f64_e32 v[110:111], v[108:109]
	v_div_scale_f64 v[112:113], vcc, 1.0, v[106:107], 1.0
	v_fma_f64 v[114:115], -v[108:109], v[110:111], 1.0
	v_fmac_f64_e32 v[110:111], v[110:111], v[114:115]
	v_fma_f64 v[114:115], -v[108:109], v[110:111], 1.0
	v_fmac_f64_e32 v[110:111], v[110:111], v[114:115]
	v_mul_f64 v[114:115], v[112:113], v[110:111]
	v_fma_f64 v[108:109], -v[108:109], v[114:115], v[112:113]
	v_div_fmas_f64 v[108:109], v[108:109], v[110:111], v[114:115]
	v_div_fixup_f64 v[108:109], v[108:109], v[106:107], 1.0
	buffer_store_dword v109, v104, s[0:3], 0 offen offset:4
	buffer_store_dword v108, v104, s[0:3], 0 offen
	buffer_load_dword v111, off, s[0:3], 0 offset:12
	buffer_load_dword v110, off, s[0:3], 0 offset:8
	v_add_u32_e32 v106, 0x1a0, v1
	v_xor_b32_e32 v109, 0x80000000, v109
	s_waitcnt vmcnt(0)
	ds_write2_b64 v1, v[108:109], v[110:111] offset1:52
	s_waitcnt lgkmcnt(0)
	; wave barrier
	s_waitcnt lgkmcnt(0)
	s_and_saveexec_b64 s[6:7], s[4:5]
	s_cbranch_execz .LBB50_15
; %bb.14:
	buffer_load_dword v108, v104, s[0:3], 0 offen
	buffer_load_dword v109, v104, s[0:3], 0 offen offset:4
	v_mov_b32_e32 v105, 0
	ds_read_b64 v[110:111], v106
	ds_read_b64 v[112:113], v105 offset:8
	s_waitcnt vmcnt(0) lgkmcnt(1)
	v_fma_f64 v[108:109], v[108:109], v[110:111], 0
	s_waitcnt lgkmcnt(0)
	v_mul_f64 v[108:109], v[108:109], v[112:113]
	buffer_store_dword v108, off, s[0:3], 0 offset:8
	buffer_store_dword v109, off, s[0:3], 0 offset:12
.LBB50_15:
	s_or_b64 exec, exec, s[6:7]
	s_waitcnt lgkmcnt(0)
	; wave barrier
	buffer_load_dword v108, off, s[0:3], 0 offset:16
	buffer_load_dword v109, off, s[0:3], 0 offset:20
	v_cmp_gt_u32_e32 vcc, 2, v0
	s_waitcnt vmcnt(0)
	ds_write_b64 v106, v[108:109]
	s_waitcnt lgkmcnt(0)
	; wave barrier
	s_waitcnt lgkmcnt(0)
	s_and_saveexec_b64 s[6:7], vcc
	s_cbranch_execz .LBB50_17
; %bb.16:
	buffer_load_dword v105, v104, s[0:3], 0 offen offset:4
	buffer_load_dword v112, off, s[0:3], 0 offset:8
	s_nop 0
	buffer_load_dword v104, v104, s[0:3], 0 offen
	s_nop 0
	buffer_load_dword v113, off, s[0:3], 0 offset:12
	ds_read_b64 v[114:115], v106
	v_mov_b32_e32 v107, 0
	ds_read2_b64 v[108:111], v107 offset0:2 offset1:53
	s_waitcnt vmcnt(1) lgkmcnt(1)
	v_fma_f64 v[104:105], v[104:105], v[114:115], 0
	s_waitcnt vmcnt(0) lgkmcnt(0)
	v_fma_f64 v[110:111], v[112:113], v[110:111], v[104:105]
	v_cndmask_b32_e64 v105, v105, v111, s[4:5]
	v_cndmask_b32_e64 v104, v104, v110, s[4:5]
	v_mul_f64 v[104:105], v[104:105], v[108:109]
	buffer_store_dword v105, off, s[0:3], 0 offset:20
	buffer_store_dword v104, off, s[0:3], 0 offset:16
.LBB50_17:
	s_or_b64 exec, exec, s[6:7]
	s_waitcnt lgkmcnt(0)
	; wave barrier
	buffer_load_dword v104, off, s[0:3], 0 offset:24
	buffer_load_dword v105, off, s[0:3], 0 offset:28
	v_cmp_gt_u32_e32 vcc, 3, v0
	v_add_u32_e32 v107, -1, v0
	s_waitcnt vmcnt(0)
	ds_write_b64 v106, v[104:105]
	s_waitcnt lgkmcnt(0)
	; wave barrier
	s_waitcnt lgkmcnt(0)
	s_and_saveexec_b64 s[4:5], vcc
	s_cbranch_execz .LBB50_21
; %bb.18:
	v_add_u32_e32 v108, -1, v0
	v_add_u32_e32 v109, 0x1a0, v1
	v_add_u32_e32 v110, 0, v1
	s_mov_b64 s[6:7], 0
	v_pk_mov_b32 v[104:105], 0, 0
.LBB50_19:                              ; =>This Inner Loop Header: Depth=1
	buffer_load_dword v112, v110, s[0:3], 0 offen
	buffer_load_dword v113, v110, s[0:3], 0 offen offset:4
	ds_read_b64 v[114:115], v109
	v_add_u32_e32 v108, 1, v108
	v_cmp_lt_u32_e32 vcc, 1, v108
	v_add_u32_e32 v109, 8, v109
	v_add_u32_e32 v110, 8, v110
	s_or_b64 s[6:7], vcc, s[6:7]
	s_waitcnt vmcnt(0) lgkmcnt(0)
	v_fmac_f64_e32 v[104:105], v[112:113], v[114:115]
	s_andn2_b64 exec, exec, s[6:7]
	s_cbranch_execnz .LBB50_19
; %bb.20:
	s_or_b64 exec, exec, s[6:7]
	v_mov_b32_e32 v108, 0
	ds_read_b64 v[108:109], v108 offset:24
	s_waitcnt lgkmcnt(0)
	v_mul_f64 v[104:105], v[104:105], v[108:109]
	buffer_store_dword v105, off, s[0:3], 0 offset:28
	buffer_store_dword v104, off, s[0:3], 0 offset:24
.LBB50_21:
	s_or_b64 exec, exec, s[4:5]
	s_waitcnt lgkmcnt(0)
	; wave barrier
	buffer_load_dword v104, off, s[0:3], 0 offset:32
	buffer_load_dword v105, off, s[0:3], 0 offset:36
	v_cmp_gt_u32_e32 vcc, 4, v0
	s_waitcnt vmcnt(0)
	ds_write_b64 v106, v[104:105]
	s_waitcnt lgkmcnt(0)
	; wave barrier
	s_waitcnt lgkmcnt(0)
	s_and_saveexec_b64 s[4:5], vcc
	s_cbranch_execz .LBB50_25
; %bb.22:
	v_add_u32_e32 v108, -1, v0
	v_add_u32_e32 v109, 0x1a0, v1
	v_add_u32_e32 v110, 0, v1
	s_mov_b64 s[6:7], 0
	v_pk_mov_b32 v[104:105], 0, 0
.LBB50_23:                              ; =>This Inner Loop Header: Depth=1
	buffer_load_dword v112, v110, s[0:3], 0 offen
	buffer_load_dword v113, v110, s[0:3], 0 offen offset:4
	ds_read_b64 v[114:115], v109
	v_add_u32_e32 v108, 1, v108
	v_cmp_lt_u32_e32 vcc, 2, v108
	v_add_u32_e32 v109, 8, v109
	v_add_u32_e32 v110, 8, v110
	s_or_b64 s[6:7], vcc, s[6:7]
	s_waitcnt vmcnt(0) lgkmcnt(0)
	v_fmac_f64_e32 v[104:105], v[112:113], v[114:115]
	s_andn2_b64 exec, exec, s[6:7]
	s_cbranch_execnz .LBB50_23
; %bb.24:
	s_or_b64 exec, exec, s[6:7]
	v_mov_b32_e32 v108, 0
	ds_read_b64 v[108:109], v108 offset:32
	s_waitcnt lgkmcnt(0)
	v_mul_f64 v[104:105], v[104:105], v[108:109]
	buffer_store_dword v105, off, s[0:3], 0 offset:36
	buffer_store_dword v104, off, s[0:3], 0 offset:32
.LBB50_25:
	s_or_b64 exec, exec, s[4:5]
	s_waitcnt lgkmcnt(0)
	; wave barrier
	buffer_load_dword v104, off, s[0:3], 0 offset:40
	buffer_load_dword v105, off, s[0:3], 0 offset:44
	v_cmp_gt_u32_e32 vcc, 5, v0
	;; [unrolled: 41-line block ×21, first 2 shown]
	s_waitcnt vmcnt(0)
	ds_write_b64 v106, v[104:105]
	s_waitcnt lgkmcnt(0)
	; wave barrier
	s_waitcnt lgkmcnt(0)
	s_and_saveexec_b64 s[4:5], vcc
	s_cbranch_execz .LBB50_105
; %bb.102:
	v_add_u32_e32 v108, -1, v0
	v_add_u32_e32 v109, 0x1a0, v1
	v_add_u32_e32 v110, 0, v1
	s_mov_b64 s[6:7], 0
	v_pk_mov_b32 v[104:105], 0, 0
.LBB50_103:                             ; =>This Inner Loop Header: Depth=1
	buffer_load_dword v112, v110, s[0:3], 0 offen
	buffer_load_dword v113, v110, s[0:3], 0 offen offset:4
	ds_read_b64 v[114:115], v109
	v_add_u32_e32 v108, 1, v108
	v_cmp_lt_u32_e32 vcc, 22, v108
	v_add_u32_e32 v109, 8, v109
	v_add_u32_e32 v110, 8, v110
	s_or_b64 s[6:7], vcc, s[6:7]
	s_waitcnt vmcnt(0) lgkmcnt(0)
	v_fmac_f64_e32 v[104:105], v[112:113], v[114:115]
	s_andn2_b64 exec, exec, s[6:7]
	s_cbranch_execnz .LBB50_103
; %bb.104:
	s_or_b64 exec, exec, s[6:7]
	v_mov_b32_e32 v108, 0
	ds_read_b64 v[108:109], v108 offset:192
	s_waitcnt lgkmcnt(0)
	v_mul_f64 v[104:105], v[104:105], v[108:109]
	buffer_store_dword v105, off, s[0:3], 0 offset:196
	buffer_store_dword v104, off, s[0:3], 0 offset:192
.LBB50_105:
	s_or_b64 exec, exec, s[4:5]
	s_waitcnt lgkmcnt(0)
	; wave barrier
	buffer_load_dword v104, off, s[0:3], 0 offset:200
	buffer_load_dword v105, off, s[0:3], 0 offset:204
	v_cmp_gt_u32_e32 vcc, 25, v0
	s_waitcnt vmcnt(0)
	ds_write_b64 v106, v[104:105]
	s_waitcnt lgkmcnt(0)
	; wave barrier
	s_waitcnt lgkmcnt(0)
	s_and_saveexec_b64 s[4:5], vcc
	s_cbranch_execz .LBB50_109
; %bb.106:
	v_add_u32_e32 v108, -1, v0
	v_add_u32_e32 v109, 0x1a0, v1
	v_add_u32_e32 v110, 0, v1
	s_mov_b64 s[6:7], 0
	v_pk_mov_b32 v[104:105], 0, 0
.LBB50_107:                             ; =>This Inner Loop Header: Depth=1
	buffer_load_dword v112, v110, s[0:3], 0 offen
	buffer_load_dword v113, v110, s[0:3], 0 offen offset:4
	ds_read_b64 v[114:115], v109
	v_add_u32_e32 v108, 1, v108
	v_cmp_lt_u32_e32 vcc, 23, v108
	v_add_u32_e32 v109, 8, v109
	v_add_u32_e32 v110, 8, v110
	s_or_b64 s[6:7], vcc, s[6:7]
	s_waitcnt vmcnt(0) lgkmcnt(0)
	v_fmac_f64_e32 v[104:105], v[112:113], v[114:115]
	s_andn2_b64 exec, exec, s[6:7]
	s_cbranch_execnz .LBB50_107
; %bb.108:
	s_or_b64 exec, exec, s[6:7]
	v_mov_b32_e32 v108, 0
	ds_read_b64 v[108:109], v108 offset:200
	s_waitcnt lgkmcnt(0)
	v_mul_f64 v[104:105], v[104:105], v[108:109]
	buffer_store_dword v105, off, s[0:3], 0 offset:204
	buffer_store_dword v104, off, s[0:3], 0 offset:200
.LBB50_109:
	s_or_b64 exec, exec, s[4:5]
	s_waitcnt lgkmcnt(0)
	; wave barrier
	buffer_load_dword v104, off, s[0:3], 0 offset:208
	buffer_load_dword v105, off, s[0:3], 0 offset:212
	v_cmp_gt_u32_e32 vcc, 26, v0
	;; [unrolled: 41-line block ×25, first 2 shown]
	s_waitcnt vmcnt(0)
	ds_write_b64 v106, v[104:105]
	s_waitcnt lgkmcnt(0)
	; wave barrier
	s_waitcnt lgkmcnt(0)
	s_and_saveexec_b64 s[4:5], vcc
	s_cbranch_execz .LBB50_205
; %bb.202:
	v_add_u32_e32 v108, -1, v0
	v_add_u32_e32 v109, 0x1a0, v1
	v_add_u32_e32 v110, 0, v1
	s_mov_b64 s[6:7], 0
	v_pk_mov_b32 v[104:105], 0, 0
.LBB50_203:                             ; =>This Inner Loop Header: Depth=1
	buffer_load_dword v112, v110, s[0:3], 0 offen
	buffer_load_dword v113, v110, s[0:3], 0 offen offset:4
	ds_read_b64 v[114:115], v109
	v_add_u32_e32 v108, 1, v108
	v_cmp_lt_u32_e32 vcc, 47, v108
	v_add_u32_e32 v109, 8, v109
	v_add_u32_e32 v110, 8, v110
	s_or_b64 s[6:7], vcc, s[6:7]
	s_waitcnt vmcnt(0) lgkmcnt(0)
	v_fmac_f64_e32 v[104:105], v[112:113], v[114:115]
	s_andn2_b64 exec, exec, s[6:7]
	s_cbranch_execnz .LBB50_203
; %bb.204:
	s_or_b64 exec, exec, s[6:7]
	v_mov_b32_e32 v108, 0
	ds_read_b64 v[108:109], v108 offset:392
	s_waitcnt lgkmcnt(0)
	v_mul_f64 v[104:105], v[104:105], v[108:109]
	buffer_store_dword v105, off, s[0:3], 0 offset:396
	buffer_store_dword v104, off, s[0:3], 0 offset:392
.LBB50_205:
	s_or_b64 exec, exec, s[4:5]
	s_waitcnt lgkmcnt(0)
	; wave barrier
	buffer_load_dword v104, off, s[0:3], 0 offset:400
	buffer_load_dword v105, off, s[0:3], 0 offset:404
	v_cmp_ne_u32_e32 vcc, 50, v0
	s_waitcnt vmcnt(0)
	ds_write_b64 v106, v[104:105]
	s_waitcnt lgkmcnt(0)
	; wave barrier
	s_waitcnt lgkmcnt(0)
	s_and_saveexec_b64 s[4:5], vcc
	s_cbranch_execz .LBB50_209
; %bb.206:
	v_add_u32_e32 v106, 0x1a0, v1
	v_add_u32_e32 v1, 0, v1
	s_mov_b64 s[6:7], 0
	v_pk_mov_b32 v[104:105], 0, 0
.LBB50_207:                             ; =>This Inner Loop Header: Depth=1
	buffer_load_dword v108, v1, s[0:3], 0 offen
	buffer_load_dword v109, v1, s[0:3], 0 offen offset:4
	ds_read_b64 v[110:111], v106
	v_add_u32_e32 v107, 1, v107
	v_cmp_lt_u32_e32 vcc, 48, v107
	v_add_u32_e32 v106, 8, v106
	v_add_u32_e32 v1, 8, v1
	s_or_b64 s[6:7], vcc, s[6:7]
	s_waitcnt vmcnt(0) lgkmcnt(0)
	v_fmac_f64_e32 v[104:105], v[108:109], v[110:111]
	s_andn2_b64 exec, exec, s[6:7]
	s_cbranch_execnz .LBB50_207
; %bb.208:
	s_or_b64 exec, exec, s[6:7]
	v_mov_b32_e32 v1, 0
	ds_read_b64 v[106:107], v1 offset:400
	s_waitcnt lgkmcnt(0)
	v_mul_f64 v[104:105], v[104:105], v[106:107]
	buffer_store_dword v105, off, s[0:3], 0 offset:404
	buffer_store_dword v104, off, s[0:3], 0 offset:400
.LBB50_209:
	s_or_b64 exec, exec, s[4:5]
	s_mov_b64 s[6:7], -1
	s_waitcnt lgkmcnt(0)
	; wave barrier
.LBB50_210:
	s_and_b64 vcc, exec, s[6:7]
	s_cbranch_vccz .LBB50_212
; %bb.211:
	s_lshl_b64 s[4:5], s[8:9], 2
	s_add_u32 s4, s14, s4
	s_addc_u32 s5, s15, s5
	v_mov_b32_e32 v1, 0
	global_load_dword v1, v1, s[4:5]
	s_waitcnt vmcnt(0)
	v_cmp_ne_u32_e32 vcc, 0, v1
	s_cbranch_vccz .LBB50_213
.LBB50_212:
	s_endpgm
.LBB50_213:
	v_mov_b32_e32 v1, 0x1a0
	v_lshl_add_u32 v1, v0, 3, v1
	v_cmp_eq_u32_e32 vcc, 50, v0
	s_and_saveexec_b64 s[4:5], vcc
	s_cbranch_execz .LBB50_215
; %bb.214:
	buffer_load_dword v104, off, s[0:3], 0 offset:392
	buffer_load_dword v105, off, s[0:3], 0 offset:396
	v_mov_b32_e32 v106, 0
	buffer_store_dword v106, off, s[0:3], 0 offset:392
	buffer_store_dword v106, off, s[0:3], 0 offset:396
	s_waitcnt vmcnt(2)
	ds_write_b64 v1, v[104:105]
.LBB50_215:
	s_or_b64 exec, exec, s[4:5]
	s_waitcnt lgkmcnt(0)
	; wave barrier
	s_waitcnt lgkmcnt(0)
	buffer_load_dword v106, off, s[0:3], 0 offset:400
	buffer_load_dword v107, off, s[0:3], 0 offset:404
	;; [unrolled: 1-line block ×4, first 2 shown]
	v_mov_b32_e32 v104, 0
	ds_read_b64 v[110:111], v104 offset:816
	v_cmp_lt_u32_e32 vcc, 48, v0
	s_waitcnt vmcnt(2) lgkmcnt(0)
	v_fma_f64 v[106:107], v[106:107], v[110:111], 0
	s_waitcnt vmcnt(0)
	v_add_f64 v[106:107], v[108:109], -v[106:107]
	buffer_store_dword v106, off, s[0:3], 0 offset:392
	buffer_store_dword v107, off, s[0:3], 0 offset:396
	s_and_saveexec_b64 s[4:5], vcc
	s_cbranch_execz .LBB50_217
; %bb.216:
	buffer_load_dword v106, off, s[0:3], 0 offset:384
	buffer_load_dword v107, off, s[0:3], 0 offset:388
	s_waitcnt vmcnt(0)
	ds_write_b64 v1, v[106:107]
	buffer_store_dword v104, off, s[0:3], 0 offset:384
	buffer_store_dword v104, off, s[0:3], 0 offset:388
.LBB50_217:
	s_or_b64 exec, exec, s[4:5]
	s_waitcnt lgkmcnt(0)
	; wave barrier
	s_waitcnt lgkmcnt(0)
	buffer_load_dword v108, off, s[0:3], 0 offset:392
	buffer_load_dword v109, off, s[0:3], 0 offset:396
	buffer_load_dword v110, off, s[0:3], 0 offset:400
	buffer_load_dword v111, off, s[0:3], 0 offset:404
	buffer_load_dword v112, off, s[0:3], 0 offset:384
	buffer_load_dword v113, off, s[0:3], 0 offset:388
	ds_read2_b64 v[104:107], v104 offset0:101 offset1:102
	v_cmp_lt_u32_e32 vcc, 47, v0
	s_waitcnt vmcnt(4) lgkmcnt(0)
	v_fma_f64 v[104:105], v[108:109], v[104:105], 0
	s_waitcnt vmcnt(2)
	v_fmac_f64_e32 v[104:105], v[110:111], v[106:107]
	s_waitcnt vmcnt(0)
	v_add_f64 v[104:105], v[112:113], -v[104:105]
	buffer_store_dword v104, off, s[0:3], 0 offset:384
	buffer_store_dword v105, off, s[0:3], 0 offset:388
	s_and_saveexec_b64 s[4:5], vcc
	s_cbranch_execz .LBB50_219
; %bb.218:
	buffer_load_dword v104, off, s[0:3], 0 offset:376
	buffer_load_dword v105, off, s[0:3], 0 offset:380
	v_mov_b32_e32 v106, 0
	buffer_store_dword v106, off, s[0:3], 0 offset:376
	buffer_store_dword v106, off, s[0:3], 0 offset:380
	s_waitcnt vmcnt(2)
	ds_write_b64 v1, v[104:105]
.LBB50_219:
	s_or_b64 exec, exec, s[4:5]
	s_waitcnt lgkmcnt(0)
	; wave barrier
	s_waitcnt lgkmcnt(0)
	buffer_load_dword v110, off, s[0:3], 0 offset:384
	buffer_load_dword v111, off, s[0:3], 0 offset:388
	buffer_load_dword v112, off, s[0:3], 0 offset:392
	buffer_load_dword v113, off, s[0:3], 0 offset:396
	buffer_load_dword v114, off, s[0:3], 0 offset:400
	buffer_load_dword v115, off, s[0:3], 0 offset:404
	buffer_load_dword v116, off, s[0:3], 0 offset:376
	buffer_load_dword v117, off, s[0:3], 0 offset:380
	v_mov_b32_e32 v104, 0
	ds_read_b128 v[106:109], v104 offset:800
	ds_read_b64 v[118:119], v104 offset:816
	v_cmp_lt_u32_e32 vcc, 46, v0
	s_waitcnt vmcnt(6) lgkmcnt(1)
	v_fma_f64 v[106:107], v[110:111], v[106:107], 0
	s_waitcnt vmcnt(4)
	v_fmac_f64_e32 v[106:107], v[112:113], v[108:109]
	s_waitcnt vmcnt(2) lgkmcnt(0)
	v_fmac_f64_e32 v[106:107], v[114:115], v[118:119]
	s_waitcnt vmcnt(0)
	v_add_f64 v[106:107], v[116:117], -v[106:107]
	buffer_store_dword v106, off, s[0:3], 0 offset:376
	buffer_store_dword v107, off, s[0:3], 0 offset:380
	s_and_saveexec_b64 s[4:5], vcc
	s_cbranch_execz .LBB50_221
; %bb.220:
	buffer_load_dword v106, off, s[0:3], 0 offset:368
	buffer_load_dword v107, off, s[0:3], 0 offset:372
	s_waitcnt vmcnt(0)
	ds_write_b64 v1, v[106:107]
	buffer_store_dword v104, off, s[0:3], 0 offset:368
	buffer_store_dword v104, off, s[0:3], 0 offset:372
.LBB50_221:
	s_or_b64 exec, exec, s[4:5]
	s_waitcnt lgkmcnt(0)
	; wave barrier
	s_waitcnt lgkmcnt(0)
	buffer_load_dword v114, off, s[0:3], 0 offset:376
	buffer_load_dword v115, off, s[0:3], 0 offset:380
	;; [unrolled: 1-line block ×10, first 2 shown]
	ds_read2_b64 v[106:109], v104 offset0:99 offset1:100
	ds_read2_b64 v[110:113], v104 offset0:101 offset1:102
	v_cmp_lt_u32_e32 vcc, 45, v0
	s_waitcnt vmcnt(8) lgkmcnt(1)
	v_fma_f64 v[104:105], v[114:115], v[106:107], 0
	s_waitcnt vmcnt(6)
	v_fmac_f64_e32 v[104:105], v[116:117], v[108:109]
	s_waitcnt vmcnt(4) lgkmcnt(0)
	v_fmac_f64_e32 v[104:105], v[118:119], v[110:111]
	s_waitcnt vmcnt(2)
	v_fmac_f64_e32 v[104:105], v[120:121], v[112:113]
	s_waitcnt vmcnt(0)
	v_add_f64 v[104:105], v[122:123], -v[104:105]
	buffer_store_dword v104, off, s[0:3], 0 offset:368
	buffer_store_dword v105, off, s[0:3], 0 offset:372
	s_and_saveexec_b64 s[4:5], vcc
	s_cbranch_execz .LBB50_223
; %bb.222:
	buffer_load_dword v104, off, s[0:3], 0 offset:360
	buffer_load_dword v105, off, s[0:3], 0 offset:364
	v_mov_b32_e32 v106, 0
	buffer_store_dword v106, off, s[0:3], 0 offset:360
	buffer_store_dword v106, off, s[0:3], 0 offset:364
	s_waitcnt vmcnt(2)
	ds_write_b64 v1, v[104:105]
.LBB50_223:
	s_or_b64 exec, exec, s[4:5]
	s_waitcnt lgkmcnt(0)
	; wave barrier
	s_waitcnt lgkmcnt(0)
	buffer_load_dword v114, off, s[0:3], 0 offset:368
	buffer_load_dword v115, off, s[0:3], 0 offset:372
	;; [unrolled: 1-line block ×12, first 2 shown]
	v_mov_b32_e32 v104, 0
	ds_read_b128 v[106:109], v104 offset:784
	ds_read_b128 v[110:113], v104 offset:800
	ds_read_b64 v[126:127], v104 offset:816
	v_cmp_lt_u32_e32 vcc, 44, v0
	s_waitcnt vmcnt(10) lgkmcnt(2)
	v_fma_f64 v[106:107], v[114:115], v[106:107], 0
	s_waitcnt vmcnt(8)
	v_fmac_f64_e32 v[106:107], v[116:117], v[108:109]
	s_waitcnt vmcnt(6) lgkmcnt(1)
	v_fmac_f64_e32 v[106:107], v[118:119], v[110:111]
	s_waitcnt vmcnt(4)
	v_fmac_f64_e32 v[106:107], v[120:121], v[112:113]
	s_waitcnt vmcnt(2) lgkmcnt(0)
	v_fmac_f64_e32 v[106:107], v[122:123], v[126:127]
	s_waitcnt vmcnt(0)
	v_add_f64 v[106:107], v[124:125], -v[106:107]
	buffer_store_dword v106, off, s[0:3], 0 offset:360
	buffer_store_dword v107, off, s[0:3], 0 offset:364
	s_and_saveexec_b64 s[4:5], vcc
	s_cbranch_execz .LBB50_225
; %bb.224:
	buffer_load_dword v106, off, s[0:3], 0 offset:352
	buffer_load_dword v107, off, s[0:3], 0 offset:356
	s_waitcnt vmcnt(0)
	ds_write_b64 v1, v[106:107]
	buffer_store_dword v104, off, s[0:3], 0 offset:352
	buffer_store_dword v104, off, s[0:3], 0 offset:356
.LBB50_225:
	s_or_b64 exec, exec, s[4:5]
	s_waitcnt lgkmcnt(0)
	; wave barrier
	s_waitcnt lgkmcnt(0)
	buffer_load_dword v118, off, s[0:3], 0 offset:360
	buffer_load_dword v119, off, s[0:3], 0 offset:364
	;; [unrolled: 1-line block ×14, first 2 shown]
	ds_read2_b64 v[106:109], v104 offset0:97 offset1:98
	ds_read2_b64 v[110:113], v104 offset0:99 offset1:100
	;; [unrolled: 1-line block ×3, first 2 shown]
	v_cmp_lt_u32_e32 vcc, 43, v0
	s_waitcnt vmcnt(12) lgkmcnt(2)
	v_fma_f64 v[104:105], v[118:119], v[106:107], 0
	s_waitcnt vmcnt(10)
	v_fmac_f64_e32 v[104:105], v[120:121], v[108:109]
	s_waitcnt vmcnt(8) lgkmcnt(1)
	v_fmac_f64_e32 v[104:105], v[122:123], v[110:111]
	s_waitcnt vmcnt(6)
	v_fmac_f64_e32 v[104:105], v[124:125], v[112:113]
	s_waitcnt vmcnt(4) lgkmcnt(0)
	v_fmac_f64_e32 v[104:105], v[126:127], v[114:115]
	s_waitcnt vmcnt(2)
	v_fmac_f64_e32 v[104:105], v[128:129], v[116:117]
	s_waitcnt vmcnt(0)
	v_add_f64 v[104:105], v[130:131], -v[104:105]
	buffer_store_dword v104, off, s[0:3], 0 offset:352
	buffer_store_dword v105, off, s[0:3], 0 offset:356
	s_and_saveexec_b64 s[4:5], vcc
	s_cbranch_execz .LBB50_227
; %bb.226:
	buffer_load_dword v104, off, s[0:3], 0 offset:344
	buffer_load_dword v105, off, s[0:3], 0 offset:348
	v_mov_b32_e32 v106, 0
	buffer_store_dword v106, off, s[0:3], 0 offset:344
	buffer_store_dword v106, off, s[0:3], 0 offset:348
	s_waitcnt vmcnt(2)
	ds_write_b64 v1, v[104:105]
.LBB50_227:
	s_or_b64 exec, exec, s[4:5]
	s_waitcnt lgkmcnt(0)
	; wave barrier
	s_waitcnt lgkmcnt(0)
	buffer_load_dword v118, off, s[0:3], 0 offset:352
	buffer_load_dword v119, off, s[0:3], 0 offset:356
	buffer_load_dword v120, off, s[0:3], 0 offset:360
	buffer_load_dword v121, off, s[0:3], 0 offset:364
	buffer_load_dword v122, off, s[0:3], 0 offset:368
	buffer_load_dword v123, off, s[0:3], 0 offset:372
	buffer_load_dword v124, off, s[0:3], 0 offset:376
	buffer_load_dword v125, off, s[0:3], 0 offset:380
	buffer_load_dword v126, off, s[0:3], 0 offset:384
	buffer_load_dword v127, off, s[0:3], 0 offset:388
	buffer_load_dword v128, off, s[0:3], 0 offset:392
	buffer_load_dword v129, off, s[0:3], 0 offset:396
	buffer_load_dword v130, off, s[0:3], 0 offset:400
	buffer_load_dword v131, off, s[0:3], 0 offset:404
	buffer_load_dword v132, off, s[0:3], 0 offset:344
	buffer_load_dword v133, off, s[0:3], 0 offset:348
	v_mov_b32_e32 v104, 0
	ds_read_b128 v[106:109], v104 offset:768
	ds_read_b128 v[110:113], v104 offset:784
	;; [unrolled: 1-line block ×3, first 2 shown]
	ds_read_b64 v[134:135], v104 offset:816
	v_cmp_lt_u32_e32 vcc, 42, v0
	s_waitcnt vmcnt(14) lgkmcnt(3)
	v_fma_f64 v[106:107], v[118:119], v[106:107], 0
	s_waitcnt vmcnt(12)
	v_fmac_f64_e32 v[106:107], v[120:121], v[108:109]
	s_waitcnt vmcnt(10) lgkmcnt(2)
	v_fmac_f64_e32 v[106:107], v[122:123], v[110:111]
	s_waitcnt vmcnt(8)
	v_fmac_f64_e32 v[106:107], v[124:125], v[112:113]
	s_waitcnt vmcnt(6) lgkmcnt(1)
	v_fmac_f64_e32 v[106:107], v[126:127], v[114:115]
	;; [unrolled: 4-line block ×3, first 2 shown]
	s_waitcnt vmcnt(0)
	v_add_f64 v[106:107], v[132:133], -v[106:107]
	buffer_store_dword v106, off, s[0:3], 0 offset:344
	buffer_store_dword v107, off, s[0:3], 0 offset:348
	s_and_saveexec_b64 s[4:5], vcc
	s_cbranch_execz .LBB50_229
; %bb.228:
	buffer_load_dword v106, off, s[0:3], 0 offset:336
	buffer_load_dword v107, off, s[0:3], 0 offset:340
	s_waitcnt vmcnt(0)
	ds_write_b64 v1, v[106:107]
	buffer_store_dword v104, off, s[0:3], 0 offset:336
	buffer_store_dword v104, off, s[0:3], 0 offset:340
.LBB50_229:
	s_or_b64 exec, exec, s[4:5]
	s_waitcnt lgkmcnt(0)
	; wave barrier
	s_waitcnt lgkmcnt(0)
	buffer_load_dword v122, off, s[0:3], 0 offset:344
	buffer_load_dword v123, off, s[0:3], 0 offset:348
	;; [unrolled: 1-line block ×18, first 2 shown]
	ds_read2_b64 v[106:109], v104 offset0:95 offset1:96
	ds_read2_b64 v[110:113], v104 offset0:97 offset1:98
	;; [unrolled: 1-line block ×4, first 2 shown]
	v_cmp_lt_u32_e32 vcc, 41, v0
	s_waitcnt vmcnt(16) lgkmcnt(3)
	v_fma_f64 v[104:105], v[122:123], v[106:107], 0
	s_waitcnt vmcnt(14)
	v_fmac_f64_e32 v[104:105], v[124:125], v[108:109]
	s_waitcnt vmcnt(12) lgkmcnt(2)
	v_fmac_f64_e32 v[104:105], v[126:127], v[110:111]
	s_waitcnt vmcnt(10)
	v_fmac_f64_e32 v[104:105], v[128:129], v[112:113]
	s_waitcnt vmcnt(8) lgkmcnt(1)
	v_fmac_f64_e32 v[104:105], v[130:131], v[114:115]
	;; [unrolled: 4-line block ×3, first 2 shown]
	s_waitcnt vmcnt(2)
	v_fmac_f64_e32 v[104:105], v[136:137], v[120:121]
	s_waitcnt vmcnt(0)
	v_add_f64 v[104:105], v[138:139], -v[104:105]
	buffer_store_dword v104, off, s[0:3], 0 offset:336
	buffer_store_dword v105, off, s[0:3], 0 offset:340
	s_and_saveexec_b64 s[4:5], vcc
	s_cbranch_execz .LBB50_231
; %bb.230:
	buffer_load_dword v104, off, s[0:3], 0 offset:328
	buffer_load_dword v105, off, s[0:3], 0 offset:332
	v_mov_b32_e32 v106, 0
	buffer_store_dword v106, off, s[0:3], 0 offset:328
	buffer_store_dword v106, off, s[0:3], 0 offset:332
	s_waitcnt vmcnt(2)
	ds_write_b64 v1, v[104:105]
.LBB50_231:
	s_or_b64 exec, exec, s[4:5]
	s_waitcnt lgkmcnt(0)
	; wave barrier
	s_waitcnt lgkmcnt(0)
	buffer_load_dword v122, off, s[0:3], 0 offset:336
	buffer_load_dword v123, off, s[0:3], 0 offset:340
	;; [unrolled: 1-line block ×20, first 2 shown]
	v_mov_b32_e32 v104, 0
	ds_read_b128 v[106:109], v104 offset:752
	ds_read_b128 v[110:113], v104 offset:768
	ds_read_b128 v[114:117], v104 offset:784
	ds_read_b128 v[118:121], v104 offset:800
	ds_read_b64 v[142:143], v104 offset:816
	v_cmp_lt_u32_e32 vcc, 40, v0
	s_waitcnt vmcnt(18) lgkmcnt(4)
	v_fma_f64 v[106:107], v[122:123], v[106:107], 0
	s_waitcnt vmcnt(16)
	v_fmac_f64_e32 v[106:107], v[124:125], v[108:109]
	s_waitcnt vmcnt(14) lgkmcnt(3)
	v_fmac_f64_e32 v[106:107], v[126:127], v[110:111]
	s_waitcnt vmcnt(12)
	v_fmac_f64_e32 v[106:107], v[128:129], v[112:113]
	s_waitcnt vmcnt(10) lgkmcnt(2)
	v_fmac_f64_e32 v[106:107], v[130:131], v[114:115]
	;; [unrolled: 4-line block ×3, first 2 shown]
	s_waitcnt vmcnt(2)
	v_fmac_f64_e32 v[106:107], v[138:139], v[120:121]
	s_waitcnt lgkmcnt(0)
	v_fmac_f64_e32 v[106:107], v[136:137], v[142:143]
	s_waitcnt vmcnt(0)
	v_add_f64 v[106:107], v[140:141], -v[106:107]
	buffer_store_dword v106, off, s[0:3], 0 offset:328
	buffer_store_dword v107, off, s[0:3], 0 offset:332
	s_and_saveexec_b64 s[4:5], vcc
	s_cbranch_execz .LBB50_233
; %bb.232:
	buffer_load_dword v106, off, s[0:3], 0 offset:320
	buffer_load_dword v107, off, s[0:3], 0 offset:324
	s_waitcnt vmcnt(0)
	ds_write_b64 v1, v[106:107]
	buffer_store_dword v104, off, s[0:3], 0 offset:320
	buffer_store_dword v104, off, s[0:3], 0 offset:324
.LBB50_233:
	s_or_b64 exec, exec, s[4:5]
	s_waitcnt lgkmcnt(0)
	; wave barrier
	s_waitcnt lgkmcnt(0)
	buffer_load_dword v126, off, s[0:3], 0 offset:328
	buffer_load_dword v127, off, s[0:3], 0 offset:332
	buffer_load_dword v128, off, s[0:3], 0 offset:336
	buffer_load_dword v129, off, s[0:3], 0 offset:340
	buffer_load_dword v130, off, s[0:3], 0 offset:344
	buffer_load_dword v131, off, s[0:3], 0 offset:348
	buffer_load_dword v132, off, s[0:3], 0 offset:352
	buffer_load_dword v133, off, s[0:3], 0 offset:356
	buffer_load_dword v134, off, s[0:3], 0 offset:360
	buffer_load_dword v135, off, s[0:3], 0 offset:364
	buffer_load_dword v136, off, s[0:3], 0 offset:368
	buffer_load_dword v137, off, s[0:3], 0 offset:372
	buffer_load_dword v138, off, s[0:3], 0 offset:376
	buffer_load_dword v139, off, s[0:3], 0 offset:380
	buffer_load_dword v140, off, s[0:3], 0 offset:400
	buffer_load_dword v143, off, s[0:3], 0 offset:396
	buffer_load_dword v142, off, s[0:3], 0 offset:392
	buffer_load_dword v145, off, s[0:3], 0 offset:388
	buffer_load_dword v144, off, s[0:3], 0 offset:384
	buffer_load_dword v141, off, s[0:3], 0 offset:404
	buffer_load_dword v146, off, s[0:3], 0 offset:320
	buffer_load_dword v147, off, s[0:3], 0 offset:324
	ds_read2_b64 v[106:109], v104 offset0:93 offset1:94
	ds_read2_b64 v[110:113], v104 offset0:95 offset1:96
	;; [unrolled: 1-line block ×5, first 2 shown]
	v_cmp_lt_u32_e32 vcc, 39, v0
	s_waitcnt vmcnt(20) lgkmcnt(4)
	v_fma_f64 v[104:105], v[126:127], v[106:107], 0
	s_waitcnt vmcnt(18)
	v_fmac_f64_e32 v[104:105], v[128:129], v[108:109]
	s_waitcnt vmcnt(16) lgkmcnt(3)
	v_fmac_f64_e32 v[104:105], v[130:131], v[110:111]
	s_waitcnt vmcnt(14)
	v_fmac_f64_e32 v[104:105], v[132:133], v[112:113]
	s_waitcnt vmcnt(12) lgkmcnt(2)
	v_fmac_f64_e32 v[104:105], v[134:135], v[114:115]
	s_waitcnt vmcnt(10)
	v_fmac_f64_e32 v[104:105], v[136:137], v[116:117]
	s_waitcnt vmcnt(8) lgkmcnt(1)
	v_fmac_f64_e32 v[104:105], v[138:139], v[118:119]
	s_waitcnt vmcnt(3)
	v_fmac_f64_e32 v[104:105], v[144:145], v[120:121]
	s_waitcnt lgkmcnt(0)
	v_fmac_f64_e32 v[104:105], v[142:143], v[122:123]
	s_waitcnt vmcnt(2)
	v_fmac_f64_e32 v[104:105], v[140:141], v[124:125]
	s_waitcnt vmcnt(0)
	v_add_f64 v[104:105], v[146:147], -v[104:105]
	buffer_store_dword v104, off, s[0:3], 0 offset:320
	buffer_store_dword v105, off, s[0:3], 0 offset:324
	s_and_saveexec_b64 s[4:5], vcc
	s_cbranch_execz .LBB50_235
; %bb.234:
	buffer_load_dword v104, off, s[0:3], 0 offset:312
	buffer_load_dword v105, off, s[0:3], 0 offset:316
	v_mov_b32_e32 v106, 0
	buffer_store_dword v106, off, s[0:3], 0 offset:312
	buffer_store_dword v106, off, s[0:3], 0 offset:316
	s_waitcnt vmcnt(2)
	ds_write_b64 v1, v[104:105]
.LBB50_235:
	s_or_b64 exec, exec, s[4:5]
	s_waitcnt lgkmcnt(0)
	; wave barrier
	s_waitcnt lgkmcnt(0)
	buffer_load_dword v126, off, s[0:3], 0 offset:320
	buffer_load_dword v127, off, s[0:3], 0 offset:324
	buffer_load_dword v128, off, s[0:3], 0 offset:328
	buffer_load_dword v129, off, s[0:3], 0 offset:332
	buffer_load_dword v130, off, s[0:3], 0 offset:336
	buffer_load_dword v131, off, s[0:3], 0 offset:340
	buffer_load_dword v132, off, s[0:3], 0 offset:344
	buffer_load_dword v133, off, s[0:3], 0 offset:348
	buffer_load_dword v134, off, s[0:3], 0 offset:352
	buffer_load_dword v135, off, s[0:3], 0 offset:356
	buffer_load_dword v136, off, s[0:3], 0 offset:360
	buffer_load_dword v137, off, s[0:3], 0 offset:364
	buffer_load_dword v138, off, s[0:3], 0 offset:368
	buffer_load_dword v139, off, s[0:3], 0 offset:372
	buffer_load_dword v140, off, s[0:3], 0 offset:400
	buffer_load_dword v142, off, s[0:3], 0 offset:392
	buffer_load_dword v145, off, s[0:3], 0 offset:388
	buffer_load_dword v144, off, s[0:3], 0 offset:384
	buffer_load_dword v147, off, s[0:3], 0 offset:380
	buffer_load_dword v146, off, s[0:3], 0 offset:376
	buffer_load_dword v143, off, s[0:3], 0 offset:396
	buffer_load_dword v141, off, s[0:3], 0 offset:404
	buffer_load_dword v148, off, s[0:3], 0 offset:312
	buffer_load_dword v149, off, s[0:3], 0 offset:316
	v_mov_b32_e32 v104, 0
	ds_read_b128 v[106:109], v104 offset:736
	ds_read_b128 v[110:113], v104 offset:752
	;; [unrolled: 1-line block ×5, first 2 shown]
	ds_read_b64 v[150:151], v104 offset:816
	v_cmp_lt_u32_e32 vcc, 38, v0
	s_waitcnt vmcnt(22) lgkmcnt(5)
	v_fma_f64 v[106:107], v[126:127], v[106:107], 0
	s_waitcnt vmcnt(20)
	v_fmac_f64_e32 v[106:107], v[128:129], v[108:109]
	s_waitcnt vmcnt(18) lgkmcnt(4)
	v_fmac_f64_e32 v[106:107], v[130:131], v[110:111]
	s_waitcnt vmcnt(16)
	v_fmac_f64_e32 v[106:107], v[132:133], v[112:113]
	s_waitcnt vmcnt(14) lgkmcnt(3)
	v_fmac_f64_e32 v[106:107], v[134:135], v[114:115]
	s_waitcnt vmcnt(12)
	v_fmac_f64_e32 v[106:107], v[136:137], v[116:117]
	s_waitcnt vmcnt(10) lgkmcnt(2)
	v_fmac_f64_e32 v[106:107], v[138:139], v[118:119]
	s_waitcnt vmcnt(4)
	v_fmac_f64_e32 v[106:107], v[146:147], v[120:121]
	s_waitcnt lgkmcnt(1)
	v_fmac_f64_e32 v[106:107], v[144:145], v[122:123]
	s_waitcnt vmcnt(3)
	v_fmac_f64_e32 v[106:107], v[142:143], v[124:125]
	s_waitcnt vmcnt(2) lgkmcnt(0)
	v_fmac_f64_e32 v[106:107], v[140:141], v[150:151]
	s_waitcnt vmcnt(0)
	v_add_f64 v[106:107], v[148:149], -v[106:107]
	buffer_store_dword v107, off, s[0:3], 0 offset:316
	buffer_store_dword v106, off, s[0:3], 0 offset:312
	s_and_saveexec_b64 s[4:5], vcc
	s_cbranch_execz .LBB50_237
; %bb.236:
	buffer_load_dword v106, off, s[0:3], 0 offset:304
	buffer_load_dword v107, off, s[0:3], 0 offset:308
	s_waitcnt vmcnt(0)
	ds_write_b64 v1, v[106:107]
	buffer_store_dword v104, off, s[0:3], 0 offset:304
	buffer_store_dword v104, off, s[0:3], 0 offset:308
.LBB50_237:
	s_or_b64 exec, exec, s[4:5]
	s_waitcnt lgkmcnt(0)
	; wave barrier
	s_waitcnt lgkmcnt(0)
	buffer_load_dword v130, off, s[0:3], 0 offset:312
	buffer_load_dword v131, off, s[0:3], 0 offset:316
	;; [unrolled: 1-line block ×26, first 2 shown]
	ds_read2_b64 v[106:109], v104 offset0:91 offset1:92
	ds_read2_b64 v[110:113], v104 offset0:93 offset1:94
	;; [unrolled: 1-line block ×6, first 2 shown]
	v_cmp_lt_u32_e32 vcc, 37, v0
	s_waitcnt vmcnt(24) lgkmcnt(5)
	v_fma_f64 v[104:105], v[130:131], v[106:107], 0
	s_waitcnt vmcnt(22)
	v_fmac_f64_e32 v[104:105], v[132:133], v[108:109]
	s_waitcnt vmcnt(20) lgkmcnt(4)
	v_fmac_f64_e32 v[104:105], v[134:135], v[110:111]
	s_waitcnt vmcnt(18)
	v_fmac_f64_e32 v[104:105], v[136:137], v[112:113]
	s_waitcnt vmcnt(16) lgkmcnt(3)
	v_fmac_f64_e32 v[104:105], v[138:139], v[114:115]
	;; [unrolled: 4-line block ×3, first 2 shown]
	s_waitcnt vmcnt(5)
	v_fmac_f64_e32 v[104:105], v[150:151], v[120:121]
	s_waitcnt lgkmcnt(1)
	v_fmac_f64_e32 v[104:105], v[148:149], v[122:123]
	v_fmac_f64_e32 v[104:105], v[146:147], v[124:125]
	s_waitcnt vmcnt(4) lgkmcnt(0)
	v_fmac_f64_e32 v[104:105], v[144:145], v[126:127]
	s_waitcnt vmcnt(2)
	v_fmac_f64_e32 v[104:105], v[152:153], v[128:129]
	s_waitcnt vmcnt(0)
	v_add_f64 v[104:105], v[154:155], -v[104:105]
	buffer_store_dword v105, off, s[0:3], 0 offset:308
	buffer_store_dword v104, off, s[0:3], 0 offset:304
	s_and_saveexec_b64 s[4:5], vcc
	s_cbranch_execz .LBB50_239
; %bb.238:
	buffer_load_dword v104, off, s[0:3], 0 offset:296
	buffer_load_dword v105, off, s[0:3], 0 offset:300
	v_mov_b32_e32 v106, 0
	buffer_store_dword v106, off, s[0:3], 0 offset:296
	buffer_store_dword v106, off, s[0:3], 0 offset:300
	s_waitcnt vmcnt(2)
	ds_write_b64 v1, v[104:105]
.LBB50_239:
	s_or_b64 exec, exec, s[4:5]
	s_waitcnt lgkmcnt(0)
	; wave barrier
	s_waitcnt lgkmcnt(0)
	buffer_load_dword v130, off, s[0:3], 0 offset:304
	buffer_load_dword v131, off, s[0:3], 0 offset:308
	;; [unrolled: 1-line block ×28, first 2 shown]
	v_mov_b32_e32 v104, 0
	ds_read_b128 v[106:109], v104 offset:720
	ds_read_b128 v[110:113], v104 offset:736
	;; [unrolled: 1-line block ×6, first 2 shown]
	ds_read_b64 v[158:159], v104 offset:816
	v_cmp_lt_u32_e32 vcc, 36, v0
	s_waitcnt vmcnt(26) lgkmcnt(6)
	v_fma_f64 v[106:107], v[130:131], v[106:107], 0
	s_waitcnt vmcnt(24)
	v_fmac_f64_e32 v[106:107], v[132:133], v[108:109]
	s_waitcnt vmcnt(22) lgkmcnt(5)
	v_fmac_f64_e32 v[106:107], v[134:135], v[110:111]
	s_waitcnt vmcnt(20)
	v_fmac_f64_e32 v[106:107], v[136:137], v[112:113]
	s_waitcnt vmcnt(18) lgkmcnt(4)
	v_fmac_f64_e32 v[106:107], v[138:139], v[114:115]
	;; [unrolled: 4-line block ×3, first 2 shown]
	s_waitcnt vmcnt(6)
	v_fmac_f64_e32 v[106:107], v[150:151], v[120:121]
	s_waitcnt lgkmcnt(2)
	v_fmac_f64_e32 v[106:107], v[148:149], v[122:123]
	v_fmac_f64_e32 v[106:107], v[146:147], v[124:125]
	s_waitcnt lgkmcnt(1)
	v_fmac_f64_e32 v[106:107], v[144:145], v[126:127]
	s_waitcnt vmcnt(2)
	v_fmac_f64_e32 v[106:107], v[154:155], v[128:129]
	s_waitcnt lgkmcnt(0)
	v_fmac_f64_e32 v[106:107], v[152:153], v[158:159]
	s_waitcnt vmcnt(0)
	v_add_f64 v[106:107], v[156:157], -v[106:107]
	buffer_store_dword v107, off, s[0:3], 0 offset:300
	buffer_store_dword v106, off, s[0:3], 0 offset:296
	s_and_saveexec_b64 s[4:5], vcc
	s_cbranch_execz .LBB50_241
; %bb.240:
	buffer_load_dword v106, off, s[0:3], 0 offset:288
	buffer_load_dword v107, off, s[0:3], 0 offset:292
	s_waitcnt vmcnt(0)
	ds_write_b64 v1, v[106:107]
	buffer_store_dword v104, off, s[0:3], 0 offset:288
	buffer_store_dword v104, off, s[0:3], 0 offset:292
.LBB50_241:
	s_or_b64 exec, exec, s[4:5]
	s_waitcnt lgkmcnt(0)
	; wave barrier
	s_waitcnt lgkmcnt(0)
	buffer_load_dword v134, off, s[0:3], 0 offset:296
	buffer_load_dword v135, off, s[0:3], 0 offset:300
	;; [unrolled: 1-line block ×30, first 2 shown]
	ds_read2_b64 v[106:109], v104 offset0:89 offset1:90
	ds_read2_b64 v[110:113], v104 offset0:91 offset1:92
	;; [unrolled: 1-line block ×7, first 2 shown]
	v_cmp_lt_u32_e32 vcc, 35, v0
	s_waitcnt vmcnt(28) lgkmcnt(6)
	v_fma_f64 v[104:105], v[134:135], v[106:107], 0
	s_waitcnt vmcnt(26)
	v_fmac_f64_e32 v[104:105], v[136:137], v[108:109]
	s_waitcnt vmcnt(24) lgkmcnt(5)
	v_fmac_f64_e32 v[104:105], v[138:139], v[110:111]
	s_waitcnt vmcnt(22)
	v_fmac_f64_e32 v[104:105], v[140:141], v[112:113]
	s_waitcnt vmcnt(20) lgkmcnt(4)
	v_fmac_f64_e32 v[104:105], v[142:143], v[114:115]
	;; [unrolled: 4-line block ×3, first 2 shown]
	s_waitcnt vmcnt(8)
	v_fmac_f64_e32 v[104:105], v[154:155], v[120:121]
	s_waitcnt lgkmcnt(2)
	v_fmac_f64_e32 v[104:105], v[152:153], v[122:123]
	v_fmac_f64_e32 v[104:105], v[150:151], v[124:125]
	s_waitcnt lgkmcnt(1)
	v_fmac_f64_e32 v[104:105], v[148:149], v[126:127]
	s_waitcnt vmcnt(3)
	v_fmac_f64_e32 v[104:105], v[160:161], v[128:129]
	s_waitcnt lgkmcnt(0)
	v_fmac_f64_e32 v[104:105], v[158:159], v[130:131]
	s_waitcnt vmcnt(2)
	v_fmac_f64_e32 v[104:105], v[156:157], v[132:133]
	s_waitcnt vmcnt(0)
	v_add_f64 v[104:105], v[162:163], -v[104:105]
	buffer_store_dword v105, off, s[0:3], 0 offset:292
	buffer_store_dword v104, off, s[0:3], 0 offset:288
	s_and_saveexec_b64 s[4:5], vcc
	s_cbranch_execz .LBB50_243
; %bb.242:
	buffer_load_dword v104, off, s[0:3], 0 offset:280
	buffer_load_dword v105, off, s[0:3], 0 offset:284
	v_mov_b32_e32 v106, 0
	buffer_store_dword v106, off, s[0:3], 0 offset:280
	buffer_store_dword v106, off, s[0:3], 0 offset:284
	s_waitcnt vmcnt(2)
	ds_write_b64 v1, v[104:105]
.LBB50_243:
	s_or_b64 exec, exec, s[4:5]
	s_waitcnt lgkmcnt(0)
	; wave barrier
	s_waitcnt lgkmcnt(0)
	buffer_load_dword v122, off, s[0:3], 0 offset:280
	buffer_load_dword v123, off, s[0:3], 0 offset:284
	;; [unrolled: 1-line block ×16, first 2 shown]
	v_mov_b32_e32 v104, 0
	ds_read_b128 v[106:109], v104 offset:704
	ds_read_b128 v[110:113], v104 offset:720
	;; [unrolled: 1-line block ×4, first 2 shown]
	v_cmp_lt_u32_e32 vcc, 34, v0
	s_waitcnt vmcnt(12) lgkmcnt(3)
	v_fma_f64 v[124:125], v[124:125], v[106:107], 0
	buffer_load_dword v107, off, s[0:3], 0 offset:348
	buffer_load_dword v106, off, s[0:3], 0 offset:344
	s_waitcnt vmcnt(12)
	v_fmac_f64_e32 v[124:125], v[126:127], v[108:109]
	s_waitcnt vmcnt(10) lgkmcnt(2)
	v_fmac_f64_e32 v[124:125], v[128:129], v[110:111]
	buffer_load_dword v111, off, s[0:3], 0 offset:356
	buffer_load_dword v110, off, s[0:3], 0 offset:352
	s_waitcnt vmcnt(10)
	v_fmac_f64_e32 v[124:125], v[130:131], v[112:113]
	s_waitcnt vmcnt(8) lgkmcnt(1)
	v_fmac_f64_e32 v[124:125], v[132:133], v[114:115]
	s_waitcnt vmcnt(6)
	v_fmac_f64_e32 v[124:125], v[134:135], v[116:117]
	s_waitcnt vmcnt(4) lgkmcnt(0)
	v_fmac_f64_e32 v[124:125], v[136:137], v[118:119]
	s_waitcnt vmcnt(2)
	v_fmac_f64_e32 v[124:125], v[106:107], v[120:121]
	ds_read_b128 v[106:109], v104 offset:768
	s_waitcnt vmcnt(0) lgkmcnt(0)
	v_fmac_f64_e32 v[124:125], v[110:111], v[106:107]
	buffer_load_dword v107, off, s[0:3], 0 offset:364
	buffer_load_dword v106, off, s[0:3], 0 offset:360
	;; [unrolled: 1-line block ×4, first 2 shown]
	s_waitcnt vmcnt(2)
	v_fmac_f64_e32 v[124:125], v[106:107], v[108:109]
	ds_read_b128 v[106:109], v104 offset:784
	s_waitcnt vmcnt(0) lgkmcnt(0)
	v_fmac_f64_e32 v[124:125], v[110:111], v[106:107]
	buffer_load_dword v107, off, s[0:3], 0 offset:380
	buffer_load_dword v106, off, s[0:3], 0 offset:376
	;; [unrolled: 1-line block ×4, first 2 shown]
	s_waitcnt vmcnt(2)
	v_fmac_f64_e32 v[124:125], v[106:107], v[108:109]
	ds_read_b128 v[106:109], v104 offset:800
	s_waitcnt vmcnt(0) lgkmcnt(0)
	v_fmac_f64_e32 v[124:125], v[110:111], v[106:107]
	buffer_load_dword v107, off, s[0:3], 0 offset:396
	buffer_load_dword v106, off, s[0:3], 0 offset:392
	s_waitcnt vmcnt(0)
	v_fmac_f64_e32 v[124:125], v[106:107], v[108:109]
	buffer_load_dword v107, off, s[0:3], 0 offset:404
	buffer_load_dword v106, off, s[0:3], 0 offset:400
	ds_read_b64 v[108:109], v104 offset:816
	s_waitcnt vmcnt(0) lgkmcnt(0)
	v_fmac_f64_e32 v[124:125], v[106:107], v[108:109]
	v_add_f64 v[106:107], v[122:123], -v[124:125]
	buffer_store_dword v107, off, s[0:3], 0 offset:284
	buffer_store_dword v106, off, s[0:3], 0 offset:280
	s_and_saveexec_b64 s[4:5], vcc
	s_cbranch_execz .LBB50_245
; %bb.244:
	buffer_load_dword v106, off, s[0:3], 0 offset:272
	buffer_load_dword v107, off, s[0:3], 0 offset:276
	s_waitcnt vmcnt(0)
	ds_write_b64 v1, v[106:107]
	buffer_store_dword v104, off, s[0:3], 0 offset:272
	buffer_store_dword v104, off, s[0:3], 0 offset:276
.LBB50_245:
	s_or_b64 exec, exec, s[4:5]
	s_waitcnt lgkmcnt(0)
	; wave barrier
	s_waitcnt lgkmcnt(0)
	buffer_load_dword v110, off, s[0:3], 0 offset:272
	buffer_load_dword v111, off, s[0:3], 0 offset:276
	;; [unrolled: 1-line block ×16, first 2 shown]
	ds_read2_b64 v[106:109], v104 offset0:87 offset1:88
	v_cmp_lt_u32_e32 vcc, 33, v0
	s_waitcnt vmcnt(12) lgkmcnt(0)
	v_fma_f64 v[112:113], v[112:113], v[106:107], 0
	s_waitcnt vmcnt(10)
	v_fmac_f64_e32 v[112:113], v[114:115], v[108:109]
	ds_read2_b64 v[106:109], v104 offset0:89 offset1:90
	s_waitcnt vmcnt(8) lgkmcnt(0)
	v_fmac_f64_e32 v[112:113], v[116:117], v[106:107]
	s_waitcnt vmcnt(6)
	v_fmac_f64_e32 v[112:113], v[118:119], v[108:109]
	ds_read2_b64 v[106:109], v104 offset0:91 offset1:92
	s_waitcnt vmcnt(4) lgkmcnt(0)
	v_fmac_f64_e32 v[112:113], v[120:121], v[106:107]
	s_waitcnt vmcnt(2)
	v_fmac_f64_e32 v[112:113], v[122:123], v[108:109]
	ds_read2_b64 v[106:109], v104 offset0:93 offset1:94
	s_waitcnt vmcnt(0) lgkmcnt(0)
	v_fmac_f64_e32 v[112:113], v[124:125], v[106:107]
	buffer_load_dword v107, off, s[0:3], 0 offset:340
	buffer_load_dword v106, off, s[0:3], 0 offset:336
	buffer_load_dword v115, off, s[0:3], 0 offset:348
	buffer_load_dword v114, off, s[0:3], 0 offset:344
	s_waitcnt vmcnt(2)
	v_fmac_f64_e32 v[112:113], v[106:107], v[108:109]
	ds_read2_b64 v[106:109], v104 offset0:95 offset1:96
	s_waitcnt vmcnt(0) lgkmcnt(0)
	v_fmac_f64_e32 v[112:113], v[114:115], v[106:107]
	buffer_load_dword v107, off, s[0:3], 0 offset:356
	buffer_load_dword v106, off, s[0:3], 0 offset:352
	buffer_load_dword v115, off, s[0:3], 0 offset:364
	buffer_load_dword v114, off, s[0:3], 0 offset:360
	s_waitcnt vmcnt(2)
	v_fmac_f64_e32 v[112:113], v[106:107], v[108:109]
	ds_read2_b64 v[106:109], v104 offset0:97 offset1:98
	s_waitcnt vmcnt(0) lgkmcnt(0)
	v_fmac_f64_e32 v[112:113], v[114:115], v[106:107]
	;; [unrolled: 9-line block ×3, first 2 shown]
	buffer_load_dword v107, off, s[0:3], 0 offset:388
	buffer_load_dword v106, off, s[0:3], 0 offset:384
	s_waitcnt vmcnt(0)
	v_fmac_f64_e32 v[112:113], v[106:107], v[108:109]
	buffer_load_dword v109, off, s[0:3], 0 offset:396
	buffer_load_dword v108, off, s[0:3], 0 offset:392
	ds_read2_b64 v[104:107], v104 offset0:101 offset1:102
	s_waitcnt vmcnt(0) lgkmcnt(0)
	v_fmac_f64_e32 v[112:113], v[108:109], v[104:105]
	buffer_load_dword v105, off, s[0:3], 0 offset:404
	buffer_load_dword v104, off, s[0:3], 0 offset:400
	s_waitcnt vmcnt(0)
	v_fmac_f64_e32 v[112:113], v[104:105], v[106:107]
	v_add_f64 v[104:105], v[110:111], -v[112:113]
	buffer_store_dword v105, off, s[0:3], 0 offset:276
	buffer_store_dword v104, off, s[0:3], 0 offset:272
	s_and_saveexec_b64 s[4:5], vcc
	s_cbranch_execz .LBB50_247
; %bb.246:
	buffer_load_dword v104, off, s[0:3], 0 offset:264
	buffer_load_dword v105, off, s[0:3], 0 offset:268
	v_mov_b32_e32 v106, 0
	buffer_store_dword v106, off, s[0:3], 0 offset:264
	buffer_store_dword v106, off, s[0:3], 0 offset:268
	s_waitcnt vmcnt(2)
	ds_write_b64 v1, v[104:105]
.LBB50_247:
	s_or_b64 exec, exec, s[4:5]
	s_waitcnt lgkmcnt(0)
	; wave barrier
	s_waitcnt lgkmcnt(0)
	buffer_load_dword v104, off, s[0:3], 0 offset:264
	buffer_load_dword v105, off, s[0:3], 0 offset:268
	;; [unrolled: 1-line block ×16, first 2 shown]
	v_mov_b32_e32 v108, 0
	ds_read_b128 v[110:113], v108 offset:688
	ds_read_b128 v[114:117], v108 offset:704
	;; [unrolled: 1-line block ×4, first 2 shown]
	v_cmp_lt_u32_e32 vcc, 32, v0
	s_waitcnt vmcnt(12) lgkmcnt(3)
	v_fma_f64 v[106:107], v[106:107], v[110:111], 0
	buffer_load_dword v111, off, s[0:3], 0 offset:332
	buffer_load_dword v110, off, s[0:3], 0 offset:328
	s_waitcnt vmcnt(12)
	v_fmac_f64_e32 v[106:107], v[126:127], v[112:113]
	s_waitcnt vmcnt(10) lgkmcnt(2)
	v_fmac_f64_e32 v[106:107], v[128:129], v[114:115]
	buffer_load_dword v115, off, s[0:3], 0 offset:340
	buffer_load_dword v114, off, s[0:3], 0 offset:336
	s_waitcnt vmcnt(10)
	v_fmac_f64_e32 v[106:107], v[130:131], v[116:117]
	s_waitcnt vmcnt(8) lgkmcnt(1)
	v_fmac_f64_e32 v[106:107], v[132:133], v[118:119]
	s_waitcnt vmcnt(6)
	v_fmac_f64_e32 v[106:107], v[134:135], v[120:121]
	s_waitcnt vmcnt(4) lgkmcnt(0)
	v_fmac_f64_e32 v[106:107], v[136:137], v[122:123]
	s_waitcnt vmcnt(2)
	v_fmac_f64_e32 v[106:107], v[110:111], v[124:125]
	ds_read_b128 v[110:113], v108 offset:752
	s_waitcnt vmcnt(0) lgkmcnt(0)
	v_fmac_f64_e32 v[106:107], v[114:115], v[110:111]
	buffer_load_dword v111, off, s[0:3], 0 offset:348
	buffer_load_dword v110, off, s[0:3], 0 offset:344
	buffer_load_dword v115, off, s[0:3], 0 offset:356
	buffer_load_dword v114, off, s[0:3], 0 offset:352
	s_waitcnt vmcnt(2)
	v_fmac_f64_e32 v[106:107], v[110:111], v[112:113]
	ds_read_b128 v[110:113], v108 offset:768
	s_waitcnt vmcnt(0) lgkmcnt(0)
	v_fmac_f64_e32 v[106:107], v[114:115], v[110:111]
	buffer_load_dword v111, off, s[0:3], 0 offset:364
	buffer_load_dword v110, off, s[0:3], 0 offset:360
	buffer_load_dword v115, off, s[0:3], 0 offset:372
	buffer_load_dword v114, off, s[0:3], 0 offset:368
	;; [unrolled: 9-line block ×3, first 2 shown]
	s_waitcnt vmcnt(2)
	v_fmac_f64_e32 v[106:107], v[110:111], v[112:113]
	ds_read_b128 v[110:113], v108 offset:800
	s_waitcnt vmcnt(0) lgkmcnt(0)
	v_fmac_f64_e32 v[106:107], v[114:115], v[110:111]
	buffer_load_dword v111, off, s[0:3], 0 offset:396
	buffer_load_dword v110, off, s[0:3], 0 offset:392
	s_waitcnt vmcnt(0)
	v_fmac_f64_e32 v[106:107], v[110:111], v[112:113]
	buffer_load_dword v111, off, s[0:3], 0 offset:404
	buffer_load_dword v110, off, s[0:3], 0 offset:400
	ds_read_b64 v[112:113], v108 offset:816
	s_waitcnt vmcnt(0) lgkmcnt(0)
	v_fmac_f64_e32 v[106:107], v[110:111], v[112:113]
	v_add_f64 v[104:105], v[104:105], -v[106:107]
	buffer_store_dword v105, off, s[0:3], 0 offset:268
	buffer_store_dword v104, off, s[0:3], 0 offset:264
	s_and_saveexec_b64 s[4:5], vcc
	s_cbranch_execz .LBB50_249
; %bb.248:
	buffer_load_dword v104, off, s[0:3], 0 offset:256
	buffer_load_dword v105, off, s[0:3], 0 offset:260
	s_waitcnt vmcnt(0)
	ds_write_b64 v1, v[104:105]
	buffer_store_dword v108, off, s[0:3], 0 offset:256
	buffer_store_dword v108, off, s[0:3], 0 offset:260
.LBB50_249:
	s_or_b64 exec, exec, s[4:5]
	s_waitcnt lgkmcnt(0)
	; wave barrier
	s_waitcnt lgkmcnt(0)
	buffer_load_dword v104, off, s[0:3], 0 offset:256
	buffer_load_dword v105, off, s[0:3], 0 offset:260
	;; [unrolled: 1-line block ×16, first 2 shown]
	ds_read2_b64 v[110:113], v108 offset0:85 offset1:86
	v_cmp_lt_u32_e32 vcc, 31, v0
	s_waitcnt vmcnt(12) lgkmcnt(0)
	v_fma_f64 v[106:107], v[106:107], v[110:111], 0
	s_waitcnt vmcnt(10)
	v_fmac_f64_e32 v[106:107], v[114:115], v[112:113]
	ds_read2_b64 v[110:113], v108 offset0:87 offset1:88
	s_waitcnt vmcnt(8) lgkmcnt(0)
	v_fmac_f64_e32 v[106:107], v[116:117], v[110:111]
	s_waitcnt vmcnt(6)
	v_fmac_f64_e32 v[106:107], v[118:119], v[112:113]
	ds_read2_b64 v[110:113], v108 offset0:89 offset1:90
	s_waitcnt vmcnt(4) lgkmcnt(0)
	v_fmac_f64_e32 v[106:107], v[120:121], v[110:111]
	;; [unrolled: 5-line block ×3, first 2 shown]
	buffer_load_dword v111, off, s[0:3], 0 offset:324
	buffer_load_dword v110, off, s[0:3], 0 offset:320
	buffer_load_dword v115, off, s[0:3], 0 offset:332
	buffer_load_dword v114, off, s[0:3], 0 offset:328
	s_waitcnt vmcnt(2)
	v_fmac_f64_e32 v[106:107], v[110:111], v[112:113]
	ds_read2_b64 v[110:113], v108 offset0:93 offset1:94
	s_waitcnt vmcnt(0) lgkmcnt(0)
	v_fmac_f64_e32 v[106:107], v[114:115], v[110:111]
	buffer_load_dword v111, off, s[0:3], 0 offset:340
	buffer_load_dword v110, off, s[0:3], 0 offset:336
	buffer_load_dword v115, off, s[0:3], 0 offset:348
	buffer_load_dword v114, off, s[0:3], 0 offset:344
	s_waitcnt vmcnt(2)
	v_fmac_f64_e32 v[106:107], v[110:111], v[112:113]
	ds_read2_b64 v[110:113], v108 offset0:95 offset1:96
	s_waitcnt vmcnt(0) lgkmcnt(0)
	v_fmac_f64_e32 v[106:107], v[114:115], v[110:111]
	;; [unrolled: 9-line block ×4, first 2 shown]
	buffer_load_dword v111, off, s[0:3], 0 offset:388
	buffer_load_dword v110, off, s[0:3], 0 offset:384
	s_waitcnt vmcnt(0)
	v_fmac_f64_e32 v[106:107], v[110:111], v[112:113]
	buffer_load_dword v113, off, s[0:3], 0 offset:396
	buffer_load_dword v112, off, s[0:3], 0 offset:392
	ds_read2_b64 v[108:111], v108 offset0:101 offset1:102
	s_waitcnt vmcnt(0) lgkmcnt(0)
	v_fmac_f64_e32 v[106:107], v[112:113], v[108:109]
	buffer_load_dword v109, off, s[0:3], 0 offset:404
	buffer_load_dword v108, off, s[0:3], 0 offset:400
	s_waitcnt vmcnt(0)
	v_fmac_f64_e32 v[106:107], v[108:109], v[110:111]
	v_add_f64 v[104:105], v[104:105], -v[106:107]
	buffer_store_dword v105, off, s[0:3], 0 offset:260
	buffer_store_dword v104, off, s[0:3], 0 offset:256
	s_and_saveexec_b64 s[4:5], vcc
	s_cbranch_execz .LBB50_251
; %bb.250:
	buffer_load_dword v104, off, s[0:3], 0 offset:248
	buffer_load_dword v105, off, s[0:3], 0 offset:252
	v_mov_b32_e32 v106, 0
	buffer_store_dword v106, off, s[0:3], 0 offset:248
	buffer_store_dword v106, off, s[0:3], 0 offset:252
	s_waitcnt vmcnt(2)
	ds_write_b64 v1, v[104:105]
.LBB50_251:
	s_or_b64 exec, exec, s[4:5]
	s_waitcnt lgkmcnt(0)
	; wave barrier
	s_waitcnt lgkmcnt(0)
	buffer_load_dword v104, off, s[0:3], 0 offset:248
	buffer_load_dword v105, off, s[0:3], 0 offset:252
	;; [unrolled: 1-line block ×16, first 2 shown]
	v_mov_b32_e32 v108, 0
	ds_read_b128 v[110:113], v108 offset:672
	ds_read_b128 v[114:117], v108 offset:688
	;; [unrolled: 1-line block ×4, first 2 shown]
	v_cmp_lt_u32_e32 vcc, 30, v0
	s_waitcnt vmcnt(12) lgkmcnt(3)
	v_fma_f64 v[106:107], v[106:107], v[110:111], 0
	buffer_load_dword v111, off, s[0:3], 0 offset:316
	buffer_load_dword v110, off, s[0:3], 0 offset:312
	s_waitcnt vmcnt(12)
	v_fmac_f64_e32 v[106:107], v[126:127], v[112:113]
	s_waitcnt vmcnt(10) lgkmcnt(2)
	v_fmac_f64_e32 v[106:107], v[128:129], v[114:115]
	buffer_load_dword v115, off, s[0:3], 0 offset:324
	buffer_load_dword v114, off, s[0:3], 0 offset:320
	s_waitcnt vmcnt(10)
	v_fmac_f64_e32 v[106:107], v[130:131], v[116:117]
	s_waitcnt vmcnt(8) lgkmcnt(1)
	v_fmac_f64_e32 v[106:107], v[132:133], v[118:119]
	s_waitcnt vmcnt(6)
	v_fmac_f64_e32 v[106:107], v[134:135], v[120:121]
	s_waitcnt vmcnt(4) lgkmcnt(0)
	v_fmac_f64_e32 v[106:107], v[136:137], v[122:123]
	s_waitcnt vmcnt(2)
	v_fmac_f64_e32 v[106:107], v[110:111], v[124:125]
	ds_read_b128 v[110:113], v108 offset:736
	s_waitcnt vmcnt(0) lgkmcnt(0)
	v_fmac_f64_e32 v[106:107], v[114:115], v[110:111]
	buffer_load_dword v111, off, s[0:3], 0 offset:332
	buffer_load_dword v110, off, s[0:3], 0 offset:328
	buffer_load_dword v115, off, s[0:3], 0 offset:340
	buffer_load_dword v114, off, s[0:3], 0 offset:336
	s_waitcnt vmcnt(2)
	v_fmac_f64_e32 v[106:107], v[110:111], v[112:113]
	ds_read_b128 v[110:113], v108 offset:752
	s_waitcnt vmcnt(0) lgkmcnt(0)
	v_fmac_f64_e32 v[106:107], v[114:115], v[110:111]
	buffer_load_dword v111, off, s[0:3], 0 offset:348
	buffer_load_dword v110, off, s[0:3], 0 offset:344
	buffer_load_dword v115, off, s[0:3], 0 offset:356
	buffer_load_dword v114, off, s[0:3], 0 offset:352
	;; [unrolled: 9-line block ×4, first 2 shown]
	s_waitcnt vmcnt(2)
	v_fmac_f64_e32 v[106:107], v[110:111], v[112:113]
	ds_read_b128 v[110:113], v108 offset:800
	s_waitcnt vmcnt(0) lgkmcnt(0)
	v_fmac_f64_e32 v[106:107], v[114:115], v[110:111]
	buffer_load_dword v111, off, s[0:3], 0 offset:396
	buffer_load_dword v110, off, s[0:3], 0 offset:392
	s_waitcnt vmcnt(0)
	v_fmac_f64_e32 v[106:107], v[110:111], v[112:113]
	buffer_load_dword v111, off, s[0:3], 0 offset:404
	buffer_load_dword v110, off, s[0:3], 0 offset:400
	ds_read_b64 v[112:113], v108 offset:816
	s_waitcnt vmcnt(0) lgkmcnt(0)
	v_fmac_f64_e32 v[106:107], v[110:111], v[112:113]
	v_add_f64 v[104:105], v[104:105], -v[106:107]
	buffer_store_dword v105, off, s[0:3], 0 offset:252
	buffer_store_dword v104, off, s[0:3], 0 offset:248
	s_and_saveexec_b64 s[4:5], vcc
	s_cbranch_execz .LBB50_253
; %bb.252:
	buffer_load_dword v104, off, s[0:3], 0 offset:240
	buffer_load_dword v105, off, s[0:3], 0 offset:244
	s_waitcnt vmcnt(0)
	ds_write_b64 v1, v[104:105]
	buffer_store_dword v108, off, s[0:3], 0 offset:240
	buffer_store_dword v108, off, s[0:3], 0 offset:244
.LBB50_253:
	s_or_b64 exec, exec, s[4:5]
	s_waitcnt lgkmcnt(0)
	; wave barrier
	s_waitcnt lgkmcnt(0)
	buffer_load_dword v104, off, s[0:3], 0 offset:240
	buffer_load_dword v105, off, s[0:3], 0 offset:244
	;; [unrolled: 1-line block ×16, first 2 shown]
	ds_read2_b64 v[110:113], v108 offset0:83 offset1:84
	v_cmp_lt_u32_e32 vcc, 29, v0
	s_waitcnt vmcnt(12) lgkmcnt(0)
	v_fma_f64 v[106:107], v[106:107], v[110:111], 0
	s_waitcnt vmcnt(10)
	v_fmac_f64_e32 v[106:107], v[114:115], v[112:113]
	ds_read2_b64 v[110:113], v108 offset0:85 offset1:86
	s_waitcnt vmcnt(8) lgkmcnt(0)
	v_fmac_f64_e32 v[106:107], v[116:117], v[110:111]
	s_waitcnt vmcnt(6)
	v_fmac_f64_e32 v[106:107], v[118:119], v[112:113]
	ds_read2_b64 v[110:113], v108 offset0:87 offset1:88
	s_waitcnt vmcnt(4) lgkmcnt(0)
	v_fmac_f64_e32 v[106:107], v[120:121], v[110:111]
	;; [unrolled: 5-line block ×3, first 2 shown]
	buffer_load_dword v111, off, s[0:3], 0 offset:308
	buffer_load_dword v110, off, s[0:3], 0 offset:304
	buffer_load_dword v115, off, s[0:3], 0 offset:316
	buffer_load_dword v114, off, s[0:3], 0 offset:312
	s_waitcnt vmcnt(2)
	v_fmac_f64_e32 v[106:107], v[110:111], v[112:113]
	ds_read2_b64 v[110:113], v108 offset0:91 offset1:92
	s_waitcnt vmcnt(0) lgkmcnt(0)
	v_fmac_f64_e32 v[106:107], v[114:115], v[110:111]
	buffer_load_dword v111, off, s[0:3], 0 offset:324
	buffer_load_dword v110, off, s[0:3], 0 offset:320
	buffer_load_dword v115, off, s[0:3], 0 offset:332
	buffer_load_dword v114, off, s[0:3], 0 offset:328
	s_waitcnt vmcnt(2)
	v_fmac_f64_e32 v[106:107], v[110:111], v[112:113]
	ds_read2_b64 v[110:113], v108 offset0:93 offset1:94
	s_waitcnt vmcnt(0) lgkmcnt(0)
	v_fmac_f64_e32 v[106:107], v[114:115], v[110:111]
	;; [unrolled: 9-line block ×5, first 2 shown]
	buffer_load_dword v111, off, s[0:3], 0 offset:388
	buffer_load_dword v110, off, s[0:3], 0 offset:384
	s_waitcnt vmcnt(0)
	v_fmac_f64_e32 v[106:107], v[110:111], v[112:113]
	buffer_load_dword v113, off, s[0:3], 0 offset:396
	buffer_load_dword v112, off, s[0:3], 0 offset:392
	ds_read2_b64 v[108:111], v108 offset0:101 offset1:102
	s_waitcnt vmcnt(0) lgkmcnt(0)
	v_fmac_f64_e32 v[106:107], v[112:113], v[108:109]
	buffer_load_dword v109, off, s[0:3], 0 offset:404
	buffer_load_dword v108, off, s[0:3], 0 offset:400
	s_waitcnt vmcnt(0)
	v_fmac_f64_e32 v[106:107], v[108:109], v[110:111]
	v_add_f64 v[104:105], v[104:105], -v[106:107]
	buffer_store_dword v105, off, s[0:3], 0 offset:244
	buffer_store_dword v104, off, s[0:3], 0 offset:240
	s_and_saveexec_b64 s[4:5], vcc
	s_cbranch_execz .LBB50_255
; %bb.254:
	buffer_load_dword v104, off, s[0:3], 0 offset:232
	buffer_load_dword v105, off, s[0:3], 0 offset:236
	v_mov_b32_e32 v106, 0
	buffer_store_dword v106, off, s[0:3], 0 offset:232
	buffer_store_dword v106, off, s[0:3], 0 offset:236
	s_waitcnt vmcnt(2)
	ds_write_b64 v1, v[104:105]
.LBB50_255:
	s_or_b64 exec, exec, s[4:5]
	s_waitcnt lgkmcnt(0)
	; wave barrier
	s_waitcnt lgkmcnt(0)
	buffer_load_dword v104, off, s[0:3], 0 offset:232
	buffer_load_dword v105, off, s[0:3], 0 offset:236
	;; [unrolled: 1-line block ×16, first 2 shown]
	v_mov_b32_e32 v108, 0
	ds_read_b128 v[110:113], v108 offset:656
	ds_read_b128 v[114:117], v108 offset:672
	;; [unrolled: 1-line block ×4, first 2 shown]
	v_cmp_lt_u32_e32 vcc, 28, v0
	s_waitcnt vmcnt(12) lgkmcnt(3)
	v_fma_f64 v[106:107], v[106:107], v[110:111], 0
	buffer_load_dword v111, off, s[0:3], 0 offset:300
	buffer_load_dword v110, off, s[0:3], 0 offset:296
	s_waitcnt vmcnt(12)
	v_fmac_f64_e32 v[106:107], v[126:127], v[112:113]
	s_waitcnt vmcnt(10) lgkmcnt(2)
	v_fmac_f64_e32 v[106:107], v[128:129], v[114:115]
	buffer_load_dword v115, off, s[0:3], 0 offset:308
	buffer_load_dword v114, off, s[0:3], 0 offset:304
	s_waitcnt vmcnt(10)
	v_fmac_f64_e32 v[106:107], v[130:131], v[116:117]
	s_waitcnt vmcnt(8) lgkmcnt(1)
	v_fmac_f64_e32 v[106:107], v[132:133], v[118:119]
	s_waitcnt vmcnt(6)
	v_fmac_f64_e32 v[106:107], v[134:135], v[120:121]
	s_waitcnt vmcnt(4) lgkmcnt(0)
	v_fmac_f64_e32 v[106:107], v[136:137], v[122:123]
	s_waitcnt vmcnt(2)
	v_fmac_f64_e32 v[106:107], v[110:111], v[124:125]
	ds_read_b128 v[110:113], v108 offset:720
	s_waitcnt vmcnt(0) lgkmcnt(0)
	v_fmac_f64_e32 v[106:107], v[114:115], v[110:111]
	buffer_load_dword v111, off, s[0:3], 0 offset:316
	buffer_load_dword v110, off, s[0:3], 0 offset:312
	buffer_load_dword v115, off, s[0:3], 0 offset:324
	buffer_load_dword v114, off, s[0:3], 0 offset:320
	s_waitcnt vmcnt(2)
	v_fmac_f64_e32 v[106:107], v[110:111], v[112:113]
	ds_read_b128 v[110:113], v108 offset:736
	s_waitcnt vmcnt(0) lgkmcnt(0)
	v_fmac_f64_e32 v[106:107], v[114:115], v[110:111]
	buffer_load_dword v111, off, s[0:3], 0 offset:332
	buffer_load_dword v110, off, s[0:3], 0 offset:328
	buffer_load_dword v115, off, s[0:3], 0 offset:340
	buffer_load_dword v114, off, s[0:3], 0 offset:336
	;; [unrolled: 9-line block ×5, first 2 shown]
	s_waitcnt vmcnt(2)
	v_fmac_f64_e32 v[106:107], v[110:111], v[112:113]
	ds_read_b128 v[110:113], v108 offset:800
	s_waitcnt vmcnt(0) lgkmcnt(0)
	v_fmac_f64_e32 v[106:107], v[114:115], v[110:111]
	buffer_load_dword v111, off, s[0:3], 0 offset:396
	buffer_load_dword v110, off, s[0:3], 0 offset:392
	s_waitcnt vmcnt(0)
	v_fmac_f64_e32 v[106:107], v[110:111], v[112:113]
	buffer_load_dword v111, off, s[0:3], 0 offset:404
	buffer_load_dword v110, off, s[0:3], 0 offset:400
	ds_read_b64 v[112:113], v108 offset:816
	s_waitcnt vmcnt(0) lgkmcnt(0)
	v_fmac_f64_e32 v[106:107], v[110:111], v[112:113]
	v_add_f64 v[104:105], v[104:105], -v[106:107]
	buffer_store_dword v105, off, s[0:3], 0 offset:236
	buffer_store_dword v104, off, s[0:3], 0 offset:232
	s_and_saveexec_b64 s[4:5], vcc
	s_cbranch_execz .LBB50_257
; %bb.256:
	buffer_load_dword v104, off, s[0:3], 0 offset:224
	buffer_load_dword v105, off, s[0:3], 0 offset:228
	s_waitcnt vmcnt(0)
	ds_write_b64 v1, v[104:105]
	buffer_store_dword v108, off, s[0:3], 0 offset:224
	buffer_store_dword v108, off, s[0:3], 0 offset:228
.LBB50_257:
	s_or_b64 exec, exec, s[4:5]
	s_waitcnt lgkmcnt(0)
	; wave barrier
	s_waitcnt lgkmcnt(0)
	buffer_load_dword v104, off, s[0:3], 0 offset:224
	buffer_load_dword v105, off, s[0:3], 0 offset:228
	buffer_load_dword v106, off, s[0:3], 0 offset:232
	buffer_load_dword v107, off, s[0:3], 0 offset:236
	buffer_load_dword v114, off, s[0:3], 0 offset:240
	buffer_load_dword v115, off, s[0:3], 0 offset:244
	buffer_load_dword v116, off, s[0:3], 0 offset:248
	buffer_load_dword v117, off, s[0:3], 0 offset:252
	buffer_load_dword v118, off, s[0:3], 0 offset:256
	buffer_load_dword v119, off, s[0:3], 0 offset:260
	buffer_load_dword v120, off, s[0:3], 0 offset:264
	buffer_load_dword v121, off, s[0:3], 0 offset:268
	buffer_load_dword v122, off, s[0:3], 0 offset:272
	buffer_load_dword v123, off, s[0:3], 0 offset:276
	buffer_load_dword v124, off, s[0:3], 0 offset:280
	buffer_load_dword v125, off, s[0:3], 0 offset:284
	ds_read2_b64 v[110:113], v108 offset0:81 offset1:82
	v_cmp_lt_u32_e32 vcc, 27, v0
	s_waitcnt vmcnt(12) lgkmcnt(0)
	v_fma_f64 v[106:107], v[106:107], v[110:111], 0
	s_waitcnt vmcnt(10)
	v_fmac_f64_e32 v[106:107], v[114:115], v[112:113]
	ds_read2_b64 v[110:113], v108 offset0:83 offset1:84
	s_waitcnt vmcnt(8) lgkmcnt(0)
	v_fmac_f64_e32 v[106:107], v[116:117], v[110:111]
	s_waitcnt vmcnt(6)
	v_fmac_f64_e32 v[106:107], v[118:119], v[112:113]
	ds_read2_b64 v[110:113], v108 offset0:85 offset1:86
	s_waitcnt vmcnt(4) lgkmcnt(0)
	v_fmac_f64_e32 v[106:107], v[120:121], v[110:111]
	;; [unrolled: 5-line block ×3, first 2 shown]
	buffer_load_dword v111, off, s[0:3], 0 offset:292
	buffer_load_dword v110, off, s[0:3], 0 offset:288
	buffer_load_dword v115, off, s[0:3], 0 offset:300
	buffer_load_dword v114, off, s[0:3], 0 offset:296
	s_waitcnt vmcnt(2)
	v_fmac_f64_e32 v[106:107], v[110:111], v[112:113]
	ds_read2_b64 v[110:113], v108 offset0:89 offset1:90
	s_waitcnt vmcnt(0) lgkmcnt(0)
	v_fmac_f64_e32 v[106:107], v[114:115], v[110:111]
	buffer_load_dword v111, off, s[0:3], 0 offset:308
	buffer_load_dword v110, off, s[0:3], 0 offset:304
	buffer_load_dword v115, off, s[0:3], 0 offset:316
	buffer_load_dword v114, off, s[0:3], 0 offset:312
	s_waitcnt vmcnt(2)
	v_fmac_f64_e32 v[106:107], v[110:111], v[112:113]
	ds_read2_b64 v[110:113], v108 offset0:91 offset1:92
	s_waitcnt vmcnt(0) lgkmcnt(0)
	v_fmac_f64_e32 v[106:107], v[114:115], v[110:111]
	;; [unrolled: 9-line block ×6, first 2 shown]
	buffer_load_dword v111, off, s[0:3], 0 offset:388
	buffer_load_dword v110, off, s[0:3], 0 offset:384
	s_waitcnt vmcnt(0)
	v_fmac_f64_e32 v[106:107], v[110:111], v[112:113]
	buffer_load_dword v113, off, s[0:3], 0 offset:396
	buffer_load_dword v112, off, s[0:3], 0 offset:392
	ds_read2_b64 v[108:111], v108 offset0:101 offset1:102
	s_waitcnt vmcnt(0) lgkmcnt(0)
	v_fmac_f64_e32 v[106:107], v[112:113], v[108:109]
	buffer_load_dword v109, off, s[0:3], 0 offset:404
	buffer_load_dword v108, off, s[0:3], 0 offset:400
	s_waitcnt vmcnt(0)
	v_fmac_f64_e32 v[106:107], v[108:109], v[110:111]
	v_add_f64 v[104:105], v[104:105], -v[106:107]
	buffer_store_dword v105, off, s[0:3], 0 offset:228
	buffer_store_dword v104, off, s[0:3], 0 offset:224
	s_and_saveexec_b64 s[4:5], vcc
	s_cbranch_execz .LBB50_259
; %bb.258:
	buffer_load_dword v104, off, s[0:3], 0 offset:216
	buffer_load_dword v105, off, s[0:3], 0 offset:220
	v_mov_b32_e32 v106, 0
	buffer_store_dword v106, off, s[0:3], 0 offset:216
	buffer_store_dword v106, off, s[0:3], 0 offset:220
	s_waitcnt vmcnt(2)
	ds_write_b64 v1, v[104:105]
.LBB50_259:
	s_or_b64 exec, exec, s[4:5]
	s_waitcnt lgkmcnt(0)
	; wave barrier
	s_waitcnt lgkmcnt(0)
	buffer_load_dword v104, off, s[0:3], 0 offset:216
	buffer_load_dword v105, off, s[0:3], 0 offset:220
	;; [unrolled: 1-line block ×16, first 2 shown]
	v_mov_b32_e32 v108, 0
	ds_read_b128 v[110:113], v108 offset:640
	ds_read_b128 v[114:117], v108 offset:656
	;; [unrolled: 1-line block ×4, first 2 shown]
	v_cmp_lt_u32_e32 vcc, 26, v0
	s_waitcnt vmcnt(12) lgkmcnt(3)
	v_fma_f64 v[106:107], v[106:107], v[110:111], 0
	buffer_load_dword v111, off, s[0:3], 0 offset:284
	buffer_load_dword v110, off, s[0:3], 0 offset:280
	s_waitcnt vmcnt(12)
	v_fmac_f64_e32 v[106:107], v[126:127], v[112:113]
	s_waitcnt vmcnt(10) lgkmcnt(2)
	v_fmac_f64_e32 v[106:107], v[128:129], v[114:115]
	buffer_load_dword v115, off, s[0:3], 0 offset:292
	buffer_load_dword v114, off, s[0:3], 0 offset:288
	s_waitcnt vmcnt(10)
	v_fmac_f64_e32 v[106:107], v[130:131], v[116:117]
	s_waitcnt vmcnt(8) lgkmcnt(1)
	v_fmac_f64_e32 v[106:107], v[132:133], v[118:119]
	s_waitcnt vmcnt(6)
	v_fmac_f64_e32 v[106:107], v[134:135], v[120:121]
	s_waitcnt vmcnt(4) lgkmcnt(0)
	v_fmac_f64_e32 v[106:107], v[136:137], v[122:123]
	s_waitcnt vmcnt(2)
	v_fmac_f64_e32 v[106:107], v[110:111], v[124:125]
	ds_read_b128 v[110:113], v108 offset:704
	s_waitcnt vmcnt(0) lgkmcnt(0)
	v_fmac_f64_e32 v[106:107], v[114:115], v[110:111]
	buffer_load_dword v111, off, s[0:3], 0 offset:300
	buffer_load_dword v110, off, s[0:3], 0 offset:296
	buffer_load_dword v115, off, s[0:3], 0 offset:308
	buffer_load_dword v114, off, s[0:3], 0 offset:304
	s_waitcnt vmcnt(2)
	v_fmac_f64_e32 v[106:107], v[110:111], v[112:113]
	ds_read_b128 v[110:113], v108 offset:720
	s_waitcnt vmcnt(0) lgkmcnt(0)
	v_fmac_f64_e32 v[106:107], v[114:115], v[110:111]
	buffer_load_dword v111, off, s[0:3], 0 offset:316
	buffer_load_dword v110, off, s[0:3], 0 offset:312
	buffer_load_dword v115, off, s[0:3], 0 offset:324
	buffer_load_dword v114, off, s[0:3], 0 offset:320
	;; [unrolled: 9-line block ×6, first 2 shown]
	s_waitcnt vmcnt(2)
	v_fmac_f64_e32 v[106:107], v[110:111], v[112:113]
	ds_read_b128 v[110:113], v108 offset:800
	s_waitcnt vmcnt(0) lgkmcnt(0)
	v_fmac_f64_e32 v[106:107], v[114:115], v[110:111]
	buffer_load_dword v111, off, s[0:3], 0 offset:396
	buffer_load_dword v110, off, s[0:3], 0 offset:392
	s_waitcnt vmcnt(0)
	v_fmac_f64_e32 v[106:107], v[110:111], v[112:113]
	buffer_load_dword v111, off, s[0:3], 0 offset:404
	buffer_load_dword v110, off, s[0:3], 0 offset:400
	ds_read_b64 v[112:113], v108 offset:816
	s_waitcnt vmcnt(0) lgkmcnt(0)
	v_fmac_f64_e32 v[106:107], v[110:111], v[112:113]
	v_add_f64 v[104:105], v[104:105], -v[106:107]
	buffer_store_dword v105, off, s[0:3], 0 offset:220
	buffer_store_dword v104, off, s[0:3], 0 offset:216
	s_and_saveexec_b64 s[4:5], vcc
	s_cbranch_execz .LBB50_261
; %bb.260:
	buffer_load_dword v104, off, s[0:3], 0 offset:208
	buffer_load_dword v105, off, s[0:3], 0 offset:212
	s_waitcnt vmcnt(0)
	ds_write_b64 v1, v[104:105]
	buffer_store_dword v108, off, s[0:3], 0 offset:208
	buffer_store_dword v108, off, s[0:3], 0 offset:212
.LBB50_261:
	s_or_b64 exec, exec, s[4:5]
	s_waitcnt lgkmcnt(0)
	; wave barrier
	s_waitcnt lgkmcnt(0)
	buffer_load_dword v104, off, s[0:3], 0 offset:208
	buffer_load_dword v105, off, s[0:3], 0 offset:212
	;; [unrolled: 1-line block ×16, first 2 shown]
	ds_read2_b64 v[110:113], v108 offset0:79 offset1:80
	v_cmp_lt_u32_e32 vcc, 25, v0
	s_waitcnt vmcnt(12) lgkmcnt(0)
	v_fma_f64 v[106:107], v[106:107], v[110:111], 0
	s_waitcnt vmcnt(10)
	v_fmac_f64_e32 v[106:107], v[114:115], v[112:113]
	ds_read2_b64 v[110:113], v108 offset0:81 offset1:82
	s_waitcnt vmcnt(8) lgkmcnt(0)
	v_fmac_f64_e32 v[106:107], v[116:117], v[110:111]
	s_waitcnt vmcnt(6)
	v_fmac_f64_e32 v[106:107], v[118:119], v[112:113]
	ds_read2_b64 v[110:113], v108 offset0:83 offset1:84
	s_waitcnt vmcnt(4) lgkmcnt(0)
	v_fmac_f64_e32 v[106:107], v[120:121], v[110:111]
	;; [unrolled: 5-line block ×3, first 2 shown]
	buffer_load_dword v111, off, s[0:3], 0 offset:276
	buffer_load_dword v110, off, s[0:3], 0 offset:272
	buffer_load_dword v115, off, s[0:3], 0 offset:284
	buffer_load_dword v114, off, s[0:3], 0 offset:280
	s_waitcnt vmcnt(2)
	v_fmac_f64_e32 v[106:107], v[110:111], v[112:113]
	ds_read2_b64 v[110:113], v108 offset0:87 offset1:88
	s_waitcnt vmcnt(0) lgkmcnt(0)
	v_fmac_f64_e32 v[106:107], v[114:115], v[110:111]
	buffer_load_dword v111, off, s[0:3], 0 offset:292
	buffer_load_dword v110, off, s[0:3], 0 offset:288
	buffer_load_dword v115, off, s[0:3], 0 offset:300
	buffer_load_dword v114, off, s[0:3], 0 offset:296
	s_waitcnt vmcnt(2)
	v_fmac_f64_e32 v[106:107], v[110:111], v[112:113]
	ds_read2_b64 v[110:113], v108 offset0:89 offset1:90
	s_waitcnt vmcnt(0) lgkmcnt(0)
	v_fmac_f64_e32 v[106:107], v[114:115], v[110:111]
	;; [unrolled: 9-line block ×7, first 2 shown]
	buffer_load_dword v111, off, s[0:3], 0 offset:388
	buffer_load_dword v110, off, s[0:3], 0 offset:384
	s_waitcnt vmcnt(0)
	v_fmac_f64_e32 v[106:107], v[110:111], v[112:113]
	buffer_load_dword v113, off, s[0:3], 0 offset:396
	buffer_load_dword v112, off, s[0:3], 0 offset:392
	ds_read2_b64 v[108:111], v108 offset0:101 offset1:102
	s_waitcnt vmcnt(0) lgkmcnt(0)
	v_fmac_f64_e32 v[106:107], v[112:113], v[108:109]
	buffer_load_dword v109, off, s[0:3], 0 offset:404
	buffer_load_dword v108, off, s[0:3], 0 offset:400
	s_waitcnt vmcnt(0)
	v_fmac_f64_e32 v[106:107], v[108:109], v[110:111]
	v_add_f64 v[104:105], v[104:105], -v[106:107]
	buffer_store_dword v105, off, s[0:3], 0 offset:212
	buffer_store_dword v104, off, s[0:3], 0 offset:208
	s_and_saveexec_b64 s[4:5], vcc
	s_cbranch_execz .LBB50_263
; %bb.262:
	buffer_load_dword v104, off, s[0:3], 0 offset:200
	buffer_load_dword v105, off, s[0:3], 0 offset:204
	v_mov_b32_e32 v106, 0
	buffer_store_dword v106, off, s[0:3], 0 offset:200
	buffer_store_dword v106, off, s[0:3], 0 offset:204
	s_waitcnt vmcnt(2)
	ds_write_b64 v1, v[104:105]
.LBB50_263:
	s_or_b64 exec, exec, s[4:5]
	s_waitcnt lgkmcnt(0)
	; wave barrier
	s_waitcnt lgkmcnt(0)
	buffer_load_dword v104, off, s[0:3], 0 offset:200
	buffer_load_dword v105, off, s[0:3], 0 offset:204
	;; [unrolled: 1-line block ×16, first 2 shown]
	v_mov_b32_e32 v108, 0
	ds_read_b128 v[110:113], v108 offset:624
	ds_read_b128 v[114:117], v108 offset:640
	;; [unrolled: 1-line block ×4, first 2 shown]
	v_cmp_lt_u32_e32 vcc, 24, v0
	s_waitcnt vmcnt(12) lgkmcnt(3)
	v_fma_f64 v[106:107], v[106:107], v[110:111], 0
	buffer_load_dword v111, off, s[0:3], 0 offset:268
	buffer_load_dword v110, off, s[0:3], 0 offset:264
	s_waitcnt vmcnt(12)
	v_fmac_f64_e32 v[106:107], v[126:127], v[112:113]
	s_waitcnt vmcnt(10) lgkmcnt(2)
	v_fmac_f64_e32 v[106:107], v[128:129], v[114:115]
	buffer_load_dword v115, off, s[0:3], 0 offset:276
	buffer_load_dword v114, off, s[0:3], 0 offset:272
	s_waitcnt vmcnt(10)
	v_fmac_f64_e32 v[106:107], v[130:131], v[116:117]
	s_waitcnt vmcnt(8) lgkmcnt(1)
	v_fmac_f64_e32 v[106:107], v[132:133], v[118:119]
	s_waitcnt vmcnt(6)
	v_fmac_f64_e32 v[106:107], v[134:135], v[120:121]
	s_waitcnt vmcnt(4) lgkmcnt(0)
	v_fmac_f64_e32 v[106:107], v[136:137], v[122:123]
	s_waitcnt vmcnt(2)
	v_fmac_f64_e32 v[106:107], v[110:111], v[124:125]
	ds_read_b128 v[110:113], v108 offset:688
	s_waitcnt vmcnt(0) lgkmcnt(0)
	v_fmac_f64_e32 v[106:107], v[114:115], v[110:111]
	buffer_load_dword v111, off, s[0:3], 0 offset:284
	buffer_load_dword v110, off, s[0:3], 0 offset:280
	buffer_load_dword v115, off, s[0:3], 0 offset:292
	buffer_load_dword v114, off, s[0:3], 0 offset:288
	s_waitcnt vmcnt(2)
	v_fmac_f64_e32 v[106:107], v[110:111], v[112:113]
	ds_read_b128 v[110:113], v108 offset:704
	s_waitcnt vmcnt(0) lgkmcnt(0)
	v_fmac_f64_e32 v[106:107], v[114:115], v[110:111]
	buffer_load_dword v111, off, s[0:3], 0 offset:300
	buffer_load_dword v110, off, s[0:3], 0 offset:296
	buffer_load_dword v115, off, s[0:3], 0 offset:308
	buffer_load_dword v114, off, s[0:3], 0 offset:304
	;; [unrolled: 9-line block ×7, first 2 shown]
	s_waitcnt vmcnt(2)
	v_fmac_f64_e32 v[106:107], v[110:111], v[112:113]
	ds_read_b128 v[110:113], v108 offset:800
	s_waitcnt vmcnt(0) lgkmcnt(0)
	v_fmac_f64_e32 v[106:107], v[114:115], v[110:111]
	buffer_load_dword v111, off, s[0:3], 0 offset:396
	buffer_load_dword v110, off, s[0:3], 0 offset:392
	s_waitcnt vmcnt(0)
	v_fmac_f64_e32 v[106:107], v[110:111], v[112:113]
	buffer_load_dword v111, off, s[0:3], 0 offset:404
	buffer_load_dword v110, off, s[0:3], 0 offset:400
	ds_read_b64 v[112:113], v108 offset:816
	s_waitcnt vmcnt(0) lgkmcnt(0)
	v_fmac_f64_e32 v[106:107], v[110:111], v[112:113]
	v_add_f64 v[104:105], v[104:105], -v[106:107]
	buffer_store_dword v105, off, s[0:3], 0 offset:204
	buffer_store_dword v104, off, s[0:3], 0 offset:200
	s_and_saveexec_b64 s[4:5], vcc
	s_cbranch_execz .LBB50_265
; %bb.264:
	buffer_load_dword v104, off, s[0:3], 0 offset:192
	buffer_load_dword v105, off, s[0:3], 0 offset:196
	s_waitcnt vmcnt(0)
	ds_write_b64 v1, v[104:105]
	buffer_store_dword v108, off, s[0:3], 0 offset:192
	buffer_store_dword v108, off, s[0:3], 0 offset:196
.LBB50_265:
	s_or_b64 exec, exec, s[4:5]
	s_waitcnt lgkmcnt(0)
	; wave barrier
	s_waitcnt lgkmcnt(0)
	buffer_load_dword v104, off, s[0:3], 0 offset:192
	buffer_load_dword v105, off, s[0:3], 0 offset:196
	;; [unrolled: 1-line block ×16, first 2 shown]
	ds_read2_b64 v[110:113], v108 offset0:77 offset1:78
	v_cmp_lt_u32_e32 vcc, 23, v0
	s_waitcnt vmcnt(12) lgkmcnt(0)
	v_fma_f64 v[106:107], v[106:107], v[110:111], 0
	s_waitcnt vmcnt(10)
	v_fmac_f64_e32 v[106:107], v[114:115], v[112:113]
	ds_read2_b64 v[110:113], v108 offset0:79 offset1:80
	s_waitcnt vmcnt(8) lgkmcnt(0)
	v_fmac_f64_e32 v[106:107], v[116:117], v[110:111]
	s_waitcnt vmcnt(6)
	v_fmac_f64_e32 v[106:107], v[118:119], v[112:113]
	ds_read2_b64 v[110:113], v108 offset0:81 offset1:82
	s_waitcnt vmcnt(4) lgkmcnt(0)
	v_fmac_f64_e32 v[106:107], v[120:121], v[110:111]
	s_waitcnt vmcnt(2)
	v_fmac_f64_e32 v[106:107], v[122:123], v[112:113]
	ds_read2_b64 v[110:113], v108 offset0:83 offset1:84
	s_waitcnt vmcnt(0) lgkmcnt(0)
	v_fmac_f64_e32 v[106:107], v[124:125], v[110:111]
	buffer_load_dword v111, off, s[0:3], 0 offset:260
	buffer_load_dword v110, off, s[0:3], 0 offset:256
	buffer_load_dword v115, off, s[0:3], 0 offset:268
	buffer_load_dword v114, off, s[0:3], 0 offset:264
	s_waitcnt vmcnt(2)
	v_fmac_f64_e32 v[106:107], v[110:111], v[112:113]
	ds_read2_b64 v[110:113], v108 offset0:85 offset1:86
	s_waitcnt vmcnt(0) lgkmcnt(0)
	v_fmac_f64_e32 v[106:107], v[114:115], v[110:111]
	buffer_load_dword v111, off, s[0:3], 0 offset:276
	buffer_load_dword v110, off, s[0:3], 0 offset:272
	buffer_load_dword v115, off, s[0:3], 0 offset:284
	buffer_load_dword v114, off, s[0:3], 0 offset:280
	s_waitcnt vmcnt(2)
	v_fmac_f64_e32 v[106:107], v[110:111], v[112:113]
	ds_read2_b64 v[110:113], v108 offset0:87 offset1:88
	s_waitcnt vmcnt(0) lgkmcnt(0)
	v_fmac_f64_e32 v[106:107], v[114:115], v[110:111]
	;; [unrolled: 9-line block ×8, first 2 shown]
	buffer_load_dword v111, off, s[0:3], 0 offset:388
	buffer_load_dword v110, off, s[0:3], 0 offset:384
	s_waitcnt vmcnt(0)
	v_fmac_f64_e32 v[106:107], v[110:111], v[112:113]
	buffer_load_dword v113, off, s[0:3], 0 offset:396
	buffer_load_dword v112, off, s[0:3], 0 offset:392
	ds_read2_b64 v[108:111], v108 offset0:101 offset1:102
	s_waitcnt vmcnt(0) lgkmcnt(0)
	v_fmac_f64_e32 v[106:107], v[112:113], v[108:109]
	buffer_load_dword v109, off, s[0:3], 0 offset:404
	buffer_load_dword v108, off, s[0:3], 0 offset:400
	s_waitcnt vmcnt(0)
	v_fmac_f64_e32 v[106:107], v[108:109], v[110:111]
	v_add_f64 v[104:105], v[104:105], -v[106:107]
	buffer_store_dword v105, off, s[0:3], 0 offset:196
	buffer_store_dword v104, off, s[0:3], 0 offset:192
	s_and_saveexec_b64 s[4:5], vcc
	s_cbranch_execz .LBB50_267
; %bb.266:
	buffer_load_dword v104, off, s[0:3], 0 offset:184
	buffer_load_dword v105, off, s[0:3], 0 offset:188
	v_mov_b32_e32 v106, 0
	buffer_store_dword v106, off, s[0:3], 0 offset:184
	buffer_store_dword v106, off, s[0:3], 0 offset:188
	s_waitcnt vmcnt(2)
	ds_write_b64 v1, v[104:105]
.LBB50_267:
	s_or_b64 exec, exec, s[4:5]
	s_waitcnt lgkmcnt(0)
	; wave barrier
	s_waitcnt lgkmcnt(0)
	buffer_load_dword v104, off, s[0:3], 0 offset:184
	buffer_load_dword v105, off, s[0:3], 0 offset:188
	;; [unrolled: 1-line block ×16, first 2 shown]
	v_mov_b32_e32 v108, 0
	ds_read_b128 v[110:113], v108 offset:608
	ds_read_b128 v[114:117], v108 offset:624
	;; [unrolled: 1-line block ×4, first 2 shown]
	v_cmp_lt_u32_e32 vcc, 22, v0
	s_waitcnt vmcnt(12) lgkmcnt(3)
	v_fma_f64 v[106:107], v[106:107], v[110:111], 0
	buffer_load_dword v111, off, s[0:3], 0 offset:252
	buffer_load_dword v110, off, s[0:3], 0 offset:248
	s_waitcnt vmcnt(12)
	v_fmac_f64_e32 v[106:107], v[126:127], v[112:113]
	s_waitcnt vmcnt(10) lgkmcnt(2)
	v_fmac_f64_e32 v[106:107], v[128:129], v[114:115]
	buffer_load_dword v115, off, s[0:3], 0 offset:260
	buffer_load_dword v114, off, s[0:3], 0 offset:256
	s_waitcnt vmcnt(10)
	v_fmac_f64_e32 v[106:107], v[130:131], v[116:117]
	s_waitcnt vmcnt(8) lgkmcnt(1)
	v_fmac_f64_e32 v[106:107], v[132:133], v[118:119]
	s_waitcnt vmcnt(6)
	v_fmac_f64_e32 v[106:107], v[134:135], v[120:121]
	s_waitcnt vmcnt(4) lgkmcnt(0)
	v_fmac_f64_e32 v[106:107], v[136:137], v[122:123]
	s_waitcnt vmcnt(2)
	v_fmac_f64_e32 v[106:107], v[110:111], v[124:125]
	ds_read_b128 v[110:113], v108 offset:672
	s_waitcnt vmcnt(0) lgkmcnt(0)
	v_fmac_f64_e32 v[106:107], v[114:115], v[110:111]
	buffer_load_dword v111, off, s[0:3], 0 offset:268
	buffer_load_dword v110, off, s[0:3], 0 offset:264
	buffer_load_dword v115, off, s[0:3], 0 offset:276
	buffer_load_dword v114, off, s[0:3], 0 offset:272
	s_waitcnt vmcnt(2)
	v_fmac_f64_e32 v[106:107], v[110:111], v[112:113]
	ds_read_b128 v[110:113], v108 offset:688
	s_waitcnt vmcnt(0) lgkmcnt(0)
	v_fmac_f64_e32 v[106:107], v[114:115], v[110:111]
	buffer_load_dword v111, off, s[0:3], 0 offset:284
	buffer_load_dword v110, off, s[0:3], 0 offset:280
	buffer_load_dword v115, off, s[0:3], 0 offset:292
	buffer_load_dword v114, off, s[0:3], 0 offset:288
	;; [unrolled: 9-line block ×8, first 2 shown]
	s_waitcnt vmcnt(2)
	v_fmac_f64_e32 v[106:107], v[110:111], v[112:113]
	ds_read_b128 v[110:113], v108 offset:800
	s_waitcnt vmcnt(0) lgkmcnt(0)
	v_fmac_f64_e32 v[106:107], v[114:115], v[110:111]
	buffer_load_dword v111, off, s[0:3], 0 offset:396
	buffer_load_dword v110, off, s[0:3], 0 offset:392
	s_waitcnt vmcnt(0)
	v_fmac_f64_e32 v[106:107], v[110:111], v[112:113]
	buffer_load_dword v111, off, s[0:3], 0 offset:404
	buffer_load_dword v110, off, s[0:3], 0 offset:400
	ds_read_b64 v[112:113], v108 offset:816
	s_waitcnt vmcnt(0) lgkmcnt(0)
	v_fmac_f64_e32 v[106:107], v[110:111], v[112:113]
	v_add_f64 v[104:105], v[104:105], -v[106:107]
	buffer_store_dword v105, off, s[0:3], 0 offset:188
	buffer_store_dword v104, off, s[0:3], 0 offset:184
	s_and_saveexec_b64 s[4:5], vcc
	s_cbranch_execz .LBB50_269
; %bb.268:
	buffer_load_dword v104, off, s[0:3], 0 offset:176
	buffer_load_dword v105, off, s[0:3], 0 offset:180
	s_waitcnt vmcnt(0)
	ds_write_b64 v1, v[104:105]
	buffer_store_dword v108, off, s[0:3], 0 offset:176
	buffer_store_dword v108, off, s[0:3], 0 offset:180
.LBB50_269:
	s_or_b64 exec, exec, s[4:5]
	s_waitcnt lgkmcnt(0)
	; wave barrier
	s_waitcnt lgkmcnt(0)
	buffer_load_dword v104, off, s[0:3], 0 offset:176
	buffer_load_dword v105, off, s[0:3], 0 offset:180
	;; [unrolled: 1-line block ×16, first 2 shown]
	ds_read2_b64 v[110:113], v108 offset0:75 offset1:76
	v_cmp_lt_u32_e32 vcc, 21, v0
	s_waitcnt vmcnt(12) lgkmcnt(0)
	v_fma_f64 v[106:107], v[106:107], v[110:111], 0
	s_waitcnt vmcnt(10)
	v_fmac_f64_e32 v[106:107], v[114:115], v[112:113]
	ds_read2_b64 v[110:113], v108 offset0:77 offset1:78
	s_waitcnt vmcnt(8) lgkmcnt(0)
	v_fmac_f64_e32 v[106:107], v[116:117], v[110:111]
	s_waitcnt vmcnt(6)
	v_fmac_f64_e32 v[106:107], v[118:119], v[112:113]
	ds_read2_b64 v[110:113], v108 offset0:79 offset1:80
	s_waitcnt vmcnt(4) lgkmcnt(0)
	v_fmac_f64_e32 v[106:107], v[120:121], v[110:111]
	;; [unrolled: 5-line block ×3, first 2 shown]
	buffer_load_dword v111, off, s[0:3], 0 offset:244
	buffer_load_dword v110, off, s[0:3], 0 offset:240
	buffer_load_dword v115, off, s[0:3], 0 offset:252
	buffer_load_dword v114, off, s[0:3], 0 offset:248
	s_waitcnt vmcnt(2)
	v_fmac_f64_e32 v[106:107], v[110:111], v[112:113]
	ds_read2_b64 v[110:113], v108 offset0:83 offset1:84
	s_waitcnt vmcnt(0) lgkmcnt(0)
	v_fmac_f64_e32 v[106:107], v[114:115], v[110:111]
	buffer_load_dword v111, off, s[0:3], 0 offset:260
	buffer_load_dword v110, off, s[0:3], 0 offset:256
	buffer_load_dword v115, off, s[0:3], 0 offset:268
	buffer_load_dword v114, off, s[0:3], 0 offset:264
	s_waitcnt vmcnt(2)
	v_fmac_f64_e32 v[106:107], v[110:111], v[112:113]
	ds_read2_b64 v[110:113], v108 offset0:85 offset1:86
	s_waitcnt vmcnt(0) lgkmcnt(0)
	v_fmac_f64_e32 v[106:107], v[114:115], v[110:111]
	;; [unrolled: 9-line block ×9, first 2 shown]
	buffer_load_dword v111, off, s[0:3], 0 offset:388
	buffer_load_dword v110, off, s[0:3], 0 offset:384
	s_waitcnt vmcnt(0)
	v_fmac_f64_e32 v[106:107], v[110:111], v[112:113]
	buffer_load_dword v113, off, s[0:3], 0 offset:396
	buffer_load_dword v112, off, s[0:3], 0 offset:392
	ds_read2_b64 v[108:111], v108 offset0:101 offset1:102
	s_waitcnt vmcnt(0) lgkmcnt(0)
	v_fmac_f64_e32 v[106:107], v[112:113], v[108:109]
	buffer_load_dword v109, off, s[0:3], 0 offset:404
	buffer_load_dword v108, off, s[0:3], 0 offset:400
	s_waitcnt vmcnt(0)
	v_fmac_f64_e32 v[106:107], v[108:109], v[110:111]
	v_add_f64 v[104:105], v[104:105], -v[106:107]
	buffer_store_dword v105, off, s[0:3], 0 offset:180
	buffer_store_dword v104, off, s[0:3], 0 offset:176
	s_and_saveexec_b64 s[4:5], vcc
	s_cbranch_execz .LBB50_271
; %bb.270:
	buffer_load_dword v104, off, s[0:3], 0 offset:168
	buffer_load_dword v105, off, s[0:3], 0 offset:172
	v_mov_b32_e32 v106, 0
	buffer_store_dword v106, off, s[0:3], 0 offset:168
	buffer_store_dword v106, off, s[0:3], 0 offset:172
	s_waitcnt vmcnt(2)
	ds_write_b64 v1, v[104:105]
.LBB50_271:
	s_or_b64 exec, exec, s[4:5]
	s_waitcnt lgkmcnt(0)
	; wave barrier
	s_waitcnt lgkmcnt(0)
	buffer_load_dword v104, off, s[0:3], 0 offset:168
	buffer_load_dword v105, off, s[0:3], 0 offset:172
	;; [unrolled: 1-line block ×16, first 2 shown]
	v_mov_b32_e32 v108, 0
	ds_read_b128 v[110:113], v108 offset:592
	ds_read_b128 v[114:117], v108 offset:608
	;; [unrolled: 1-line block ×4, first 2 shown]
	v_cmp_lt_u32_e32 vcc, 20, v0
	s_waitcnt vmcnt(12) lgkmcnt(3)
	v_fma_f64 v[106:107], v[106:107], v[110:111], 0
	buffer_load_dword v111, off, s[0:3], 0 offset:236
	buffer_load_dword v110, off, s[0:3], 0 offset:232
	s_waitcnt vmcnt(12)
	v_fmac_f64_e32 v[106:107], v[126:127], v[112:113]
	s_waitcnt vmcnt(10) lgkmcnt(2)
	v_fmac_f64_e32 v[106:107], v[128:129], v[114:115]
	buffer_load_dword v115, off, s[0:3], 0 offset:244
	buffer_load_dword v114, off, s[0:3], 0 offset:240
	s_waitcnt vmcnt(10)
	v_fmac_f64_e32 v[106:107], v[130:131], v[116:117]
	s_waitcnt vmcnt(8) lgkmcnt(1)
	v_fmac_f64_e32 v[106:107], v[132:133], v[118:119]
	s_waitcnt vmcnt(6)
	v_fmac_f64_e32 v[106:107], v[134:135], v[120:121]
	s_waitcnt vmcnt(4) lgkmcnt(0)
	v_fmac_f64_e32 v[106:107], v[136:137], v[122:123]
	s_waitcnt vmcnt(2)
	v_fmac_f64_e32 v[106:107], v[110:111], v[124:125]
	ds_read_b128 v[110:113], v108 offset:656
	s_waitcnt vmcnt(0) lgkmcnt(0)
	v_fmac_f64_e32 v[106:107], v[114:115], v[110:111]
	buffer_load_dword v111, off, s[0:3], 0 offset:252
	buffer_load_dword v110, off, s[0:3], 0 offset:248
	buffer_load_dword v115, off, s[0:3], 0 offset:260
	buffer_load_dword v114, off, s[0:3], 0 offset:256
	s_waitcnt vmcnt(2)
	v_fmac_f64_e32 v[106:107], v[110:111], v[112:113]
	ds_read_b128 v[110:113], v108 offset:672
	s_waitcnt vmcnt(0) lgkmcnt(0)
	v_fmac_f64_e32 v[106:107], v[114:115], v[110:111]
	buffer_load_dword v111, off, s[0:3], 0 offset:268
	buffer_load_dword v110, off, s[0:3], 0 offset:264
	buffer_load_dword v115, off, s[0:3], 0 offset:276
	buffer_load_dword v114, off, s[0:3], 0 offset:272
	;; [unrolled: 9-line block ×9, first 2 shown]
	s_waitcnt vmcnt(2)
	v_fmac_f64_e32 v[106:107], v[110:111], v[112:113]
	ds_read_b128 v[110:113], v108 offset:800
	s_waitcnt vmcnt(0) lgkmcnt(0)
	v_fmac_f64_e32 v[106:107], v[114:115], v[110:111]
	buffer_load_dword v111, off, s[0:3], 0 offset:396
	buffer_load_dword v110, off, s[0:3], 0 offset:392
	s_waitcnt vmcnt(0)
	v_fmac_f64_e32 v[106:107], v[110:111], v[112:113]
	buffer_load_dword v111, off, s[0:3], 0 offset:404
	buffer_load_dword v110, off, s[0:3], 0 offset:400
	ds_read_b64 v[112:113], v108 offset:816
	s_waitcnt vmcnt(0) lgkmcnt(0)
	v_fmac_f64_e32 v[106:107], v[110:111], v[112:113]
	v_add_f64 v[104:105], v[104:105], -v[106:107]
	buffer_store_dword v105, off, s[0:3], 0 offset:172
	buffer_store_dword v104, off, s[0:3], 0 offset:168
	s_and_saveexec_b64 s[4:5], vcc
	s_cbranch_execz .LBB50_273
; %bb.272:
	buffer_load_dword v104, off, s[0:3], 0 offset:160
	buffer_load_dword v105, off, s[0:3], 0 offset:164
	s_waitcnt vmcnt(0)
	ds_write_b64 v1, v[104:105]
	buffer_store_dword v108, off, s[0:3], 0 offset:160
	buffer_store_dword v108, off, s[0:3], 0 offset:164
.LBB50_273:
	s_or_b64 exec, exec, s[4:5]
	s_waitcnt lgkmcnt(0)
	; wave barrier
	s_waitcnt lgkmcnt(0)
	buffer_load_dword v104, off, s[0:3], 0 offset:160
	buffer_load_dword v105, off, s[0:3], 0 offset:164
	;; [unrolled: 1-line block ×16, first 2 shown]
	ds_read2_b64 v[110:113], v108 offset0:73 offset1:74
	v_cmp_lt_u32_e32 vcc, 19, v0
	s_waitcnt vmcnt(12) lgkmcnt(0)
	v_fma_f64 v[106:107], v[106:107], v[110:111], 0
	s_waitcnt vmcnt(10)
	v_fmac_f64_e32 v[106:107], v[114:115], v[112:113]
	ds_read2_b64 v[110:113], v108 offset0:75 offset1:76
	s_waitcnt vmcnt(8) lgkmcnt(0)
	v_fmac_f64_e32 v[106:107], v[116:117], v[110:111]
	s_waitcnt vmcnt(6)
	v_fmac_f64_e32 v[106:107], v[118:119], v[112:113]
	ds_read2_b64 v[110:113], v108 offset0:77 offset1:78
	s_waitcnt vmcnt(4) lgkmcnt(0)
	v_fmac_f64_e32 v[106:107], v[120:121], v[110:111]
	;; [unrolled: 5-line block ×3, first 2 shown]
	buffer_load_dword v111, off, s[0:3], 0 offset:228
	buffer_load_dword v110, off, s[0:3], 0 offset:224
	buffer_load_dword v115, off, s[0:3], 0 offset:236
	buffer_load_dword v114, off, s[0:3], 0 offset:232
	s_waitcnt vmcnt(2)
	v_fmac_f64_e32 v[106:107], v[110:111], v[112:113]
	ds_read2_b64 v[110:113], v108 offset0:81 offset1:82
	s_waitcnt vmcnt(0) lgkmcnt(0)
	v_fmac_f64_e32 v[106:107], v[114:115], v[110:111]
	buffer_load_dword v111, off, s[0:3], 0 offset:244
	buffer_load_dword v110, off, s[0:3], 0 offset:240
	buffer_load_dword v115, off, s[0:3], 0 offset:252
	buffer_load_dword v114, off, s[0:3], 0 offset:248
	s_waitcnt vmcnt(2)
	v_fmac_f64_e32 v[106:107], v[110:111], v[112:113]
	ds_read2_b64 v[110:113], v108 offset0:83 offset1:84
	s_waitcnt vmcnt(0) lgkmcnt(0)
	v_fmac_f64_e32 v[106:107], v[114:115], v[110:111]
	buffer_load_dword v111, off, s[0:3], 0 offset:260
	buffer_load_dword v110, off, s[0:3], 0 offset:256
	buffer_load_dword v115, off, s[0:3], 0 offset:268
	buffer_load_dword v114, off, s[0:3], 0 offset:264
	s_waitcnt vmcnt(2)
	v_fmac_f64_e32 v[106:107], v[110:111], v[112:113]
	ds_read2_b64 v[110:113], v108 offset0:85 offset1:86
	s_waitcnt vmcnt(0) lgkmcnt(0)
	v_fmac_f64_e32 v[106:107], v[114:115], v[110:111]
	buffer_load_dword v111, off, s[0:3], 0 offset:276
	buffer_load_dword v110, off, s[0:3], 0 offset:272
	buffer_load_dword v115, off, s[0:3], 0 offset:284
	buffer_load_dword v114, off, s[0:3], 0 offset:280
	s_waitcnt vmcnt(2)
	v_fmac_f64_e32 v[106:107], v[110:111], v[112:113]
	ds_read2_b64 v[110:113], v108 offset0:87 offset1:88
	s_waitcnt vmcnt(0) lgkmcnt(0)
	v_fmac_f64_e32 v[106:107], v[114:115], v[110:111]
	buffer_load_dword v111, off, s[0:3], 0 offset:292
	buffer_load_dword v110, off, s[0:3], 0 offset:288
	buffer_load_dword v115, off, s[0:3], 0 offset:300
	buffer_load_dword v114, off, s[0:3], 0 offset:296
	s_waitcnt vmcnt(2)
	v_fmac_f64_e32 v[106:107], v[110:111], v[112:113]
	ds_read2_b64 v[110:113], v108 offset0:89 offset1:90
	s_waitcnt vmcnt(0) lgkmcnt(0)
	v_fmac_f64_e32 v[106:107], v[114:115], v[110:111]
	buffer_load_dword v111, off, s[0:3], 0 offset:308
	buffer_load_dword v110, off, s[0:3], 0 offset:304
	buffer_load_dword v115, off, s[0:3], 0 offset:316
	buffer_load_dword v114, off, s[0:3], 0 offset:312
	s_waitcnt vmcnt(2)
	v_fmac_f64_e32 v[106:107], v[110:111], v[112:113]
	ds_read2_b64 v[110:113], v108 offset0:91 offset1:92
	s_waitcnt vmcnt(0) lgkmcnt(0)
	v_fmac_f64_e32 v[106:107], v[114:115], v[110:111]
	buffer_load_dword v111, off, s[0:3], 0 offset:324
	buffer_load_dword v110, off, s[0:3], 0 offset:320
	buffer_load_dword v115, off, s[0:3], 0 offset:332
	buffer_load_dword v114, off, s[0:3], 0 offset:328
	s_waitcnt vmcnt(2)
	v_fmac_f64_e32 v[106:107], v[110:111], v[112:113]
	ds_read2_b64 v[110:113], v108 offset0:93 offset1:94
	s_waitcnt vmcnt(0) lgkmcnt(0)
	v_fmac_f64_e32 v[106:107], v[114:115], v[110:111]
	buffer_load_dword v111, off, s[0:3], 0 offset:340
	buffer_load_dword v110, off, s[0:3], 0 offset:336
	buffer_load_dword v115, off, s[0:3], 0 offset:348
	buffer_load_dword v114, off, s[0:3], 0 offset:344
	s_waitcnt vmcnt(2)
	v_fmac_f64_e32 v[106:107], v[110:111], v[112:113]
	ds_read2_b64 v[110:113], v108 offset0:95 offset1:96
	s_waitcnt vmcnt(0) lgkmcnt(0)
	v_fmac_f64_e32 v[106:107], v[114:115], v[110:111]
	buffer_load_dword v111, off, s[0:3], 0 offset:356
	buffer_load_dword v110, off, s[0:3], 0 offset:352
	buffer_load_dword v115, off, s[0:3], 0 offset:364
	buffer_load_dword v114, off, s[0:3], 0 offset:360
	s_waitcnt vmcnt(2)
	v_fmac_f64_e32 v[106:107], v[110:111], v[112:113]
	ds_read2_b64 v[110:113], v108 offset0:97 offset1:98
	s_waitcnt vmcnt(0) lgkmcnt(0)
	v_fmac_f64_e32 v[106:107], v[114:115], v[110:111]
	buffer_load_dword v111, off, s[0:3], 0 offset:372
	buffer_load_dword v110, off, s[0:3], 0 offset:368
	buffer_load_dword v115, off, s[0:3], 0 offset:380
	buffer_load_dword v114, off, s[0:3], 0 offset:376
	s_waitcnt vmcnt(2)
	v_fmac_f64_e32 v[106:107], v[110:111], v[112:113]
	ds_read2_b64 v[110:113], v108 offset0:99 offset1:100
	s_waitcnt vmcnt(0) lgkmcnt(0)
	v_fmac_f64_e32 v[106:107], v[114:115], v[110:111]
	buffer_load_dword v111, off, s[0:3], 0 offset:388
	buffer_load_dword v110, off, s[0:3], 0 offset:384
	s_waitcnt vmcnt(0)
	v_fmac_f64_e32 v[106:107], v[110:111], v[112:113]
	buffer_load_dword v113, off, s[0:3], 0 offset:396
	buffer_load_dword v112, off, s[0:3], 0 offset:392
	ds_read2_b64 v[108:111], v108 offset0:101 offset1:102
	s_waitcnt vmcnt(0) lgkmcnt(0)
	v_fmac_f64_e32 v[106:107], v[112:113], v[108:109]
	buffer_load_dword v109, off, s[0:3], 0 offset:404
	buffer_load_dword v108, off, s[0:3], 0 offset:400
	s_waitcnt vmcnt(0)
	v_fmac_f64_e32 v[106:107], v[108:109], v[110:111]
	v_add_f64 v[104:105], v[104:105], -v[106:107]
	buffer_store_dword v105, off, s[0:3], 0 offset:164
	buffer_store_dword v104, off, s[0:3], 0 offset:160
	s_and_saveexec_b64 s[4:5], vcc
	s_cbranch_execz .LBB50_275
; %bb.274:
	buffer_load_dword v104, off, s[0:3], 0 offset:152
	buffer_load_dword v105, off, s[0:3], 0 offset:156
	v_mov_b32_e32 v106, 0
	buffer_store_dword v106, off, s[0:3], 0 offset:152
	buffer_store_dword v106, off, s[0:3], 0 offset:156
	s_waitcnt vmcnt(2)
	ds_write_b64 v1, v[104:105]
.LBB50_275:
	s_or_b64 exec, exec, s[4:5]
	s_waitcnt lgkmcnt(0)
	; wave barrier
	s_waitcnt lgkmcnt(0)
	buffer_load_dword v104, off, s[0:3], 0 offset:152
	buffer_load_dword v105, off, s[0:3], 0 offset:156
	;; [unrolled: 1-line block ×16, first 2 shown]
	v_mov_b32_e32 v108, 0
	ds_read_b128 v[110:113], v108 offset:576
	ds_read_b128 v[114:117], v108 offset:592
	;; [unrolled: 1-line block ×4, first 2 shown]
	v_cmp_lt_u32_e32 vcc, 18, v0
	s_waitcnt vmcnt(12) lgkmcnt(3)
	v_fma_f64 v[106:107], v[106:107], v[110:111], 0
	buffer_load_dword v111, off, s[0:3], 0 offset:220
	buffer_load_dword v110, off, s[0:3], 0 offset:216
	s_waitcnt vmcnt(12)
	v_fmac_f64_e32 v[106:107], v[126:127], v[112:113]
	s_waitcnt vmcnt(10) lgkmcnt(2)
	v_fmac_f64_e32 v[106:107], v[128:129], v[114:115]
	buffer_load_dword v115, off, s[0:3], 0 offset:228
	buffer_load_dword v114, off, s[0:3], 0 offset:224
	s_waitcnt vmcnt(10)
	v_fmac_f64_e32 v[106:107], v[130:131], v[116:117]
	s_waitcnt vmcnt(8) lgkmcnt(1)
	v_fmac_f64_e32 v[106:107], v[132:133], v[118:119]
	s_waitcnt vmcnt(6)
	v_fmac_f64_e32 v[106:107], v[134:135], v[120:121]
	s_waitcnt vmcnt(4) lgkmcnt(0)
	v_fmac_f64_e32 v[106:107], v[136:137], v[122:123]
	s_waitcnt vmcnt(2)
	v_fmac_f64_e32 v[106:107], v[110:111], v[124:125]
	ds_read_b128 v[110:113], v108 offset:640
	s_waitcnt vmcnt(0) lgkmcnt(0)
	v_fmac_f64_e32 v[106:107], v[114:115], v[110:111]
	buffer_load_dword v111, off, s[0:3], 0 offset:236
	buffer_load_dword v110, off, s[0:3], 0 offset:232
	buffer_load_dword v115, off, s[0:3], 0 offset:244
	buffer_load_dword v114, off, s[0:3], 0 offset:240
	s_waitcnt vmcnt(2)
	v_fmac_f64_e32 v[106:107], v[110:111], v[112:113]
	ds_read_b128 v[110:113], v108 offset:656
	s_waitcnt vmcnt(0) lgkmcnt(0)
	v_fmac_f64_e32 v[106:107], v[114:115], v[110:111]
	buffer_load_dword v111, off, s[0:3], 0 offset:252
	buffer_load_dword v110, off, s[0:3], 0 offset:248
	buffer_load_dword v115, off, s[0:3], 0 offset:260
	buffer_load_dword v114, off, s[0:3], 0 offset:256
	;; [unrolled: 9-line block ×10, first 2 shown]
	s_waitcnt vmcnt(2)
	v_fmac_f64_e32 v[106:107], v[110:111], v[112:113]
	ds_read_b128 v[110:113], v108 offset:800
	s_waitcnt vmcnt(0) lgkmcnt(0)
	v_fmac_f64_e32 v[106:107], v[114:115], v[110:111]
	buffer_load_dword v111, off, s[0:3], 0 offset:396
	buffer_load_dword v110, off, s[0:3], 0 offset:392
	s_waitcnt vmcnt(0)
	v_fmac_f64_e32 v[106:107], v[110:111], v[112:113]
	buffer_load_dword v111, off, s[0:3], 0 offset:404
	buffer_load_dword v110, off, s[0:3], 0 offset:400
	ds_read_b64 v[112:113], v108 offset:816
	s_waitcnt vmcnt(0) lgkmcnt(0)
	v_fmac_f64_e32 v[106:107], v[110:111], v[112:113]
	v_add_f64 v[104:105], v[104:105], -v[106:107]
	buffer_store_dword v105, off, s[0:3], 0 offset:156
	buffer_store_dword v104, off, s[0:3], 0 offset:152
	s_and_saveexec_b64 s[4:5], vcc
	s_cbranch_execz .LBB50_277
; %bb.276:
	buffer_load_dword v104, off, s[0:3], 0 offset:144
	buffer_load_dword v105, off, s[0:3], 0 offset:148
	s_waitcnt vmcnt(0)
	ds_write_b64 v1, v[104:105]
	buffer_store_dword v108, off, s[0:3], 0 offset:144
	buffer_store_dword v108, off, s[0:3], 0 offset:148
.LBB50_277:
	s_or_b64 exec, exec, s[4:5]
	s_waitcnt lgkmcnt(0)
	; wave barrier
	s_waitcnt lgkmcnt(0)
	buffer_load_dword v104, off, s[0:3], 0 offset:144
	buffer_load_dword v105, off, s[0:3], 0 offset:148
	;; [unrolled: 1-line block ×16, first 2 shown]
	ds_read2_b64 v[110:113], v108 offset0:71 offset1:72
	v_cmp_lt_u32_e32 vcc, 17, v0
	s_waitcnt vmcnt(12) lgkmcnt(0)
	v_fma_f64 v[106:107], v[106:107], v[110:111], 0
	s_waitcnt vmcnt(10)
	v_fmac_f64_e32 v[106:107], v[114:115], v[112:113]
	ds_read2_b64 v[110:113], v108 offset0:73 offset1:74
	s_waitcnt vmcnt(8) lgkmcnt(0)
	v_fmac_f64_e32 v[106:107], v[116:117], v[110:111]
	s_waitcnt vmcnt(6)
	v_fmac_f64_e32 v[106:107], v[118:119], v[112:113]
	ds_read2_b64 v[110:113], v108 offset0:75 offset1:76
	s_waitcnt vmcnt(4) lgkmcnt(0)
	v_fmac_f64_e32 v[106:107], v[120:121], v[110:111]
	;; [unrolled: 5-line block ×3, first 2 shown]
	buffer_load_dword v111, off, s[0:3], 0 offset:212
	buffer_load_dword v110, off, s[0:3], 0 offset:208
	buffer_load_dword v115, off, s[0:3], 0 offset:220
	buffer_load_dword v114, off, s[0:3], 0 offset:216
	s_waitcnt vmcnt(2)
	v_fmac_f64_e32 v[106:107], v[110:111], v[112:113]
	ds_read2_b64 v[110:113], v108 offset0:79 offset1:80
	s_waitcnt vmcnt(0) lgkmcnt(0)
	v_fmac_f64_e32 v[106:107], v[114:115], v[110:111]
	buffer_load_dword v111, off, s[0:3], 0 offset:228
	buffer_load_dword v110, off, s[0:3], 0 offset:224
	buffer_load_dword v115, off, s[0:3], 0 offset:236
	buffer_load_dword v114, off, s[0:3], 0 offset:232
	s_waitcnt vmcnt(2)
	v_fmac_f64_e32 v[106:107], v[110:111], v[112:113]
	ds_read2_b64 v[110:113], v108 offset0:81 offset1:82
	s_waitcnt vmcnt(0) lgkmcnt(0)
	v_fmac_f64_e32 v[106:107], v[114:115], v[110:111]
	;; [unrolled: 9-line block ×11, first 2 shown]
	buffer_load_dword v111, off, s[0:3], 0 offset:388
	buffer_load_dword v110, off, s[0:3], 0 offset:384
	s_waitcnt vmcnt(0)
	v_fmac_f64_e32 v[106:107], v[110:111], v[112:113]
	buffer_load_dword v113, off, s[0:3], 0 offset:396
	buffer_load_dword v112, off, s[0:3], 0 offset:392
	ds_read2_b64 v[108:111], v108 offset0:101 offset1:102
	s_waitcnt vmcnt(0) lgkmcnt(0)
	v_fmac_f64_e32 v[106:107], v[112:113], v[108:109]
	buffer_load_dword v109, off, s[0:3], 0 offset:404
	buffer_load_dword v108, off, s[0:3], 0 offset:400
	s_waitcnt vmcnt(0)
	v_fmac_f64_e32 v[106:107], v[108:109], v[110:111]
	v_add_f64 v[104:105], v[104:105], -v[106:107]
	buffer_store_dword v105, off, s[0:3], 0 offset:148
	buffer_store_dword v104, off, s[0:3], 0 offset:144
	s_and_saveexec_b64 s[4:5], vcc
	s_cbranch_execz .LBB50_279
; %bb.278:
	buffer_load_dword v104, off, s[0:3], 0 offset:136
	buffer_load_dword v105, off, s[0:3], 0 offset:140
	v_mov_b32_e32 v106, 0
	buffer_store_dword v106, off, s[0:3], 0 offset:136
	buffer_store_dword v106, off, s[0:3], 0 offset:140
	s_waitcnt vmcnt(2)
	ds_write_b64 v1, v[104:105]
.LBB50_279:
	s_or_b64 exec, exec, s[4:5]
	s_waitcnt lgkmcnt(0)
	; wave barrier
	s_waitcnt lgkmcnt(0)
	buffer_load_dword v104, off, s[0:3], 0 offset:136
	buffer_load_dword v105, off, s[0:3], 0 offset:140
	;; [unrolled: 1-line block ×16, first 2 shown]
	v_mov_b32_e32 v108, 0
	ds_read_b128 v[110:113], v108 offset:560
	ds_read_b128 v[114:117], v108 offset:576
	;; [unrolled: 1-line block ×4, first 2 shown]
	v_cmp_lt_u32_e32 vcc, 16, v0
	s_waitcnt vmcnt(12) lgkmcnt(3)
	v_fma_f64 v[106:107], v[106:107], v[110:111], 0
	buffer_load_dword v111, off, s[0:3], 0 offset:204
	buffer_load_dword v110, off, s[0:3], 0 offset:200
	s_waitcnt vmcnt(12)
	v_fmac_f64_e32 v[106:107], v[126:127], v[112:113]
	s_waitcnt vmcnt(10) lgkmcnt(2)
	v_fmac_f64_e32 v[106:107], v[128:129], v[114:115]
	buffer_load_dword v115, off, s[0:3], 0 offset:212
	buffer_load_dword v114, off, s[0:3], 0 offset:208
	s_waitcnt vmcnt(10)
	v_fmac_f64_e32 v[106:107], v[130:131], v[116:117]
	s_waitcnt vmcnt(8) lgkmcnt(1)
	v_fmac_f64_e32 v[106:107], v[132:133], v[118:119]
	s_waitcnt vmcnt(6)
	v_fmac_f64_e32 v[106:107], v[134:135], v[120:121]
	s_waitcnt vmcnt(4) lgkmcnt(0)
	v_fmac_f64_e32 v[106:107], v[136:137], v[122:123]
	s_waitcnt vmcnt(2)
	v_fmac_f64_e32 v[106:107], v[110:111], v[124:125]
	ds_read_b128 v[110:113], v108 offset:624
	s_waitcnt vmcnt(0) lgkmcnt(0)
	v_fmac_f64_e32 v[106:107], v[114:115], v[110:111]
	buffer_load_dword v111, off, s[0:3], 0 offset:220
	buffer_load_dword v110, off, s[0:3], 0 offset:216
	buffer_load_dword v115, off, s[0:3], 0 offset:228
	buffer_load_dword v114, off, s[0:3], 0 offset:224
	s_waitcnt vmcnt(2)
	v_fmac_f64_e32 v[106:107], v[110:111], v[112:113]
	ds_read_b128 v[110:113], v108 offset:640
	s_waitcnt vmcnt(0) lgkmcnt(0)
	v_fmac_f64_e32 v[106:107], v[114:115], v[110:111]
	buffer_load_dword v111, off, s[0:3], 0 offset:236
	buffer_load_dword v110, off, s[0:3], 0 offset:232
	buffer_load_dword v115, off, s[0:3], 0 offset:244
	buffer_load_dword v114, off, s[0:3], 0 offset:240
	;; [unrolled: 9-line block ×11, first 2 shown]
	s_waitcnt vmcnt(2)
	v_fmac_f64_e32 v[106:107], v[110:111], v[112:113]
	ds_read_b128 v[110:113], v108 offset:800
	s_waitcnt vmcnt(0) lgkmcnt(0)
	v_fmac_f64_e32 v[106:107], v[114:115], v[110:111]
	buffer_load_dword v111, off, s[0:3], 0 offset:396
	buffer_load_dword v110, off, s[0:3], 0 offset:392
	s_waitcnt vmcnt(0)
	v_fmac_f64_e32 v[106:107], v[110:111], v[112:113]
	buffer_load_dword v111, off, s[0:3], 0 offset:404
	buffer_load_dword v110, off, s[0:3], 0 offset:400
	ds_read_b64 v[112:113], v108 offset:816
	s_waitcnt vmcnt(0) lgkmcnt(0)
	v_fmac_f64_e32 v[106:107], v[110:111], v[112:113]
	v_add_f64 v[104:105], v[104:105], -v[106:107]
	buffer_store_dword v105, off, s[0:3], 0 offset:140
	buffer_store_dword v104, off, s[0:3], 0 offset:136
	s_and_saveexec_b64 s[4:5], vcc
	s_cbranch_execz .LBB50_281
; %bb.280:
	buffer_load_dword v104, off, s[0:3], 0 offset:128
	buffer_load_dword v105, off, s[0:3], 0 offset:132
	s_waitcnt vmcnt(0)
	ds_write_b64 v1, v[104:105]
	buffer_store_dword v108, off, s[0:3], 0 offset:128
	buffer_store_dword v108, off, s[0:3], 0 offset:132
.LBB50_281:
	s_or_b64 exec, exec, s[4:5]
	s_waitcnt lgkmcnt(0)
	; wave barrier
	s_waitcnt lgkmcnt(0)
	buffer_load_dword v104, off, s[0:3], 0 offset:128
	buffer_load_dword v105, off, s[0:3], 0 offset:132
	buffer_load_dword v106, off, s[0:3], 0 offset:136
	buffer_load_dword v107, off, s[0:3], 0 offset:140
	buffer_load_dword v114, off, s[0:3], 0 offset:144
	buffer_load_dword v115, off, s[0:3], 0 offset:148
	buffer_load_dword v116, off, s[0:3], 0 offset:152
	buffer_load_dword v117, off, s[0:3], 0 offset:156
	buffer_load_dword v118, off, s[0:3], 0 offset:160
	buffer_load_dword v119, off, s[0:3], 0 offset:164
	buffer_load_dword v120, off, s[0:3], 0 offset:168
	buffer_load_dword v121, off, s[0:3], 0 offset:172
	buffer_load_dword v122, off, s[0:3], 0 offset:176
	buffer_load_dword v123, off, s[0:3], 0 offset:180
	buffer_load_dword v124, off, s[0:3], 0 offset:184
	buffer_load_dword v125, off, s[0:3], 0 offset:188
	ds_read2_b64 v[110:113], v108 offset0:69 offset1:70
	v_cmp_lt_u32_e32 vcc, 15, v0
	s_waitcnt vmcnt(12) lgkmcnt(0)
	v_fma_f64 v[106:107], v[106:107], v[110:111], 0
	s_waitcnt vmcnt(10)
	v_fmac_f64_e32 v[106:107], v[114:115], v[112:113]
	ds_read2_b64 v[110:113], v108 offset0:71 offset1:72
	s_waitcnt vmcnt(8) lgkmcnt(0)
	v_fmac_f64_e32 v[106:107], v[116:117], v[110:111]
	s_waitcnt vmcnt(6)
	v_fmac_f64_e32 v[106:107], v[118:119], v[112:113]
	ds_read2_b64 v[110:113], v108 offset0:73 offset1:74
	s_waitcnt vmcnt(4) lgkmcnt(0)
	v_fmac_f64_e32 v[106:107], v[120:121], v[110:111]
	;; [unrolled: 5-line block ×3, first 2 shown]
	buffer_load_dword v111, off, s[0:3], 0 offset:196
	buffer_load_dword v110, off, s[0:3], 0 offset:192
	buffer_load_dword v115, off, s[0:3], 0 offset:204
	buffer_load_dword v114, off, s[0:3], 0 offset:200
	s_waitcnt vmcnt(2)
	v_fmac_f64_e32 v[106:107], v[110:111], v[112:113]
	ds_read2_b64 v[110:113], v108 offset0:77 offset1:78
	s_waitcnt vmcnt(0) lgkmcnt(0)
	v_fmac_f64_e32 v[106:107], v[114:115], v[110:111]
	buffer_load_dword v111, off, s[0:3], 0 offset:212
	buffer_load_dword v110, off, s[0:3], 0 offset:208
	buffer_load_dword v115, off, s[0:3], 0 offset:220
	buffer_load_dword v114, off, s[0:3], 0 offset:216
	s_waitcnt vmcnt(2)
	v_fmac_f64_e32 v[106:107], v[110:111], v[112:113]
	ds_read2_b64 v[110:113], v108 offset0:79 offset1:80
	s_waitcnt vmcnt(0) lgkmcnt(0)
	v_fmac_f64_e32 v[106:107], v[114:115], v[110:111]
	;; [unrolled: 9-line block ×12, first 2 shown]
	buffer_load_dword v111, off, s[0:3], 0 offset:388
	buffer_load_dword v110, off, s[0:3], 0 offset:384
	s_waitcnt vmcnt(0)
	v_fmac_f64_e32 v[106:107], v[110:111], v[112:113]
	buffer_load_dword v113, off, s[0:3], 0 offset:396
	buffer_load_dword v112, off, s[0:3], 0 offset:392
	ds_read2_b64 v[108:111], v108 offset0:101 offset1:102
	s_waitcnt vmcnt(0) lgkmcnt(0)
	v_fmac_f64_e32 v[106:107], v[112:113], v[108:109]
	buffer_load_dword v109, off, s[0:3], 0 offset:404
	buffer_load_dword v108, off, s[0:3], 0 offset:400
	s_waitcnt vmcnt(0)
	v_fmac_f64_e32 v[106:107], v[108:109], v[110:111]
	v_add_f64 v[104:105], v[104:105], -v[106:107]
	buffer_store_dword v105, off, s[0:3], 0 offset:132
	buffer_store_dword v104, off, s[0:3], 0 offset:128
	s_and_saveexec_b64 s[4:5], vcc
	s_cbranch_execz .LBB50_283
; %bb.282:
	buffer_load_dword v104, off, s[0:3], 0 offset:120
	buffer_load_dword v105, off, s[0:3], 0 offset:124
	v_mov_b32_e32 v106, 0
	buffer_store_dword v106, off, s[0:3], 0 offset:120
	buffer_store_dword v106, off, s[0:3], 0 offset:124
	s_waitcnt vmcnt(2)
	ds_write_b64 v1, v[104:105]
.LBB50_283:
	s_or_b64 exec, exec, s[4:5]
	s_waitcnt lgkmcnt(0)
	; wave barrier
	s_waitcnt lgkmcnt(0)
	buffer_load_dword v104, off, s[0:3], 0 offset:120
	buffer_load_dword v105, off, s[0:3], 0 offset:124
	;; [unrolled: 1-line block ×16, first 2 shown]
	v_mov_b32_e32 v108, 0
	ds_read_b128 v[110:113], v108 offset:544
	ds_read_b128 v[114:117], v108 offset:560
	;; [unrolled: 1-line block ×4, first 2 shown]
	v_cmp_lt_u32_e32 vcc, 14, v0
	s_waitcnt vmcnt(12) lgkmcnt(3)
	v_fma_f64 v[106:107], v[106:107], v[110:111], 0
	buffer_load_dword v111, off, s[0:3], 0 offset:188
	buffer_load_dword v110, off, s[0:3], 0 offset:184
	s_waitcnt vmcnt(12)
	v_fmac_f64_e32 v[106:107], v[126:127], v[112:113]
	s_waitcnt vmcnt(10) lgkmcnt(2)
	v_fmac_f64_e32 v[106:107], v[128:129], v[114:115]
	buffer_load_dword v115, off, s[0:3], 0 offset:196
	buffer_load_dword v114, off, s[0:3], 0 offset:192
	s_waitcnt vmcnt(10)
	v_fmac_f64_e32 v[106:107], v[130:131], v[116:117]
	s_waitcnt vmcnt(8) lgkmcnt(1)
	v_fmac_f64_e32 v[106:107], v[132:133], v[118:119]
	s_waitcnt vmcnt(6)
	v_fmac_f64_e32 v[106:107], v[134:135], v[120:121]
	s_waitcnt vmcnt(4) lgkmcnt(0)
	v_fmac_f64_e32 v[106:107], v[136:137], v[122:123]
	s_waitcnt vmcnt(2)
	v_fmac_f64_e32 v[106:107], v[110:111], v[124:125]
	ds_read_b128 v[110:113], v108 offset:608
	s_waitcnt vmcnt(0) lgkmcnt(0)
	v_fmac_f64_e32 v[106:107], v[114:115], v[110:111]
	buffer_load_dword v111, off, s[0:3], 0 offset:204
	buffer_load_dword v110, off, s[0:3], 0 offset:200
	buffer_load_dword v115, off, s[0:3], 0 offset:212
	buffer_load_dword v114, off, s[0:3], 0 offset:208
	s_waitcnt vmcnt(2)
	v_fmac_f64_e32 v[106:107], v[110:111], v[112:113]
	ds_read_b128 v[110:113], v108 offset:624
	s_waitcnt vmcnt(0) lgkmcnt(0)
	v_fmac_f64_e32 v[106:107], v[114:115], v[110:111]
	buffer_load_dword v111, off, s[0:3], 0 offset:220
	buffer_load_dword v110, off, s[0:3], 0 offset:216
	buffer_load_dword v115, off, s[0:3], 0 offset:228
	buffer_load_dword v114, off, s[0:3], 0 offset:224
	;; [unrolled: 9-line block ×12, first 2 shown]
	s_waitcnt vmcnt(2)
	v_fmac_f64_e32 v[106:107], v[110:111], v[112:113]
	ds_read_b128 v[110:113], v108 offset:800
	s_waitcnt vmcnt(0) lgkmcnt(0)
	v_fmac_f64_e32 v[106:107], v[114:115], v[110:111]
	buffer_load_dword v111, off, s[0:3], 0 offset:396
	buffer_load_dword v110, off, s[0:3], 0 offset:392
	s_waitcnt vmcnt(0)
	v_fmac_f64_e32 v[106:107], v[110:111], v[112:113]
	buffer_load_dword v111, off, s[0:3], 0 offset:404
	buffer_load_dword v110, off, s[0:3], 0 offset:400
	ds_read_b64 v[112:113], v108 offset:816
	s_waitcnt vmcnt(0) lgkmcnt(0)
	v_fmac_f64_e32 v[106:107], v[110:111], v[112:113]
	v_add_f64 v[104:105], v[104:105], -v[106:107]
	buffer_store_dword v105, off, s[0:3], 0 offset:124
	buffer_store_dword v104, off, s[0:3], 0 offset:120
	s_and_saveexec_b64 s[4:5], vcc
	s_cbranch_execz .LBB50_285
; %bb.284:
	buffer_load_dword v104, off, s[0:3], 0 offset:112
	buffer_load_dword v105, off, s[0:3], 0 offset:116
	s_waitcnt vmcnt(0)
	ds_write_b64 v1, v[104:105]
	buffer_store_dword v108, off, s[0:3], 0 offset:112
	buffer_store_dword v108, off, s[0:3], 0 offset:116
.LBB50_285:
	s_or_b64 exec, exec, s[4:5]
	s_waitcnt lgkmcnt(0)
	; wave barrier
	s_waitcnt lgkmcnt(0)
	buffer_load_dword v104, off, s[0:3], 0 offset:112
	buffer_load_dword v105, off, s[0:3], 0 offset:116
	;; [unrolled: 1-line block ×16, first 2 shown]
	ds_read2_b64 v[110:113], v108 offset0:67 offset1:68
	v_cmp_lt_u32_e32 vcc, 13, v0
	s_waitcnt vmcnt(12) lgkmcnt(0)
	v_fma_f64 v[106:107], v[106:107], v[110:111], 0
	s_waitcnt vmcnt(10)
	v_fmac_f64_e32 v[106:107], v[114:115], v[112:113]
	ds_read2_b64 v[110:113], v108 offset0:69 offset1:70
	s_waitcnt vmcnt(8) lgkmcnt(0)
	v_fmac_f64_e32 v[106:107], v[116:117], v[110:111]
	s_waitcnt vmcnt(6)
	v_fmac_f64_e32 v[106:107], v[118:119], v[112:113]
	ds_read2_b64 v[110:113], v108 offset0:71 offset1:72
	s_waitcnt vmcnt(4) lgkmcnt(0)
	v_fmac_f64_e32 v[106:107], v[120:121], v[110:111]
	;; [unrolled: 5-line block ×3, first 2 shown]
	buffer_load_dword v111, off, s[0:3], 0 offset:180
	buffer_load_dword v110, off, s[0:3], 0 offset:176
	buffer_load_dword v115, off, s[0:3], 0 offset:188
	buffer_load_dword v114, off, s[0:3], 0 offset:184
	s_waitcnt vmcnt(2)
	v_fmac_f64_e32 v[106:107], v[110:111], v[112:113]
	ds_read2_b64 v[110:113], v108 offset0:75 offset1:76
	s_waitcnt vmcnt(0) lgkmcnt(0)
	v_fmac_f64_e32 v[106:107], v[114:115], v[110:111]
	buffer_load_dword v111, off, s[0:3], 0 offset:196
	buffer_load_dword v110, off, s[0:3], 0 offset:192
	buffer_load_dword v115, off, s[0:3], 0 offset:204
	buffer_load_dword v114, off, s[0:3], 0 offset:200
	s_waitcnt vmcnt(2)
	v_fmac_f64_e32 v[106:107], v[110:111], v[112:113]
	ds_read2_b64 v[110:113], v108 offset0:77 offset1:78
	s_waitcnt vmcnt(0) lgkmcnt(0)
	v_fmac_f64_e32 v[106:107], v[114:115], v[110:111]
	;; [unrolled: 9-line block ×13, first 2 shown]
	buffer_load_dword v111, off, s[0:3], 0 offset:388
	buffer_load_dword v110, off, s[0:3], 0 offset:384
	s_waitcnt vmcnt(0)
	v_fmac_f64_e32 v[106:107], v[110:111], v[112:113]
	buffer_load_dword v113, off, s[0:3], 0 offset:396
	buffer_load_dword v112, off, s[0:3], 0 offset:392
	ds_read2_b64 v[108:111], v108 offset0:101 offset1:102
	s_waitcnt vmcnt(0) lgkmcnt(0)
	v_fmac_f64_e32 v[106:107], v[112:113], v[108:109]
	buffer_load_dword v109, off, s[0:3], 0 offset:404
	buffer_load_dword v108, off, s[0:3], 0 offset:400
	s_waitcnt vmcnt(0)
	v_fmac_f64_e32 v[106:107], v[108:109], v[110:111]
	v_add_f64 v[104:105], v[104:105], -v[106:107]
	buffer_store_dword v105, off, s[0:3], 0 offset:116
	buffer_store_dword v104, off, s[0:3], 0 offset:112
	s_and_saveexec_b64 s[4:5], vcc
	s_cbranch_execz .LBB50_287
; %bb.286:
	buffer_load_dword v104, off, s[0:3], 0 offset:104
	buffer_load_dword v105, off, s[0:3], 0 offset:108
	v_mov_b32_e32 v106, 0
	buffer_store_dword v106, off, s[0:3], 0 offset:104
	buffer_store_dword v106, off, s[0:3], 0 offset:108
	s_waitcnt vmcnt(2)
	ds_write_b64 v1, v[104:105]
.LBB50_287:
	s_or_b64 exec, exec, s[4:5]
	s_waitcnt lgkmcnt(0)
	; wave barrier
	s_waitcnt lgkmcnt(0)
	buffer_load_dword v104, off, s[0:3], 0 offset:104
	buffer_load_dword v105, off, s[0:3], 0 offset:108
	buffer_load_dword v106, off, s[0:3], 0 offset:112
	buffer_load_dword v107, off, s[0:3], 0 offset:116
	buffer_load_dword v126, off, s[0:3], 0 offset:120
	buffer_load_dword v127, off, s[0:3], 0 offset:124
	buffer_load_dword v128, off, s[0:3], 0 offset:128
	buffer_load_dword v129, off, s[0:3], 0 offset:132
	buffer_load_dword v130, off, s[0:3], 0 offset:136
	buffer_load_dword v131, off, s[0:3], 0 offset:140
	buffer_load_dword v132, off, s[0:3], 0 offset:144
	buffer_load_dword v133, off, s[0:3], 0 offset:148
	buffer_load_dword v134, off, s[0:3], 0 offset:152
	buffer_load_dword v135, off, s[0:3], 0 offset:156
	buffer_load_dword v136, off, s[0:3], 0 offset:160
	buffer_load_dword v137, off, s[0:3], 0 offset:164
	v_mov_b32_e32 v108, 0
	ds_read_b128 v[110:113], v108 offset:528
	ds_read_b128 v[114:117], v108 offset:544
	;; [unrolled: 1-line block ×4, first 2 shown]
	v_cmp_lt_u32_e32 vcc, 12, v0
	s_waitcnt vmcnt(12) lgkmcnt(3)
	v_fma_f64 v[106:107], v[106:107], v[110:111], 0
	buffer_load_dword v111, off, s[0:3], 0 offset:172
	buffer_load_dword v110, off, s[0:3], 0 offset:168
	s_waitcnt vmcnt(12)
	v_fmac_f64_e32 v[106:107], v[126:127], v[112:113]
	s_waitcnt vmcnt(10) lgkmcnt(2)
	v_fmac_f64_e32 v[106:107], v[128:129], v[114:115]
	buffer_load_dword v115, off, s[0:3], 0 offset:180
	buffer_load_dword v114, off, s[0:3], 0 offset:176
	s_waitcnt vmcnt(10)
	v_fmac_f64_e32 v[106:107], v[130:131], v[116:117]
	s_waitcnt vmcnt(8) lgkmcnt(1)
	v_fmac_f64_e32 v[106:107], v[132:133], v[118:119]
	s_waitcnt vmcnt(6)
	v_fmac_f64_e32 v[106:107], v[134:135], v[120:121]
	s_waitcnt vmcnt(4) lgkmcnt(0)
	v_fmac_f64_e32 v[106:107], v[136:137], v[122:123]
	s_waitcnt vmcnt(2)
	v_fmac_f64_e32 v[106:107], v[110:111], v[124:125]
	ds_read_b128 v[110:113], v108 offset:592
	s_waitcnt vmcnt(0) lgkmcnt(0)
	v_fmac_f64_e32 v[106:107], v[114:115], v[110:111]
	buffer_load_dword v111, off, s[0:3], 0 offset:188
	buffer_load_dword v110, off, s[0:3], 0 offset:184
	buffer_load_dword v115, off, s[0:3], 0 offset:196
	buffer_load_dword v114, off, s[0:3], 0 offset:192
	s_waitcnt vmcnt(2)
	v_fmac_f64_e32 v[106:107], v[110:111], v[112:113]
	ds_read_b128 v[110:113], v108 offset:608
	s_waitcnt vmcnt(0) lgkmcnt(0)
	v_fmac_f64_e32 v[106:107], v[114:115], v[110:111]
	buffer_load_dword v111, off, s[0:3], 0 offset:204
	buffer_load_dword v110, off, s[0:3], 0 offset:200
	buffer_load_dword v115, off, s[0:3], 0 offset:212
	buffer_load_dword v114, off, s[0:3], 0 offset:208
	;; [unrolled: 9-line block ×13, first 2 shown]
	s_waitcnt vmcnt(2)
	v_fmac_f64_e32 v[106:107], v[110:111], v[112:113]
	ds_read_b128 v[110:113], v108 offset:800
	s_waitcnt vmcnt(0) lgkmcnt(0)
	v_fmac_f64_e32 v[106:107], v[114:115], v[110:111]
	buffer_load_dword v111, off, s[0:3], 0 offset:396
	buffer_load_dword v110, off, s[0:3], 0 offset:392
	s_waitcnt vmcnt(0)
	v_fmac_f64_e32 v[106:107], v[110:111], v[112:113]
	buffer_load_dword v111, off, s[0:3], 0 offset:404
	buffer_load_dword v110, off, s[0:3], 0 offset:400
	ds_read_b64 v[112:113], v108 offset:816
	s_waitcnt vmcnt(0) lgkmcnt(0)
	v_fmac_f64_e32 v[106:107], v[110:111], v[112:113]
	v_add_f64 v[104:105], v[104:105], -v[106:107]
	buffer_store_dword v105, off, s[0:3], 0 offset:108
	buffer_store_dword v104, off, s[0:3], 0 offset:104
	s_and_saveexec_b64 s[4:5], vcc
	s_cbranch_execz .LBB50_289
; %bb.288:
	buffer_load_dword v104, off, s[0:3], 0 offset:96
	buffer_load_dword v105, off, s[0:3], 0 offset:100
	s_waitcnt vmcnt(0)
	ds_write_b64 v1, v[104:105]
	buffer_store_dword v108, off, s[0:3], 0 offset:96
	buffer_store_dword v108, off, s[0:3], 0 offset:100
.LBB50_289:
	s_or_b64 exec, exec, s[4:5]
	s_waitcnt lgkmcnt(0)
	; wave barrier
	s_waitcnt lgkmcnt(0)
	buffer_load_dword v104, off, s[0:3], 0 offset:96
	buffer_load_dword v105, off, s[0:3], 0 offset:100
	;; [unrolled: 1-line block ×16, first 2 shown]
	ds_read2_b64 v[110:113], v108 offset0:65 offset1:66
	v_cmp_lt_u32_e32 vcc, 11, v0
	s_waitcnt vmcnt(12) lgkmcnt(0)
	v_fma_f64 v[106:107], v[106:107], v[110:111], 0
	s_waitcnt vmcnt(10)
	v_fmac_f64_e32 v[106:107], v[114:115], v[112:113]
	ds_read2_b64 v[110:113], v108 offset0:67 offset1:68
	s_waitcnt vmcnt(8) lgkmcnt(0)
	v_fmac_f64_e32 v[106:107], v[116:117], v[110:111]
	s_waitcnt vmcnt(6)
	v_fmac_f64_e32 v[106:107], v[118:119], v[112:113]
	ds_read2_b64 v[110:113], v108 offset0:69 offset1:70
	s_waitcnt vmcnt(4) lgkmcnt(0)
	v_fmac_f64_e32 v[106:107], v[120:121], v[110:111]
	;; [unrolled: 5-line block ×3, first 2 shown]
	buffer_load_dword v111, off, s[0:3], 0 offset:164
	buffer_load_dword v110, off, s[0:3], 0 offset:160
	buffer_load_dword v115, off, s[0:3], 0 offset:172
	buffer_load_dword v114, off, s[0:3], 0 offset:168
	s_waitcnt vmcnt(2)
	v_fmac_f64_e32 v[106:107], v[110:111], v[112:113]
	ds_read2_b64 v[110:113], v108 offset0:73 offset1:74
	s_waitcnt vmcnt(0) lgkmcnt(0)
	v_fmac_f64_e32 v[106:107], v[114:115], v[110:111]
	buffer_load_dword v111, off, s[0:3], 0 offset:180
	buffer_load_dword v110, off, s[0:3], 0 offset:176
	buffer_load_dword v115, off, s[0:3], 0 offset:188
	buffer_load_dword v114, off, s[0:3], 0 offset:184
	s_waitcnt vmcnt(2)
	v_fmac_f64_e32 v[106:107], v[110:111], v[112:113]
	ds_read2_b64 v[110:113], v108 offset0:75 offset1:76
	s_waitcnt vmcnt(0) lgkmcnt(0)
	v_fmac_f64_e32 v[106:107], v[114:115], v[110:111]
	;; [unrolled: 9-line block ×14, first 2 shown]
	buffer_load_dword v111, off, s[0:3], 0 offset:388
	buffer_load_dword v110, off, s[0:3], 0 offset:384
	s_waitcnt vmcnt(0)
	v_fmac_f64_e32 v[106:107], v[110:111], v[112:113]
	buffer_load_dword v113, off, s[0:3], 0 offset:396
	buffer_load_dword v112, off, s[0:3], 0 offset:392
	ds_read2_b64 v[108:111], v108 offset0:101 offset1:102
	s_waitcnt vmcnt(0) lgkmcnt(0)
	v_fmac_f64_e32 v[106:107], v[112:113], v[108:109]
	buffer_load_dword v109, off, s[0:3], 0 offset:404
	buffer_load_dword v108, off, s[0:3], 0 offset:400
	s_waitcnt vmcnt(0)
	v_fmac_f64_e32 v[106:107], v[108:109], v[110:111]
	v_add_f64 v[104:105], v[104:105], -v[106:107]
	buffer_store_dword v105, off, s[0:3], 0 offset:100
	buffer_store_dword v104, off, s[0:3], 0 offset:96
	s_and_saveexec_b64 s[4:5], vcc
	s_cbranch_execz .LBB50_291
; %bb.290:
	buffer_load_dword v104, off, s[0:3], 0 offset:88
	buffer_load_dword v105, off, s[0:3], 0 offset:92
	v_mov_b32_e32 v106, 0
	buffer_store_dword v106, off, s[0:3], 0 offset:88
	buffer_store_dword v106, off, s[0:3], 0 offset:92
	s_waitcnt vmcnt(2)
	ds_write_b64 v1, v[104:105]
.LBB50_291:
	s_or_b64 exec, exec, s[4:5]
	s_waitcnt lgkmcnt(0)
	; wave barrier
	s_waitcnt lgkmcnt(0)
	buffer_load_dword v104, off, s[0:3], 0 offset:88
	buffer_load_dword v105, off, s[0:3], 0 offset:92
	;; [unrolled: 1-line block ×16, first 2 shown]
	v_mov_b32_e32 v108, 0
	ds_read_b128 v[110:113], v108 offset:512
	ds_read_b128 v[114:117], v108 offset:528
	;; [unrolled: 1-line block ×4, first 2 shown]
	v_cmp_lt_u32_e32 vcc, 10, v0
	s_waitcnt vmcnt(12) lgkmcnt(3)
	v_fma_f64 v[106:107], v[106:107], v[110:111], 0
	buffer_load_dword v111, off, s[0:3], 0 offset:156
	buffer_load_dword v110, off, s[0:3], 0 offset:152
	s_waitcnt vmcnt(12)
	v_fmac_f64_e32 v[106:107], v[126:127], v[112:113]
	s_waitcnt vmcnt(10) lgkmcnt(2)
	v_fmac_f64_e32 v[106:107], v[128:129], v[114:115]
	buffer_load_dword v115, off, s[0:3], 0 offset:164
	buffer_load_dword v114, off, s[0:3], 0 offset:160
	s_waitcnt vmcnt(10)
	v_fmac_f64_e32 v[106:107], v[130:131], v[116:117]
	s_waitcnt vmcnt(8) lgkmcnt(1)
	v_fmac_f64_e32 v[106:107], v[132:133], v[118:119]
	s_waitcnt vmcnt(6)
	v_fmac_f64_e32 v[106:107], v[134:135], v[120:121]
	s_waitcnt vmcnt(4) lgkmcnt(0)
	v_fmac_f64_e32 v[106:107], v[136:137], v[122:123]
	s_waitcnt vmcnt(2)
	v_fmac_f64_e32 v[106:107], v[110:111], v[124:125]
	ds_read_b128 v[110:113], v108 offset:576
	s_waitcnt vmcnt(0) lgkmcnt(0)
	v_fmac_f64_e32 v[106:107], v[114:115], v[110:111]
	buffer_load_dword v111, off, s[0:3], 0 offset:172
	buffer_load_dword v110, off, s[0:3], 0 offset:168
	buffer_load_dword v115, off, s[0:3], 0 offset:180
	buffer_load_dword v114, off, s[0:3], 0 offset:176
	s_waitcnt vmcnt(2)
	v_fmac_f64_e32 v[106:107], v[110:111], v[112:113]
	ds_read_b128 v[110:113], v108 offset:592
	s_waitcnt vmcnt(0) lgkmcnt(0)
	v_fmac_f64_e32 v[106:107], v[114:115], v[110:111]
	buffer_load_dword v111, off, s[0:3], 0 offset:188
	buffer_load_dword v110, off, s[0:3], 0 offset:184
	buffer_load_dword v115, off, s[0:3], 0 offset:196
	buffer_load_dword v114, off, s[0:3], 0 offset:192
	;; [unrolled: 9-line block ×14, first 2 shown]
	s_waitcnt vmcnt(2)
	v_fmac_f64_e32 v[106:107], v[110:111], v[112:113]
	ds_read_b128 v[110:113], v108 offset:800
	s_waitcnt vmcnt(0) lgkmcnt(0)
	v_fmac_f64_e32 v[106:107], v[114:115], v[110:111]
	buffer_load_dword v111, off, s[0:3], 0 offset:396
	buffer_load_dword v110, off, s[0:3], 0 offset:392
	s_waitcnt vmcnt(0)
	v_fmac_f64_e32 v[106:107], v[110:111], v[112:113]
	buffer_load_dword v111, off, s[0:3], 0 offset:404
	buffer_load_dword v110, off, s[0:3], 0 offset:400
	ds_read_b64 v[112:113], v108 offset:816
	s_waitcnt vmcnt(0) lgkmcnt(0)
	v_fmac_f64_e32 v[106:107], v[110:111], v[112:113]
	v_add_f64 v[104:105], v[104:105], -v[106:107]
	buffer_store_dword v105, off, s[0:3], 0 offset:92
	buffer_store_dword v104, off, s[0:3], 0 offset:88
	s_and_saveexec_b64 s[4:5], vcc
	s_cbranch_execz .LBB50_293
; %bb.292:
	buffer_load_dword v104, off, s[0:3], 0 offset:80
	buffer_load_dword v105, off, s[0:3], 0 offset:84
	s_waitcnt vmcnt(0)
	ds_write_b64 v1, v[104:105]
	buffer_store_dword v108, off, s[0:3], 0 offset:80
	buffer_store_dword v108, off, s[0:3], 0 offset:84
.LBB50_293:
	s_or_b64 exec, exec, s[4:5]
	s_waitcnt lgkmcnt(0)
	; wave barrier
	s_waitcnt lgkmcnt(0)
	buffer_load_dword v104, off, s[0:3], 0 offset:80
	buffer_load_dword v105, off, s[0:3], 0 offset:84
	buffer_load_dword v106, off, s[0:3], 0 offset:88
	buffer_load_dword v107, off, s[0:3], 0 offset:92
	buffer_load_dword v114, off, s[0:3], 0 offset:96
	buffer_load_dword v115, off, s[0:3], 0 offset:100
	buffer_load_dword v116, off, s[0:3], 0 offset:104
	buffer_load_dword v117, off, s[0:3], 0 offset:108
	buffer_load_dword v118, off, s[0:3], 0 offset:112
	buffer_load_dword v119, off, s[0:3], 0 offset:116
	buffer_load_dword v120, off, s[0:3], 0 offset:120
	buffer_load_dword v121, off, s[0:3], 0 offset:124
	buffer_load_dword v122, off, s[0:3], 0 offset:128
	buffer_load_dword v123, off, s[0:3], 0 offset:132
	buffer_load_dword v124, off, s[0:3], 0 offset:136
	buffer_load_dword v125, off, s[0:3], 0 offset:140
	ds_read2_b64 v[110:113], v108 offset0:63 offset1:64
	v_cmp_lt_u32_e32 vcc, 9, v0
	s_waitcnt vmcnt(12) lgkmcnt(0)
	v_fma_f64 v[106:107], v[106:107], v[110:111], 0
	s_waitcnt vmcnt(10)
	v_fmac_f64_e32 v[106:107], v[114:115], v[112:113]
	ds_read2_b64 v[110:113], v108 offset0:65 offset1:66
	s_waitcnt vmcnt(8) lgkmcnt(0)
	v_fmac_f64_e32 v[106:107], v[116:117], v[110:111]
	s_waitcnt vmcnt(6)
	v_fmac_f64_e32 v[106:107], v[118:119], v[112:113]
	ds_read2_b64 v[110:113], v108 offset0:67 offset1:68
	s_waitcnt vmcnt(4) lgkmcnt(0)
	v_fmac_f64_e32 v[106:107], v[120:121], v[110:111]
	;; [unrolled: 5-line block ×3, first 2 shown]
	buffer_load_dword v111, off, s[0:3], 0 offset:148
	buffer_load_dword v110, off, s[0:3], 0 offset:144
	buffer_load_dword v115, off, s[0:3], 0 offset:156
	buffer_load_dword v114, off, s[0:3], 0 offset:152
	s_waitcnt vmcnt(2)
	v_fmac_f64_e32 v[106:107], v[110:111], v[112:113]
	ds_read2_b64 v[110:113], v108 offset0:71 offset1:72
	s_waitcnt vmcnt(0) lgkmcnt(0)
	v_fmac_f64_e32 v[106:107], v[114:115], v[110:111]
	buffer_load_dword v111, off, s[0:3], 0 offset:164
	buffer_load_dword v110, off, s[0:3], 0 offset:160
	buffer_load_dword v115, off, s[0:3], 0 offset:172
	buffer_load_dword v114, off, s[0:3], 0 offset:168
	s_waitcnt vmcnt(2)
	v_fmac_f64_e32 v[106:107], v[110:111], v[112:113]
	ds_read2_b64 v[110:113], v108 offset0:73 offset1:74
	s_waitcnt vmcnt(0) lgkmcnt(0)
	v_fmac_f64_e32 v[106:107], v[114:115], v[110:111]
	;; [unrolled: 9-line block ×15, first 2 shown]
	buffer_load_dword v111, off, s[0:3], 0 offset:388
	buffer_load_dword v110, off, s[0:3], 0 offset:384
	s_waitcnt vmcnt(0)
	v_fmac_f64_e32 v[106:107], v[110:111], v[112:113]
	buffer_load_dword v113, off, s[0:3], 0 offset:396
	buffer_load_dword v112, off, s[0:3], 0 offset:392
	ds_read2_b64 v[108:111], v108 offset0:101 offset1:102
	s_waitcnt vmcnt(0) lgkmcnt(0)
	v_fmac_f64_e32 v[106:107], v[112:113], v[108:109]
	buffer_load_dword v109, off, s[0:3], 0 offset:404
	buffer_load_dword v108, off, s[0:3], 0 offset:400
	s_waitcnt vmcnt(0)
	v_fmac_f64_e32 v[106:107], v[108:109], v[110:111]
	v_add_f64 v[104:105], v[104:105], -v[106:107]
	buffer_store_dword v105, off, s[0:3], 0 offset:84
	buffer_store_dword v104, off, s[0:3], 0 offset:80
	s_and_saveexec_b64 s[4:5], vcc
	s_cbranch_execz .LBB50_295
; %bb.294:
	buffer_load_dword v104, off, s[0:3], 0 offset:72
	buffer_load_dword v105, off, s[0:3], 0 offset:76
	v_mov_b32_e32 v106, 0
	buffer_store_dword v106, off, s[0:3], 0 offset:72
	buffer_store_dword v106, off, s[0:3], 0 offset:76
	s_waitcnt vmcnt(2)
	ds_write_b64 v1, v[104:105]
.LBB50_295:
	s_or_b64 exec, exec, s[4:5]
	s_waitcnt lgkmcnt(0)
	; wave barrier
	s_waitcnt lgkmcnt(0)
	buffer_load_dword v104, off, s[0:3], 0 offset:72
	buffer_load_dword v105, off, s[0:3], 0 offset:76
	buffer_load_dword v106, off, s[0:3], 0 offset:80
	buffer_load_dword v107, off, s[0:3], 0 offset:84
	buffer_load_dword v126, off, s[0:3], 0 offset:88
	buffer_load_dword v127, off, s[0:3], 0 offset:92
	buffer_load_dword v128, off, s[0:3], 0 offset:96
	buffer_load_dword v129, off, s[0:3], 0 offset:100
	buffer_load_dword v130, off, s[0:3], 0 offset:104
	buffer_load_dword v131, off, s[0:3], 0 offset:108
	buffer_load_dword v132, off, s[0:3], 0 offset:112
	buffer_load_dword v133, off, s[0:3], 0 offset:116
	buffer_load_dword v134, off, s[0:3], 0 offset:120
	buffer_load_dword v135, off, s[0:3], 0 offset:124
	buffer_load_dword v136, off, s[0:3], 0 offset:128
	buffer_load_dword v137, off, s[0:3], 0 offset:132
	v_mov_b32_e32 v108, 0
	ds_read_b128 v[110:113], v108 offset:496
	ds_read_b128 v[114:117], v108 offset:512
	;; [unrolled: 1-line block ×4, first 2 shown]
	v_cmp_lt_u32_e32 vcc, 8, v0
	s_waitcnt vmcnt(12) lgkmcnt(3)
	v_fma_f64 v[106:107], v[106:107], v[110:111], 0
	buffer_load_dword v111, off, s[0:3], 0 offset:140
	buffer_load_dword v110, off, s[0:3], 0 offset:136
	s_waitcnt vmcnt(12)
	v_fmac_f64_e32 v[106:107], v[126:127], v[112:113]
	s_waitcnt vmcnt(10) lgkmcnt(2)
	v_fmac_f64_e32 v[106:107], v[128:129], v[114:115]
	buffer_load_dword v115, off, s[0:3], 0 offset:148
	buffer_load_dword v114, off, s[0:3], 0 offset:144
	s_waitcnt vmcnt(10)
	v_fmac_f64_e32 v[106:107], v[130:131], v[116:117]
	s_waitcnt vmcnt(8) lgkmcnt(1)
	v_fmac_f64_e32 v[106:107], v[132:133], v[118:119]
	s_waitcnt vmcnt(6)
	v_fmac_f64_e32 v[106:107], v[134:135], v[120:121]
	s_waitcnt vmcnt(4) lgkmcnt(0)
	v_fmac_f64_e32 v[106:107], v[136:137], v[122:123]
	s_waitcnt vmcnt(2)
	v_fmac_f64_e32 v[106:107], v[110:111], v[124:125]
	ds_read_b128 v[110:113], v108 offset:560
	s_waitcnt vmcnt(0) lgkmcnt(0)
	v_fmac_f64_e32 v[106:107], v[114:115], v[110:111]
	buffer_load_dword v111, off, s[0:3], 0 offset:156
	buffer_load_dword v110, off, s[0:3], 0 offset:152
	buffer_load_dword v115, off, s[0:3], 0 offset:164
	buffer_load_dword v114, off, s[0:3], 0 offset:160
	s_waitcnt vmcnt(2)
	v_fmac_f64_e32 v[106:107], v[110:111], v[112:113]
	ds_read_b128 v[110:113], v108 offset:576
	s_waitcnt vmcnt(0) lgkmcnt(0)
	v_fmac_f64_e32 v[106:107], v[114:115], v[110:111]
	buffer_load_dword v111, off, s[0:3], 0 offset:172
	buffer_load_dword v110, off, s[0:3], 0 offset:168
	buffer_load_dword v115, off, s[0:3], 0 offset:180
	buffer_load_dword v114, off, s[0:3], 0 offset:176
	;; [unrolled: 9-line block ×15, first 2 shown]
	s_waitcnt vmcnt(2)
	v_fmac_f64_e32 v[106:107], v[110:111], v[112:113]
	ds_read_b128 v[110:113], v108 offset:800
	s_waitcnt vmcnt(0) lgkmcnt(0)
	v_fmac_f64_e32 v[106:107], v[114:115], v[110:111]
	buffer_load_dword v111, off, s[0:3], 0 offset:396
	buffer_load_dword v110, off, s[0:3], 0 offset:392
	s_waitcnt vmcnt(0)
	v_fmac_f64_e32 v[106:107], v[110:111], v[112:113]
	buffer_load_dword v111, off, s[0:3], 0 offset:404
	buffer_load_dword v110, off, s[0:3], 0 offset:400
	ds_read_b64 v[112:113], v108 offset:816
	s_waitcnt vmcnt(0) lgkmcnt(0)
	v_fmac_f64_e32 v[106:107], v[110:111], v[112:113]
	v_add_f64 v[104:105], v[104:105], -v[106:107]
	buffer_store_dword v105, off, s[0:3], 0 offset:76
	buffer_store_dword v104, off, s[0:3], 0 offset:72
	s_and_saveexec_b64 s[4:5], vcc
	s_cbranch_execz .LBB50_297
; %bb.296:
	buffer_load_dword v104, off, s[0:3], 0 offset:64
	buffer_load_dword v105, off, s[0:3], 0 offset:68
	s_waitcnt vmcnt(0)
	ds_write_b64 v1, v[104:105]
	buffer_store_dword v108, off, s[0:3], 0 offset:64
	buffer_store_dword v108, off, s[0:3], 0 offset:68
.LBB50_297:
	s_or_b64 exec, exec, s[4:5]
	s_waitcnt lgkmcnt(0)
	; wave barrier
	s_waitcnt lgkmcnt(0)
	buffer_load_dword v104, off, s[0:3], 0 offset:64
	buffer_load_dword v105, off, s[0:3], 0 offset:68
	;; [unrolled: 1-line block ×16, first 2 shown]
	ds_read2_b64 v[110:113], v108 offset0:61 offset1:62
	v_cmp_lt_u32_e32 vcc, 7, v0
	s_waitcnt vmcnt(12) lgkmcnt(0)
	v_fma_f64 v[106:107], v[106:107], v[110:111], 0
	s_waitcnt vmcnt(10)
	v_fmac_f64_e32 v[106:107], v[114:115], v[112:113]
	ds_read2_b64 v[110:113], v108 offset0:63 offset1:64
	s_waitcnt vmcnt(8) lgkmcnt(0)
	v_fmac_f64_e32 v[106:107], v[116:117], v[110:111]
	s_waitcnt vmcnt(6)
	v_fmac_f64_e32 v[106:107], v[118:119], v[112:113]
	ds_read2_b64 v[110:113], v108 offset0:65 offset1:66
	s_waitcnt vmcnt(4) lgkmcnt(0)
	v_fmac_f64_e32 v[106:107], v[120:121], v[110:111]
	s_waitcnt vmcnt(2)
	v_fmac_f64_e32 v[106:107], v[122:123], v[112:113]
	ds_read2_b64 v[110:113], v108 offset0:67 offset1:68
	s_waitcnt vmcnt(0) lgkmcnt(0)
	v_fmac_f64_e32 v[106:107], v[124:125], v[110:111]
	buffer_load_dword v111, off, s[0:3], 0 offset:132
	buffer_load_dword v110, off, s[0:3], 0 offset:128
	buffer_load_dword v115, off, s[0:3], 0 offset:140
	buffer_load_dword v114, off, s[0:3], 0 offset:136
	s_waitcnt vmcnt(2)
	v_fmac_f64_e32 v[106:107], v[110:111], v[112:113]
	ds_read2_b64 v[110:113], v108 offset0:69 offset1:70
	s_waitcnt vmcnt(0) lgkmcnt(0)
	v_fmac_f64_e32 v[106:107], v[114:115], v[110:111]
	buffer_load_dword v111, off, s[0:3], 0 offset:148
	buffer_load_dword v110, off, s[0:3], 0 offset:144
	buffer_load_dword v115, off, s[0:3], 0 offset:156
	buffer_load_dword v114, off, s[0:3], 0 offset:152
	s_waitcnt vmcnt(2)
	v_fmac_f64_e32 v[106:107], v[110:111], v[112:113]
	ds_read2_b64 v[110:113], v108 offset0:71 offset1:72
	s_waitcnt vmcnt(0) lgkmcnt(0)
	v_fmac_f64_e32 v[106:107], v[114:115], v[110:111]
	buffer_load_dword v111, off, s[0:3], 0 offset:164
	buffer_load_dword v110, off, s[0:3], 0 offset:160
	buffer_load_dword v115, off, s[0:3], 0 offset:172
	buffer_load_dword v114, off, s[0:3], 0 offset:168
	s_waitcnt vmcnt(2)
	v_fmac_f64_e32 v[106:107], v[110:111], v[112:113]
	ds_read2_b64 v[110:113], v108 offset0:73 offset1:74
	s_waitcnt vmcnt(0) lgkmcnt(0)
	v_fmac_f64_e32 v[106:107], v[114:115], v[110:111]
	buffer_load_dword v111, off, s[0:3], 0 offset:180
	buffer_load_dword v110, off, s[0:3], 0 offset:176
	buffer_load_dword v115, off, s[0:3], 0 offset:188
	buffer_load_dword v114, off, s[0:3], 0 offset:184
	s_waitcnt vmcnt(2)
	v_fmac_f64_e32 v[106:107], v[110:111], v[112:113]
	ds_read2_b64 v[110:113], v108 offset0:75 offset1:76
	s_waitcnt vmcnt(0) lgkmcnt(0)
	v_fmac_f64_e32 v[106:107], v[114:115], v[110:111]
	buffer_load_dword v111, off, s[0:3], 0 offset:196
	buffer_load_dword v110, off, s[0:3], 0 offset:192
	buffer_load_dword v115, off, s[0:3], 0 offset:204
	buffer_load_dword v114, off, s[0:3], 0 offset:200
	s_waitcnt vmcnt(2)
	v_fmac_f64_e32 v[106:107], v[110:111], v[112:113]
	ds_read2_b64 v[110:113], v108 offset0:77 offset1:78
	s_waitcnt vmcnt(0) lgkmcnt(0)
	v_fmac_f64_e32 v[106:107], v[114:115], v[110:111]
	buffer_load_dword v111, off, s[0:3], 0 offset:212
	buffer_load_dword v110, off, s[0:3], 0 offset:208
	buffer_load_dword v115, off, s[0:3], 0 offset:220
	buffer_load_dword v114, off, s[0:3], 0 offset:216
	s_waitcnt vmcnt(2)
	v_fmac_f64_e32 v[106:107], v[110:111], v[112:113]
	ds_read2_b64 v[110:113], v108 offset0:79 offset1:80
	s_waitcnt vmcnt(0) lgkmcnt(0)
	v_fmac_f64_e32 v[106:107], v[114:115], v[110:111]
	buffer_load_dword v111, off, s[0:3], 0 offset:228
	buffer_load_dword v110, off, s[0:3], 0 offset:224
	buffer_load_dword v115, off, s[0:3], 0 offset:236
	buffer_load_dword v114, off, s[0:3], 0 offset:232
	s_waitcnt vmcnt(2)
	v_fmac_f64_e32 v[106:107], v[110:111], v[112:113]
	ds_read2_b64 v[110:113], v108 offset0:81 offset1:82
	s_waitcnt vmcnt(0) lgkmcnt(0)
	v_fmac_f64_e32 v[106:107], v[114:115], v[110:111]
	buffer_load_dword v111, off, s[0:3], 0 offset:244
	buffer_load_dword v110, off, s[0:3], 0 offset:240
	buffer_load_dword v115, off, s[0:3], 0 offset:252
	buffer_load_dword v114, off, s[0:3], 0 offset:248
	s_waitcnt vmcnt(2)
	v_fmac_f64_e32 v[106:107], v[110:111], v[112:113]
	ds_read2_b64 v[110:113], v108 offset0:83 offset1:84
	s_waitcnt vmcnt(0) lgkmcnt(0)
	v_fmac_f64_e32 v[106:107], v[114:115], v[110:111]
	buffer_load_dword v111, off, s[0:3], 0 offset:260
	buffer_load_dword v110, off, s[0:3], 0 offset:256
	buffer_load_dword v115, off, s[0:3], 0 offset:268
	buffer_load_dword v114, off, s[0:3], 0 offset:264
	s_waitcnt vmcnt(2)
	v_fmac_f64_e32 v[106:107], v[110:111], v[112:113]
	ds_read2_b64 v[110:113], v108 offset0:85 offset1:86
	s_waitcnt vmcnt(0) lgkmcnt(0)
	v_fmac_f64_e32 v[106:107], v[114:115], v[110:111]
	buffer_load_dword v111, off, s[0:3], 0 offset:276
	buffer_load_dword v110, off, s[0:3], 0 offset:272
	buffer_load_dword v115, off, s[0:3], 0 offset:284
	buffer_load_dword v114, off, s[0:3], 0 offset:280
	s_waitcnt vmcnt(2)
	v_fmac_f64_e32 v[106:107], v[110:111], v[112:113]
	ds_read2_b64 v[110:113], v108 offset0:87 offset1:88
	s_waitcnt vmcnt(0) lgkmcnt(0)
	v_fmac_f64_e32 v[106:107], v[114:115], v[110:111]
	buffer_load_dword v111, off, s[0:3], 0 offset:292
	buffer_load_dword v110, off, s[0:3], 0 offset:288
	buffer_load_dword v115, off, s[0:3], 0 offset:300
	buffer_load_dword v114, off, s[0:3], 0 offset:296
	s_waitcnt vmcnt(2)
	v_fmac_f64_e32 v[106:107], v[110:111], v[112:113]
	ds_read2_b64 v[110:113], v108 offset0:89 offset1:90
	s_waitcnt vmcnt(0) lgkmcnt(0)
	v_fmac_f64_e32 v[106:107], v[114:115], v[110:111]
	buffer_load_dword v111, off, s[0:3], 0 offset:308
	buffer_load_dword v110, off, s[0:3], 0 offset:304
	buffer_load_dword v115, off, s[0:3], 0 offset:316
	buffer_load_dword v114, off, s[0:3], 0 offset:312
	s_waitcnt vmcnt(2)
	v_fmac_f64_e32 v[106:107], v[110:111], v[112:113]
	ds_read2_b64 v[110:113], v108 offset0:91 offset1:92
	s_waitcnt vmcnt(0) lgkmcnt(0)
	v_fmac_f64_e32 v[106:107], v[114:115], v[110:111]
	buffer_load_dword v111, off, s[0:3], 0 offset:324
	buffer_load_dword v110, off, s[0:3], 0 offset:320
	buffer_load_dword v115, off, s[0:3], 0 offset:332
	buffer_load_dword v114, off, s[0:3], 0 offset:328
	s_waitcnt vmcnt(2)
	v_fmac_f64_e32 v[106:107], v[110:111], v[112:113]
	ds_read2_b64 v[110:113], v108 offset0:93 offset1:94
	s_waitcnt vmcnt(0) lgkmcnt(0)
	v_fmac_f64_e32 v[106:107], v[114:115], v[110:111]
	buffer_load_dword v111, off, s[0:3], 0 offset:340
	buffer_load_dword v110, off, s[0:3], 0 offset:336
	buffer_load_dword v115, off, s[0:3], 0 offset:348
	buffer_load_dword v114, off, s[0:3], 0 offset:344
	s_waitcnt vmcnt(2)
	v_fmac_f64_e32 v[106:107], v[110:111], v[112:113]
	ds_read2_b64 v[110:113], v108 offset0:95 offset1:96
	s_waitcnt vmcnt(0) lgkmcnt(0)
	v_fmac_f64_e32 v[106:107], v[114:115], v[110:111]
	buffer_load_dword v111, off, s[0:3], 0 offset:356
	buffer_load_dword v110, off, s[0:3], 0 offset:352
	buffer_load_dword v115, off, s[0:3], 0 offset:364
	buffer_load_dword v114, off, s[0:3], 0 offset:360
	s_waitcnt vmcnt(2)
	v_fmac_f64_e32 v[106:107], v[110:111], v[112:113]
	ds_read2_b64 v[110:113], v108 offset0:97 offset1:98
	s_waitcnt vmcnt(0) lgkmcnt(0)
	v_fmac_f64_e32 v[106:107], v[114:115], v[110:111]
	buffer_load_dword v111, off, s[0:3], 0 offset:372
	buffer_load_dword v110, off, s[0:3], 0 offset:368
	buffer_load_dword v115, off, s[0:3], 0 offset:380
	buffer_load_dword v114, off, s[0:3], 0 offset:376
	s_waitcnt vmcnt(2)
	v_fmac_f64_e32 v[106:107], v[110:111], v[112:113]
	ds_read2_b64 v[110:113], v108 offset0:99 offset1:100
	s_waitcnt vmcnt(0) lgkmcnt(0)
	v_fmac_f64_e32 v[106:107], v[114:115], v[110:111]
	buffer_load_dword v111, off, s[0:3], 0 offset:388
	buffer_load_dword v110, off, s[0:3], 0 offset:384
	s_waitcnt vmcnt(0)
	v_fmac_f64_e32 v[106:107], v[110:111], v[112:113]
	buffer_load_dword v113, off, s[0:3], 0 offset:396
	buffer_load_dword v112, off, s[0:3], 0 offset:392
	ds_read2_b64 v[108:111], v108 offset0:101 offset1:102
	s_waitcnt vmcnt(0) lgkmcnt(0)
	v_fmac_f64_e32 v[106:107], v[112:113], v[108:109]
	buffer_load_dword v109, off, s[0:3], 0 offset:404
	buffer_load_dword v108, off, s[0:3], 0 offset:400
	s_waitcnt vmcnt(0)
	v_fmac_f64_e32 v[106:107], v[108:109], v[110:111]
	v_add_f64 v[104:105], v[104:105], -v[106:107]
	buffer_store_dword v105, off, s[0:3], 0 offset:68
	buffer_store_dword v104, off, s[0:3], 0 offset:64
	s_and_saveexec_b64 s[4:5], vcc
	s_cbranch_execz .LBB50_299
; %bb.298:
	buffer_load_dword v104, off, s[0:3], 0 offset:56
	buffer_load_dword v105, off, s[0:3], 0 offset:60
	v_mov_b32_e32 v106, 0
	buffer_store_dword v106, off, s[0:3], 0 offset:56
	buffer_store_dword v106, off, s[0:3], 0 offset:60
	s_waitcnt vmcnt(2)
	ds_write_b64 v1, v[104:105]
.LBB50_299:
	s_or_b64 exec, exec, s[4:5]
	s_waitcnt lgkmcnt(0)
	; wave barrier
	s_waitcnt lgkmcnt(0)
	buffer_load_dword v104, off, s[0:3], 0 offset:56
	buffer_load_dword v105, off, s[0:3], 0 offset:60
	;; [unrolled: 1-line block ×16, first 2 shown]
	v_mov_b32_e32 v108, 0
	ds_read_b128 v[110:113], v108 offset:480
	ds_read_b128 v[114:117], v108 offset:496
	ds_read_b128 v[118:121], v108 offset:512
	ds_read_b128 v[122:125], v108 offset:528
	v_cmp_lt_u32_e32 vcc, 6, v0
	s_waitcnt vmcnt(12) lgkmcnt(3)
	v_fma_f64 v[106:107], v[106:107], v[110:111], 0
	buffer_load_dword v111, off, s[0:3], 0 offset:124
	buffer_load_dword v110, off, s[0:3], 0 offset:120
	s_waitcnt vmcnt(12)
	v_fmac_f64_e32 v[106:107], v[126:127], v[112:113]
	s_waitcnt vmcnt(10) lgkmcnt(2)
	v_fmac_f64_e32 v[106:107], v[128:129], v[114:115]
	buffer_load_dword v115, off, s[0:3], 0 offset:132
	buffer_load_dword v114, off, s[0:3], 0 offset:128
	s_waitcnt vmcnt(10)
	v_fmac_f64_e32 v[106:107], v[130:131], v[116:117]
	s_waitcnt vmcnt(8) lgkmcnt(1)
	v_fmac_f64_e32 v[106:107], v[132:133], v[118:119]
	s_waitcnt vmcnt(6)
	v_fmac_f64_e32 v[106:107], v[134:135], v[120:121]
	s_waitcnt vmcnt(4) lgkmcnt(0)
	v_fmac_f64_e32 v[106:107], v[136:137], v[122:123]
	s_waitcnt vmcnt(2)
	v_fmac_f64_e32 v[106:107], v[110:111], v[124:125]
	ds_read_b128 v[110:113], v108 offset:544
	s_waitcnt vmcnt(0) lgkmcnt(0)
	v_fmac_f64_e32 v[106:107], v[114:115], v[110:111]
	buffer_load_dword v111, off, s[0:3], 0 offset:140
	buffer_load_dword v110, off, s[0:3], 0 offset:136
	buffer_load_dword v115, off, s[0:3], 0 offset:148
	buffer_load_dword v114, off, s[0:3], 0 offset:144
	s_waitcnt vmcnt(2)
	v_fmac_f64_e32 v[106:107], v[110:111], v[112:113]
	ds_read_b128 v[110:113], v108 offset:560
	s_waitcnt vmcnt(0) lgkmcnt(0)
	v_fmac_f64_e32 v[106:107], v[114:115], v[110:111]
	buffer_load_dword v111, off, s[0:3], 0 offset:156
	buffer_load_dword v110, off, s[0:3], 0 offset:152
	buffer_load_dword v115, off, s[0:3], 0 offset:164
	buffer_load_dword v114, off, s[0:3], 0 offset:160
	;; [unrolled: 9-line block ×16, first 2 shown]
	s_waitcnt vmcnt(2)
	v_fmac_f64_e32 v[106:107], v[110:111], v[112:113]
	ds_read_b128 v[110:113], v108 offset:800
	s_waitcnt vmcnt(0) lgkmcnt(0)
	v_fmac_f64_e32 v[106:107], v[114:115], v[110:111]
	buffer_load_dword v111, off, s[0:3], 0 offset:396
	buffer_load_dword v110, off, s[0:3], 0 offset:392
	s_waitcnt vmcnt(0)
	v_fmac_f64_e32 v[106:107], v[110:111], v[112:113]
	buffer_load_dword v111, off, s[0:3], 0 offset:404
	buffer_load_dword v110, off, s[0:3], 0 offset:400
	ds_read_b64 v[112:113], v108 offset:816
	s_waitcnt vmcnt(0) lgkmcnt(0)
	v_fmac_f64_e32 v[106:107], v[110:111], v[112:113]
	v_add_f64 v[104:105], v[104:105], -v[106:107]
	buffer_store_dword v105, off, s[0:3], 0 offset:60
	buffer_store_dword v104, off, s[0:3], 0 offset:56
	s_and_saveexec_b64 s[4:5], vcc
	s_cbranch_execz .LBB50_301
; %bb.300:
	buffer_load_dword v104, off, s[0:3], 0 offset:48
	buffer_load_dword v105, off, s[0:3], 0 offset:52
	s_waitcnt vmcnt(0)
	ds_write_b64 v1, v[104:105]
	buffer_store_dword v108, off, s[0:3], 0 offset:48
	buffer_store_dword v108, off, s[0:3], 0 offset:52
.LBB50_301:
	s_or_b64 exec, exec, s[4:5]
	s_waitcnt lgkmcnt(0)
	; wave barrier
	s_waitcnt lgkmcnt(0)
	buffer_load_dword v104, off, s[0:3], 0 offset:48
	buffer_load_dword v105, off, s[0:3], 0 offset:52
	buffer_load_dword v106, off, s[0:3], 0 offset:56
	buffer_load_dword v107, off, s[0:3], 0 offset:60
	buffer_load_dword v114, off, s[0:3], 0 offset:64
	buffer_load_dword v115, off, s[0:3], 0 offset:68
	buffer_load_dword v116, off, s[0:3], 0 offset:72
	buffer_load_dword v117, off, s[0:3], 0 offset:76
	buffer_load_dword v118, off, s[0:3], 0 offset:80
	buffer_load_dword v119, off, s[0:3], 0 offset:84
	buffer_load_dword v120, off, s[0:3], 0 offset:88
	buffer_load_dword v121, off, s[0:3], 0 offset:92
	buffer_load_dword v122, off, s[0:3], 0 offset:96
	buffer_load_dword v123, off, s[0:3], 0 offset:100
	buffer_load_dword v124, off, s[0:3], 0 offset:104
	buffer_load_dword v125, off, s[0:3], 0 offset:108
	ds_read2_b64 v[110:113], v108 offset0:59 offset1:60
	v_cmp_lt_u32_e32 vcc, 5, v0
	s_waitcnt vmcnt(12) lgkmcnt(0)
	v_fma_f64 v[106:107], v[106:107], v[110:111], 0
	s_waitcnt vmcnt(10)
	v_fmac_f64_e32 v[106:107], v[114:115], v[112:113]
	ds_read2_b64 v[110:113], v108 offset0:61 offset1:62
	s_waitcnt vmcnt(8) lgkmcnt(0)
	v_fmac_f64_e32 v[106:107], v[116:117], v[110:111]
	s_waitcnt vmcnt(6)
	v_fmac_f64_e32 v[106:107], v[118:119], v[112:113]
	ds_read2_b64 v[110:113], v108 offset0:63 offset1:64
	s_waitcnt vmcnt(4) lgkmcnt(0)
	v_fmac_f64_e32 v[106:107], v[120:121], v[110:111]
	;; [unrolled: 5-line block ×3, first 2 shown]
	buffer_load_dword v111, off, s[0:3], 0 offset:116
	buffer_load_dword v110, off, s[0:3], 0 offset:112
	buffer_load_dword v115, off, s[0:3], 0 offset:124
	buffer_load_dword v114, off, s[0:3], 0 offset:120
	s_waitcnt vmcnt(2)
	v_fmac_f64_e32 v[106:107], v[110:111], v[112:113]
	ds_read2_b64 v[110:113], v108 offset0:67 offset1:68
	s_waitcnt vmcnt(0) lgkmcnt(0)
	v_fmac_f64_e32 v[106:107], v[114:115], v[110:111]
	buffer_load_dword v111, off, s[0:3], 0 offset:132
	buffer_load_dword v110, off, s[0:3], 0 offset:128
	buffer_load_dword v115, off, s[0:3], 0 offset:140
	buffer_load_dword v114, off, s[0:3], 0 offset:136
	s_waitcnt vmcnt(2)
	v_fmac_f64_e32 v[106:107], v[110:111], v[112:113]
	ds_read2_b64 v[110:113], v108 offset0:69 offset1:70
	s_waitcnt vmcnt(0) lgkmcnt(0)
	v_fmac_f64_e32 v[106:107], v[114:115], v[110:111]
	;; [unrolled: 9-line block ×17, first 2 shown]
	buffer_load_dword v111, off, s[0:3], 0 offset:388
	buffer_load_dword v110, off, s[0:3], 0 offset:384
	s_waitcnt vmcnt(0)
	v_fmac_f64_e32 v[106:107], v[110:111], v[112:113]
	buffer_load_dword v113, off, s[0:3], 0 offset:396
	buffer_load_dword v112, off, s[0:3], 0 offset:392
	ds_read2_b64 v[108:111], v108 offset0:101 offset1:102
	s_waitcnt vmcnt(0) lgkmcnt(0)
	v_fmac_f64_e32 v[106:107], v[112:113], v[108:109]
	buffer_load_dword v109, off, s[0:3], 0 offset:404
	buffer_load_dword v108, off, s[0:3], 0 offset:400
	s_waitcnt vmcnt(0)
	v_fmac_f64_e32 v[106:107], v[108:109], v[110:111]
	v_add_f64 v[104:105], v[104:105], -v[106:107]
	buffer_store_dword v105, off, s[0:3], 0 offset:52
	buffer_store_dword v104, off, s[0:3], 0 offset:48
	s_and_saveexec_b64 s[4:5], vcc
	s_cbranch_execz .LBB50_303
; %bb.302:
	buffer_load_dword v104, off, s[0:3], 0 offset:40
	buffer_load_dword v105, off, s[0:3], 0 offset:44
	v_mov_b32_e32 v106, 0
	buffer_store_dword v106, off, s[0:3], 0 offset:40
	buffer_store_dword v106, off, s[0:3], 0 offset:44
	s_waitcnt vmcnt(2)
	ds_write_b64 v1, v[104:105]
.LBB50_303:
	s_or_b64 exec, exec, s[4:5]
	s_waitcnt lgkmcnt(0)
	; wave barrier
	s_waitcnt lgkmcnt(0)
	buffer_load_dword v104, off, s[0:3], 0 offset:40
	buffer_load_dword v105, off, s[0:3], 0 offset:44
	;; [unrolled: 1-line block ×16, first 2 shown]
	v_mov_b32_e32 v108, 0
	ds_read_b128 v[110:113], v108 offset:464
	ds_read_b128 v[114:117], v108 offset:480
	;; [unrolled: 1-line block ×4, first 2 shown]
	v_cmp_lt_u32_e32 vcc, 4, v0
	s_waitcnt vmcnt(12) lgkmcnt(3)
	v_fma_f64 v[106:107], v[106:107], v[110:111], 0
	buffer_load_dword v111, off, s[0:3], 0 offset:108
	buffer_load_dword v110, off, s[0:3], 0 offset:104
	s_waitcnt vmcnt(12)
	v_fmac_f64_e32 v[106:107], v[126:127], v[112:113]
	s_waitcnt vmcnt(10) lgkmcnt(2)
	v_fmac_f64_e32 v[106:107], v[128:129], v[114:115]
	buffer_load_dword v115, off, s[0:3], 0 offset:116
	buffer_load_dword v114, off, s[0:3], 0 offset:112
	s_waitcnt vmcnt(10)
	v_fmac_f64_e32 v[106:107], v[130:131], v[116:117]
	s_waitcnt vmcnt(8) lgkmcnt(1)
	v_fmac_f64_e32 v[106:107], v[132:133], v[118:119]
	s_waitcnt vmcnt(6)
	v_fmac_f64_e32 v[106:107], v[134:135], v[120:121]
	s_waitcnt vmcnt(4) lgkmcnt(0)
	v_fmac_f64_e32 v[106:107], v[136:137], v[122:123]
	s_waitcnt vmcnt(2)
	v_fmac_f64_e32 v[106:107], v[110:111], v[124:125]
	ds_read_b128 v[110:113], v108 offset:528
	s_waitcnt vmcnt(0) lgkmcnt(0)
	v_fmac_f64_e32 v[106:107], v[114:115], v[110:111]
	buffer_load_dword v111, off, s[0:3], 0 offset:124
	buffer_load_dword v110, off, s[0:3], 0 offset:120
	buffer_load_dword v115, off, s[0:3], 0 offset:132
	buffer_load_dword v114, off, s[0:3], 0 offset:128
	s_waitcnt vmcnt(2)
	v_fmac_f64_e32 v[106:107], v[110:111], v[112:113]
	ds_read_b128 v[110:113], v108 offset:544
	s_waitcnt vmcnt(0) lgkmcnt(0)
	v_fmac_f64_e32 v[106:107], v[114:115], v[110:111]
	buffer_load_dword v111, off, s[0:3], 0 offset:140
	buffer_load_dword v110, off, s[0:3], 0 offset:136
	buffer_load_dword v115, off, s[0:3], 0 offset:148
	buffer_load_dword v114, off, s[0:3], 0 offset:144
	;; [unrolled: 9-line block ×17, first 2 shown]
	s_waitcnt vmcnt(2)
	v_fmac_f64_e32 v[106:107], v[110:111], v[112:113]
	ds_read_b128 v[110:113], v108 offset:800
	s_waitcnt vmcnt(0) lgkmcnt(0)
	v_fmac_f64_e32 v[106:107], v[114:115], v[110:111]
	buffer_load_dword v111, off, s[0:3], 0 offset:396
	buffer_load_dword v110, off, s[0:3], 0 offset:392
	s_waitcnt vmcnt(0)
	v_fmac_f64_e32 v[106:107], v[110:111], v[112:113]
	buffer_load_dword v111, off, s[0:3], 0 offset:404
	buffer_load_dword v110, off, s[0:3], 0 offset:400
	ds_read_b64 v[112:113], v108 offset:816
	s_waitcnt vmcnt(0) lgkmcnt(0)
	v_fmac_f64_e32 v[106:107], v[110:111], v[112:113]
	v_add_f64 v[104:105], v[104:105], -v[106:107]
	buffer_store_dword v105, off, s[0:3], 0 offset:44
	buffer_store_dword v104, off, s[0:3], 0 offset:40
	s_and_saveexec_b64 s[4:5], vcc
	s_cbranch_execz .LBB50_305
; %bb.304:
	buffer_load_dword v104, off, s[0:3], 0 offset:32
	buffer_load_dword v105, off, s[0:3], 0 offset:36
	s_waitcnt vmcnt(0)
	ds_write_b64 v1, v[104:105]
	buffer_store_dword v108, off, s[0:3], 0 offset:32
	buffer_store_dword v108, off, s[0:3], 0 offset:36
.LBB50_305:
	s_or_b64 exec, exec, s[4:5]
	s_waitcnt lgkmcnt(0)
	; wave barrier
	s_waitcnt lgkmcnt(0)
	buffer_load_dword v104, off, s[0:3], 0 offset:32
	buffer_load_dword v105, off, s[0:3], 0 offset:36
	buffer_load_dword v106, off, s[0:3], 0 offset:40
	buffer_load_dword v107, off, s[0:3], 0 offset:44
	buffer_load_dword v114, off, s[0:3], 0 offset:48
	buffer_load_dword v115, off, s[0:3], 0 offset:52
	buffer_load_dword v116, off, s[0:3], 0 offset:56
	buffer_load_dword v117, off, s[0:3], 0 offset:60
	buffer_load_dword v118, off, s[0:3], 0 offset:64
	buffer_load_dword v119, off, s[0:3], 0 offset:68
	buffer_load_dword v120, off, s[0:3], 0 offset:72
	buffer_load_dword v121, off, s[0:3], 0 offset:76
	buffer_load_dword v122, off, s[0:3], 0 offset:80
	buffer_load_dword v123, off, s[0:3], 0 offset:84
	buffer_load_dword v124, off, s[0:3], 0 offset:88
	buffer_load_dword v125, off, s[0:3], 0 offset:92
	ds_read2_b64 v[110:113], v108 offset0:57 offset1:58
	v_cmp_lt_u32_e32 vcc, 3, v0
	s_waitcnt vmcnt(12) lgkmcnt(0)
	v_fma_f64 v[106:107], v[106:107], v[110:111], 0
	s_waitcnt vmcnt(10)
	v_fmac_f64_e32 v[106:107], v[114:115], v[112:113]
	ds_read2_b64 v[110:113], v108 offset0:59 offset1:60
	s_waitcnt vmcnt(8) lgkmcnt(0)
	v_fmac_f64_e32 v[106:107], v[116:117], v[110:111]
	s_waitcnt vmcnt(6)
	v_fmac_f64_e32 v[106:107], v[118:119], v[112:113]
	ds_read2_b64 v[110:113], v108 offset0:61 offset1:62
	s_waitcnt vmcnt(4) lgkmcnt(0)
	v_fmac_f64_e32 v[106:107], v[120:121], v[110:111]
	;; [unrolled: 5-line block ×3, first 2 shown]
	buffer_load_dword v111, off, s[0:3], 0 offset:100
	buffer_load_dword v110, off, s[0:3], 0 offset:96
	buffer_load_dword v115, off, s[0:3], 0 offset:108
	buffer_load_dword v114, off, s[0:3], 0 offset:104
	s_waitcnt vmcnt(2)
	v_fmac_f64_e32 v[106:107], v[110:111], v[112:113]
	ds_read2_b64 v[110:113], v108 offset0:65 offset1:66
	s_waitcnt vmcnt(0) lgkmcnt(0)
	v_fmac_f64_e32 v[106:107], v[114:115], v[110:111]
	buffer_load_dword v111, off, s[0:3], 0 offset:116
	buffer_load_dword v110, off, s[0:3], 0 offset:112
	buffer_load_dword v115, off, s[0:3], 0 offset:124
	buffer_load_dword v114, off, s[0:3], 0 offset:120
	s_waitcnt vmcnt(2)
	v_fmac_f64_e32 v[106:107], v[110:111], v[112:113]
	ds_read2_b64 v[110:113], v108 offset0:67 offset1:68
	s_waitcnt vmcnt(0) lgkmcnt(0)
	v_fmac_f64_e32 v[106:107], v[114:115], v[110:111]
	buffer_load_dword v111, off, s[0:3], 0 offset:132
	buffer_load_dword v110, off, s[0:3], 0 offset:128
	buffer_load_dword v115, off, s[0:3], 0 offset:140
	buffer_load_dword v114, off, s[0:3], 0 offset:136
	s_waitcnt vmcnt(2)
	v_fmac_f64_e32 v[106:107], v[110:111], v[112:113]
	ds_read2_b64 v[110:113], v108 offset0:69 offset1:70
	s_waitcnt vmcnt(0) lgkmcnt(0)
	v_fmac_f64_e32 v[106:107], v[114:115], v[110:111]
	buffer_load_dword v111, off, s[0:3], 0 offset:148
	buffer_load_dword v110, off, s[0:3], 0 offset:144
	buffer_load_dword v115, off, s[0:3], 0 offset:156
	buffer_load_dword v114, off, s[0:3], 0 offset:152
	s_waitcnt vmcnt(2)
	v_fmac_f64_e32 v[106:107], v[110:111], v[112:113]
	ds_read2_b64 v[110:113], v108 offset0:71 offset1:72
	s_waitcnt vmcnt(0) lgkmcnt(0)
	v_fmac_f64_e32 v[106:107], v[114:115], v[110:111]
	buffer_load_dword v111, off, s[0:3], 0 offset:164
	buffer_load_dword v110, off, s[0:3], 0 offset:160
	buffer_load_dword v115, off, s[0:3], 0 offset:172
	buffer_load_dword v114, off, s[0:3], 0 offset:168
	s_waitcnt vmcnt(2)
	v_fmac_f64_e32 v[106:107], v[110:111], v[112:113]
	ds_read2_b64 v[110:113], v108 offset0:73 offset1:74
	s_waitcnt vmcnt(0) lgkmcnt(0)
	v_fmac_f64_e32 v[106:107], v[114:115], v[110:111]
	buffer_load_dword v111, off, s[0:3], 0 offset:180
	buffer_load_dword v110, off, s[0:3], 0 offset:176
	buffer_load_dword v115, off, s[0:3], 0 offset:188
	buffer_load_dword v114, off, s[0:3], 0 offset:184
	s_waitcnt vmcnt(2)
	v_fmac_f64_e32 v[106:107], v[110:111], v[112:113]
	ds_read2_b64 v[110:113], v108 offset0:75 offset1:76
	s_waitcnt vmcnt(0) lgkmcnt(0)
	v_fmac_f64_e32 v[106:107], v[114:115], v[110:111]
	buffer_load_dword v111, off, s[0:3], 0 offset:196
	buffer_load_dword v110, off, s[0:3], 0 offset:192
	buffer_load_dword v115, off, s[0:3], 0 offset:204
	buffer_load_dword v114, off, s[0:3], 0 offset:200
	s_waitcnt vmcnt(2)
	v_fmac_f64_e32 v[106:107], v[110:111], v[112:113]
	ds_read2_b64 v[110:113], v108 offset0:77 offset1:78
	s_waitcnt vmcnt(0) lgkmcnt(0)
	v_fmac_f64_e32 v[106:107], v[114:115], v[110:111]
	buffer_load_dword v111, off, s[0:3], 0 offset:212
	buffer_load_dword v110, off, s[0:3], 0 offset:208
	buffer_load_dword v115, off, s[0:3], 0 offset:220
	buffer_load_dword v114, off, s[0:3], 0 offset:216
	s_waitcnt vmcnt(2)
	v_fmac_f64_e32 v[106:107], v[110:111], v[112:113]
	ds_read2_b64 v[110:113], v108 offset0:79 offset1:80
	s_waitcnt vmcnt(0) lgkmcnt(0)
	v_fmac_f64_e32 v[106:107], v[114:115], v[110:111]
	buffer_load_dword v111, off, s[0:3], 0 offset:228
	buffer_load_dword v110, off, s[0:3], 0 offset:224
	buffer_load_dword v115, off, s[0:3], 0 offset:236
	buffer_load_dword v114, off, s[0:3], 0 offset:232
	s_waitcnt vmcnt(2)
	v_fmac_f64_e32 v[106:107], v[110:111], v[112:113]
	ds_read2_b64 v[110:113], v108 offset0:81 offset1:82
	s_waitcnt vmcnt(0) lgkmcnt(0)
	v_fmac_f64_e32 v[106:107], v[114:115], v[110:111]
	buffer_load_dword v111, off, s[0:3], 0 offset:244
	buffer_load_dword v110, off, s[0:3], 0 offset:240
	buffer_load_dword v115, off, s[0:3], 0 offset:252
	buffer_load_dword v114, off, s[0:3], 0 offset:248
	s_waitcnt vmcnt(2)
	v_fmac_f64_e32 v[106:107], v[110:111], v[112:113]
	ds_read2_b64 v[110:113], v108 offset0:83 offset1:84
	s_waitcnt vmcnt(0) lgkmcnt(0)
	v_fmac_f64_e32 v[106:107], v[114:115], v[110:111]
	buffer_load_dword v111, off, s[0:3], 0 offset:260
	buffer_load_dword v110, off, s[0:3], 0 offset:256
	buffer_load_dword v115, off, s[0:3], 0 offset:268
	buffer_load_dword v114, off, s[0:3], 0 offset:264
	s_waitcnt vmcnt(2)
	v_fmac_f64_e32 v[106:107], v[110:111], v[112:113]
	ds_read2_b64 v[110:113], v108 offset0:85 offset1:86
	s_waitcnt vmcnt(0) lgkmcnt(0)
	v_fmac_f64_e32 v[106:107], v[114:115], v[110:111]
	buffer_load_dword v111, off, s[0:3], 0 offset:276
	buffer_load_dword v110, off, s[0:3], 0 offset:272
	buffer_load_dword v115, off, s[0:3], 0 offset:284
	buffer_load_dword v114, off, s[0:3], 0 offset:280
	s_waitcnt vmcnt(2)
	v_fmac_f64_e32 v[106:107], v[110:111], v[112:113]
	ds_read2_b64 v[110:113], v108 offset0:87 offset1:88
	s_waitcnt vmcnt(0) lgkmcnt(0)
	v_fmac_f64_e32 v[106:107], v[114:115], v[110:111]
	buffer_load_dword v111, off, s[0:3], 0 offset:292
	buffer_load_dword v110, off, s[0:3], 0 offset:288
	buffer_load_dword v115, off, s[0:3], 0 offset:300
	buffer_load_dword v114, off, s[0:3], 0 offset:296
	s_waitcnt vmcnt(2)
	v_fmac_f64_e32 v[106:107], v[110:111], v[112:113]
	ds_read2_b64 v[110:113], v108 offset0:89 offset1:90
	s_waitcnt vmcnt(0) lgkmcnt(0)
	v_fmac_f64_e32 v[106:107], v[114:115], v[110:111]
	buffer_load_dword v111, off, s[0:3], 0 offset:308
	buffer_load_dword v110, off, s[0:3], 0 offset:304
	buffer_load_dword v115, off, s[0:3], 0 offset:316
	buffer_load_dword v114, off, s[0:3], 0 offset:312
	s_waitcnt vmcnt(2)
	v_fmac_f64_e32 v[106:107], v[110:111], v[112:113]
	ds_read2_b64 v[110:113], v108 offset0:91 offset1:92
	s_waitcnt vmcnt(0) lgkmcnt(0)
	v_fmac_f64_e32 v[106:107], v[114:115], v[110:111]
	buffer_load_dword v111, off, s[0:3], 0 offset:324
	buffer_load_dword v110, off, s[0:3], 0 offset:320
	buffer_load_dword v115, off, s[0:3], 0 offset:332
	buffer_load_dword v114, off, s[0:3], 0 offset:328
	s_waitcnt vmcnt(2)
	v_fmac_f64_e32 v[106:107], v[110:111], v[112:113]
	ds_read2_b64 v[110:113], v108 offset0:93 offset1:94
	s_waitcnt vmcnt(0) lgkmcnt(0)
	v_fmac_f64_e32 v[106:107], v[114:115], v[110:111]
	buffer_load_dword v111, off, s[0:3], 0 offset:340
	buffer_load_dword v110, off, s[0:3], 0 offset:336
	buffer_load_dword v115, off, s[0:3], 0 offset:348
	buffer_load_dword v114, off, s[0:3], 0 offset:344
	s_waitcnt vmcnt(2)
	v_fmac_f64_e32 v[106:107], v[110:111], v[112:113]
	ds_read2_b64 v[110:113], v108 offset0:95 offset1:96
	s_waitcnt vmcnt(0) lgkmcnt(0)
	v_fmac_f64_e32 v[106:107], v[114:115], v[110:111]
	buffer_load_dword v111, off, s[0:3], 0 offset:356
	buffer_load_dword v110, off, s[0:3], 0 offset:352
	buffer_load_dword v115, off, s[0:3], 0 offset:364
	buffer_load_dword v114, off, s[0:3], 0 offset:360
	s_waitcnt vmcnt(2)
	v_fmac_f64_e32 v[106:107], v[110:111], v[112:113]
	ds_read2_b64 v[110:113], v108 offset0:97 offset1:98
	s_waitcnt vmcnt(0) lgkmcnt(0)
	v_fmac_f64_e32 v[106:107], v[114:115], v[110:111]
	buffer_load_dword v111, off, s[0:3], 0 offset:372
	buffer_load_dword v110, off, s[0:3], 0 offset:368
	buffer_load_dword v115, off, s[0:3], 0 offset:380
	buffer_load_dword v114, off, s[0:3], 0 offset:376
	s_waitcnt vmcnt(2)
	v_fmac_f64_e32 v[106:107], v[110:111], v[112:113]
	ds_read2_b64 v[110:113], v108 offset0:99 offset1:100
	s_waitcnt vmcnt(0) lgkmcnt(0)
	v_fmac_f64_e32 v[106:107], v[114:115], v[110:111]
	buffer_load_dword v111, off, s[0:3], 0 offset:388
	buffer_load_dword v110, off, s[0:3], 0 offset:384
	s_waitcnt vmcnt(0)
	v_fmac_f64_e32 v[106:107], v[110:111], v[112:113]
	buffer_load_dword v113, off, s[0:3], 0 offset:396
	buffer_load_dword v112, off, s[0:3], 0 offset:392
	ds_read2_b64 v[108:111], v108 offset0:101 offset1:102
	s_waitcnt vmcnt(0) lgkmcnt(0)
	v_fmac_f64_e32 v[106:107], v[112:113], v[108:109]
	buffer_load_dword v109, off, s[0:3], 0 offset:404
	buffer_load_dword v108, off, s[0:3], 0 offset:400
	s_waitcnt vmcnt(0)
	v_fmac_f64_e32 v[106:107], v[108:109], v[110:111]
	v_add_f64 v[104:105], v[104:105], -v[106:107]
	buffer_store_dword v105, off, s[0:3], 0 offset:36
	buffer_store_dword v104, off, s[0:3], 0 offset:32
	s_and_saveexec_b64 s[4:5], vcc
	s_cbranch_execz .LBB50_307
; %bb.306:
	buffer_load_dword v104, off, s[0:3], 0 offset:24
	buffer_load_dword v105, off, s[0:3], 0 offset:28
	v_mov_b32_e32 v106, 0
	buffer_store_dword v106, off, s[0:3], 0 offset:24
	buffer_store_dword v106, off, s[0:3], 0 offset:28
	s_waitcnt vmcnt(2)
	ds_write_b64 v1, v[104:105]
.LBB50_307:
	s_or_b64 exec, exec, s[4:5]
	s_waitcnt lgkmcnt(0)
	; wave barrier
	s_waitcnt lgkmcnt(0)
	buffer_load_dword v104, off, s[0:3], 0 offset:24
	buffer_load_dword v105, off, s[0:3], 0 offset:28
	;; [unrolled: 1-line block ×16, first 2 shown]
	v_mov_b32_e32 v108, 0
	ds_read_b128 v[110:113], v108 offset:448
	ds_read_b128 v[114:117], v108 offset:464
	;; [unrolled: 1-line block ×4, first 2 shown]
	v_cmp_lt_u32_e32 vcc, 2, v0
	s_waitcnt vmcnt(12) lgkmcnt(3)
	v_fma_f64 v[106:107], v[106:107], v[110:111], 0
	buffer_load_dword v111, off, s[0:3], 0 offset:92
	buffer_load_dword v110, off, s[0:3], 0 offset:88
	s_waitcnt vmcnt(12)
	v_fmac_f64_e32 v[106:107], v[126:127], v[112:113]
	s_waitcnt vmcnt(10) lgkmcnt(2)
	v_fmac_f64_e32 v[106:107], v[128:129], v[114:115]
	buffer_load_dword v115, off, s[0:3], 0 offset:100
	buffer_load_dword v114, off, s[0:3], 0 offset:96
	s_waitcnt vmcnt(10)
	v_fmac_f64_e32 v[106:107], v[130:131], v[116:117]
	s_waitcnt vmcnt(8) lgkmcnt(1)
	v_fmac_f64_e32 v[106:107], v[132:133], v[118:119]
	s_waitcnt vmcnt(6)
	v_fmac_f64_e32 v[106:107], v[134:135], v[120:121]
	s_waitcnt vmcnt(4) lgkmcnt(0)
	v_fmac_f64_e32 v[106:107], v[136:137], v[122:123]
	s_waitcnt vmcnt(2)
	v_fmac_f64_e32 v[106:107], v[110:111], v[124:125]
	ds_read_b128 v[110:113], v108 offset:512
	s_waitcnt vmcnt(0) lgkmcnt(0)
	v_fmac_f64_e32 v[106:107], v[114:115], v[110:111]
	buffer_load_dword v111, off, s[0:3], 0 offset:108
	buffer_load_dword v110, off, s[0:3], 0 offset:104
	buffer_load_dword v115, off, s[0:3], 0 offset:116
	buffer_load_dword v114, off, s[0:3], 0 offset:112
	s_waitcnt vmcnt(2)
	v_fmac_f64_e32 v[106:107], v[110:111], v[112:113]
	ds_read_b128 v[110:113], v108 offset:528
	s_waitcnt vmcnt(0) lgkmcnt(0)
	v_fmac_f64_e32 v[106:107], v[114:115], v[110:111]
	buffer_load_dword v111, off, s[0:3], 0 offset:124
	buffer_load_dword v110, off, s[0:3], 0 offset:120
	buffer_load_dword v115, off, s[0:3], 0 offset:132
	buffer_load_dword v114, off, s[0:3], 0 offset:128
	;; [unrolled: 9-line block ×18, first 2 shown]
	s_waitcnt vmcnt(2)
	v_fmac_f64_e32 v[106:107], v[110:111], v[112:113]
	ds_read_b128 v[110:113], v108 offset:800
	s_waitcnt vmcnt(0) lgkmcnt(0)
	v_fmac_f64_e32 v[106:107], v[114:115], v[110:111]
	buffer_load_dword v111, off, s[0:3], 0 offset:396
	buffer_load_dword v110, off, s[0:3], 0 offset:392
	s_waitcnt vmcnt(0)
	v_fmac_f64_e32 v[106:107], v[110:111], v[112:113]
	buffer_load_dword v111, off, s[0:3], 0 offset:404
	buffer_load_dword v110, off, s[0:3], 0 offset:400
	ds_read_b64 v[112:113], v108 offset:816
	s_waitcnt vmcnt(0) lgkmcnt(0)
	v_fmac_f64_e32 v[106:107], v[110:111], v[112:113]
	v_add_f64 v[104:105], v[104:105], -v[106:107]
	buffer_store_dword v105, off, s[0:3], 0 offset:28
	buffer_store_dword v104, off, s[0:3], 0 offset:24
	s_and_saveexec_b64 s[4:5], vcc
	s_cbranch_execz .LBB50_309
; %bb.308:
	buffer_load_dword v104, off, s[0:3], 0 offset:16
	buffer_load_dword v105, off, s[0:3], 0 offset:20
	s_waitcnt vmcnt(0)
	ds_write_b64 v1, v[104:105]
	buffer_store_dword v108, off, s[0:3], 0 offset:16
	buffer_store_dword v108, off, s[0:3], 0 offset:20
.LBB50_309:
	s_or_b64 exec, exec, s[4:5]
	s_waitcnt lgkmcnt(0)
	; wave barrier
	s_waitcnt lgkmcnt(0)
	buffer_load_dword v104, off, s[0:3], 0 offset:16
	buffer_load_dword v105, off, s[0:3], 0 offset:20
	;; [unrolled: 1-line block ×16, first 2 shown]
	ds_read2_b64 v[110:113], v108 offset0:55 offset1:56
	v_cmp_lt_u32_e32 vcc, 1, v0
	s_waitcnt vmcnt(12) lgkmcnt(0)
	v_fma_f64 v[106:107], v[106:107], v[110:111], 0
	s_waitcnt vmcnt(10)
	v_fmac_f64_e32 v[106:107], v[114:115], v[112:113]
	ds_read2_b64 v[110:113], v108 offset0:57 offset1:58
	s_waitcnt vmcnt(8) lgkmcnt(0)
	v_fmac_f64_e32 v[106:107], v[116:117], v[110:111]
	s_waitcnt vmcnt(6)
	v_fmac_f64_e32 v[106:107], v[118:119], v[112:113]
	ds_read2_b64 v[110:113], v108 offset0:59 offset1:60
	s_waitcnt vmcnt(4) lgkmcnt(0)
	v_fmac_f64_e32 v[106:107], v[120:121], v[110:111]
	;; [unrolled: 5-line block ×3, first 2 shown]
	buffer_load_dword v111, off, s[0:3], 0 offset:84
	buffer_load_dword v110, off, s[0:3], 0 offset:80
	buffer_load_dword v115, off, s[0:3], 0 offset:92
	buffer_load_dword v114, off, s[0:3], 0 offset:88
	s_waitcnt vmcnt(2)
	v_fmac_f64_e32 v[106:107], v[110:111], v[112:113]
	ds_read2_b64 v[110:113], v108 offset0:63 offset1:64
	s_waitcnt vmcnt(0) lgkmcnt(0)
	v_fmac_f64_e32 v[106:107], v[114:115], v[110:111]
	buffer_load_dword v111, off, s[0:3], 0 offset:100
	buffer_load_dword v110, off, s[0:3], 0 offset:96
	buffer_load_dword v115, off, s[0:3], 0 offset:108
	buffer_load_dword v114, off, s[0:3], 0 offset:104
	s_waitcnt vmcnt(2)
	v_fmac_f64_e32 v[106:107], v[110:111], v[112:113]
	ds_read2_b64 v[110:113], v108 offset0:65 offset1:66
	s_waitcnt vmcnt(0) lgkmcnt(0)
	v_fmac_f64_e32 v[106:107], v[114:115], v[110:111]
	;; [unrolled: 9-line block ×19, first 2 shown]
	buffer_load_dword v111, off, s[0:3], 0 offset:388
	buffer_load_dword v110, off, s[0:3], 0 offset:384
	s_waitcnt vmcnt(0)
	v_fmac_f64_e32 v[106:107], v[110:111], v[112:113]
	buffer_load_dword v113, off, s[0:3], 0 offset:396
	buffer_load_dword v112, off, s[0:3], 0 offset:392
	ds_read2_b64 v[108:111], v108 offset0:101 offset1:102
	s_waitcnt vmcnt(0) lgkmcnt(0)
	v_fmac_f64_e32 v[106:107], v[112:113], v[108:109]
	buffer_load_dword v109, off, s[0:3], 0 offset:404
	buffer_load_dword v108, off, s[0:3], 0 offset:400
	s_waitcnt vmcnt(0)
	v_fmac_f64_e32 v[106:107], v[108:109], v[110:111]
	v_add_f64 v[104:105], v[104:105], -v[106:107]
	buffer_store_dword v105, off, s[0:3], 0 offset:20
	buffer_store_dword v104, off, s[0:3], 0 offset:16
	s_and_saveexec_b64 s[4:5], vcc
	s_cbranch_execz .LBB50_311
; %bb.310:
	buffer_load_dword v104, off, s[0:3], 0 offset:8
	buffer_load_dword v105, off, s[0:3], 0 offset:12
	v_mov_b32_e32 v106, 0
	buffer_store_dword v106, off, s[0:3], 0 offset:8
	buffer_store_dword v106, off, s[0:3], 0 offset:12
	s_waitcnt vmcnt(2)
	ds_write_b64 v1, v[104:105]
.LBB50_311:
	s_or_b64 exec, exec, s[4:5]
	s_waitcnt lgkmcnt(0)
	; wave barrier
	s_waitcnt lgkmcnt(0)
	buffer_load_dword v104, off, s[0:3], 0 offset:8
	buffer_load_dword v105, off, s[0:3], 0 offset:12
	;; [unrolled: 1-line block ×16, first 2 shown]
	v_mov_b32_e32 v108, 0
	ds_read_b128 v[110:113], v108 offset:432
	v_cmp_ne_u32_e32 vcc, 0, v0
	s_waitcnt vmcnt(12) lgkmcnt(0)
	v_fma_f64 v[106:107], v[106:107], v[110:111], 0
	s_waitcnt vmcnt(10)
	v_fmac_f64_e32 v[106:107], v[114:115], v[112:113]
	ds_read_b128 v[110:113], v108 offset:448
	s_waitcnt vmcnt(8) lgkmcnt(0)
	v_fmac_f64_e32 v[106:107], v[116:117], v[110:111]
	s_waitcnt vmcnt(6)
	v_fmac_f64_e32 v[106:107], v[118:119], v[112:113]
	ds_read_b128 v[110:113], v108 offset:464
	s_waitcnt vmcnt(4) lgkmcnt(0)
	v_fmac_f64_e32 v[106:107], v[120:121], v[110:111]
	;; [unrolled: 5-line block ×3, first 2 shown]
	buffer_load_dword v111, off, s[0:3], 0 offset:76
	buffer_load_dword v110, off, s[0:3], 0 offset:72
	buffer_load_dword v115, off, s[0:3], 0 offset:84
	buffer_load_dword v114, off, s[0:3], 0 offset:80
	s_waitcnt vmcnt(2)
	v_fmac_f64_e32 v[106:107], v[110:111], v[112:113]
	ds_read_b128 v[110:113], v108 offset:496
	s_waitcnt vmcnt(0) lgkmcnt(0)
	v_fmac_f64_e32 v[106:107], v[114:115], v[110:111]
	buffer_load_dword v111, off, s[0:3], 0 offset:92
	buffer_load_dword v110, off, s[0:3], 0 offset:88
	buffer_load_dword v115, off, s[0:3], 0 offset:100
	buffer_load_dword v114, off, s[0:3], 0 offset:96
	s_waitcnt vmcnt(2)
	v_fmac_f64_e32 v[106:107], v[110:111], v[112:113]
	ds_read_b128 v[110:113], v108 offset:512
	s_waitcnt vmcnt(0) lgkmcnt(0)
	v_fmac_f64_e32 v[106:107], v[114:115], v[110:111]
	;; [unrolled: 9-line block ×20, first 2 shown]
	buffer_load_dword v111, off, s[0:3], 0 offset:396
	buffer_load_dword v110, off, s[0:3], 0 offset:392
	s_waitcnt vmcnt(0)
	v_fmac_f64_e32 v[106:107], v[110:111], v[112:113]
	buffer_load_dword v111, off, s[0:3], 0 offset:404
	buffer_load_dword v110, off, s[0:3], 0 offset:400
	ds_read_b64 v[112:113], v108 offset:816
	s_waitcnt vmcnt(0) lgkmcnt(0)
	v_fmac_f64_e32 v[106:107], v[110:111], v[112:113]
	v_add_f64 v[104:105], v[104:105], -v[106:107]
	buffer_store_dword v105, off, s[0:3], 0 offset:12
	buffer_store_dword v104, off, s[0:3], 0 offset:8
	s_and_saveexec_b64 s[4:5], vcc
	s_cbranch_execz .LBB50_313
; %bb.312:
	buffer_load_dword v104, off, s[0:3], 0
	buffer_load_dword v105, off, s[0:3], 0 offset:4
	s_waitcnt vmcnt(0)
	ds_write_b64 v1, v[104:105]
	buffer_store_dword v108, off, s[0:3], 0
	buffer_store_dword v108, off, s[0:3], 0 offset:4
.LBB50_313:
	s_or_b64 exec, exec, s[4:5]
	s_waitcnt lgkmcnt(0)
	; wave barrier
	s_waitcnt lgkmcnt(0)
	buffer_load_dword v0, off, s[0:3], 0
	buffer_load_dword v1, off, s[0:3], 0 offset:4
	buffer_load_dword v110, off, s[0:3], 0 offset:8
	;; [unrolled: 1-line block ×15, first 2 shown]
	ds_read2_b64 v[104:107], v108 offset0:53 offset1:54
	s_and_b64 vcc, exec, s[20:21]
	s_waitcnt vmcnt(12) lgkmcnt(0)
	v_fma_f64 v[104:105], v[110:111], v[104:105], 0
	s_waitcnt vmcnt(10)
	v_fmac_f64_e32 v[104:105], v[112:113], v[106:107]
	ds_read2_b64 v[110:113], v108 offset0:55 offset1:56
	s_waitcnt vmcnt(8) lgkmcnt(0)
	v_fmac_f64_e32 v[104:105], v[114:115], v[110:111]
	s_waitcnt vmcnt(6)
	v_fmac_f64_e32 v[104:105], v[116:117], v[112:113]
	ds_read2_b64 v[110:113], v108 offset0:57 offset1:58
	s_waitcnt vmcnt(4) lgkmcnt(0)
	v_fmac_f64_e32 v[104:105], v[118:119], v[110:111]
	s_waitcnt vmcnt(2)
	v_fmac_f64_e32 v[104:105], v[120:121], v[112:113]
	ds_read2_b64 v[110:113], v108 offset0:59 offset1:60
	buffer_load_dword v107, off, s[0:3], 0 offset:68
	buffer_load_dword v106, off, s[0:3], 0 offset:64
	s_waitcnt vmcnt(2) lgkmcnt(0)
	v_fmac_f64_e32 v[104:105], v[122:123], v[110:111]
	s_waitcnt vmcnt(0)
	v_fmac_f64_e32 v[104:105], v[106:107], v[112:113]
	buffer_load_dword v107, off, s[0:3], 0 offset:76
	buffer_load_dword v106, off, s[0:3], 0 offset:72
	ds_read2_b64 v[110:113], v108 offset0:61 offset1:62
	s_waitcnt vmcnt(0) lgkmcnt(0)
	v_fmac_f64_e32 v[104:105], v[106:107], v[110:111]
	buffer_load_dword v107, off, s[0:3], 0 offset:84
	buffer_load_dword v106, off, s[0:3], 0 offset:80
	s_waitcnt vmcnt(0)
	v_fmac_f64_e32 v[104:105], v[106:107], v[112:113]
	buffer_load_dword v107, off, s[0:3], 0 offset:92
	buffer_load_dword v106, off, s[0:3], 0 offset:88
	ds_read2_b64 v[110:113], v108 offset0:63 offset1:64
	s_waitcnt vmcnt(0) lgkmcnt(0)
	v_fmac_f64_e32 v[104:105], v[106:107], v[110:111]
	buffer_load_dword v107, off, s[0:3], 0 offset:100
	buffer_load_dword v106, off, s[0:3], 0 offset:96
	;; [unrolled: 9-line block ×21, first 2 shown]
	s_waitcnt vmcnt(0)
	v_fmac_f64_e32 v[104:105], v[108:109], v[110:111]
	v_add_f64 v[0:1], v[0:1], -v[104:105]
	buffer_store_dword v1, off, s[0:3], 0 offset:4
	buffer_store_dword v0, off, s[0:3], 0
	s_cbranch_vccz .LBB50_415
; %bb.314:
	v_pk_mov_b32 v[0:1], s[10:11], s[10:11] op_sel:[0,1]
	flat_load_dword v0, v[0:1] offset:196
	s_waitcnt vmcnt(0) lgkmcnt(0)
	v_add_u32_e32 v0, -1, v0
	v_cmp_ne_u32_e32 vcc, 49, v0
	s_and_saveexec_b64 s[4:5], vcc
	s_cbranch_execz .LBB50_316
; %bb.315:
	v_mov_b32_e32 v1, 0
	v_lshl_add_u32 v0, v0, 3, v1
	buffer_load_dword v1, v0, s[0:3], 0 offen
	buffer_load_dword v104, v0, s[0:3], 0 offen offset:4
	s_waitcnt vmcnt(1)
	buffer_store_dword v1, off, s[0:3], 0 offset:392
	s_waitcnt vmcnt(1)
	buffer_store_dword v104, off, s[0:3], 0 offset:396
	buffer_store_dword v106, v0, s[0:3], 0 offen
	buffer_store_dword v107, v0, s[0:3], 0 offen offset:4
.LBB50_316:
	s_or_b64 exec, exec, s[4:5]
	v_pk_mov_b32 v[0:1], s[10:11], s[10:11] op_sel:[0,1]
	flat_load_dword v0, v[0:1] offset:192
	s_waitcnt vmcnt(0) lgkmcnt(0)
	v_add_u32_e32 v0, -1, v0
	v_cmp_ne_u32_e32 vcc, 48, v0
	s_and_saveexec_b64 s[4:5], vcc
	s_cbranch_execz .LBB50_318
; %bb.317:
	v_mov_b32_e32 v1, 0
	v_lshl_add_u32 v0, v0, 3, v1
	buffer_load_dword v1, v0, s[0:3], 0 offen
	buffer_load_dword v104, v0, s[0:3], 0 offen offset:4
	buffer_load_dword v105, off, s[0:3], 0 offset:388
	buffer_load_dword v106, off, s[0:3], 0 offset:384
	s_waitcnt vmcnt(3)
	buffer_store_dword v1, off, s[0:3], 0 offset:384
	s_waitcnt vmcnt(3)
	buffer_store_dword v104, off, s[0:3], 0 offset:388
	s_waitcnt vmcnt(3)
	buffer_store_dword v105, v0, s[0:3], 0 offen offset:4
	s_waitcnt vmcnt(3)
	buffer_store_dword v106, v0, s[0:3], 0 offen
.LBB50_318:
	s_or_b64 exec, exec, s[4:5]
	v_pk_mov_b32 v[0:1], s[10:11], s[10:11] op_sel:[0,1]
	flat_load_dword v0, v[0:1] offset:188
	s_waitcnt vmcnt(0) lgkmcnt(0)
	v_add_u32_e32 v0, -1, v0
	v_cmp_ne_u32_e32 vcc, 47, v0
	s_and_saveexec_b64 s[4:5], vcc
	s_cbranch_execz .LBB50_320
; %bb.319:
	v_mov_b32_e32 v1, 0
	v_lshl_add_u32 v0, v0, 3, v1
	buffer_load_dword v1, v0, s[0:3], 0 offen
	buffer_load_dword v104, v0, s[0:3], 0 offen offset:4
	buffer_load_dword v105, off, s[0:3], 0 offset:376
	buffer_load_dword v106, off, s[0:3], 0 offset:380
	s_waitcnt vmcnt(3)
	buffer_store_dword v1, off, s[0:3], 0 offset:376
	s_waitcnt vmcnt(3)
	buffer_store_dword v104, off, s[0:3], 0 offset:380
	s_waitcnt vmcnt(3)
	buffer_store_dword v105, v0, s[0:3], 0 offen
	s_waitcnt vmcnt(3)
	buffer_store_dword v106, v0, s[0:3], 0 offen offset:4
.LBB50_320:
	s_or_b64 exec, exec, s[4:5]
	v_pk_mov_b32 v[0:1], s[10:11], s[10:11] op_sel:[0,1]
	flat_load_dword v0, v[0:1] offset:184
	s_waitcnt vmcnt(0) lgkmcnt(0)
	v_add_u32_e32 v0, -1, v0
	v_cmp_ne_u32_e32 vcc, 46, v0
	s_and_saveexec_b64 s[4:5], vcc
	s_cbranch_execz .LBB50_322
; %bb.321:
	v_mov_b32_e32 v1, 0
	v_lshl_add_u32 v0, v0, 3, v1
	buffer_load_dword v1, v0, s[0:3], 0 offen
	buffer_load_dword v104, v0, s[0:3], 0 offen offset:4
	buffer_load_dword v105, off, s[0:3], 0 offset:372
	buffer_load_dword v106, off, s[0:3], 0 offset:368
	s_waitcnt vmcnt(3)
	buffer_store_dword v1, off, s[0:3], 0 offset:368
	s_waitcnt vmcnt(3)
	buffer_store_dword v104, off, s[0:3], 0 offset:372
	s_waitcnt vmcnt(3)
	buffer_store_dword v105, v0, s[0:3], 0 offen offset:4
	s_waitcnt vmcnt(3)
	buffer_store_dword v106, v0, s[0:3], 0 offen
.LBB50_322:
	s_or_b64 exec, exec, s[4:5]
	v_pk_mov_b32 v[0:1], s[10:11], s[10:11] op_sel:[0,1]
	flat_load_dword v0, v[0:1] offset:180
	s_waitcnt vmcnt(0) lgkmcnt(0)
	v_add_u32_e32 v0, -1, v0
	v_cmp_ne_u32_e32 vcc, 45, v0
	s_and_saveexec_b64 s[4:5], vcc
	s_cbranch_execz .LBB50_324
; %bb.323:
	v_mov_b32_e32 v1, 0
	v_lshl_add_u32 v0, v0, 3, v1
	buffer_load_dword v1, v0, s[0:3], 0 offen
	buffer_load_dword v104, v0, s[0:3], 0 offen offset:4
	buffer_load_dword v105, off, s[0:3], 0 offset:360
	buffer_load_dword v106, off, s[0:3], 0 offset:364
	s_waitcnt vmcnt(3)
	buffer_store_dword v1, off, s[0:3], 0 offset:360
	s_waitcnt vmcnt(3)
	buffer_store_dword v104, off, s[0:3], 0 offset:364
	s_waitcnt vmcnt(3)
	buffer_store_dword v105, v0, s[0:3], 0 offen
	s_waitcnt vmcnt(3)
	buffer_store_dword v106, v0, s[0:3], 0 offen offset:4
.LBB50_324:
	;; [unrolled: 48-line block ×24, first 2 shown]
	s_or_b64 exec, exec, s[4:5]
	v_pk_mov_b32 v[0:1], s[10:11], s[10:11] op_sel:[0,1]
	flat_load_dword v104, v[0:1]
	s_nop 0
	buffer_load_dword v0, off, s[0:3], 0
	buffer_load_dword v1, off, s[0:3], 0 offset:4
	s_waitcnt vmcnt(0) lgkmcnt(0)
	v_add_u32_e32 v104, -1, v104
	v_cmp_ne_u32_e32 vcc, 0, v104
	s_and_saveexec_b64 s[4:5], vcc
	s_cbranch_execz .LBB50_414
; %bb.413:
	v_mov_b32_e32 v105, 0
	v_lshl_add_u32 v104, v104, 3, v105
	buffer_load_dword v105, v104, s[0:3], 0 offen offset:4
	buffer_load_dword v106, v104, s[0:3], 0 offen
	s_waitcnt vmcnt(1)
	buffer_store_dword v105, off, s[0:3], 0 offset:4
	s_waitcnt vmcnt(1)
	buffer_store_dword v106, off, s[0:3], 0
	buffer_store_dword v1, v104, s[0:3], 0 offen offset:4
	buffer_store_dword v0, v104, s[0:3], 0 offen
	buffer_load_dword v0, off, s[0:3], 0
	s_nop 0
	buffer_load_dword v1, off, s[0:3], 0 offset:4
.LBB50_414:
	s_or_b64 exec, exec, s[4:5]
.LBB50_415:
	s_waitcnt vmcnt(0)
	global_store_dwordx2 v[102:103], v[0:1], off
	buffer_load_dword v0, off, s[0:3], 0 offset:8
	s_nop 0
	buffer_load_dword v1, off, s[0:3], 0 offset:12
	buffer_load_dword v102, off, s[0:3], 0 offset:16
	;; [unrolled: 1-line block ×15, first 2 shown]
	s_waitcnt vmcnt(14)
	global_store_dwordx2 v[100:101], v[0:1], off
	s_waitcnt vmcnt(13)
	global_store_dwordx2 v[2:3], v[102:103], off
	;; [unrolled: 2-line block ×8, first 2 shown]
	buffer_load_dword v0, off, s[0:3], 0 offset:72
	buffer_load_dword v1, off, s[0:3], 0 offset:76
	s_waitcnt vmcnt(0)
	global_store_dwordx2 v[14:15], v[0:1], off
	buffer_load_dword v0, off, s[0:3], 0 offset:80
	s_nop 0
	buffer_load_dword v1, off, s[0:3], 0 offset:84
	s_waitcnt vmcnt(0)
	global_store_dwordx2 v[16:17], v[0:1], off
	buffer_load_dword v0, off, s[0:3], 0 offset:88
	s_nop 0
	;; [unrolled: 5-line block ×41, first 2 shown]
	buffer_load_dword v1, off, s[0:3], 0 offset:404
	s_waitcnt vmcnt(0)
	global_store_dwordx2 v[84:85], v[0:1], off
	s_endpgm
	.section	.rodata,"a",@progbits
	.p2align	6, 0x0
	.amdhsa_kernel _ZN9rocsolver6v33100L18getri_kernel_smallILi51EdPdEEvT1_iilPiilS4_bb
		.amdhsa_group_segment_fixed_size 824
		.amdhsa_private_segment_fixed_size 416
		.amdhsa_kernarg_size 60
		.amdhsa_user_sgpr_count 8
		.amdhsa_user_sgpr_private_segment_buffer 1
		.amdhsa_user_sgpr_dispatch_ptr 0
		.amdhsa_user_sgpr_queue_ptr 0
		.amdhsa_user_sgpr_kernarg_segment_ptr 1
		.amdhsa_user_sgpr_dispatch_id 0
		.amdhsa_user_sgpr_flat_scratch_init 1
		.amdhsa_user_sgpr_kernarg_preload_length 0
		.amdhsa_user_sgpr_kernarg_preload_offset 0
		.amdhsa_user_sgpr_private_segment_size 0
		.amdhsa_uses_dynamic_stack 0
		.amdhsa_system_sgpr_private_segment_wavefront_offset 1
		.amdhsa_system_sgpr_workgroup_id_x 1
		.amdhsa_system_sgpr_workgroup_id_y 0
		.amdhsa_system_sgpr_workgroup_id_z 0
		.amdhsa_system_sgpr_workgroup_info 0
		.amdhsa_system_vgpr_workitem_id 0
		.amdhsa_next_free_vgpr 164
		.amdhsa_next_free_sgpr 23
		.amdhsa_accum_offset 164
		.amdhsa_reserve_vcc 1
		.amdhsa_reserve_flat_scratch 1
		.amdhsa_float_round_mode_32 0
		.amdhsa_float_round_mode_16_64 0
		.amdhsa_float_denorm_mode_32 3
		.amdhsa_float_denorm_mode_16_64 3
		.amdhsa_dx10_clamp 1
		.amdhsa_ieee_mode 1
		.amdhsa_fp16_overflow 0
		.amdhsa_tg_split 0
		.amdhsa_exception_fp_ieee_invalid_op 0
		.amdhsa_exception_fp_denorm_src 0
		.amdhsa_exception_fp_ieee_div_zero 0
		.amdhsa_exception_fp_ieee_overflow 0
		.amdhsa_exception_fp_ieee_underflow 0
		.amdhsa_exception_fp_ieee_inexact 0
		.amdhsa_exception_int_div_zero 0
	.end_amdhsa_kernel
	.section	.text._ZN9rocsolver6v33100L18getri_kernel_smallILi51EdPdEEvT1_iilPiilS4_bb,"axG",@progbits,_ZN9rocsolver6v33100L18getri_kernel_smallILi51EdPdEEvT1_iilPiilS4_bb,comdat
.Lfunc_end50:
	.size	_ZN9rocsolver6v33100L18getri_kernel_smallILi51EdPdEEvT1_iilPiilS4_bb, .Lfunc_end50-_ZN9rocsolver6v33100L18getri_kernel_smallILi51EdPdEEvT1_iilPiilS4_bb
                                        ; -- End function
	.section	.AMDGPU.csdata,"",@progbits
; Kernel info:
; codeLenInByte = 62472
; NumSgprs: 29
; NumVgprs: 164
; NumAgprs: 0
; TotalNumVgprs: 164
; ScratchSize: 416
; MemoryBound: 1
; FloatMode: 240
; IeeeMode: 1
; LDSByteSize: 824 bytes/workgroup (compile time only)
; SGPRBlocks: 3
; VGPRBlocks: 20
; NumSGPRsForWavesPerEU: 29
; NumVGPRsForWavesPerEU: 164
; AccumOffset: 164
; Occupancy: 3
; WaveLimiterHint : 1
; COMPUTE_PGM_RSRC2:SCRATCH_EN: 1
; COMPUTE_PGM_RSRC2:USER_SGPR: 8
; COMPUTE_PGM_RSRC2:TRAP_HANDLER: 0
; COMPUTE_PGM_RSRC2:TGID_X_EN: 1
; COMPUTE_PGM_RSRC2:TGID_Y_EN: 0
; COMPUTE_PGM_RSRC2:TGID_Z_EN: 0
; COMPUTE_PGM_RSRC2:TIDIG_COMP_CNT: 0
; COMPUTE_PGM_RSRC3_GFX90A:ACCUM_OFFSET: 40
; COMPUTE_PGM_RSRC3_GFX90A:TG_SPLIT: 0
	.section	.text._ZN9rocsolver6v33100L18getri_kernel_smallILi52EdPdEEvT1_iilPiilS4_bb,"axG",@progbits,_ZN9rocsolver6v33100L18getri_kernel_smallILi52EdPdEEvT1_iilPiilS4_bb,comdat
	.globl	_ZN9rocsolver6v33100L18getri_kernel_smallILi52EdPdEEvT1_iilPiilS4_bb ; -- Begin function _ZN9rocsolver6v33100L18getri_kernel_smallILi52EdPdEEvT1_iilPiilS4_bb
	.p2align	8
	.type	_ZN9rocsolver6v33100L18getri_kernel_smallILi52EdPdEEvT1_iilPiilS4_bb,@function
_ZN9rocsolver6v33100L18getri_kernel_smallILi52EdPdEEvT1_iilPiilS4_bb: ; @_ZN9rocsolver6v33100L18getri_kernel_smallILi52EdPdEEvT1_iilPiilS4_bb
; %bb.0:
	s_add_u32 flat_scratch_lo, s6, s9
	s_addc_u32 flat_scratch_hi, s7, 0
	s_add_u32 s0, s0, s9
	s_addc_u32 s1, s1, 0
	v_cmp_gt_u32_e32 vcc, 52, v0
	s_and_saveexec_b64 s[6:7], vcc
	s_cbranch_execz .LBB51_216
; %bb.1:
	s_load_dword s22, s[4:5], 0x38
	s_load_dwordx4 s[16:19], s[4:5], 0x10
	s_load_dwordx4 s[12:15], s[4:5], 0x28
                                        ; implicit-def: $sgpr10_sgpr11
	s_waitcnt lgkmcnt(0)
	s_bitcmp1_b32 s22, 8
	s_cselect_b64 s[20:21], -1, 0
	s_ashr_i32 s9, s8, 31
	s_bfe_u32 s6, s22, 0x10008
	s_cmp_eq_u32 s6, 0
	s_cbranch_scc1 .LBB51_3
; %bb.2:
	s_load_dword s6, s[4:5], 0x20
	s_mul_i32 s7, s8, s13
	s_mul_hi_u32 s10, s8, s12
	s_mul_i32 s11, s9, s12
	s_add_i32 s10, s10, s7
	s_add_i32 s11, s10, s11
	s_mul_i32 s10, s8, s12
	s_waitcnt lgkmcnt(0)
	s_ashr_i32 s7, s6, 31
	s_lshl_b64 s[10:11], s[10:11], 2
	s_add_u32 s10, s18, s10
	s_addc_u32 s11, s19, s11
	s_lshl_b64 s[6:7], s[6:7], 2
	s_add_u32 s10, s10, s6
	s_addc_u32 s11, s11, s7
.LBB51_3:
	s_load_dwordx4 s[4:7], s[4:5], 0x0
	s_mul_i32 s12, s8, s17
	s_mul_hi_u32 s13, s8, s16
	s_add_i32 s17, s13, s12
	s_waitcnt lgkmcnt(0)
	s_ashr_i32 s13, s6, 31
	s_mov_b32 s12, s6
	s_mul_i32 s6, s9, s16
	s_add_i32 s17, s17, s6
	s_mul_i32 s16, s8, s16
	s_lshl_b64 s[16:17], s[16:17], 3
	s_add_u32 s6, s4, s16
	s_addc_u32 s16, s5, s17
	s_lshl_b64 s[4:5], s[12:13], 3
	s_add_u32 s4, s6, s4
	s_addc_u32 s5, s16, s5
	s_add_i32 s6, s7, s7
	v_add_u32_e32 v4, s6, v0
	v_ashrrev_i32_e32 v5, 31, v4
	v_lshlrev_b64 v[2:3], 3, v[4:5]
	v_add_u32_e32 v6, s7, v4
	v_mov_b32_e32 v1, s5
	v_add_co_u32_e32 v2, vcc, s4, v2
	v_ashrrev_i32_e32 v7, 31, v6
	v_addc_co_u32_e32 v3, vcc, v1, v3, vcc
	v_lshlrev_b64 v[4:5], 3, v[6:7]
	v_add_u32_e32 v8, s7, v6
	v_add_co_u32_e32 v4, vcc, s4, v4
	v_ashrrev_i32_e32 v9, 31, v8
	v_addc_co_u32_e32 v5, vcc, v1, v5, vcc
	v_lshlrev_b64 v[6:7], 3, v[8:9]
	v_add_u32_e32 v10, s7, v8
	;; [unrolled: 5-line block ×5, first 2 shown]
	v_add_co_u32_e32 v12, vcc, s4, v12
	v_ashrrev_i32_e32 v15, 31, v14
	v_addc_co_u32_e32 v13, vcc, v1, v13, vcc
	v_lshlrev_b64 v[16:17], 3, v[14:15]
	v_add_co_u32_e32 v18, vcc, s4, v16
	v_add_u32_e32 v16, s7, v14
	v_addc_co_u32_e32 v19, vcc, v1, v17, vcc
	v_ashrrev_i32_e32 v17, 31, v16
	v_lshlrev_b64 v[14:15], 3, v[16:17]
	v_add_u32_e32 v20, s7, v16
	v_add_co_u32_e32 v14, vcc, s4, v14
	v_ashrrev_i32_e32 v21, 31, v20
	v_addc_co_u32_e32 v15, vcc, v1, v15, vcc
	v_lshlrev_b64 v[16:17], 3, v[20:21]
	v_add_u32_e32 v22, s7, v20
	v_add_co_u32_e32 v16, vcc, s4, v16
	v_ashrrev_i32_e32 v23, 31, v22
	v_addc_co_u32_e32 v17, vcc, v1, v17, vcc
	;; [unrolled: 5-line block ×35, first 2 shown]
	v_lshlrev_b64 v[86:87], 3, v[88:89]
	v_add_co_u32_e32 v86, vcc, s4, v86
	v_addc_co_u32_e32 v87, vcc, v1, v87, vcc
	v_lshlrev_b32_e32 v1, 3, v0
	v_mov_b32_e32 v89, s5
	v_add_co_u32_e32 v104, vcc, s4, v1
	s_ashr_i32 s13, s7, 31
	s_mov_b32 s12, s7
	v_addc_co_u32_e32 v105, vcc, 0, v89, vcc
	s_lshl_b64 s[12:13], s[12:13], 3
	v_mov_b32_e32 v89, s13
	v_add_co_u32_e32 v102, vcc, s12, v104
	v_addc_co_u32_e32 v103, vcc, v105, v89, vcc
	global_load_dwordx2 v[106:107], v1, s[4:5]
	global_load_dwordx2 v[110:111], v[2:3], off
	global_load_dwordx2 v[112:113], v[4:5], off
	;; [unrolled: 1-line block ×19, first 2 shown]
	v_add_u32_e32 v88, s7, v88
	v_ashrrev_i32_e32 v89, 31, v88
	v_lshlrev_b64 v[90:91], 3, v[88:89]
	v_add_u32_e32 v88, s7, v88
	v_mov_b32_e32 v92, s5
	v_add_co_u32_e32 v90, vcc, s4, v90
	v_ashrrev_i32_e32 v89, 31, v88
	v_addc_co_u32_e32 v91, vcc, v92, v91, vcc
	v_lshlrev_b64 v[92:93], 3, v[88:89]
	v_add_u32_e32 v88, s7, v88
	v_mov_b32_e32 v94, s5
	v_add_co_u32_e32 v92, vcc, s4, v92
	v_ashrrev_i32_e32 v89, 31, v88
	v_addc_co_u32_e32 v93, vcc, v94, v93, vcc
	v_lshlrev_b64 v[94:95], 3, v[88:89]
	v_add_u32_e32 v88, s7, v88
	global_load_dwordx2 v[146:147], v[38:39], off
	global_load_dwordx2 v[148:149], v[40:41], off
	v_mov_b32_e32 v96, s5
	v_add_co_u32_e32 v94, vcc, s4, v94
	v_ashrrev_i32_e32 v89, 31, v88
	v_addc_co_u32_e32 v95, vcc, v96, v95, vcc
	v_lshlrev_b64 v[96:97], 3, v[88:89]
	v_add_u32_e32 v88, s7, v88
	v_mov_b32_e32 v98, s5
	v_add_co_u32_e32 v96, vcc, s4, v96
	v_ashrrev_i32_e32 v89, 31, v88
	v_addc_co_u32_e32 v97, vcc, v98, v97, vcc
	v_lshlrev_b64 v[98:99], 3, v[88:89]
	v_add_u32_e32 v88, s7, v88
	v_mov_b32_e32 v100, s5
	v_add_co_u32_e32 v98, vcc, s4, v98
	v_ashrrev_i32_e32 v89, 31, v88
	v_addc_co_u32_e32 v99, vcc, v100, v99, vcc
	v_lshlrev_b64 v[100:101], 3, v[88:89]
	v_mov_b32_e32 v150, s5
	v_add_co_u32_e32 v100, vcc, s4, v100
	v_addc_co_u32_e32 v101, vcc, v150, v101, vcc
	global_load_dwordx2 v[150:151], v[42:43], off
	v_add_u32_e32 v88, s7, v88
	v_ashrrev_i32_e32 v89, 31, v88
	v_lshlrev_b64 v[88:89], 3, v[88:89]
	v_mov_b32_e32 v152, s5
	v_add_co_u32_e32 v88, vcc, s4, v88
	v_addc_co_u32_e32 v89, vcc, v152, v89, vcc
	global_load_dwordx2 v[152:153], v[88:89], off
	s_waitcnt vmcnt(23)
	buffer_store_dword v107, off, s[0:3], 0 offset:4
	buffer_store_dword v106, off, s[0:3], 0
	s_waitcnt vmcnt(22)
	buffer_store_dword v109, off, s[0:3], 0 offset:12
	buffer_store_dword v108, off, s[0:3], 0 offset:8
	;; [unrolled: 1-line block ×6, first 2 shown]
	s_waitcnt vmcnt(27)
	buffer_store_dword v115, off, s[0:3], 0 offset:36
	buffer_store_dword v114, off, s[0:3], 0 offset:32
	s_waitcnt vmcnt(28)
	buffer_store_dword v117, off, s[0:3], 0 offset:44
	buffer_store_dword v116, off, s[0:3], 0 offset:40
	;; [unrolled: 3-line block ×5, first 2 shown]
	s_waitcnt vmcnt(32)
	buffer_store_dword v124, off, s[0:3], 0 offset:72
	global_load_dwordx2 v[106:107], v[44:45], off
	global_load_dwordx2 v[108:109], v[46:47], off
	global_load_dwordx2 v[110:111], v[48:49], off
	global_load_dwordx2 v[112:113], v[50:51], off
	global_load_dwordx2 v[114:115], v[52:53], off
	global_load_dwordx2 v[116:117], v[54:55], off
	global_load_dwordx2 v[118:119], v[56:57], off
	global_load_dwordx2 v[120:121], v[58:59], off
	global_load_dwordx2 v[122:123], v[60:61], off
	global_load_dwordx2 v[154:155], v[80:81], off
	global_load_dwordx2 v[156:157], v[84:85], off
	global_load_dwordx2 v[158:159], v[90:91], off
	global_load_dwordx2 v[160:161], v[94:95], off
	global_load_dwordx2 v[162:163], v[98:99], off
	s_bitcmp0_b32 s22, 0
	buffer_store_dword v125, off, s[0:3], 0 offset:76
	global_load_dwordx2 v[124:125], v[62:63], off
	s_mov_b64 s[6:7], -1
	s_waitcnt vmcnt(48)
	buffer_store_dword v126, off, s[0:3], 0 offset:80
	buffer_store_dword v127, off, s[0:3], 0 offset:84
	global_load_dwordx2 v[126:127], v[64:65], off
	s_waitcnt vmcnt(50)
	buffer_store_dword v128, off, s[0:3], 0 offset:88
	buffer_store_dword v129, off, s[0:3], 0 offset:92
	global_load_dwordx2 v[128:129], v[66:67], off
	;; [unrolled: 4-line block ×9, first 2 shown]
	s_nop 0
	buffer_store_dword v145, off, s[0:3], 0 offset:156
	buffer_store_dword v144, off, s[0:3], 0 offset:152
	global_load_dwordx2 v[144:145], v[86:87], off
	s_nop 0
	buffer_store_dword v147, off, s[0:3], 0 offset:164
	buffer_store_dword v146, off, s[0:3], 0 offset:160
	global_load_dwordx2 v[146:147], v[92:93], off
	s_waitcnt vmcnt(62)
	buffer_store_dword v148, off, s[0:3], 0 offset:168
	buffer_store_dword v149, off, s[0:3], 0 offset:172
	global_load_dwordx2 v[148:149], v[96:97], off
	s_nop 0
	buffer_store_dword v150, off, s[0:3], 0 offset:176
	buffer_store_dword v151, off, s[0:3], 0 offset:180
	global_load_dwordx2 v[150:151], v[100:101], off
	s_waitcnt vmcnt(54)
	buffer_store_dword v106, off, s[0:3], 0 offset:184
	buffer_store_dword v107, off, s[0:3], 0 offset:188
	s_waitcnt vmcnt(55)
	buffer_store_dword v108, off, s[0:3], 0 offset:192
	buffer_store_dword v109, off, s[0:3], 0 offset:196
	s_waitcnt vmcnt(56)
	buffer_store_dword v111, off, s[0:3], 0 offset:204
	buffer_store_dword v110, off, s[0:3], 0 offset:200
	s_waitcnt vmcnt(57)
	buffer_store_dword v113, off, s[0:3], 0 offset:212
	buffer_store_dword v112, off, s[0:3], 0 offset:208
	s_waitcnt vmcnt(58)
	buffer_store_dword v114, off, s[0:3], 0 offset:216
	buffer_store_dword v115, off, s[0:3], 0 offset:220
	s_waitcnt vmcnt(59)
	buffer_store_dword v116, off, s[0:3], 0 offset:224
	buffer_store_dword v117, off, s[0:3], 0 offset:228
	s_waitcnt vmcnt(60)
	buffer_store_dword v118, off, s[0:3], 0 offset:232
	buffer_store_dword v119, off, s[0:3], 0 offset:236
	s_waitcnt vmcnt(61)
	buffer_store_dword v120, off, s[0:3], 0 offset:240
	buffer_store_dword v121, off, s[0:3], 0 offset:244
	s_waitcnt vmcnt(62)
	buffer_store_dword v123, off, s[0:3], 0 offset:252
	buffer_store_dword v122, off, s[0:3], 0 offset:248
	s_waitcnt vmcnt(57)
	buffer_store_dword v125, off, s[0:3], 0 offset:260
	buffer_store_dword v124, off, s[0:3], 0 offset:256
	s_waitcnt vmcnt(56)
	buffer_store_dword v126, off, s[0:3], 0 offset:264
	buffer_store_dword v127, off, s[0:3], 0 offset:268
	s_waitcnt vmcnt(55)
	buffer_store_dword v128, off, s[0:3], 0 offset:272
	buffer_store_dword v129, off, s[0:3], 0 offset:276
	s_waitcnt vmcnt(54)
	buffer_store_dword v130, off, s[0:3], 0 offset:280
	buffer_store_dword v131, off, s[0:3], 0 offset:284
	s_waitcnt vmcnt(53)
	buffer_store_dword v132, off, s[0:3], 0 offset:288
	buffer_store_dword v133, off, s[0:3], 0 offset:292
	s_waitcnt vmcnt(52)
	buffer_store_dword v135, off, s[0:3], 0 offset:300
	buffer_store_dword v134, off, s[0:3], 0 offset:296
	s_waitcnt vmcnt(51)
	buffer_store_dword v137, off, s[0:3], 0 offset:308
	buffer_store_dword v136, off, s[0:3], 0 offset:304
	s_waitcnt vmcnt(50)
	buffer_store_dword v138, off, s[0:3], 0 offset:312
	buffer_store_dword v139, off, s[0:3], 0 offset:316
	s_waitcnt vmcnt(49)
	buffer_store_dword v140, off, s[0:3], 0 offset:320
	buffer_store_dword v141, off, s[0:3], 0 offset:324
	buffer_store_dword v154, off, s[0:3], 0 offset:328
	buffer_store_dword v155, off, s[0:3], 0 offset:332
	s_waitcnt vmcnt(50)
	buffer_store_dword v142, off, s[0:3], 0 offset:336
	buffer_store_dword v143, off, s[0:3], 0 offset:340
	buffer_store_dword v157, off, s[0:3], 0 offset:348
	buffer_store_dword v156, off, s[0:3], 0 offset:344
	s_waitcnt vmcnt(51)
	buffer_store_dword v145, off, s[0:3], 0 offset:356
	buffer_store_dword v144, off, s[0:3], 0 offset:352
	;; [unrolled: 5-line block ×5, first 2 shown]
	buffer_store_dword v152, off, s[0:3], 0 offset:408
	buffer_store_dword v153, off, s[0:3], 0 offset:412
	s_cbranch_scc1 .LBB51_214
; %bb.4:
	v_cmp_eq_u32_e64 s[4:5], 0, v0
	s_and_saveexec_b64 s[6:7], s[4:5]
	s_cbranch_execz .LBB51_6
; %bb.5:
	v_mov_b32_e32 v106, 0
	ds_write_b32 v106, v106 offset:832
.LBB51_6:
	s_or_b64 exec, exec, s[6:7]
	v_mov_b32_e32 v106, 0
	v_lshl_add_u32 v106, v0, 3, v106
	s_waitcnt lgkmcnt(0)
	; wave barrier
	s_waitcnt lgkmcnt(0)
	buffer_load_dword v108, v106, s[0:3], 0 offen
	buffer_load_dword v109, v106, s[0:3], 0 offen offset:4
	s_waitcnt vmcnt(0)
	v_cmp_eq_f64_e32 vcc, 0, v[108:109]
	s_and_saveexec_b64 s[12:13], vcc
	s_cbranch_execz .LBB51_10
; %bb.7:
	v_mov_b32_e32 v107, 0
	ds_read_b32 v109, v107 offset:832
	v_add_u32_e32 v108, 1, v0
	s_waitcnt lgkmcnt(0)
	v_readfirstlane_b32 s6, v109
	s_cmp_eq_u32 s6, 0
	s_cselect_b64 s[16:17], -1, 0
	v_cmp_gt_i32_e32 vcc, s6, v108
	s_or_b64 s[16:17], s[16:17], vcc
	s_and_b64 exec, exec, s[16:17]
	s_cbranch_execz .LBB51_10
; %bb.8:
	s_mov_b64 s[16:17], 0
	v_mov_b32_e32 v109, s6
.LBB51_9:                               ; =>This Inner Loop Header: Depth=1
	ds_cmpst_rtn_b32 v109, v107, v109, v108 offset:832
	s_waitcnt lgkmcnt(0)
	v_cmp_ne_u32_e32 vcc, 0, v109
	v_cmp_le_i32_e64 s[6:7], v109, v108
	s_and_b64 s[6:7], vcc, s[6:7]
	s_and_b64 s[6:7], exec, s[6:7]
	s_or_b64 s[16:17], s[6:7], s[16:17]
	s_andn2_b64 exec, exec, s[16:17]
	s_cbranch_execnz .LBB51_9
.LBB51_10:
	s_or_b64 exec, exec, s[12:13]
	v_mov_b32_e32 v108, 0
	s_waitcnt lgkmcnt(0)
	; wave barrier
	ds_read_b32 v107, v108 offset:832
	s_and_saveexec_b64 s[6:7], s[4:5]
	s_cbranch_execz .LBB51_12
; %bb.11:
	s_lshl_b64 s[12:13], s[8:9], 2
	s_add_u32 s12, s14, s12
	s_addc_u32 s13, s15, s13
	s_waitcnt lgkmcnt(0)
	global_store_dword v108, v107, s[12:13]
.LBB51_12:
	s_or_b64 exec, exec, s[6:7]
	s_waitcnt lgkmcnt(0)
	v_cmp_ne_u32_e32 vcc, 0, v107
	s_mov_b64 s[6:7], 0
	s_cbranch_vccnz .LBB51_214
; %bb.13:
	buffer_load_dword v108, v106, s[0:3], 0 offen
	buffer_load_dword v109, v106, s[0:3], 0 offen offset:4
	s_waitcnt vmcnt(0)
	v_div_scale_f64 v[110:111], s[6:7], v[108:109], v[108:109], 1.0
	v_rcp_f64_e32 v[112:113], v[110:111]
	v_div_scale_f64 v[114:115], vcc, 1.0, v[108:109], 1.0
	v_fma_f64 v[116:117], -v[110:111], v[112:113], 1.0
	v_fmac_f64_e32 v[112:113], v[112:113], v[116:117]
	v_fma_f64 v[116:117], -v[110:111], v[112:113], 1.0
	v_fmac_f64_e32 v[112:113], v[112:113], v[116:117]
	v_mul_f64 v[116:117], v[114:115], v[112:113]
	v_fma_f64 v[110:111], -v[110:111], v[116:117], v[114:115]
	v_div_fmas_f64 v[110:111], v[110:111], v[112:113], v[116:117]
	v_div_fixup_f64 v[110:111], v[110:111], v[108:109], 1.0
	buffer_store_dword v111, v106, s[0:3], 0 offen offset:4
	buffer_store_dword v110, v106, s[0:3], 0 offen
	buffer_load_dword v113, off, s[0:3], 0 offset:12
	buffer_load_dword v112, off, s[0:3], 0 offset:8
	v_add_u32_e32 v108, 0x1a0, v1
	v_xor_b32_e32 v111, 0x80000000, v111
	s_waitcnt vmcnt(0)
	ds_write2_b64 v1, v[110:111], v[112:113] offset1:52
	s_waitcnt lgkmcnt(0)
	; wave barrier
	s_waitcnt lgkmcnt(0)
	s_and_saveexec_b64 s[6:7], s[4:5]
	s_cbranch_execz .LBB51_15
; %bb.14:
	buffer_load_dword v110, v106, s[0:3], 0 offen
	buffer_load_dword v111, v106, s[0:3], 0 offen offset:4
	v_mov_b32_e32 v107, 0
	ds_read_b64 v[112:113], v108
	ds_read_b64 v[114:115], v107 offset:8
	s_waitcnt vmcnt(0) lgkmcnt(1)
	v_fma_f64 v[110:111], v[110:111], v[112:113], 0
	s_waitcnt lgkmcnt(0)
	v_mul_f64 v[110:111], v[110:111], v[114:115]
	buffer_store_dword v110, off, s[0:3], 0 offset:8
	buffer_store_dword v111, off, s[0:3], 0 offset:12
.LBB51_15:
	s_or_b64 exec, exec, s[6:7]
	s_waitcnt lgkmcnt(0)
	; wave barrier
	buffer_load_dword v110, off, s[0:3], 0 offset:16
	buffer_load_dword v111, off, s[0:3], 0 offset:20
	v_cmp_gt_u32_e32 vcc, 2, v0
	s_waitcnt vmcnt(0)
	ds_write_b64 v108, v[110:111]
	s_waitcnt lgkmcnt(0)
	; wave barrier
	s_waitcnt lgkmcnt(0)
	s_and_saveexec_b64 s[6:7], vcc
	s_cbranch_execz .LBB51_17
; %bb.16:
	buffer_load_dword v107, v106, s[0:3], 0 offen offset:4
	buffer_load_dword v114, off, s[0:3], 0 offset:8
	s_nop 0
	buffer_load_dword v106, v106, s[0:3], 0 offen
	s_nop 0
	buffer_load_dword v115, off, s[0:3], 0 offset:12
	ds_read_b64 v[116:117], v108
	v_mov_b32_e32 v109, 0
	ds_read2_b64 v[110:113], v109 offset0:2 offset1:53
	s_waitcnt vmcnt(1) lgkmcnt(1)
	v_fma_f64 v[106:107], v[106:107], v[116:117], 0
	s_waitcnt vmcnt(0) lgkmcnt(0)
	v_fma_f64 v[112:113], v[114:115], v[112:113], v[106:107]
	v_cndmask_b32_e64 v107, v107, v113, s[4:5]
	v_cndmask_b32_e64 v106, v106, v112, s[4:5]
	v_mul_f64 v[106:107], v[106:107], v[110:111]
	buffer_store_dword v107, off, s[0:3], 0 offset:20
	buffer_store_dword v106, off, s[0:3], 0 offset:16
.LBB51_17:
	s_or_b64 exec, exec, s[6:7]
	s_waitcnt lgkmcnt(0)
	; wave barrier
	buffer_load_dword v106, off, s[0:3], 0 offset:24
	buffer_load_dword v107, off, s[0:3], 0 offset:28
	v_cmp_gt_u32_e32 vcc, 3, v0
	v_add_u32_e32 v109, -1, v0
	s_waitcnt vmcnt(0)
	ds_write_b64 v108, v[106:107]
	s_waitcnt lgkmcnt(0)
	; wave barrier
	s_waitcnt lgkmcnt(0)
	s_and_saveexec_b64 s[4:5], vcc
	s_cbranch_execz .LBB51_21
; %bb.18:
	v_add_u32_e32 v110, -1, v0
	v_add_u32_e32 v111, 0x1a0, v1
	v_add_u32_e32 v112, 0, v1
	s_mov_b64 s[6:7], 0
	v_pk_mov_b32 v[106:107], 0, 0
.LBB51_19:                              ; =>This Inner Loop Header: Depth=1
	buffer_load_dword v114, v112, s[0:3], 0 offen
	buffer_load_dword v115, v112, s[0:3], 0 offen offset:4
	ds_read_b64 v[116:117], v111
	v_add_u32_e32 v110, 1, v110
	v_cmp_lt_u32_e32 vcc, 1, v110
	v_add_u32_e32 v111, 8, v111
	v_add_u32_e32 v112, 8, v112
	s_or_b64 s[6:7], vcc, s[6:7]
	s_waitcnt vmcnt(0) lgkmcnt(0)
	v_fmac_f64_e32 v[106:107], v[114:115], v[116:117]
	s_andn2_b64 exec, exec, s[6:7]
	s_cbranch_execnz .LBB51_19
; %bb.20:
	s_or_b64 exec, exec, s[6:7]
	v_mov_b32_e32 v110, 0
	ds_read_b64 v[110:111], v110 offset:24
	s_waitcnt lgkmcnt(0)
	v_mul_f64 v[106:107], v[106:107], v[110:111]
	buffer_store_dword v107, off, s[0:3], 0 offset:28
	buffer_store_dword v106, off, s[0:3], 0 offset:24
.LBB51_21:
	s_or_b64 exec, exec, s[4:5]
	s_waitcnt lgkmcnt(0)
	; wave barrier
	buffer_load_dword v106, off, s[0:3], 0 offset:32
	buffer_load_dword v107, off, s[0:3], 0 offset:36
	v_cmp_gt_u32_e32 vcc, 4, v0
	s_waitcnt vmcnt(0)
	ds_write_b64 v108, v[106:107]
	s_waitcnt lgkmcnt(0)
	; wave barrier
	s_waitcnt lgkmcnt(0)
	s_and_saveexec_b64 s[4:5], vcc
	s_cbranch_execz .LBB51_25
; %bb.22:
	v_add_u32_e32 v110, -1, v0
	v_add_u32_e32 v111, 0x1a0, v1
	v_add_u32_e32 v112, 0, v1
	s_mov_b64 s[6:7], 0
	v_pk_mov_b32 v[106:107], 0, 0
.LBB51_23:                              ; =>This Inner Loop Header: Depth=1
	buffer_load_dword v114, v112, s[0:3], 0 offen
	buffer_load_dword v115, v112, s[0:3], 0 offen offset:4
	ds_read_b64 v[116:117], v111
	v_add_u32_e32 v110, 1, v110
	v_cmp_lt_u32_e32 vcc, 2, v110
	v_add_u32_e32 v111, 8, v111
	v_add_u32_e32 v112, 8, v112
	s_or_b64 s[6:7], vcc, s[6:7]
	s_waitcnt vmcnt(0) lgkmcnt(0)
	v_fmac_f64_e32 v[106:107], v[114:115], v[116:117]
	s_andn2_b64 exec, exec, s[6:7]
	s_cbranch_execnz .LBB51_23
; %bb.24:
	s_or_b64 exec, exec, s[6:7]
	v_mov_b32_e32 v110, 0
	ds_read_b64 v[110:111], v110 offset:32
	s_waitcnt lgkmcnt(0)
	v_mul_f64 v[106:107], v[106:107], v[110:111]
	buffer_store_dword v107, off, s[0:3], 0 offset:36
	buffer_store_dword v106, off, s[0:3], 0 offset:32
.LBB51_25:
	s_or_b64 exec, exec, s[4:5]
	s_waitcnt lgkmcnt(0)
	; wave barrier
	buffer_load_dword v106, off, s[0:3], 0 offset:40
	buffer_load_dword v107, off, s[0:3], 0 offset:44
	v_cmp_gt_u32_e32 vcc, 5, v0
	;; [unrolled: 41-line block ×21, first 2 shown]
	s_waitcnt vmcnt(0)
	ds_write_b64 v108, v[106:107]
	s_waitcnt lgkmcnt(0)
	; wave barrier
	s_waitcnt lgkmcnt(0)
	s_and_saveexec_b64 s[4:5], vcc
	s_cbranch_execz .LBB51_105
; %bb.102:
	v_add_u32_e32 v110, -1, v0
	v_add_u32_e32 v111, 0x1a0, v1
	v_add_u32_e32 v112, 0, v1
	s_mov_b64 s[6:7], 0
	v_pk_mov_b32 v[106:107], 0, 0
.LBB51_103:                             ; =>This Inner Loop Header: Depth=1
	buffer_load_dword v114, v112, s[0:3], 0 offen
	buffer_load_dword v115, v112, s[0:3], 0 offen offset:4
	ds_read_b64 v[116:117], v111
	v_add_u32_e32 v110, 1, v110
	v_cmp_lt_u32_e32 vcc, 22, v110
	v_add_u32_e32 v111, 8, v111
	v_add_u32_e32 v112, 8, v112
	s_or_b64 s[6:7], vcc, s[6:7]
	s_waitcnt vmcnt(0) lgkmcnt(0)
	v_fmac_f64_e32 v[106:107], v[114:115], v[116:117]
	s_andn2_b64 exec, exec, s[6:7]
	s_cbranch_execnz .LBB51_103
; %bb.104:
	s_or_b64 exec, exec, s[6:7]
	v_mov_b32_e32 v110, 0
	ds_read_b64 v[110:111], v110 offset:192
	s_waitcnt lgkmcnt(0)
	v_mul_f64 v[106:107], v[106:107], v[110:111]
	buffer_store_dword v107, off, s[0:3], 0 offset:196
	buffer_store_dword v106, off, s[0:3], 0 offset:192
.LBB51_105:
	s_or_b64 exec, exec, s[4:5]
	s_waitcnt lgkmcnt(0)
	; wave barrier
	buffer_load_dword v106, off, s[0:3], 0 offset:200
	buffer_load_dword v107, off, s[0:3], 0 offset:204
	v_cmp_gt_u32_e32 vcc, 25, v0
	s_waitcnt vmcnt(0)
	ds_write_b64 v108, v[106:107]
	s_waitcnt lgkmcnt(0)
	; wave barrier
	s_waitcnt lgkmcnt(0)
	s_and_saveexec_b64 s[4:5], vcc
	s_cbranch_execz .LBB51_109
; %bb.106:
	v_add_u32_e32 v110, -1, v0
	v_add_u32_e32 v111, 0x1a0, v1
	v_add_u32_e32 v112, 0, v1
	s_mov_b64 s[6:7], 0
	v_pk_mov_b32 v[106:107], 0, 0
.LBB51_107:                             ; =>This Inner Loop Header: Depth=1
	buffer_load_dword v114, v112, s[0:3], 0 offen
	buffer_load_dword v115, v112, s[0:3], 0 offen offset:4
	ds_read_b64 v[116:117], v111
	v_add_u32_e32 v110, 1, v110
	v_cmp_lt_u32_e32 vcc, 23, v110
	v_add_u32_e32 v111, 8, v111
	v_add_u32_e32 v112, 8, v112
	s_or_b64 s[6:7], vcc, s[6:7]
	s_waitcnt vmcnt(0) lgkmcnt(0)
	v_fmac_f64_e32 v[106:107], v[114:115], v[116:117]
	s_andn2_b64 exec, exec, s[6:7]
	s_cbranch_execnz .LBB51_107
; %bb.108:
	s_or_b64 exec, exec, s[6:7]
	v_mov_b32_e32 v110, 0
	ds_read_b64 v[110:111], v110 offset:200
	s_waitcnt lgkmcnt(0)
	v_mul_f64 v[106:107], v[106:107], v[110:111]
	buffer_store_dword v107, off, s[0:3], 0 offset:204
	buffer_store_dword v106, off, s[0:3], 0 offset:200
.LBB51_109:
	s_or_b64 exec, exec, s[4:5]
	s_waitcnt lgkmcnt(0)
	; wave barrier
	buffer_load_dword v106, off, s[0:3], 0 offset:208
	buffer_load_dword v107, off, s[0:3], 0 offset:212
	v_cmp_gt_u32_e32 vcc, 26, v0
	;; [unrolled: 41-line block ×26, first 2 shown]
	s_waitcnt vmcnt(0)
	ds_write_b64 v108, v[106:107]
	s_waitcnt lgkmcnt(0)
	; wave barrier
	s_waitcnt lgkmcnt(0)
	s_and_saveexec_b64 s[4:5], vcc
	s_cbranch_execz .LBB51_209
; %bb.206:
	v_add_u32_e32 v110, -1, v0
	v_add_u32_e32 v111, 0x1a0, v1
	v_add_u32_e32 v112, 0, v1
	s_mov_b64 s[6:7], 0
	v_pk_mov_b32 v[106:107], 0, 0
.LBB51_207:                             ; =>This Inner Loop Header: Depth=1
	buffer_load_dword v114, v112, s[0:3], 0 offen
	buffer_load_dword v115, v112, s[0:3], 0 offen offset:4
	ds_read_b64 v[116:117], v111
	v_add_u32_e32 v110, 1, v110
	v_cmp_lt_u32_e32 vcc, 48, v110
	v_add_u32_e32 v111, 8, v111
	v_add_u32_e32 v112, 8, v112
	s_or_b64 s[6:7], vcc, s[6:7]
	s_waitcnt vmcnt(0) lgkmcnt(0)
	v_fmac_f64_e32 v[106:107], v[114:115], v[116:117]
	s_andn2_b64 exec, exec, s[6:7]
	s_cbranch_execnz .LBB51_207
; %bb.208:
	s_or_b64 exec, exec, s[6:7]
	v_mov_b32_e32 v110, 0
	ds_read_b64 v[110:111], v110 offset:400
	s_waitcnt lgkmcnt(0)
	v_mul_f64 v[106:107], v[106:107], v[110:111]
	buffer_store_dword v107, off, s[0:3], 0 offset:404
	buffer_store_dword v106, off, s[0:3], 0 offset:400
.LBB51_209:
	s_or_b64 exec, exec, s[4:5]
	s_waitcnt lgkmcnt(0)
	; wave barrier
	buffer_load_dword v106, off, s[0:3], 0 offset:408
	buffer_load_dword v107, off, s[0:3], 0 offset:412
	v_cmp_ne_u32_e32 vcc, 51, v0
	s_waitcnt vmcnt(0)
	ds_write_b64 v108, v[106:107]
	s_waitcnt lgkmcnt(0)
	; wave barrier
	s_waitcnt lgkmcnt(0)
	s_and_saveexec_b64 s[4:5], vcc
	s_cbranch_execz .LBB51_213
; %bb.210:
	v_add_u32_e32 v108, 0x1a0, v1
	v_add_u32_e32 v1, 0, v1
	s_mov_b64 s[6:7], 0
	v_pk_mov_b32 v[106:107], 0, 0
.LBB51_211:                             ; =>This Inner Loop Header: Depth=1
	buffer_load_dword v110, v1, s[0:3], 0 offen
	buffer_load_dword v111, v1, s[0:3], 0 offen offset:4
	ds_read_b64 v[112:113], v108
	v_add_u32_e32 v109, 1, v109
	v_cmp_lt_u32_e32 vcc, 49, v109
	v_add_u32_e32 v108, 8, v108
	v_add_u32_e32 v1, 8, v1
	s_or_b64 s[6:7], vcc, s[6:7]
	s_waitcnt vmcnt(0) lgkmcnt(0)
	v_fmac_f64_e32 v[106:107], v[110:111], v[112:113]
	s_andn2_b64 exec, exec, s[6:7]
	s_cbranch_execnz .LBB51_211
; %bb.212:
	s_or_b64 exec, exec, s[6:7]
	v_mov_b32_e32 v1, 0
	ds_read_b64 v[108:109], v1 offset:408
	s_waitcnt lgkmcnt(0)
	v_mul_f64 v[106:107], v[106:107], v[108:109]
	buffer_store_dword v107, off, s[0:3], 0 offset:412
	buffer_store_dword v106, off, s[0:3], 0 offset:408
.LBB51_213:
	s_or_b64 exec, exec, s[4:5]
	s_mov_b64 s[6:7], -1
	s_waitcnt lgkmcnt(0)
	; wave barrier
.LBB51_214:
	s_and_b64 vcc, exec, s[6:7]
	s_cbranch_vccz .LBB51_216
; %bb.215:
	s_lshl_b64 s[4:5], s[8:9], 2
	s_add_u32 s4, s14, s4
	s_addc_u32 s5, s15, s5
	v_mov_b32_e32 v1, 0
	global_load_dword v1, v1, s[4:5]
	s_waitcnt vmcnt(0)
	v_cmp_ne_u32_e32 vcc, 0, v1
	s_cbranch_vccz .LBB51_217
.LBB51_216:
	s_endpgm
.LBB51_217:
	v_mov_b32_e32 v1, 0x1a0
	v_lshl_add_u32 v1, v0, 3, v1
	v_cmp_eq_u32_e32 vcc, 51, v0
	s_and_saveexec_b64 s[4:5], vcc
	s_cbranch_execz .LBB51_219
; %bb.218:
	buffer_load_dword v106, off, s[0:3], 0 offset:400
	buffer_load_dword v107, off, s[0:3], 0 offset:404
	v_mov_b32_e32 v108, 0
	buffer_store_dword v108, off, s[0:3], 0 offset:400
	buffer_store_dword v108, off, s[0:3], 0 offset:404
	s_waitcnt vmcnt(2)
	ds_write_b64 v1, v[106:107]
.LBB51_219:
	s_or_b64 exec, exec, s[4:5]
	s_waitcnt lgkmcnt(0)
	; wave barrier
	s_waitcnt lgkmcnt(0)
	buffer_load_dword v108, off, s[0:3], 0 offset:408
	buffer_load_dword v109, off, s[0:3], 0 offset:412
	;; [unrolled: 1-line block ×4, first 2 shown]
	v_mov_b32_e32 v106, 0
	ds_read_b64 v[112:113], v106 offset:824
	v_cmp_lt_u32_e32 vcc, 49, v0
	s_waitcnt vmcnt(2) lgkmcnt(0)
	v_fma_f64 v[108:109], v[108:109], v[112:113], 0
	s_waitcnt vmcnt(0)
	v_add_f64 v[108:109], v[110:111], -v[108:109]
	buffer_store_dword v108, off, s[0:3], 0 offset:400
	buffer_store_dword v109, off, s[0:3], 0 offset:404
	s_and_saveexec_b64 s[4:5], vcc
	s_cbranch_execz .LBB51_221
; %bb.220:
	buffer_load_dword v108, off, s[0:3], 0 offset:392
	buffer_load_dword v109, off, s[0:3], 0 offset:396
	s_waitcnt vmcnt(0)
	ds_write_b64 v1, v[108:109]
	buffer_store_dword v106, off, s[0:3], 0 offset:392
	buffer_store_dword v106, off, s[0:3], 0 offset:396
.LBB51_221:
	s_or_b64 exec, exec, s[4:5]
	s_waitcnt lgkmcnt(0)
	; wave barrier
	s_waitcnt lgkmcnt(0)
	buffer_load_dword v110, off, s[0:3], 0 offset:400
	buffer_load_dword v111, off, s[0:3], 0 offset:404
	;; [unrolled: 1-line block ×6, first 2 shown]
	ds_read_b128 v[106:109], v106 offset:816
	v_cmp_lt_u32_e32 vcc, 48, v0
	s_waitcnt vmcnt(4) lgkmcnt(0)
	v_fma_f64 v[106:107], v[110:111], v[106:107], 0
	s_waitcnt vmcnt(2)
	v_fmac_f64_e32 v[106:107], v[112:113], v[108:109]
	s_waitcnt vmcnt(0)
	v_add_f64 v[106:107], v[114:115], -v[106:107]
	buffer_store_dword v106, off, s[0:3], 0 offset:392
	buffer_store_dword v107, off, s[0:3], 0 offset:396
	s_and_saveexec_b64 s[4:5], vcc
	s_cbranch_execz .LBB51_223
; %bb.222:
	buffer_load_dword v106, off, s[0:3], 0 offset:384
	buffer_load_dword v107, off, s[0:3], 0 offset:388
	v_mov_b32_e32 v108, 0
	buffer_store_dword v108, off, s[0:3], 0 offset:384
	buffer_store_dword v108, off, s[0:3], 0 offset:388
	s_waitcnt vmcnt(2)
	ds_write_b64 v1, v[106:107]
.LBB51_223:
	s_or_b64 exec, exec, s[4:5]
	s_waitcnt lgkmcnt(0)
	; wave barrier
	s_waitcnt lgkmcnt(0)
	buffer_load_dword v112, off, s[0:3], 0 offset:392
	buffer_load_dword v113, off, s[0:3], 0 offset:396
	;; [unrolled: 1-line block ×8, first 2 shown]
	v_mov_b32_e32 v106, 0
	ds_read2_b64 v[108:111], v106 offset0:101 offset1:102
	ds_read_b64 v[120:121], v106 offset:824
	v_cmp_lt_u32_e32 vcc, 47, v0
	s_waitcnt vmcnt(6) lgkmcnt(1)
	v_fma_f64 v[108:109], v[112:113], v[108:109], 0
	s_waitcnt vmcnt(4)
	v_fmac_f64_e32 v[108:109], v[114:115], v[110:111]
	s_waitcnt vmcnt(2) lgkmcnt(0)
	v_fmac_f64_e32 v[108:109], v[116:117], v[120:121]
	s_waitcnt vmcnt(0)
	v_add_f64 v[108:109], v[118:119], -v[108:109]
	buffer_store_dword v108, off, s[0:3], 0 offset:384
	buffer_store_dword v109, off, s[0:3], 0 offset:388
	s_and_saveexec_b64 s[4:5], vcc
	s_cbranch_execz .LBB51_225
; %bb.224:
	buffer_load_dword v108, off, s[0:3], 0 offset:376
	buffer_load_dword v109, off, s[0:3], 0 offset:380
	s_waitcnt vmcnt(0)
	ds_write_b64 v1, v[108:109]
	buffer_store_dword v106, off, s[0:3], 0 offset:376
	buffer_store_dword v106, off, s[0:3], 0 offset:380
.LBB51_225:
	s_or_b64 exec, exec, s[4:5]
	s_waitcnt lgkmcnt(0)
	; wave barrier
	s_waitcnt lgkmcnt(0)
	buffer_load_dword v116, off, s[0:3], 0 offset:384
	buffer_load_dword v117, off, s[0:3], 0 offset:388
	buffer_load_dword v118, off, s[0:3], 0 offset:392
	buffer_load_dword v119, off, s[0:3], 0 offset:396
	buffer_load_dword v120, off, s[0:3], 0 offset:400
	buffer_load_dword v121, off, s[0:3], 0 offset:404
	buffer_load_dword v122, off, s[0:3], 0 offset:408
	buffer_load_dword v123, off, s[0:3], 0 offset:412
	buffer_load_dword v124, off, s[0:3], 0 offset:376
	buffer_load_dword v125, off, s[0:3], 0 offset:380
	ds_read_b128 v[108:111], v106 offset:800
	ds_read_b128 v[112:115], v106 offset:816
	v_cmp_lt_u32_e32 vcc, 46, v0
	s_waitcnt vmcnt(8) lgkmcnt(1)
	v_fma_f64 v[106:107], v[116:117], v[108:109], 0
	s_waitcnt vmcnt(6)
	v_fmac_f64_e32 v[106:107], v[118:119], v[110:111]
	s_waitcnt vmcnt(4) lgkmcnt(0)
	v_fmac_f64_e32 v[106:107], v[120:121], v[112:113]
	s_waitcnt vmcnt(2)
	v_fmac_f64_e32 v[106:107], v[122:123], v[114:115]
	s_waitcnt vmcnt(0)
	v_add_f64 v[106:107], v[124:125], -v[106:107]
	buffer_store_dword v106, off, s[0:3], 0 offset:376
	buffer_store_dword v107, off, s[0:3], 0 offset:380
	s_and_saveexec_b64 s[4:5], vcc
	s_cbranch_execz .LBB51_227
; %bb.226:
	buffer_load_dword v106, off, s[0:3], 0 offset:368
	buffer_load_dword v107, off, s[0:3], 0 offset:372
	v_mov_b32_e32 v108, 0
	buffer_store_dword v108, off, s[0:3], 0 offset:368
	buffer_store_dword v108, off, s[0:3], 0 offset:372
	s_waitcnt vmcnt(2)
	ds_write_b64 v1, v[106:107]
.LBB51_227:
	s_or_b64 exec, exec, s[4:5]
	s_waitcnt lgkmcnt(0)
	; wave barrier
	s_waitcnt lgkmcnt(0)
	buffer_load_dword v112, off, s[0:3], 0 offset:368
	buffer_load_dword v113, off, s[0:3], 0 offset:372
	;; [unrolled: 1-line block ×12, first 2 shown]
	v_mov_b32_e32 v106, 0
	ds_read2_b64 v[108:111], v106 offset0:99 offset1:100
	v_cmp_lt_u32_e32 vcc, 45, v0
	s_waitcnt vmcnt(8) lgkmcnt(0)
	v_fma_f64 v[114:115], v[114:115], v[108:109], 0
	s_waitcnt vmcnt(6)
	v_fmac_f64_e32 v[114:115], v[116:117], v[110:111]
	ds_read2_b64 v[108:111], v106 offset0:101 offset1:102
	s_waitcnt vmcnt(4) lgkmcnt(0)
	v_fmac_f64_e32 v[114:115], v[118:119], v[108:109]
	ds_read_b64 v[108:109], v106 offset:824
	s_waitcnt vmcnt(2)
	v_fmac_f64_e32 v[114:115], v[120:121], v[110:111]
	s_waitcnt vmcnt(0) lgkmcnt(0)
	v_fmac_f64_e32 v[114:115], v[122:123], v[108:109]
	v_add_f64 v[108:109], v[112:113], -v[114:115]
	buffer_store_dword v108, off, s[0:3], 0 offset:368
	buffer_store_dword v109, off, s[0:3], 0 offset:372
	s_and_saveexec_b64 s[4:5], vcc
	s_cbranch_execz .LBB51_229
; %bb.228:
	buffer_load_dword v108, off, s[0:3], 0 offset:360
	buffer_load_dword v109, off, s[0:3], 0 offset:364
	s_waitcnt vmcnt(0)
	ds_write_b64 v1, v[108:109]
	buffer_store_dword v106, off, s[0:3], 0 offset:360
	buffer_store_dword v106, off, s[0:3], 0 offset:364
.LBB51_229:
	s_or_b64 exec, exec, s[4:5]
	s_waitcnt lgkmcnt(0)
	; wave barrier
	s_waitcnt lgkmcnt(0)
	buffer_load_dword v120, off, s[0:3], 0 offset:368
	buffer_load_dword v121, off, s[0:3], 0 offset:372
	;; [unrolled: 1-line block ×14, first 2 shown]
	ds_read_b128 v[108:111], v106 offset:784
	ds_read_b128 v[112:115], v106 offset:800
	;; [unrolled: 1-line block ×3, first 2 shown]
	v_cmp_lt_u32_e32 vcc, 44, v0
	s_waitcnt vmcnt(12) lgkmcnt(2)
	v_fma_f64 v[106:107], v[120:121], v[108:109], 0
	s_waitcnt vmcnt(10)
	v_fmac_f64_e32 v[106:107], v[122:123], v[110:111]
	s_waitcnt vmcnt(8) lgkmcnt(1)
	v_fmac_f64_e32 v[106:107], v[124:125], v[112:113]
	s_waitcnt vmcnt(6)
	v_fmac_f64_e32 v[106:107], v[126:127], v[114:115]
	s_waitcnt vmcnt(4) lgkmcnt(0)
	v_fmac_f64_e32 v[106:107], v[128:129], v[116:117]
	s_waitcnt vmcnt(2)
	v_fmac_f64_e32 v[106:107], v[130:131], v[118:119]
	s_waitcnt vmcnt(0)
	v_add_f64 v[106:107], v[132:133], -v[106:107]
	buffer_store_dword v106, off, s[0:3], 0 offset:360
	buffer_store_dword v107, off, s[0:3], 0 offset:364
	s_and_saveexec_b64 s[4:5], vcc
	s_cbranch_execz .LBB51_231
; %bb.230:
	buffer_load_dword v106, off, s[0:3], 0 offset:352
	buffer_load_dword v107, off, s[0:3], 0 offset:356
	v_mov_b32_e32 v108, 0
	buffer_store_dword v108, off, s[0:3], 0 offset:352
	buffer_store_dword v108, off, s[0:3], 0 offset:356
	s_waitcnt vmcnt(2)
	ds_write_b64 v1, v[106:107]
.LBB51_231:
	s_or_b64 exec, exec, s[4:5]
	s_waitcnt lgkmcnt(0)
	; wave barrier
	s_waitcnt lgkmcnt(0)
	buffer_load_dword v120, off, s[0:3], 0 offset:360
	buffer_load_dword v121, off, s[0:3], 0 offset:364
	;; [unrolled: 1-line block ×16, first 2 shown]
	v_mov_b32_e32 v106, 0
	ds_read2_b64 v[108:111], v106 offset0:97 offset1:98
	ds_read2_b64 v[112:115], v106 offset0:99 offset1:100
	;; [unrolled: 1-line block ×3, first 2 shown]
	ds_read_b64 v[136:137], v106 offset:824
	v_cmp_lt_u32_e32 vcc, 43, v0
	s_waitcnt vmcnt(14) lgkmcnt(3)
	v_fma_f64 v[108:109], v[120:121], v[108:109], 0
	s_waitcnt vmcnt(12)
	v_fmac_f64_e32 v[108:109], v[122:123], v[110:111]
	s_waitcnt vmcnt(10) lgkmcnt(2)
	v_fmac_f64_e32 v[108:109], v[124:125], v[112:113]
	s_waitcnt vmcnt(8)
	v_fmac_f64_e32 v[108:109], v[126:127], v[114:115]
	s_waitcnt vmcnt(6) lgkmcnt(1)
	v_fmac_f64_e32 v[108:109], v[128:129], v[116:117]
	;; [unrolled: 4-line block ×3, first 2 shown]
	s_waitcnt vmcnt(0)
	v_add_f64 v[108:109], v[134:135], -v[108:109]
	buffer_store_dword v108, off, s[0:3], 0 offset:352
	buffer_store_dword v109, off, s[0:3], 0 offset:356
	s_and_saveexec_b64 s[4:5], vcc
	s_cbranch_execz .LBB51_233
; %bb.232:
	buffer_load_dword v108, off, s[0:3], 0 offset:344
	buffer_load_dword v109, off, s[0:3], 0 offset:348
	s_waitcnt vmcnt(0)
	ds_write_b64 v1, v[108:109]
	buffer_store_dword v106, off, s[0:3], 0 offset:344
	buffer_store_dword v106, off, s[0:3], 0 offset:348
.LBB51_233:
	s_or_b64 exec, exec, s[4:5]
	s_waitcnt lgkmcnt(0)
	; wave barrier
	s_waitcnt lgkmcnt(0)
	buffer_load_dword v124, off, s[0:3], 0 offset:352
	buffer_load_dword v125, off, s[0:3], 0 offset:356
	buffer_load_dword v126, off, s[0:3], 0 offset:360
	buffer_load_dword v127, off, s[0:3], 0 offset:364
	buffer_load_dword v128, off, s[0:3], 0 offset:368
	buffer_load_dword v129, off, s[0:3], 0 offset:372
	buffer_load_dword v130, off, s[0:3], 0 offset:376
	buffer_load_dword v131, off, s[0:3], 0 offset:380
	buffer_load_dword v132, off, s[0:3], 0 offset:384
	buffer_load_dword v133, off, s[0:3], 0 offset:388
	buffer_load_dword v134, off, s[0:3], 0 offset:392
	buffer_load_dword v135, off, s[0:3], 0 offset:396
	buffer_load_dword v136, off, s[0:3], 0 offset:400
	buffer_load_dword v137, off, s[0:3], 0 offset:404
	buffer_load_dword v139, off, s[0:3], 0 offset:412
	buffer_load_dword v138, off, s[0:3], 0 offset:408
	buffer_load_dword v140, off, s[0:3], 0 offset:344
	buffer_load_dword v141, off, s[0:3], 0 offset:348
	ds_read_b128 v[108:111], v106 offset:768
	ds_read_b128 v[112:115], v106 offset:784
	;; [unrolled: 1-line block ×4, first 2 shown]
	v_cmp_lt_u32_e32 vcc, 42, v0
	s_waitcnt vmcnt(16) lgkmcnt(3)
	v_fma_f64 v[106:107], v[124:125], v[108:109], 0
	s_waitcnt vmcnt(14)
	v_fmac_f64_e32 v[106:107], v[126:127], v[110:111]
	s_waitcnt vmcnt(12) lgkmcnt(2)
	v_fmac_f64_e32 v[106:107], v[128:129], v[112:113]
	s_waitcnt vmcnt(10)
	v_fmac_f64_e32 v[106:107], v[130:131], v[114:115]
	s_waitcnt vmcnt(8) lgkmcnt(1)
	v_fmac_f64_e32 v[106:107], v[132:133], v[116:117]
	;; [unrolled: 4-line block ×3, first 2 shown]
	s_waitcnt vmcnt(2)
	v_fmac_f64_e32 v[106:107], v[138:139], v[122:123]
	s_waitcnt vmcnt(0)
	v_add_f64 v[106:107], v[140:141], -v[106:107]
	buffer_store_dword v106, off, s[0:3], 0 offset:344
	buffer_store_dword v107, off, s[0:3], 0 offset:348
	s_and_saveexec_b64 s[4:5], vcc
	s_cbranch_execz .LBB51_235
; %bb.234:
	buffer_load_dword v106, off, s[0:3], 0 offset:336
	buffer_load_dword v107, off, s[0:3], 0 offset:340
	v_mov_b32_e32 v108, 0
	buffer_store_dword v108, off, s[0:3], 0 offset:336
	buffer_store_dword v108, off, s[0:3], 0 offset:340
	s_waitcnt vmcnt(2)
	ds_write_b64 v1, v[106:107]
.LBB51_235:
	s_or_b64 exec, exec, s[4:5]
	s_waitcnt lgkmcnt(0)
	; wave barrier
	s_waitcnt lgkmcnt(0)
	buffer_load_dword v124, off, s[0:3], 0 offset:344
	buffer_load_dword v125, off, s[0:3], 0 offset:348
	;; [unrolled: 1-line block ×20, first 2 shown]
	v_mov_b32_e32 v106, 0
	ds_read2_b64 v[108:111], v106 offset0:95 offset1:96
	ds_read2_b64 v[112:115], v106 offset0:97 offset1:98
	;; [unrolled: 1-line block ×4, first 2 shown]
	ds_read_b64 v[144:145], v106 offset:824
	v_cmp_lt_u32_e32 vcc, 41, v0
	s_waitcnt vmcnt(18) lgkmcnt(4)
	v_fma_f64 v[108:109], v[124:125], v[108:109], 0
	s_waitcnt vmcnt(16)
	v_fmac_f64_e32 v[108:109], v[126:127], v[110:111]
	s_waitcnt vmcnt(14) lgkmcnt(3)
	v_fmac_f64_e32 v[108:109], v[128:129], v[112:113]
	s_waitcnt vmcnt(12)
	v_fmac_f64_e32 v[108:109], v[130:131], v[114:115]
	s_waitcnt vmcnt(10) lgkmcnt(2)
	v_fmac_f64_e32 v[108:109], v[132:133], v[116:117]
	;; [unrolled: 4-line block ×3, first 2 shown]
	s_waitcnt vmcnt(2)
	v_fmac_f64_e32 v[108:109], v[140:141], v[122:123]
	s_waitcnt lgkmcnt(0)
	v_fmac_f64_e32 v[108:109], v[138:139], v[144:145]
	s_waitcnt vmcnt(0)
	v_add_f64 v[108:109], v[142:143], -v[108:109]
	buffer_store_dword v108, off, s[0:3], 0 offset:336
	buffer_store_dword v109, off, s[0:3], 0 offset:340
	s_and_saveexec_b64 s[4:5], vcc
	s_cbranch_execz .LBB51_237
; %bb.236:
	buffer_load_dword v108, off, s[0:3], 0 offset:328
	buffer_load_dword v109, off, s[0:3], 0 offset:332
	s_waitcnt vmcnt(0)
	ds_write_b64 v1, v[108:109]
	buffer_store_dword v106, off, s[0:3], 0 offset:328
	buffer_store_dword v106, off, s[0:3], 0 offset:332
.LBB51_237:
	s_or_b64 exec, exec, s[4:5]
	s_waitcnt lgkmcnt(0)
	; wave barrier
	s_waitcnt lgkmcnt(0)
	buffer_load_dword v128, off, s[0:3], 0 offset:336
	buffer_load_dword v129, off, s[0:3], 0 offset:340
	;; [unrolled: 1-line block ×22, first 2 shown]
	ds_read_b128 v[108:111], v106 offset:752
	ds_read_b128 v[112:115], v106 offset:768
	;; [unrolled: 1-line block ×5, first 2 shown]
	v_cmp_lt_u32_e32 vcc, 40, v0
	s_waitcnt vmcnt(20) lgkmcnt(4)
	v_fma_f64 v[106:107], v[128:129], v[108:109], 0
	s_waitcnt vmcnt(18)
	v_fmac_f64_e32 v[106:107], v[130:131], v[110:111]
	s_waitcnt vmcnt(16) lgkmcnt(3)
	v_fmac_f64_e32 v[106:107], v[132:133], v[112:113]
	s_waitcnt vmcnt(14)
	v_fmac_f64_e32 v[106:107], v[134:135], v[114:115]
	s_waitcnt vmcnt(12) lgkmcnt(2)
	v_fmac_f64_e32 v[106:107], v[136:137], v[116:117]
	;; [unrolled: 4-line block ×3, first 2 shown]
	s_waitcnt vmcnt(3)
	v_fmac_f64_e32 v[106:107], v[146:147], v[122:123]
	s_waitcnt lgkmcnt(0)
	v_fmac_f64_e32 v[106:107], v[144:145], v[124:125]
	s_waitcnt vmcnt(2)
	v_fmac_f64_e32 v[106:107], v[142:143], v[126:127]
	s_waitcnt vmcnt(0)
	v_add_f64 v[106:107], v[148:149], -v[106:107]
	buffer_store_dword v106, off, s[0:3], 0 offset:328
	buffer_store_dword v107, off, s[0:3], 0 offset:332
	s_and_saveexec_b64 s[4:5], vcc
	s_cbranch_execz .LBB51_239
; %bb.238:
	buffer_load_dword v106, off, s[0:3], 0 offset:320
	buffer_load_dword v107, off, s[0:3], 0 offset:324
	v_mov_b32_e32 v108, 0
	buffer_store_dword v108, off, s[0:3], 0 offset:320
	buffer_store_dword v108, off, s[0:3], 0 offset:324
	s_waitcnt vmcnt(2)
	ds_write_b64 v1, v[106:107]
.LBB51_239:
	s_or_b64 exec, exec, s[4:5]
	s_waitcnt lgkmcnt(0)
	; wave barrier
	s_waitcnt lgkmcnt(0)
	buffer_load_dword v128, off, s[0:3], 0 offset:328
	buffer_load_dword v129, off, s[0:3], 0 offset:332
	;; [unrolled: 1-line block ×24, first 2 shown]
	v_mov_b32_e32 v106, 0
	ds_read2_b64 v[108:111], v106 offset0:93 offset1:94
	ds_read2_b64 v[112:115], v106 offset0:95 offset1:96
	;; [unrolled: 1-line block ×5, first 2 shown]
	ds_read_b64 v[152:153], v106 offset:824
	v_cmp_lt_u32_e32 vcc, 39, v0
	s_waitcnt vmcnt(22) lgkmcnt(5)
	v_fma_f64 v[108:109], v[128:129], v[108:109], 0
	s_waitcnt vmcnt(20)
	v_fmac_f64_e32 v[108:109], v[130:131], v[110:111]
	s_waitcnt vmcnt(18) lgkmcnt(4)
	v_fmac_f64_e32 v[108:109], v[132:133], v[112:113]
	s_waitcnt vmcnt(16)
	v_fmac_f64_e32 v[108:109], v[134:135], v[114:115]
	s_waitcnt vmcnt(14) lgkmcnt(3)
	v_fmac_f64_e32 v[108:109], v[136:137], v[116:117]
	;; [unrolled: 4-line block ×3, first 2 shown]
	s_waitcnt vmcnt(4)
	v_fmac_f64_e32 v[108:109], v[148:149], v[122:123]
	s_waitcnt lgkmcnt(1)
	v_fmac_f64_e32 v[108:109], v[146:147], v[124:125]
	s_waitcnt vmcnt(3)
	v_fmac_f64_e32 v[108:109], v[144:145], v[126:127]
	s_waitcnt vmcnt(2) lgkmcnt(0)
	v_fmac_f64_e32 v[108:109], v[142:143], v[152:153]
	s_waitcnt vmcnt(0)
	v_add_f64 v[108:109], v[150:151], -v[108:109]
	buffer_store_dword v109, off, s[0:3], 0 offset:324
	buffer_store_dword v108, off, s[0:3], 0 offset:320
	s_and_saveexec_b64 s[4:5], vcc
	s_cbranch_execz .LBB51_241
; %bb.240:
	buffer_load_dword v108, off, s[0:3], 0 offset:312
	buffer_load_dword v109, off, s[0:3], 0 offset:316
	s_waitcnt vmcnt(0)
	ds_write_b64 v1, v[108:109]
	buffer_store_dword v106, off, s[0:3], 0 offset:312
	buffer_store_dword v106, off, s[0:3], 0 offset:316
.LBB51_241:
	s_or_b64 exec, exec, s[4:5]
	s_waitcnt lgkmcnt(0)
	; wave barrier
	s_waitcnt lgkmcnt(0)
	buffer_load_dword v132, off, s[0:3], 0 offset:320
	buffer_load_dword v133, off, s[0:3], 0 offset:324
	;; [unrolled: 1-line block ×26, first 2 shown]
	ds_read_b128 v[108:111], v106 offset:736
	ds_read_b128 v[112:115], v106 offset:752
	;; [unrolled: 1-line block ×6, first 2 shown]
	v_cmp_lt_u32_e32 vcc, 38, v0
	s_waitcnt vmcnt(24) lgkmcnt(5)
	v_fma_f64 v[106:107], v[132:133], v[108:109], 0
	s_waitcnt vmcnt(22)
	v_fmac_f64_e32 v[106:107], v[134:135], v[110:111]
	s_waitcnt vmcnt(20) lgkmcnt(4)
	v_fmac_f64_e32 v[106:107], v[136:137], v[112:113]
	s_waitcnt vmcnt(18)
	v_fmac_f64_e32 v[106:107], v[138:139], v[114:115]
	s_waitcnt vmcnt(16) lgkmcnt(3)
	v_fmac_f64_e32 v[106:107], v[140:141], v[116:117]
	;; [unrolled: 4-line block ×3, first 2 shown]
	s_waitcnt vmcnt(5)
	v_fmac_f64_e32 v[106:107], v[152:153], v[122:123]
	s_waitcnt lgkmcnt(1)
	v_fmac_f64_e32 v[106:107], v[150:151], v[124:125]
	v_fmac_f64_e32 v[106:107], v[148:149], v[126:127]
	s_waitcnt vmcnt(4) lgkmcnt(0)
	v_fmac_f64_e32 v[106:107], v[146:147], v[128:129]
	s_waitcnt vmcnt(2)
	v_fmac_f64_e32 v[106:107], v[154:155], v[130:131]
	s_waitcnt vmcnt(0)
	v_add_f64 v[106:107], v[156:157], -v[106:107]
	buffer_store_dword v107, off, s[0:3], 0 offset:316
	buffer_store_dword v106, off, s[0:3], 0 offset:312
	s_and_saveexec_b64 s[4:5], vcc
	s_cbranch_execz .LBB51_243
; %bb.242:
	buffer_load_dword v106, off, s[0:3], 0 offset:304
	buffer_load_dword v107, off, s[0:3], 0 offset:308
	v_mov_b32_e32 v108, 0
	buffer_store_dword v108, off, s[0:3], 0 offset:304
	buffer_store_dword v108, off, s[0:3], 0 offset:308
	s_waitcnt vmcnt(2)
	ds_write_b64 v1, v[106:107]
.LBB51_243:
	s_or_b64 exec, exec, s[4:5]
	s_waitcnt lgkmcnt(0)
	; wave barrier
	s_waitcnt lgkmcnt(0)
	buffer_load_dword v132, off, s[0:3], 0 offset:312
	buffer_load_dword v133, off, s[0:3], 0 offset:316
	;; [unrolled: 1-line block ×28, first 2 shown]
	v_mov_b32_e32 v106, 0
	ds_read2_b64 v[108:111], v106 offset0:91 offset1:92
	ds_read2_b64 v[112:115], v106 offset0:93 offset1:94
	ds_read2_b64 v[116:119], v106 offset0:95 offset1:96
	ds_read2_b64 v[120:123], v106 offset0:97 offset1:98
	ds_read2_b64 v[124:127], v106 offset0:99 offset1:100
	ds_read2_b64 v[128:131], v106 offset0:101 offset1:102
	ds_read_b64 v[160:161], v106 offset:824
	v_cmp_lt_u32_e32 vcc, 37, v0
	s_waitcnt vmcnt(26) lgkmcnt(6)
	v_fma_f64 v[108:109], v[132:133], v[108:109], 0
	s_waitcnt vmcnt(24)
	v_fmac_f64_e32 v[108:109], v[134:135], v[110:111]
	s_waitcnt vmcnt(22) lgkmcnt(5)
	v_fmac_f64_e32 v[108:109], v[136:137], v[112:113]
	s_waitcnt vmcnt(20)
	v_fmac_f64_e32 v[108:109], v[138:139], v[114:115]
	s_waitcnt vmcnt(18) lgkmcnt(4)
	v_fmac_f64_e32 v[108:109], v[140:141], v[116:117]
	;; [unrolled: 4-line block ×3, first 2 shown]
	s_waitcnt vmcnt(6)
	v_fmac_f64_e32 v[108:109], v[152:153], v[122:123]
	s_waitcnt lgkmcnt(2)
	v_fmac_f64_e32 v[108:109], v[150:151], v[124:125]
	v_fmac_f64_e32 v[108:109], v[148:149], v[126:127]
	s_waitcnt lgkmcnt(1)
	v_fmac_f64_e32 v[108:109], v[146:147], v[128:129]
	s_waitcnt vmcnt(2)
	v_fmac_f64_e32 v[108:109], v[156:157], v[130:131]
	s_waitcnt lgkmcnt(0)
	v_fmac_f64_e32 v[108:109], v[154:155], v[160:161]
	s_waitcnt vmcnt(0)
	v_add_f64 v[108:109], v[158:159], -v[108:109]
	buffer_store_dword v109, off, s[0:3], 0 offset:308
	buffer_store_dword v108, off, s[0:3], 0 offset:304
	s_and_saveexec_b64 s[4:5], vcc
	s_cbranch_execz .LBB51_245
; %bb.244:
	buffer_load_dword v108, off, s[0:3], 0 offset:296
	buffer_load_dword v109, off, s[0:3], 0 offset:300
	s_waitcnt vmcnt(0)
	ds_write_b64 v1, v[108:109]
	buffer_store_dword v106, off, s[0:3], 0 offset:296
	buffer_store_dword v106, off, s[0:3], 0 offset:300
.LBB51_245:
	s_or_b64 exec, exec, s[4:5]
	s_waitcnt lgkmcnt(0)
	; wave barrier
	s_waitcnt lgkmcnt(0)
	buffer_load_dword v136, off, s[0:3], 0 offset:304
	buffer_load_dword v137, off, s[0:3], 0 offset:308
	;; [unrolled: 1-line block ×30, first 2 shown]
	ds_read_b128 v[108:111], v106 offset:720
	ds_read_b128 v[112:115], v106 offset:736
	;; [unrolled: 1-line block ×7, first 2 shown]
	v_cmp_lt_u32_e32 vcc, 36, v0
	s_waitcnt vmcnt(28) lgkmcnt(6)
	v_fma_f64 v[106:107], v[136:137], v[108:109], 0
	s_waitcnt vmcnt(26)
	v_fmac_f64_e32 v[106:107], v[138:139], v[110:111]
	s_waitcnt vmcnt(24) lgkmcnt(5)
	v_fmac_f64_e32 v[106:107], v[140:141], v[112:113]
	s_waitcnt vmcnt(22)
	v_fmac_f64_e32 v[106:107], v[142:143], v[114:115]
	s_waitcnt vmcnt(20) lgkmcnt(4)
	v_fmac_f64_e32 v[106:107], v[144:145], v[116:117]
	;; [unrolled: 4-line block ×3, first 2 shown]
	s_waitcnt vmcnt(8)
	v_fmac_f64_e32 v[106:107], v[156:157], v[122:123]
	s_waitcnt lgkmcnt(2)
	v_fmac_f64_e32 v[106:107], v[154:155], v[124:125]
	v_fmac_f64_e32 v[106:107], v[152:153], v[126:127]
	s_waitcnt lgkmcnt(1)
	v_fmac_f64_e32 v[106:107], v[150:151], v[128:129]
	s_waitcnt vmcnt(3)
	v_fmac_f64_e32 v[106:107], v[162:163], v[130:131]
	s_waitcnt lgkmcnt(0)
	v_fmac_f64_e32 v[106:107], v[160:161], v[132:133]
	s_waitcnt vmcnt(2)
	v_fmac_f64_e32 v[106:107], v[158:159], v[134:135]
	s_waitcnt vmcnt(0)
	v_add_f64 v[106:107], v[164:165], -v[106:107]
	buffer_store_dword v107, off, s[0:3], 0 offset:300
	buffer_store_dword v106, off, s[0:3], 0 offset:296
	s_and_saveexec_b64 s[4:5], vcc
	s_cbranch_execz .LBB51_247
; %bb.246:
	buffer_load_dword v106, off, s[0:3], 0 offset:288
	buffer_load_dword v107, off, s[0:3], 0 offset:292
	v_mov_b32_e32 v108, 0
	buffer_store_dword v108, off, s[0:3], 0 offset:288
	buffer_store_dword v108, off, s[0:3], 0 offset:292
	s_waitcnt vmcnt(2)
	ds_write_b64 v1, v[106:107]
.LBB51_247:
	s_or_b64 exec, exec, s[4:5]
	s_waitcnt lgkmcnt(0)
	; wave barrier
	s_waitcnt lgkmcnt(0)
	buffer_load_dword v112, off, s[0:3], 0 offset:288
	buffer_load_dword v113, off, s[0:3], 0 offset:292
	;; [unrolled: 1-line block ×16, first 2 shown]
	v_mov_b32_e32 v106, 0
	ds_read2_b64 v[108:111], v106 offset0:89 offset1:90
	v_cmp_lt_u32_e32 vcc, 35, v0
	s_waitcnt vmcnt(12) lgkmcnt(0)
	v_fma_f64 v[114:115], v[114:115], v[108:109], 0
	s_waitcnt vmcnt(10)
	v_fmac_f64_e32 v[114:115], v[116:117], v[110:111]
	ds_read2_b64 v[108:111], v106 offset0:91 offset1:92
	s_waitcnt vmcnt(8) lgkmcnt(0)
	v_fmac_f64_e32 v[114:115], v[118:119], v[108:109]
	s_waitcnt vmcnt(6)
	v_fmac_f64_e32 v[114:115], v[120:121], v[110:111]
	ds_read2_b64 v[108:111], v106 offset0:93 offset1:94
	s_waitcnt vmcnt(4) lgkmcnt(0)
	v_fmac_f64_e32 v[114:115], v[122:123], v[108:109]
	;; [unrolled: 5-line block ×3, first 2 shown]
	buffer_load_dword v109, off, s[0:3], 0 offset:356
	buffer_load_dword v108, off, s[0:3], 0 offset:352
	buffer_load_dword v117, off, s[0:3], 0 offset:364
	buffer_load_dword v116, off, s[0:3], 0 offset:360
	s_waitcnt vmcnt(2)
	v_fmac_f64_e32 v[114:115], v[108:109], v[110:111]
	ds_read2_b64 v[108:111], v106 offset0:97 offset1:98
	s_waitcnt vmcnt(0) lgkmcnt(0)
	v_fmac_f64_e32 v[114:115], v[116:117], v[108:109]
	buffer_load_dword v109, off, s[0:3], 0 offset:372
	buffer_load_dword v108, off, s[0:3], 0 offset:368
	buffer_load_dword v117, off, s[0:3], 0 offset:380
	buffer_load_dword v116, off, s[0:3], 0 offset:376
	s_waitcnt vmcnt(2)
	v_fmac_f64_e32 v[114:115], v[108:109], v[110:111]
	ds_read2_b64 v[108:111], v106 offset0:99 offset1:100
	s_waitcnt vmcnt(0) lgkmcnt(0)
	v_fmac_f64_e32 v[114:115], v[116:117], v[108:109]
	;; [unrolled: 9-line block ×3, first 2 shown]
	buffer_load_dword v109, off, s[0:3], 0 offset:404
	buffer_load_dword v108, off, s[0:3], 0 offset:400
	s_waitcnt vmcnt(0)
	v_fmac_f64_e32 v[114:115], v[108:109], v[110:111]
	buffer_load_dword v109, off, s[0:3], 0 offset:412
	buffer_load_dword v108, off, s[0:3], 0 offset:408
	ds_read_b64 v[110:111], v106 offset:824
	s_waitcnt vmcnt(0) lgkmcnt(0)
	v_fmac_f64_e32 v[114:115], v[108:109], v[110:111]
	v_add_f64 v[108:109], v[112:113], -v[114:115]
	buffer_store_dword v109, off, s[0:3], 0 offset:292
	buffer_store_dword v108, off, s[0:3], 0 offset:288
	s_and_saveexec_b64 s[4:5], vcc
	s_cbranch_execz .LBB51_249
; %bb.248:
	buffer_load_dword v108, off, s[0:3], 0 offset:280
	buffer_load_dword v109, off, s[0:3], 0 offset:284
	s_waitcnt vmcnt(0)
	ds_write_b64 v1, v[108:109]
	buffer_store_dword v106, off, s[0:3], 0 offset:280
	buffer_store_dword v106, off, s[0:3], 0 offset:284
.LBB51_249:
	s_or_b64 exec, exec, s[4:5]
	s_waitcnt lgkmcnt(0)
	; wave barrier
	s_waitcnt lgkmcnt(0)
	buffer_load_dword v124, off, s[0:3], 0 offset:280
	buffer_load_dword v125, off, s[0:3], 0 offset:284
	buffer_load_dword v126, off, s[0:3], 0 offset:288
	buffer_load_dword v127, off, s[0:3], 0 offset:292
	buffer_load_dword v128, off, s[0:3], 0 offset:296
	buffer_load_dword v129, off, s[0:3], 0 offset:300
	buffer_load_dword v130, off, s[0:3], 0 offset:304
	buffer_load_dword v131, off, s[0:3], 0 offset:308
	buffer_load_dword v132, off, s[0:3], 0 offset:312
	buffer_load_dword v133, off, s[0:3], 0 offset:316
	buffer_load_dword v134, off, s[0:3], 0 offset:320
	buffer_load_dword v135, off, s[0:3], 0 offset:324
	buffer_load_dword v136, off, s[0:3], 0 offset:328
	buffer_load_dword v137, off, s[0:3], 0 offset:332
	buffer_load_dword v138, off, s[0:3], 0 offset:336
	buffer_load_dword v139, off, s[0:3], 0 offset:340
	ds_read_b128 v[108:111], v106 offset:704
	ds_read_b128 v[112:115], v106 offset:720
	;; [unrolled: 1-line block ×4, first 2 shown]
	v_cmp_lt_u32_e32 vcc, 34, v0
	s_waitcnt vmcnt(12) lgkmcnt(3)
	v_fma_f64 v[126:127], v[126:127], v[108:109], 0
	buffer_load_dword v109, off, s[0:3], 0 offset:348
	buffer_load_dword v108, off, s[0:3], 0 offset:344
	s_waitcnt vmcnt(12)
	v_fmac_f64_e32 v[126:127], v[128:129], v[110:111]
	s_waitcnt vmcnt(10) lgkmcnt(2)
	v_fmac_f64_e32 v[126:127], v[130:131], v[112:113]
	buffer_load_dword v113, off, s[0:3], 0 offset:356
	buffer_load_dword v112, off, s[0:3], 0 offset:352
	s_waitcnt vmcnt(10)
	v_fmac_f64_e32 v[126:127], v[132:133], v[114:115]
	s_waitcnt vmcnt(8) lgkmcnt(1)
	v_fmac_f64_e32 v[126:127], v[134:135], v[116:117]
	s_waitcnt vmcnt(6)
	v_fmac_f64_e32 v[126:127], v[136:137], v[118:119]
	s_waitcnt vmcnt(4) lgkmcnt(0)
	v_fmac_f64_e32 v[126:127], v[138:139], v[120:121]
	s_waitcnt vmcnt(2)
	v_fmac_f64_e32 v[126:127], v[108:109], v[122:123]
	ds_read_b128 v[108:111], v106 offset:768
	s_waitcnt vmcnt(0) lgkmcnt(0)
	v_fmac_f64_e32 v[126:127], v[112:113], v[108:109]
	buffer_load_dword v109, off, s[0:3], 0 offset:364
	buffer_load_dword v108, off, s[0:3], 0 offset:360
	;; [unrolled: 1-line block ×4, first 2 shown]
	s_waitcnt vmcnt(2)
	v_fmac_f64_e32 v[126:127], v[108:109], v[110:111]
	ds_read_b128 v[108:111], v106 offset:784
	s_waitcnt vmcnt(0) lgkmcnt(0)
	v_fmac_f64_e32 v[126:127], v[112:113], v[108:109]
	buffer_load_dword v109, off, s[0:3], 0 offset:380
	buffer_load_dword v108, off, s[0:3], 0 offset:376
	;; [unrolled: 1-line block ×4, first 2 shown]
	s_waitcnt vmcnt(2)
	v_fmac_f64_e32 v[126:127], v[108:109], v[110:111]
	ds_read_b128 v[108:111], v106 offset:800
	s_waitcnt vmcnt(0) lgkmcnt(0)
	v_fmac_f64_e32 v[126:127], v[112:113], v[108:109]
	buffer_load_dword v109, off, s[0:3], 0 offset:396
	buffer_load_dword v108, off, s[0:3], 0 offset:392
	s_waitcnt vmcnt(0)
	v_fmac_f64_e32 v[126:127], v[108:109], v[110:111]
	buffer_load_dword v111, off, s[0:3], 0 offset:404
	buffer_load_dword v110, off, s[0:3], 0 offset:400
	ds_read_b128 v[106:109], v106 offset:816
	s_waitcnt vmcnt(0) lgkmcnt(0)
	v_fmac_f64_e32 v[126:127], v[110:111], v[106:107]
	buffer_load_dword v107, off, s[0:3], 0 offset:412
	buffer_load_dword v106, off, s[0:3], 0 offset:408
	s_waitcnt vmcnt(0)
	v_fmac_f64_e32 v[126:127], v[106:107], v[108:109]
	v_add_f64 v[106:107], v[124:125], -v[126:127]
	buffer_store_dword v107, off, s[0:3], 0 offset:284
	buffer_store_dword v106, off, s[0:3], 0 offset:280
	s_and_saveexec_b64 s[4:5], vcc
	s_cbranch_execz .LBB51_251
; %bb.250:
	buffer_load_dword v106, off, s[0:3], 0 offset:272
	buffer_load_dword v107, off, s[0:3], 0 offset:276
	v_mov_b32_e32 v108, 0
	buffer_store_dword v108, off, s[0:3], 0 offset:272
	buffer_store_dword v108, off, s[0:3], 0 offset:276
	s_waitcnt vmcnt(2)
	ds_write_b64 v1, v[106:107]
.LBB51_251:
	s_or_b64 exec, exec, s[4:5]
	s_waitcnt lgkmcnt(0)
	; wave barrier
	s_waitcnt lgkmcnt(0)
	buffer_load_dword v106, off, s[0:3], 0 offset:272
	buffer_load_dword v107, off, s[0:3], 0 offset:276
	;; [unrolled: 1-line block ×16, first 2 shown]
	v_mov_b32_e32 v110, 0
	ds_read2_b64 v[112:115], v110 offset0:87 offset1:88
	v_cmp_lt_u32_e32 vcc, 33, v0
	s_waitcnt vmcnt(12) lgkmcnt(0)
	v_fma_f64 v[108:109], v[108:109], v[112:113], 0
	s_waitcnt vmcnt(10)
	v_fmac_f64_e32 v[108:109], v[116:117], v[114:115]
	ds_read2_b64 v[112:115], v110 offset0:89 offset1:90
	s_waitcnt vmcnt(8) lgkmcnt(0)
	v_fmac_f64_e32 v[108:109], v[118:119], v[112:113]
	s_waitcnt vmcnt(6)
	v_fmac_f64_e32 v[108:109], v[120:121], v[114:115]
	ds_read2_b64 v[112:115], v110 offset0:91 offset1:92
	s_waitcnt vmcnt(4) lgkmcnt(0)
	v_fmac_f64_e32 v[108:109], v[122:123], v[112:113]
	;; [unrolled: 5-line block ×3, first 2 shown]
	buffer_load_dword v113, off, s[0:3], 0 offset:340
	buffer_load_dword v112, off, s[0:3], 0 offset:336
	buffer_load_dword v117, off, s[0:3], 0 offset:348
	buffer_load_dword v116, off, s[0:3], 0 offset:344
	s_waitcnt vmcnt(2)
	v_fmac_f64_e32 v[108:109], v[112:113], v[114:115]
	ds_read2_b64 v[112:115], v110 offset0:95 offset1:96
	s_waitcnt vmcnt(0) lgkmcnt(0)
	v_fmac_f64_e32 v[108:109], v[116:117], v[112:113]
	buffer_load_dword v113, off, s[0:3], 0 offset:356
	buffer_load_dword v112, off, s[0:3], 0 offset:352
	buffer_load_dword v117, off, s[0:3], 0 offset:364
	buffer_load_dword v116, off, s[0:3], 0 offset:360
	s_waitcnt vmcnt(2)
	v_fmac_f64_e32 v[108:109], v[112:113], v[114:115]
	ds_read2_b64 v[112:115], v110 offset0:97 offset1:98
	s_waitcnt vmcnt(0) lgkmcnt(0)
	v_fmac_f64_e32 v[108:109], v[116:117], v[112:113]
	;; [unrolled: 9-line block ×4, first 2 shown]
	buffer_load_dword v113, off, s[0:3], 0 offset:404
	buffer_load_dword v112, off, s[0:3], 0 offset:400
	s_waitcnt vmcnt(0)
	v_fmac_f64_e32 v[108:109], v[112:113], v[114:115]
	buffer_load_dword v113, off, s[0:3], 0 offset:412
	buffer_load_dword v112, off, s[0:3], 0 offset:408
	ds_read_b64 v[114:115], v110 offset:824
	s_waitcnt vmcnt(0) lgkmcnt(0)
	v_fmac_f64_e32 v[108:109], v[112:113], v[114:115]
	v_add_f64 v[106:107], v[106:107], -v[108:109]
	buffer_store_dword v107, off, s[0:3], 0 offset:276
	buffer_store_dword v106, off, s[0:3], 0 offset:272
	s_and_saveexec_b64 s[4:5], vcc
	s_cbranch_execz .LBB51_253
; %bb.252:
	buffer_load_dword v106, off, s[0:3], 0 offset:264
	buffer_load_dword v107, off, s[0:3], 0 offset:268
	s_waitcnt vmcnt(0)
	ds_write_b64 v1, v[106:107]
	buffer_store_dword v110, off, s[0:3], 0 offset:264
	buffer_store_dword v110, off, s[0:3], 0 offset:268
.LBB51_253:
	s_or_b64 exec, exec, s[4:5]
	s_waitcnt lgkmcnt(0)
	; wave barrier
	s_waitcnt lgkmcnt(0)
	buffer_load_dword v106, off, s[0:3], 0 offset:264
	buffer_load_dword v107, off, s[0:3], 0 offset:268
	buffer_load_dword v108, off, s[0:3], 0 offset:272
	buffer_load_dword v109, off, s[0:3], 0 offset:276
	buffer_load_dword v128, off, s[0:3], 0 offset:280
	buffer_load_dword v129, off, s[0:3], 0 offset:284
	buffer_load_dword v130, off, s[0:3], 0 offset:288
	buffer_load_dword v131, off, s[0:3], 0 offset:292
	buffer_load_dword v132, off, s[0:3], 0 offset:296
	buffer_load_dword v133, off, s[0:3], 0 offset:300
	buffer_load_dword v134, off, s[0:3], 0 offset:304
	buffer_load_dword v135, off, s[0:3], 0 offset:308
	buffer_load_dword v136, off, s[0:3], 0 offset:312
	buffer_load_dword v137, off, s[0:3], 0 offset:316
	buffer_load_dword v138, off, s[0:3], 0 offset:320
	buffer_load_dword v139, off, s[0:3], 0 offset:324
	ds_read_b128 v[112:115], v110 offset:688
	ds_read_b128 v[116:119], v110 offset:704
	;; [unrolled: 1-line block ×4, first 2 shown]
	v_cmp_lt_u32_e32 vcc, 32, v0
	s_waitcnt vmcnt(12) lgkmcnt(3)
	v_fma_f64 v[108:109], v[108:109], v[112:113], 0
	buffer_load_dword v113, off, s[0:3], 0 offset:332
	buffer_load_dword v112, off, s[0:3], 0 offset:328
	s_waitcnt vmcnt(12)
	v_fmac_f64_e32 v[108:109], v[128:129], v[114:115]
	s_waitcnt vmcnt(10) lgkmcnt(2)
	v_fmac_f64_e32 v[108:109], v[130:131], v[116:117]
	buffer_load_dword v117, off, s[0:3], 0 offset:340
	buffer_load_dword v116, off, s[0:3], 0 offset:336
	s_waitcnt vmcnt(10)
	v_fmac_f64_e32 v[108:109], v[132:133], v[118:119]
	s_waitcnt vmcnt(8) lgkmcnt(1)
	v_fmac_f64_e32 v[108:109], v[134:135], v[120:121]
	s_waitcnt vmcnt(6)
	v_fmac_f64_e32 v[108:109], v[136:137], v[122:123]
	s_waitcnt vmcnt(4) lgkmcnt(0)
	v_fmac_f64_e32 v[108:109], v[138:139], v[124:125]
	s_waitcnt vmcnt(2)
	v_fmac_f64_e32 v[108:109], v[112:113], v[126:127]
	ds_read_b128 v[112:115], v110 offset:752
	s_waitcnt vmcnt(0) lgkmcnt(0)
	v_fmac_f64_e32 v[108:109], v[116:117], v[112:113]
	buffer_load_dword v113, off, s[0:3], 0 offset:348
	buffer_load_dword v112, off, s[0:3], 0 offset:344
	buffer_load_dword v117, off, s[0:3], 0 offset:356
	buffer_load_dword v116, off, s[0:3], 0 offset:352
	s_waitcnt vmcnt(2)
	v_fmac_f64_e32 v[108:109], v[112:113], v[114:115]
	ds_read_b128 v[112:115], v110 offset:768
	s_waitcnt vmcnt(0) lgkmcnt(0)
	v_fmac_f64_e32 v[108:109], v[116:117], v[112:113]
	buffer_load_dword v113, off, s[0:3], 0 offset:364
	buffer_load_dword v112, off, s[0:3], 0 offset:360
	buffer_load_dword v117, off, s[0:3], 0 offset:372
	buffer_load_dword v116, off, s[0:3], 0 offset:368
	;; [unrolled: 9-line block ×3, first 2 shown]
	s_waitcnt vmcnt(2)
	v_fmac_f64_e32 v[108:109], v[112:113], v[114:115]
	ds_read_b128 v[112:115], v110 offset:800
	s_waitcnt vmcnt(0) lgkmcnt(0)
	v_fmac_f64_e32 v[108:109], v[116:117], v[112:113]
	buffer_load_dword v113, off, s[0:3], 0 offset:396
	buffer_load_dword v112, off, s[0:3], 0 offset:392
	s_waitcnt vmcnt(0)
	v_fmac_f64_e32 v[108:109], v[112:113], v[114:115]
	buffer_load_dword v115, off, s[0:3], 0 offset:404
	buffer_load_dword v114, off, s[0:3], 0 offset:400
	ds_read_b128 v[110:113], v110 offset:816
	s_waitcnt vmcnt(0) lgkmcnt(0)
	v_fmac_f64_e32 v[108:109], v[114:115], v[110:111]
	buffer_load_dword v111, off, s[0:3], 0 offset:412
	buffer_load_dword v110, off, s[0:3], 0 offset:408
	s_waitcnt vmcnt(0)
	v_fmac_f64_e32 v[108:109], v[110:111], v[112:113]
	v_add_f64 v[106:107], v[106:107], -v[108:109]
	buffer_store_dword v107, off, s[0:3], 0 offset:268
	buffer_store_dword v106, off, s[0:3], 0 offset:264
	s_and_saveexec_b64 s[4:5], vcc
	s_cbranch_execz .LBB51_255
; %bb.254:
	buffer_load_dword v106, off, s[0:3], 0 offset:256
	buffer_load_dword v107, off, s[0:3], 0 offset:260
	v_mov_b32_e32 v108, 0
	buffer_store_dword v108, off, s[0:3], 0 offset:256
	buffer_store_dword v108, off, s[0:3], 0 offset:260
	s_waitcnt vmcnt(2)
	ds_write_b64 v1, v[106:107]
.LBB51_255:
	s_or_b64 exec, exec, s[4:5]
	s_waitcnt lgkmcnt(0)
	; wave barrier
	s_waitcnt lgkmcnt(0)
	buffer_load_dword v106, off, s[0:3], 0 offset:256
	buffer_load_dword v107, off, s[0:3], 0 offset:260
	;; [unrolled: 1-line block ×16, first 2 shown]
	v_mov_b32_e32 v110, 0
	ds_read2_b64 v[112:115], v110 offset0:85 offset1:86
	v_cmp_lt_u32_e32 vcc, 31, v0
	s_waitcnt vmcnt(12) lgkmcnt(0)
	v_fma_f64 v[108:109], v[108:109], v[112:113], 0
	s_waitcnt vmcnt(10)
	v_fmac_f64_e32 v[108:109], v[116:117], v[114:115]
	ds_read2_b64 v[112:115], v110 offset0:87 offset1:88
	s_waitcnt vmcnt(8) lgkmcnt(0)
	v_fmac_f64_e32 v[108:109], v[118:119], v[112:113]
	s_waitcnt vmcnt(6)
	v_fmac_f64_e32 v[108:109], v[120:121], v[114:115]
	ds_read2_b64 v[112:115], v110 offset0:89 offset1:90
	s_waitcnt vmcnt(4) lgkmcnt(0)
	v_fmac_f64_e32 v[108:109], v[122:123], v[112:113]
	;; [unrolled: 5-line block ×3, first 2 shown]
	buffer_load_dword v113, off, s[0:3], 0 offset:324
	buffer_load_dword v112, off, s[0:3], 0 offset:320
	buffer_load_dword v117, off, s[0:3], 0 offset:332
	buffer_load_dword v116, off, s[0:3], 0 offset:328
	s_waitcnt vmcnt(2)
	v_fmac_f64_e32 v[108:109], v[112:113], v[114:115]
	ds_read2_b64 v[112:115], v110 offset0:93 offset1:94
	s_waitcnt vmcnt(0) lgkmcnt(0)
	v_fmac_f64_e32 v[108:109], v[116:117], v[112:113]
	buffer_load_dword v113, off, s[0:3], 0 offset:340
	buffer_load_dword v112, off, s[0:3], 0 offset:336
	buffer_load_dword v117, off, s[0:3], 0 offset:348
	buffer_load_dword v116, off, s[0:3], 0 offset:344
	s_waitcnt vmcnt(2)
	v_fmac_f64_e32 v[108:109], v[112:113], v[114:115]
	ds_read2_b64 v[112:115], v110 offset0:95 offset1:96
	s_waitcnt vmcnt(0) lgkmcnt(0)
	v_fmac_f64_e32 v[108:109], v[116:117], v[112:113]
	;; [unrolled: 9-line block ×5, first 2 shown]
	buffer_load_dword v113, off, s[0:3], 0 offset:404
	buffer_load_dword v112, off, s[0:3], 0 offset:400
	s_waitcnt vmcnt(0)
	v_fmac_f64_e32 v[108:109], v[112:113], v[114:115]
	buffer_load_dword v113, off, s[0:3], 0 offset:412
	buffer_load_dword v112, off, s[0:3], 0 offset:408
	ds_read_b64 v[114:115], v110 offset:824
	s_waitcnt vmcnt(0) lgkmcnt(0)
	v_fmac_f64_e32 v[108:109], v[112:113], v[114:115]
	v_add_f64 v[106:107], v[106:107], -v[108:109]
	buffer_store_dword v107, off, s[0:3], 0 offset:260
	buffer_store_dword v106, off, s[0:3], 0 offset:256
	s_and_saveexec_b64 s[4:5], vcc
	s_cbranch_execz .LBB51_257
; %bb.256:
	buffer_load_dword v106, off, s[0:3], 0 offset:248
	buffer_load_dword v107, off, s[0:3], 0 offset:252
	s_waitcnt vmcnt(0)
	ds_write_b64 v1, v[106:107]
	buffer_store_dword v110, off, s[0:3], 0 offset:248
	buffer_store_dword v110, off, s[0:3], 0 offset:252
.LBB51_257:
	s_or_b64 exec, exec, s[4:5]
	s_waitcnt lgkmcnt(0)
	; wave barrier
	s_waitcnt lgkmcnt(0)
	buffer_load_dword v106, off, s[0:3], 0 offset:248
	buffer_load_dword v107, off, s[0:3], 0 offset:252
	;; [unrolled: 1-line block ×16, first 2 shown]
	ds_read_b128 v[112:115], v110 offset:672
	ds_read_b128 v[116:119], v110 offset:688
	;; [unrolled: 1-line block ×4, first 2 shown]
	v_cmp_lt_u32_e32 vcc, 30, v0
	s_waitcnt vmcnt(12) lgkmcnt(3)
	v_fma_f64 v[108:109], v[108:109], v[112:113], 0
	buffer_load_dword v113, off, s[0:3], 0 offset:316
	buffer_load_dword v112, off, s[0:3], 0 offset:312
	s_waitcnt vmcnt(12)
	v_fmac_f64_e32 v[108:109], v[128:129], v[114:115]
	s_waitcnt vmcnt(10) lgkmcnt(2)
	v_fmac_f64_e32 v[108:109], v[130:131], v[116:117]
	buffer_load_dword v117, off, s[0:3], 0 offset:324
	buffer_load_dword v116, off, s[0:3], 0 offset:320
	s_waitcnt vmcnt(10)
	v_fmac_f64_e32 v[108:109], v[132:133], v[118:119]
	s_waitcnt vmcnt(8) lgkmcnt(1)
	v_fmac_f64_e32 v[108:109], v[134:135], v[120:121]
	s_waitcnt vmcnt(6)
	v_fmac_f64_e32 v[108:109], v[136:137], v[122:123]
	s_waitcnt vmcnt(4) lgkmcnt(0)
	v_fmac_f64_e32 v[108:109], v[138:139], v[124:125]
	s_waitcnt vmcnt(2)
	v_fmac_f64_e32 v[108:109], v[112:113], v[126:127]
	ds_read_b128 v[112:115], v110 offset:736
	s_waitcnt vmcnt(0) lgkmcnt(0)
	v_fmac_f64_e32 v[108:109], v[116:117], v[112:113]
	buffer_load_dword v113, off, s[0:3], 0 offset:332
	buffer_load_dword v112, off, s[0:3], 0 offset:328
	buffer_load_dword v117, off, s[0:3], 0 offset:340
	buffer_load_dword v116, off, s[0:3], 0 offset:336
	s_waitcnt vmcnt(2)
	v_fmac_f64_e32 v[108:109], v[112:113], v[114:115]
	ds_read_b128 v[112:115], v110 offset:752
	s_waitcnt vmcnt(0) lgkmcnt(0)
	v_fmac_f64_e32 v[108:109], v[116:117], v[112:113]
	buffer_load_dword v113, off, s[0:3], 0 offset:348
	buffer_load_dword v112, off, s[0:3], 0 offset:344
	buffer_load_dword v117, off, s[0:3], 0 offset:356
	buffer_load_dword v116, off, s[0:3], 0 offset:352
	;; [unrolled: 9-line block ×4, first 2 shown]
	s_waitcnt vmcnt(2)
	v_fmac_f64_e32 v[108:109], v[112:113], v[114:115]
	ds_read_b128 v[112:115], v110 offset:800
	s_waitcnt vmcnt(0) lgkmcnt(0)
	v_fmac_f64_e32 v[108:109], v[116:117], v[112:113]
	buffer_load_dword v113, off, s[0:3], 0 offset:396
	buffer_load_dword v112, off, s[0:3], 0 offset:392
	s_waitcnt vmcnt(0)
	v_fmac_f64_e32 v[108:109], v[112:113], v[114:115]
	buffer_load_dword v115, off, s[0:3], 0 offset:404
	buffer_load_dword v114, off, s[0:3], 0 offset:400
	ds_read_b128 v[110:113], v110 offset:816
	s_waitcnt vmcnt(0) lgkmcnt(0)
	v_fmac_f64_e32 v[108:109], v[114:115], v[110:111]
	buffer_load_dword v111, off, s[0:3], 0 offset:412
	buffer_load_dword v110, off, s[0:3], 0 offset:408
	s_waitcnt vmcnt(0)
	v_fmac_f64_e32 v[108:109], v[110:111], v[112:113]
	v_add_f64 v[106:107], v[106:107], -v[108:109]
	buffer_store_dword v107, off, s[0:3], 0 offset:252
	buffer_store_dword v106, off, s[0:3], 0 offset:248
	s_and_saveexec_b64 s[4:5], vcc
	s_cbranch_execz .LBB51_259
; %bb.258:
	buffer_load_dword v106, off, s[0:3], 0 offset:240
	buffer_load_dword v107, off, s[0:3], 0 offset:244
	v_mov_b32_e32 v108, 0
	buffer_store_dword v108, off, s[0:3], 0 offset:240
	buffer_store_dword v108, off, s[0:3], 0 offset:244
	s_waitcnt vmcnt(2)
	ds_write_b64 v1, v[106:107]
.LBB51_259:
	s_or_b64 exec, exec, s[4:5]
	s_waitcnt lgkmcnt(0)
	; wave barrier
	s_waitcnt lgkmcnt(0)
	buffer_load_dword v106, off, s[0:3], 0 offset:240
	buffer_load_dword v107, off, s[0:3], 0 offset:244
	;; [unrolled: 1-line block ×16, first 2 shown]
	v_mov_b32_e32 v110, 0
	ds_read2_b64 v[112:115], v110 offset0:83 offset1:84
	v_cmp_lt_u32_e32 vcc, 29, v0
	s_waitcnt vmcnt(12) lgkmcnt(0)
	v_fma_f64 v[108:109], v[108:109], v[112:113], 0
	s_waitcnt vmcnt(10)
	v_fmac_f64_e32 v[108:109], v[116:117], v[114:115]
	ds_read2_b64 v[112:115], v110 offset0:85 offset1:86
	s_waitcnt vmcnt(8) lgkmcnt(0)
	v_fmac_f64_e32 v[108:109], v[118:119], v[112:113]
	s_waitcnt vmcnt(6)
	v_fmac_f64_e32 v[108:109], v[120:121], v[114:115]
	ds_read2_b64 v[112:115], v110 offset0:87 offset1:88
	s_waitcnt vmcnt(4) lgkmcnt(0)
	v_fmac_f64_e32 v[108:109], v[122:123], v[112:113]
	;; [unrolled: 5-line block ×3, first 2 shown]
	buffer_load_dword v113, off, s[0:3], 0 offset:308
	buffer_load_dword v112, off, s[0:3], 0 offset:304
	buffer_load_dword v117, off, s[0:3], 0 offset:316
	buffer_load_dword v116, off, s[0:3], 0 offset:312
	s_waitcnt vmcnt(2)
	v_fmac_f64_e32 v[108:109], v[112:113], v[114:115]
	ds_read2_b64 v[112:115], v110 offset0:91 offset1:92
	s_waitcnt vmcnt(0) lgkmcnt(0)
	v_fmac_f64_e32 v[108:109], v[116:117], v[112:113]
	buffer_load_dword v113, off, s[0:3], 0 offset:324
	buffer_load_dword v112, off, s[0:3], 0 offset:320
	buffer_load_dword v117, off, s[0:3], 0 offset:332
	buffer_load_dword v116, off, s[0:3], 0 offset:328
	s_waitcnt vmcnt(2)
	v_fmac_f64_e32 v[108:109], v[112:113], v[114:115]
	ds_read2_b64 v[112:115], v110 offset0:93 offset1:94
	s_waitcnt vmcnt(0) lgkmcnt(0)
	v_fmac_f64_e32 v[108:109], v[116:117], v[112:113]
	;; [unrolled: 9-line block ×6, first 2 shown]
	buffer_load_dword v113, off, s[0:3], 0 offset:404
	buffer_load_dword v112, off, s[0:3], 0 offset:400
	s_waitcnt vmcnt(0)
	v_fmac_f64_e32 v[108:109], v[112:113], v[114:115]
	buffer_load_dword v113, off, s[0:3], 0 offset:412
	buffer_load_dword v112, off, s[0:3], 0 offset:408
	ds_read_b64 v[114:115], v110 offset:824
	s_waitcnt vmcnt(0) lgkmcnt(0)
	v_fmac_f64_e32 v[108:109], v[112:113], v[114:115]
	v_add_f64 v[106:107], v[106:107], -v[108:109]
	buffer_store_dword v107, off, s[0:3], 0 offset:244
	buffer_store_dword v106, off, s[0:3], 0 offset:240
	s_and_saveexec_b64 s[4:5], vcc
	s_cbranch_execz .LBB51_261
; %bb.260:
	buffer_load_dword v106, off, s[0:3], 0 offset:232
	buffer_load_dword v107, off, s[0:3], 0 offset:236
	s_waitcnt vmcnt(0)
	ds_write_b64 v1, v[106:107]
	buffer_store_dword v110, off, s[0:3], 0 offset:232
	buffer_store_dword v110, off, s[0:3], 0 offset:236
.LBB51_261:
	s_or_b64 exec, exec, s[4:5]
	s_waitcnt lgkmcnt(0)
	; wave barrier
	s_waitcnt lgkmcnt(0)
	buffer_load_dword v106, off, s[0:3], 0 offset:232
	buffer_load_dword v107, off, s[0:3], 0 offset:236
	buffer_load_dword v108, off, s[0:3], 0 offset:240
	buffer_load_dword v109, off, s[0:3], 0 offset:244
	buffer_load_dword v128, off, s[0:3], 0 offset:248
	buffer_load_dword v129, off, s[0:3], 0 offset:252
	buffer_load_dword v130, off, s[0:3], 0 offset:256
	buffer_load_dword v131, off, s[0:3], 0 offset:260
	buffer_load_dword v132, off, s[0:3], 0 offset:264
	buffer_load_dword v133, off, s[0:3], 0 offset:268
	buffer_load_dword v134, off, s[0:3], 0 offset:272
	buffer_load_dword v135, off, s[0:3], 0 offset:276
	buffer_load_dword v136, off, s[0:3], 0 offset:280
	buffer_load_dword v137, off, s[0:3], 0 offset:284
	buffer_load_dword v138, off, s[0:3], 0 offset:288
	buffer_load_dword v139, off, s[0:3], 0 offset:292
	ds_read_b128 v[112:115], v110 offset:656
	ds_read_b128 v[116:119], v110 offset:672
	;; [unrolled: 1-line block ×4, first 2 shown]
	v_cmp_lt_u32_e32 vcc, 28, v0
	s_waitcnt vmcnt(12) lgkmcnt(3)
	v_fma_f64 v[108:109], v[108:109], v[112:113], 0
	buffer_load_dword v113, off, s[0:3], 0 offset:300
	buffer_load_dword v112, off, s[0:3], 0 offset:296
	s_waitcnt vmcnt(12)
	v_fmac_f64_e32 v[108:109], v[128:129], v[114:115]
	s_waitcnt vmcnt(10) lgkmcnt(2)
	v_fmac_f64_e32 v[108:109], v[130:131], v[116:117]
	buffer_load_dword v117, off, s[0:3], 0 offset:308
	buffer_load_dword v116, off, s[0:3], 0 offset:304
	s_waitcnt vmcnt(10)
	v_fmac_f64_e32 v[108:109], v[132:133], v[118:119]
	s_waitcnt vmcnt(8) lgkmcnt(1)
	v_fmac_f64_e32 v[108:109], v[134:135], v[120:121]
	s_waitcnt vmcnt(6)
	v_fmac_f64_e32 v[108:109], v[136:137], v[122:123]
	s_waitcnt vmcnt(4) lgkmcnt(0)
	v_fmac_f64_e32 v[108:109], v[138:139], v[124:125]
	s_waitcnt vmcnt(2)
	v_fmac_f64_e32 v[108:109], v[112:113], v[126:127]
	ds_read_b128 v[112:115], v110 offset:720
	s_waitcnt vmcnt(0) lgkmcnt(0)
	v_fmac_f64_e32 v[108:109], v[116:117], v[112:113]
	buffer_load_dword v113, off, s[0:3], 0 offset:316
	buffer_load_dword v112, off, s[0:3], 0 offset:312
	buffer_load_dword v117, off, s[0:3], 0 offset:324
	buffer_load_dword v116, off, s[0:3], 0 offset:320
	s_waitcnt vmcnt(2)
	v_fmac_f64_e32 v[108:109], v[112:113], v[114:115]
	ds_read_b128 v[112:115], v110 offset:736
	s_waitcnt vmcnt(0) lgkmcnt(0)
	v_fmac_f64_e32 v[108:109], v[116:117], v[112:113]
	buffer_load_dword v113, off, s[0:3], 0 offset:332
	buffer_load_dword v112, off, s[0:3], 0 offset:328
	buffer_load_dword v117, off, s[0:3], 0 offset:340
	buffer_load_dword v116, off, s[0:3], 0 offset:336
	;; [unrolled: 9-line block ×5, first 2 shown]
	s_waitcnt vmcnt(2)
	v_fmac_f64_e32 v[108:109], v[112:113], v[114:115]
	ds_read_b128 v[112:115], v110 offset:800
	s_waitcnt vmcnt(0) lgkmcnt(0)
	v_fmac_f64_e32 v[108:109], v[116:117], v[112:113]
	buffer_load_dword v113, off, s[0:3], 0 offset:396
	buffer_load_dword v112, off, s[0:3], 0 offset:392
	s_waitcnt vmcnt(0)
	v_fmac_f64_e32 v[108:109], v[112:113], v[114:115]
	buffer_load_dword v115, off, s[0:3], 0 offset:404
	buffer_load_dword v114, off, s[0:3], 0 offset:400
	ds_read_b128 v[110:113], v110 offset:816
	s_waitcnt vmcnt(0) lgkmcnt(0)
	v_fmac_f64_e32 v[108:109], v[114:115], v[110:111]
	buffer_load_dword v111, off, s[0:3], 0 offset:412
	buffer_load_dword v110, off, s[0:3], 0 offset:408
	s_waitcnt vmcnt(0)
	v_fmac_f64_e32 v[108:109], v[110:111], v[112:113]
	v_add_f64 v[106:107], v[106:107], -v[108:109]
	buffer_store_dword v107, off, s[0:3], 0 offset:236
	buffer_store_dword v106, off, s[0:3], 0 offset:232
	s_and_saveexec_b64 s[4:5], vcc
	s_cbranch_execz .LBB51_263
; %bb.262:
	buffer_load_dword v106, off, s[0:3], 0 offset:224
	buffer_load_dword v107, off, s[0:3], 0 offset:228
	v_mov_b32_e32 v108, 0
	buffer_store_dword v108, off, s[0:3], 0 offset:224
	buffer_store_dword v108, off, s[0:3], 0 offset:228
	s_waitcnt vmcnt(2)
	ds_write_b64 v1, v[106:107]
.LBB51_263:
	s_or_b64 exec, exec, s[4:5]
	s_waitcnt lgkmcnt(0)
	; wave barrier
	s_waitcnt lgkmcnt(0)
	buffer_load_dword v106, off, s[0:3], 0 offset:224
	buffer_load_dword v107, off, s[0:3], 0 offset:228
	;; [unrolled: 1-line block ×16, first 2 shown]
	v_mov_b32_e32 v110, 0
	ds_read2_b64 v[112:115], v110 offset0:81 offset1:82
	v_cmp_lt_u32_e32 vcc, 27, v0
	s_waitcnt vmcnt(12) lgkmcnt(0)
	v_fma_f64 v[108:109], v[108:109], v[112:113], 0
	s_waitcnt vmcnt(10)
	v_fmac_f64_e32 v[108:109], v[116:117], v[114:115]
	ds_read2_b64 v[112:115], v110 offset0:83 offset1:84
	s_waitcnt vmcnt(8) lgkmcnt(0)
	v_fmac_f64_e32 v[108:109], v[118:119], v[112:113]
	s_waitcnt vmcnt(6)
	v_fmac_f64_e32 v[108:109], v[120:121], v[114:115]
	ds_read2_b64 v[112:115], v110 offset0:85 offset1:86
	s_waitcnt vmcnt(4) lgkmcnt(0)
	v_fmac_f64_e32 v[108:109], v[122:123], v[112:113]
	;; [unrolled: 5-line block ×3, first 2 shown]
	buffer_load_dword v113, off, s[0:3], 0 offset:292
	buffer_load_dword v112, off, s[0:3], 0 offset:288
	buffer_load_dword v117, off, s[0:3], 0 offset:300
	buffer_load_dword v116, off, s[0:3], 0 offset:296
	s_waitcnt vmcnt(2)
	v_fmac_f64_e32 v[108:109], v[112:113], v[114:115]
	ds_read2_b64 v[112:115], v110 offset0:89 offset1:90
	s_waitcnt vmcnt(0) lgkmcnt(0)
	v_fmac_f64_e32 v[108:109], v[116:117], v[112:113]
	buffer_load_dword v113, off, s[0:3], 0 offset:308
	buffer_load_dword v112, off, s[0:3], 0 offset:304
	buffer_load_dword v117, off, s[0:3], 0 offset:316
	buffer_load_dword v116, off, s[0:3], 0 offset:312
	s_waitcnt vmcnt(2)
	v_fmac_f64_e32 v[108:109], v[112:113], v[114:115]
	ds_read2_b64 v[112:115], v110 offset0:91 offset1:92
	s_waitcnt vmcnt(0) lgkmcnt(0)
	v_fmac_f64_e32 v[108:109], v[116:117], v[112:113]
	;; [unrolled: 9-line block ×7, first 2 shown]
	buffer_load_dword v113, off, s[0:3], 0 offset:404
	buffer_load_dword v112, off, s[0:3], 0 offset:400
	s_waitcnt vmcnt(0)
	v_fmac_f64_e32 v[108:109], v[112:113], v[114:115]
	buffer_load_dword v113, off, s[0:3], 0 offset:412
	buffer_load_dword v112, off, s[0:3], 0 offset:408
	ds_read_b64 v[114:115], v110 offset:824
	s_waitcnt vmcnt(0) lgkmcnt(0)
	v_fmac_f64_e32 v[108:109], v[112:113], v[114:115]
	v_add_f64 v[106:107], v[106:107], -v[108:109]
	buffer_store_dword v107, off, s[0:3], 0 offset:228
	buffer_store_dword v106, off, s[0:3], 0 offset:224
	s_and_saveexec_b64 s[4:5], vcc
	s_cbranch_execz .LBB51_265
; %bb.264:
	buffer_load_dword v106, off, s[0:3], 0 offset:216
	buffer_load_dword v107, off, s[0:3], 0 offset:220
	s_waitcnt vmcnt(0)
	ds_write_b64 v1, v[106:107]
	buffer_store_dword v110, off, s[0:3], 0 offset:216
	buffer_store_dword v110, off, s[0:3], 0 offset:220
.LBB51_265:
	s_or_b64 exec, exec, s[4:5]
	s_waitcnt lgkmcnt(0)
	; wave barrier
	s_waitcnt lgkmcnt(0)
	buffer_load_dword v106, off, s[0:3], 0 offset:216
	buffer_load_dword v107, off, s[0:3], 0 offset:220
	;; [unrolled: 1-line block ×16, first 2 shown]
	ds_read_b128 v[112:115], v110 offset:640
	ds_read_b128 v[116:119], v110 offset:656
	;; [unrolled: 1-line block ×4, first 2 shown]
	v_cmp_lt_u32_e32 vcc, 26, v0
	s_waitcnt vmcnt(12) lgkmcnt(3)
	v_fma_f64 v[108:109], v[108:109], v[112:113], 0
	buffer_load_dword v113, off, s[0:3], 0 offset:284
	buffer_load_dword v112, off, s[0:3], 0 offset:280
	s_waitcnt vmcnt(12)
	v_fmac_f64_e32 v[108:109], v[128:129], v[114:115]
	s_waitcnt vmcnt(10) lgkmcnt(2)
	v_fmac_f64_e32 v[108:109], v[130:131], v[116:117]
	buffer_load_dword v117, off, s[0:3], 0 offset:292
	buffer_load_dword v116, off, s[0:3], 0 offset:288
	s_waitcnt vmcnt(10)
	v_fmac_f64_e32 v[108:109], v[132:133], v[118:119]
	s_waitcnt vmcnt(8) lgkmcnt(1)
	v_fmac_f64_e32 v[108:109], v[134:135], v[120:121]
	s_waitcnt vmcnt(6)
	v_fmac_f64_e32 v[108:109], v[136:137], v[122:123]
	s_waitcnt vmcnt(4) lgkmcnt(0)
	v_fmac_f64_e32 v[108:109], v[138:139], v[124:125]
	s_waitcnt vmcnt(2)
	v_fmac_f64_e32 v[108:109], v[112:113], v[126:127]
	ds_read_b128 v[112:115], v110 offset:704
	s_waitcnt vmcnt(0) lgkmcnt(0)
	v_fmac_f64_e32 v[108:109], v[116:117], v[112:113]
	buffer_load_dword v113, off, s[0:3], 0 offset:300
	buffer_load_dword v112, off, s[0:3], 0 offset:296
	buffer_load_dword v117, off, s[0:3], 0 offset:308
	buffer_load_dword v116, off, s[0:3], 0 offset:304
	s_waitcnt vmcnt(2)
	v_fmac_f64_e32 v[108:109], v[112:113], v[114:115]
	ds_read_b128 v[112:115], v110 offset:720
	s_waitcnt vmcnt(0) lgkmcnt(0)
	v_fmac_f64_e32 v[108:109], v[116:117], v[112:113]
	buffer_load_dword v113, off, s[0:3], 0 offset:316
	buffer_load_dword v112, off, s[0:3], 0 offset:312
	buffer_load_dword v117, off, s[0:3], 0 offset:324
	buffer_load_dword v116, off, s[0:3], 0 offset:320
	;; [unrolled: 9-line block ×6, first 2 shown]
	s_waitcnt vmcnt(2)
	v_fmac_f64_e32 v[108:109], v[112:113], v[114:115]
	ds_read_b128 v[112:115], v110 offset:800
	s_waitcnt vmcnt(0) lgkmcnt(0)
	v_fmac_f64_e32 v[108:109], v[116:117], v[112:113]
	buffer_load_dword v113, off, s[0:3], 0 offset:396
	buffer_load_dword v112, off, s[0:3], 0 offset:392
	s_waitcnt vmcnt(0)
	v_fmac_f64_e32 v[108:109], v[112:113], v[114:115]
	buffer_load_dword v115, off, s[0:3], 0 offset:404
	buffer_load_dword v114, off, s[0:3], 0 offset:400
	ds_read_b128 v[110:113], v110 offset:816
	s_waitcnt vmcnt(0) lgkmcnt(0)
	v_fmac_f64_e32 v[108:109], v[114:115], v[110:111]
	buffer_load_dword v111, off, s[0:3], 0 offset:412
	buffer_load_dword v110, off, s[0:3], 0 offset:408
	s_waitcnt vmcnt(0)
	v_fmac_f64_e32 v[108:109], v[110:111], v[112:113]
	v_add_f64 v[106:107], v[106:107], -v[108:109]
	buffer_store_dword v107, off, s[0:3], 0 offset:220
	buffer_store_dword v106, off, s[0:3], 0 offset:216
	s_and_saveexec_b64 s[4:5], vcc
	s_cbranch_execz .LBB51_267
; %bb.266:
	buffer_load_dword v106, off, s[0:3], 0 offset:208
	buffer_load_dword v107, off, s[0:3], 0 offset:212
	v_mov_b32_e32 v108, 0
	buffer_store_dword v108, off, s[0:3], 0 offset:208
	buffer_store_dword v108, off, s[0:3], 0 offset:212
	s_waitcnt vmcnt(2)
	ds_write_b64 v1, v[106:107]
.LBB51_267:
	s_or_b64 exec, exec, s[4:5]
	s_waitcnt lgkmcnt(0)
	; wave barrier
	s_waitcnt lgkmcnt(0)
	buffer_load_dword v106, off, s[0:3], 0 offset:208
	buffer_load_dword v107, off, s[0:3], 0 offset:212
	;; [unrolled: 1-line block ×16, first 2 shown]
	v_mov_b32_e32 v110, 0
	ds_read2_b64 v[112:115], v110 offset0:79 offset1:80
	v_cmp_lt_u32_e32 vcc, 25, v0
	s_waitcnt vmcnt(12) lgkmcnt(0)
	v_fma_f64 v[108:109], v[108:109], v[112:113], 0
	s_waitcnt vmcnt(10)
	v_fmac_f64_e32 v[108:109], v[116:117], v[114:115]
	ds_read2_b64 v[112:115], v110 offset0:81 offset1:82
	s_waitcnt vmcnt(8) lgkmcnt(0)
	v_fmac_f64_e32 v[108:109], v[118:119], v[112:113]
	s_waitcnt vmcnt(6)
	v_fmac_f64_e32 v[108:109], v[120:121], v[114:115]
	ds_read2_b64 v[112:115], v110 offset0:83 offset1:84
	s_waitcnt vmcnt(4) lgkmcnt(0)
	v_fmac_f64_e32 v[108:109], v[122:123], v[112:113]
	;; [unrolled: 5-line block ×3, first 2 shown]
	buffer_load_dword v113, off, s[0:3], 0 offset:276
	buffer_load_dword v112, off, s[0:3], 0 offset:272
	buffer_load_dword v117, off, s[0:3], 0 offset:284
	buffer_load_dword v116, off, s[0:3], 0 offset:280
	s_waitcnt vmcnt(2)
	v_fmac_f64_e32 v[108:109], v[112:113], v[114:115]
	ds_read2_b64 v[112:115], v110 offset0:87 offset1:88
	s_waitcnt vmcnt(0) lgkmcnt(0)
	v_fmac_f64_e32 v[108:109], v[116:117], v[112:113]
	buffer_load_dword v113, off, s[0:3], 0 offset:292
	buffer_load_dword v112, off, s[0:3], 0 offset:288
	buffer_load_dword v117, off, s[0:3], 0 offset:300
	buffer_load_dword v116, off, s[0:3], 0 offset:296
	s_waitcnt vmcnt(2)
	v_fmac_f64_e32 v[108:109], v[112:113], v[114:115]
	ds_read2_b64 v[112:115], v110 offset0:89 offset1:90
	s_waitcnt vmcnt(0) lgkmcnt(0)
	v_fmac_f64_e32 v[108:109], v[116:117], v[112:113]
	;; [unrolled: 9-line block ×8, first 2 shown]
	buffer_load_dword v113, off, s[0:3], 0 offset:404
	buffer_load_dword v112, off, s[0:3], 0 offset:400
	s_waitcnt vmcnt(0)
	v_fmac_f64_e32 v[108:109], v[112:113], v[114:115]
	buffer_load_dword v113, off, s[0:3], 0 offset:412
	buffer_load_dword v112, off, s[0:3], 0 offset:408
	ds_read_b64 v[114:115], v110 offset:824
	s_waitcnt vmcnt(0) lgkmcnt(0)
	v_fmac_f64_e32 v[108:109], v[112:113], v[114:115]
	v_add_f64 v[106:107], v[106:107], -v[108:109]
	buffer_store_dword v107, off, s[0:3], 0 offset:212
	buffer_store_dword v106, off, s[0:3], 0 offset:208
	s_and_saveexec_b64 s[4:5], vcc
	s_cbranch_execz .LBB51_269
; %bb.268:
	buffer_load_dword v106, off, s[0:3], 0 offset:200
	buffer_load_dword v107, off, s[0:3], 0 offset:204
	s_waitcnt vmcnt(0)
	ds_write_b64 v1, v[106:107]
	buffer_store_dword v110, off, s[0:3], 0 offset:200
	buffer_store_dword v110, off, s[0:3], 0 offset:204
.LBB51_269:
	s_or_b64 exec, exec, s[4:5]
	s_waitcnt lgkmcnt(0)
	; wave barrier
	s_waitcnt lgkmcnt(0)
	buffer_load_dword v106, off, s[0:3], 0 offset:200
	buffer_load_dword v107, off, s[0:3], 0 offset:204
	;; [unrolled: 1-line block ×16, first 2 shown]
	ds_read_b128 v[112:115], v110 offset:624
	ds_read_b128 v[116:119], v110 offset:640
	;; [unrolled: 1-line block ×4, first 2 shown]
	v_cmp_lt_u32_e32 vcc, 24, v0
	s_waitcnt vmcnt(12) lgkmcnt(3)
	v_fma_f64 v[108:109], v[108:109], v[112:113], 0
	buffer_load_dword v113, off, s[0:3], 0 offset:268
	buffer_load_dword v112, off, s[0:3], 0 offset:264
	s_waitcnt vmcnt(12)
	v_fmac_f64_e32 v[108:109], v[128:129], v[114:115]
	s_waitcnt vmcnt(10) lgkmcnt(2)
	v_fmac_f64_e32 v[108:109], v[130:131], v[116:117]
	buffer_load_dword v117, off, s[0:3], 0 offset:276
	buffer_load_dword v116, off, s[0:3], 0 offset:272
	s_waitcnt vmcnt(10)
	v_fmac_f64_e32 v[108:109], v[132:133], v[118:119]
	s_waitcnt vmcnt(8) lgkmcnt(1)
	v_fmac_f64_e32 v[108:109], v[134:135], v[120:121]
	s_waitcnt vmcnt(6)
	v_fmac_f64_e32 v[108:109], v[136:137], v[122:123]
	s_waitcnt vmcnt(4) lgkmcnt(0)
	v_fmac_f64_e32 v[108:109], v[138:139], v[124:125]
	s_waitcnt vmcnt(2)
	v_fmac_f64_e32 v[108:109], v[112:113], v[126:127]
	ds_read_b128 v[112:115], v110 offset:688
	s_waitcnt vmcnt(0) lgkmcnt(0)
	v_fmac_f64_e32 v[108:109], v[116:117], v[112:113]
	buffer_load_dword v113, off, s[0:3], 0 offset:284
	buffer_load_dword v112, off, s[0:3], 0 offset:280
	buffer_load_dword v117, off, s[0:3], 0 offset:292
	buffer_load_dword v116, off, s[0:3], 0 offset:288
	s_waitcnt vmcnt(2)
	v_fmac_f64_e32 v[108:109], v[112:113], v[114:115]
	ds_read_b128 v[112:115], v110 offset:704
	s_waitcnt vmcnt(0) lgkmcnt(0)
	v_fmac_f64_e32 v[108:109], v[116:117], v[112:113]
	buffer_load_dword v113, off, s[0:3], 0 offset:300
	buffer_load_dword v112, off, s[0:3], 0 offset:296
	buffer_load_dword v117, off, s[0:3], 0 offset:308
	buffer_load_dword v116, off, s[0:3], 0 offset:304
	;; [unrolled: 9-line block ×7, first 2 shown]
	s_waitcnt vmcnt(2)
	v_fmac_f64_e32 v[108:109], v[112:113], v[114:115]
	ds_read_b128 v[112:115], v110 offset:800
	s_waitcnt vmcnt(0) lgkmcnt(0)
	v_fmac_f64_e32 v[108:109], v[116:117], v[112:113]
	buffer_load_dword v113, off, s[0:3], 0 offset:396
	buffer_load_dword v112, off, s[0:3], 0 offset:392
	s_waitcnt vmcnt(0)
	v_fmac_f64_e32 v[108:109], v[112:113], v[114:115]
	buffer_load_dword v115, off, s[0:3], 0 offset:404
	buffer_load_dword v114, off, s[0:3], 0 offset:400
	ds_read_b128 v[110:113], v110 offset:816
	s_waitcnt vmcnt(0) lgkmcnt(0)
	v_fmac_f64_e32 v[108:109], v[114:115], v[110:111]
	buffer_load_dword v111, off, s[0:3], 0 offset:412
	buffer_load_dword v110, off, s[0:3], 0 offset:408
	s_waitcnt vmcnt(0)
	v_fmac_f64_e32 v[108:109], v[110:111], v[112:113]
	v_add_f64 v[106:107], v[106:107], -v[108:109]
	buffer_store_dword v107, off, s[0:3], 0 offset:204
	buffer_store_dword v106, off, s[0:3], 0 offset:200
	s_and_saveexec_b64 s[4:5], vcc
	s_cbranch_execz .LBB51_271
; %bb.270:
	buffer_load_dword v106, off, s[0:3], 0 offset:192
	buffer_load_dword v107, off, s[0:3], 0 offset:196
	v_mov_b32_e32 v108, 0
	buffer_store_dword v108, off, s[0:3], 0 offset:192
	buffer_store_dword v108, off, s[0:3], 0 offset:196
	s_waitcnt vmcnt(2)
	ds_write_b64 v1, v[106:107]
.LBB51_271:
	s_or_b64 exec, exec, s[4:5]
	s_waitcnt lgkmcnt(0)
	; wave barrier
	s_waitcnt lgkmcnt(0)
	buffer_load_dword v106, off, s[0:3], 0 offset:192
	buffer_load_dword v107, off, s[0:3], 0 offset:196
	;; [unrolled: 1-line block ×16, first 2 shown]
	v_mov_b32_e32 v110, 0
	ds_read2_b64 v[112:115], v110 offset0:77 offset1:78
	v_cmp_lt_u32_e32 vcc, 23, v0
	s_waitcnt vmcnt(12) lgkmcnt(0)
	v_fma_f64 v[108:109], v[108:109], v[112:113], 0
	s_waitcnt vmcnt(10)
	v_fmac_f64_e32 v[108:109], v[116:117], v[114:115]
	ds_read2_b64 v[112:115], v110 offset0:79 offset1:80
	s_waitcnt vmcnt(8) lgkmcnt(0)
	v_fmac_f64_e32 v[108:109], v[118:119], v[112:113]
	s_waitcnt vmcnt(6)
	v_fmac_f64_e32 v[108:109], v[120:121], v[114:115]
	ds_read2_b64 v[112:115], v110 offset0:81 offset1:82
	s_waitcnt vmcnt(4) lgkmcnt(0)
	v_fmac_f64_e32 v[108:109], v[122:123], v[112:113]
	s_waitcnt vmcnt(2)
	v_fmac_f64_e32 v[108:109], v[124:125], v[114:115]
	ds_read2_b64 v[112:115], v110 offset0:83 offset1:84
	s_waitcnt vmcnt(0) lgkmcnt(0)
	v_fmac_f64_e32 v[108:109], v[126:127], v[112:113]
	buffer_load_dword v113, off, s[0:3], 0 offset:260
	buffer_load_dword v112, off, s[0:3], 0 offset:256
	buffer_load_dword v117, off, s[0:3], 0 offset:268
	buffer_load_dword v116, off, s[0:3], 0 offset:264
	s_waitcnt vmcnt(2)
	v_fmac_f64_e32 v[108:109], v[112:113], v[114:115]
	ds_read2_b64 v[112:115], v110 offset0:85 offset1:86
	s_waitcnt vmcnt(0) lgkmcnt(0)
	v_fmac_f64_e32 v[108:109], v[116:117], v[112:113]
	buffer_load_dword v113, off, s[0:3], 0 offset:276
	buffer_load_dword v112, off, s[0:3], 0 offset:272
	buffer_load_dword v117, off, s[0:3], 0 offset:284
	buffer_load_dword v116, off, s[0:3], 0 offset:280
	s_waitcnt vmcnt(2)
	v_fmac_f64_e32 v[108:109], v[112:113], v[114:115]
	ds_read2_b64 v[112:115], v110 offset0:87 offset1:88
	s_waitcnt vmcnt(0) lgkmcnt(0)
	v_fmac_f64_e32 v[108:109], v[116:117], v[112:113]
	;; [unrolled: 9-line block ×9, first 2 shown]
	buffer_load_dword v113, off, s[0:3], 0 offset:404
	buffer_load_dword v112, off, s[0:3], 0 offset:400
	s_waitcnt vmcnt(0)
	v_fmac_f64_e32 v[108:109], v[112:113], v[114:115]
	buffer_load_dword v113, off, s[0:3], 0 offset:412
	buffer_load_dword v112, off, s[0:3], 0 offset:408
	ds_read_b64 v[114:115], v110 offset:824
	s_waitcnt vmcnt(0) lgkmcnt(0)
	v_fmac_f64_e32 v[108:109], v[112:113], v[114:115]
	v_add_f64 v[106:107], v[106:107], -v[108:109]
	buffer_store_dword v107, off, s[0:3], 0 offset:196
	buffer_store_dword v106, off, s[0:3], 0 offset:192
	s_and_saveexec_b64 s[4:5], vcc
	s_cbranch_execz .LBB51_273
; %bb.272:
	buffer_load_dword v106, off, s[0:3], 0 offset:184
	buffer_load_dword v107, off, s[0:3], 0 offset:188
	s_waitcnt vmcnt(0)
	ds_write_b64 v1, v[106:107]
	buffer_store_dword v110, off, s[0:3], 0 offset:184
	buffer_store_dword v110, off, s[0:3], 0 offset:188
.LBB51_273:
	s_or_b64 exec, exec, s[4:5]
	s_waitcnt lgkmcnt(0)
	; wave barrier
	s_waitcnt lgkmcnt(0)
	buffer_load_dword v106, off, s[0:3], 0 offset:184
	buffer_load_dword v107, off, s[0:3], 0 offset:188
	;; [unrolled: 1-line block ×16, first 2 shown]
	ds_read_b128 v[112:115], v110 offset:608
	ds_read_b128 v[116:119], v110 offset:624
	;; [unrolled: 1-line block ×4, first 2 shown]
	v_cmp_lt_u32_e32 vcc, 22, v0
	s_waitcnt vmcnt(12) lgkmcnt(3)
	v_fma_f64 v[108:109], v[108:109], v[112:113], 0
	buffer_load_dword v113, off, s[0:3], 0 offset:252
	buffer_load_dword v112, off, s[0:3], 0 offset:248
	s_waitcnt vmcnt(12)
	v_fmac_f64_e32 v[108:109], v[128:129], v[114:115]
	s_waitcnt vmcnt(10) lgkmcnt(2)
	v_fmac_f64_e32 v[108:109], v[130:131], v[116:117]
	buffer_load_dword v117, off, s[0:3], 0 offset:260
	buffer_load_dword v116, off, s[0:3], 0 offset:256
	s_waitcnt vmcnt(10)
	v_fmac_f64_e32 v[108:109], v[132:133], v[118:119]
	s_waitcnt vmcnt(8) lgkmcnt(1)
	v_fmac_f64_e32 v[108:109], v[134:135], v[120:121]
	s_waitcnt vmcnt(6)
	v_fmac_f64_e32 v[108:109], v[136:137], v[122:123]
	s_waitcnt vmcnt(4) lgkmcnt(0)
	v_fmac_f64_e32 v[108:109], v[138:139], v[124:125]
	s_waitcnt vmcnt(2)
	v_fmac_f64_e32 v[108:109], v[112:113], v[126:127]
	ds_read_b128 v[112:115], v110 offset:672
	s_waitcnt vmcnt(0) lgkmcnt(0)
	v_fmac_f64_e32 v[108:109], v[116:117], v[112:113]
	buffer_load_dword v113, off, s[0:3], 0 offset:268
	buffer_load_dword v112, off, s[0:3], 0 offset:264
	buffer_load_dword v117, off, s[0:3], 0 offset:276
	buffer_load_dword v116, off, s[0:3], 0 offset:272
	s_waitcnt vmcnt(2)
	v_fmac_f64_e32 v[108:109], v[112:113], v[114:115]
	ds_read_b128 v[112:115], v110 offset:688
	s_waitcnt vmcnt(0) lgkmcnt(0)
	v_fmac_f64_e32 v[108:109], v[116:117], v[112:113]
	buffer_load_dword v113, off, s[0:3], 0 offset:284
	buffer_load_dword v112, off, s[0:3], 0 offset:280
	buffer_load_dword v117, off, s[0:3], 0 offset:292
	buffer_load_dword v116, off, s[0:3], 0 offset:288
	;; [unrolled: 9-line block ×8, first 2 shown]
	s_waitcnt vmcnt(2)
	v_fmac_f64_e32 v[108:109], v[112:113], v[114:115]
	ds_read_b128 v[112:115], v110 offset:800
	s_waitcnt vmcnt(0) lgkmcnt(0)
	v_fmac_f64_e32 v[108:109], v[116:117], v[112:113]
	buffer_load_dword v113, off, s[0:3], 0 offset:396
	buffer_load_dword v112, off, s[0:3], 0 offset:392
	s_waitcnt vmcnt(0)
	v_fmac_f64_e32 v[108:109], v[112:113], v[114:115]
	buffer_load_dword v115, off, s[0:3], 0 offset:404
	buffer_load_dword v114, off, s[0:3], 0 offset:400
	ds_read_b128 v[110:113], v110 offset:816
	s_waitcnt vmcnt(0) lgkmcnt(0)
	v_fmac_f64_e32 v[108:109], v[114:115], v[110:111]
	buffer_load_dword v111, off, s[0:3], 0 offset:412
	buffer_load_dword v110, off, s[0:3], 0 offset:408
	s_waitcnt vmcnt(0)
	v_fmac_f64_e32 v[108:109], v[110:111], v[112:113]
	v_add_f64 v[106:107], v[106:107], -v[108:109]
	buffer_store_dword v107, off, s[0:3], 0 offset:188
	buffer_store_dword v106, off, s[0:3], 0 offset:184
	s_and_saveexec_b64 s[4:5], vcc
	s_cbranch_execz .LBB51_275
; %bb.274:
	buffer_load_dword v106, off, s[0:3], 0 offset:176
	buffer_load_dword v107, off, s[0:3], 0 offset:180
	v_mov_b32_e32 v108, 0
	buffer_store_dword v108, off, s[0:3], 0 offset:176
	buffer_store_dword v108, off, s[0:3], 0 offset:180
	s_waitcnt vmcnt(2)
	ds_write_b64 v1, v[106:107]
.LBB51_275:
	s_or_b64 exec, exec, s[4:5]
	s_waitcnt lgkmcnt(0)
	; wave barrier
	s_waitcnt lgkmcnt(0)
	buffer_load_dword v106, off, s[0:3], 0 offset:176
	buffer_load_dword v107, off, s[0:3], 0 offset:180
	;; [unrolled: 1-line block ×16, first 2 shown]
	v_mov_b32_e32 v110, 0
	ds_read2_b64 v[112:115], v110 offset0:75 offset1:76
	v_cmp_lt_u32_e32 vcc, 21, v0
	s_waitcnt vmcnt(12) lgkmcnt(0)
	v_fma_f64 v[108:109], v[108:109], v[112:113], 0
	s_waitcnt vmcnt(10)
	v_fmac_f64_e32 v[108:109], v[116:117], v[114:115]
	ds_read2_b64 v[112:115], v110 offset0:77 offset1:78
	s_waitcnt vmcnt(8) lgkmcnt(0)
	v_fmac_f64_e32 v[108:109], v[118:119], v[112:113]
	s_waitcnt vmcnt(6)
	v_fmac_f64_e32 v[108:109], v[120:121], v[114:115]
	ds_read2_b64 v[112:115], v110 offset0:79 offset1:80
	s_waitcnt vmcnt(4) lgkmcnt(0)
	v_fmac_f64_e32 v[108:109], v[122:123], v[112:113]
	;; [unrolled: 5-line block ×3, first 2 shown]
	buffer_load_dword v113, off, s[0:3], 0 offset:244
	buffer_load_dword v112, off, s[0:3], 0 offset:240
	buffer_load_dword v117, off, s[0:3], 0 offset:252
	buffer_load_dword v116, off, s[0:3], 0 offset:248
	s_waitcnt vmcnt(2)
	v_fmac_f64_e32 v[108:109], v[112:113], v[114:115]
	ds_read2_b64 v[112:115], v110 offset0:83 offset1:84
	s_waitcnt vmcnt(0) lgkmcnt(0)
	v_fmac_f64_e32 v[108:109], v[116:117], v[112:113]
	buffer_load_dword v113, off, s[0:3], 0 offset:260
	buffer_load_dword v112, off, s[0:3], 0 offset:256
	buffer_load_dword v117, off, s[0:3], 0 offset:268
	buffer_load_dword v116, off, s[0:3], 0 offset:264
	s_waitcnt vmcnt(2)
	v_fmac_f64_e32 v[108:109], v[112:113], v[114:115]
	ds_read2_b64 v[112:115], v110 offset0:85 offset1:86
	s_waitcnt vmcnt(0) lgkmcnt(0)
	v_fmac_f64_e32 v[108:109], v[116:117], v[112:113]
	;; [unrolled: 9-line block ×10, first 2 shown]
	buffer_load_dword v113, off, s[0:3], 0 offset:404
	buffer_load_dword v112, off, s[0:3], 0 offset:400
	s_waitcnt vmcnt(0)
	v_fmac_f64_e32 v[108:109], v[112:113], v[114:115]
	buffer_load_dword v113, off, s[0:3], 0 offset:412
	buffer_load_dword v112, off, s[0:3], 0 offset:408
	ds_read_b64 v[114:115], v110 offset:824
	s_waitcnt vmcnt(0) lgkmcnt(0)
	v_fmac_f64_e32 v[108:109], v[112:113], v[114:115]
	v_add_f64 v[106:107], v[106:107], -v[108:109]
	buffer_store_dword v107, off, s[0:3], 0 offset:180
	buffer_store_dword v106, off, s[0:3], 0 offset:176
	s_and_saveexec_b64 s[4:5], vcc
	s_cbranch_execz .LBB51_277
; %bb.276:
	buffer_load_dword v106, off, s[0:3], 0 offset:168
	buffer_load_dword v107, off, s[0:3], 0 offset:172
	s_waitcnt vmcnt(0)
	ds_write_b64 v1, v[106:107]
	buffer_store_dword v110, off, s[0:3], 0 offset:168
	buffer_store_dword v110, off, s[0:3], 0 offset:172
.LBB51_277:
	s_or_b64 exec, exec, s[4:5]
	s_waitcnt lgkmcnt(0)
	; wave barrier
	s_waitcnt lgkmcnt(0)
	buffer_load_dword v106, off, s[0:3], 0 offset:168
	buffer_load_dword v107, off, s[0:3], 0 offset:172
	;; [unrolled: 1-line block ×16, first 2 shown]
	ds_read_b128 v[112:115], v110 offset:592
	ds_read_b128 v[116:119], v110 offset:608
	;; [unrolled: 1-line block ×4, first 2 shown]
	v_cmp_lt_u32_e32 vcc, 20, v0
	s_waitcnt vmcnt(12) lgkmcnt(3)
	v_fma_f64 v[108:109], v[108:109], v[112:113], 0
	buffer_load_dword v113, off, s[0:3], 0 offset:236
	buffer_load_dword v112, off, s[0:3], 0 offset:232
	s_waitcnt vmcnt(12)
	v_fmac_f64_e32 v[108:109], v[128:129], v[114:115]
	s_waitcnt vmcnt(10) lgkmcnt(2)
	v_fmac_f64_e32 v[108:109], v[130:131], v[116:117]
	buffer_load_dword v117, off, s[0:3], 0 offset:244
	buffer_load_dword v116, off, s[0:3], 0 offset:240
	s_waitcnt vmcnt(10)
	v_fmac_f64_e32 v[108:109], v[132:133], v[118:119]
	s_waitcnt vmcnt(8) lgkmcnt(1)
	v_fmac_f64_e32 v[108:109], v[134:135], v[120:121]
	s_waitcnt vmcnt(6)
	v_fmac_f64_e32 v[108:109], v[136:137], v[122:123]
	s_waitcnt vmcnt(4) lgkmcnt(0)
	v_fmac_f64_e32 v[108:109], v[138:139], v[124:125]
	s_waitcnt vmcnt(2)
	v_fmac_f64_e32 v[108:109], v[112:113], v[126:127]
	ds_read_b128 v[112:115], v110 offset:656
	s_waitcnt vmcnt(0) lgkmcnt(0)
	v_fmac_f64_e32 v[108:109], v[116:117], v[112:113]
	buffer_load_dword v113, off, s[0:3], 0 offset:252
	buffer_load_dword v112, off, s[0:3], 0 offset:248
	buffer_load_dword v117, off, s[0:3], 0 offset:260
	buffer_load_dword v116, off, s[0:3], 0 offset:256
	s_waitcnt vmcnt(2)
	v_fmac_f64_e32 v[108:109], v[112:113], v[114:115]
	ds_read_b128 v[112:115], v110 offset:672
	s_waitcnt vmcnt(0) lgkmcnt(0)
	v_fmac_f64_e32 v[108:109], v[116:117], v[112:113]
	buffer_load_dword v113, off, s[0:3], 0 offset:268
	buffer_load_dword v112, off, s[0:3], 0 offset:264
	buffer_load_dword v117, off, s[0:3], 0 offset:276
	buffer_load_dword v116, off, s[0:3], 0 offset:272
	;; [unrolled: 9-line block ×9, first 2 shown]
	s_waitcnt vmcnt(2)
	v_fmac_f64_e32 v[108:109], v[112:113], v[114:115]
	ds_read_b128 v[112:115], v110 offset:800
	s_waitcnt vmcnt(0) lgkmcnt(0)
	v_fmac_f64_e32 v[108:109], v[116:117], v[112:113]
	buffer_load_dword v113, off, s[0:3], 0 offset:396
	buffer_load_dword v112, off, s[0:3], 0 offset:392
	s_waitcnt vmcnt(0)
	v_fmac_f64_e32 v[108:109], v[112:113], v[114:115]
	buffer_load_dword v115, off, s[0:3], 0 offset:404
	buffer_load_dword v114, off, s[0:3], 0 offset:400
	ds_read_b128 v[110:113], v110 offset:816
	s_waitcnt vmcnt(0) lgkmcnt(0)
	v_fmac_f64_e32 v[108:109], v[114:115], v[110:111]
	buffer_load_dword v111, off, s[0:3], 0 offset:412
	buffer_load_dword v110, off, s[0:3], 0 offset:408
	s_waitcnt vmcnt(0)
	v_fmac_f64_e32 v[108:109], v[110:111], v[112:113]
	v_add_f64 v[106:107], v[106:107], -v[108:109]
	buffer_store_dword v107, off, s[0:3], 0 offset:172
	buffer_store_dword v106, off, s[0:3], 0 offset:168
	s_and_saveexec_b64 s[4:5], vcc
	s_cbranch_execz .LBB51_279
; %bb.278:
	buffer_load_dword v106, off, s[0:3], 0 offset:160
	buffer_load_dword v107, off, s[0:3], 0 offset:164
	v_mov_b32_e32 v108, 0
	buffer_store_dword v108, off, s[0:3], 0 offset:160
	buffer_store_dword v108, off, s[0:3], 0 offset:164
	s_waitcnt vmcnt(2)
	ds_write_b64 v1, v[106:107]
.LBB51_279:
	s_or_b64 exec, exec, s[4:5]
	s_waitcnt lgkmcnt(0)
	; wave barrier
	s_waitcnt lgkmcnt(0)
	buffer_load_dword v106, off, s[0:3], 0 offset:160
	buffer_load_dword v107, off, s[0:3], 0 offset:164
	buffer_load_dword v108, off, s[0:3], 0 offset:168
	buffer_load_dword v109, off, s[0:3], 0 offset:172
	buffer_load_dword v116, off, s[0:3], 0 offset:176
	buffer_load_dword v117, off, s[0:3], 0 offset:180
	buffer_load_dword v118, off, s[0:3], 0 offset:184
	buffer_load_dword v119, off, s[0:3], 0 offset:188
	buffer_load_dword v120, off, s[0:3], 0 offset:192
	buffer_load_dword v121, off, s[0:3], 0 offset:196
	buffer_load_dword v122, off, s[0:3], 0 offset:200
	buffer_load_dword v123, off, s[0:3], 0 offset:204
	buffer_load_dword v124, off, s[0:3], 0 offset:208
	buffer_load_dword v125, off, s[0:3], 0 offset:212
	buffer_load_dword v126, off, s[0:3], 0 offset:216
	buffer_load_dword v127, off, s[0:3], 0 offset:220
	v_mov_b32_e32 v110, 0
	ds_read2_b64 v[112:115], v110 offset0:73 offset1:74
	v_cmp_lt_u32_e32 vcc, 19, v0
	s_waitcnt vmcnt(12) lgkmcnt(0)
	v_fma_f64 v[108:109], v[108:109], v[112:113], 0
	s_waitcnt vmcnt(10)
	v_fmac_f64_e32 v[108:109], v[116:117], v[114:115]
	ds_read2_b64 v[112:115], v110 offset0:75 offset1:76
	s_waitcnt vmcnt(8) lgkmcnt(0)
	v_fmac_f64_e32 v[108:109], v[118:119], v[112:113]
	s_waitcnt vmcnt(6)
	v_fmac_f64_e32 v[108:109], v[120:121], v[114:115]
	ds_read2_b64 v[112:115], v110 offset0:77 offset1:78
	s_waitcnt vmcnt(4) lgkmcnt(0)
	v_fmac_f64_e32 v[108:109], v[122:123], v[112:113]
	;; [unrolled: 5-line block ×3, first 2 shown]
	buffer_load_dword v113, off, s[0:3], 0 offset:228
	buffer_load_dword v112, off, s[0:3], 0 offset:224
	buffer_load_dword v117, off, s[0:3], 0 offset:236
	buffer_load_dword v116, off, s[0:3], 0 offset:232
	s_waitcnt vmcnt(2)
	v_fmac_f64_e32 v[108:109], v[112:113], v[114:115]
	ds_read2_b64 v[112:115], v110 offset0:81 offset1:82
	s_waitcnt vmcnt(0) lgkmcnt(0)
	v_fmac_f64_e32 v[108:109], v[116:117], v[112:113]
	buffer_load_dword v113, off, s[0:3], 0 offset:244
	buffer_load_dword v112, off, s[0:3], 0 offset:240
	buffer_load_dword v117, off, s[0:3], 0 offset:252
	buffer_load_dword v116, off, s[0:3], 0 offset:248
	s_waitcnt vmcnt(2)
	v_fmac_f64_e32 v[108:109], v[112:113], v[114:115]
	ds_read2_b64 v[112:115], v110 offset0:83 offset1:84
	s_waitcnt vmcnt(0) lgkmcnt(0)
	v_fmac_f64_e32 v[108:109], v[116:117], v[112:113]
	;; [unrolled: 9-line block ×11, first 2 shown]
	buffer_load_dword v113, off, s[0:3], 0 offset:404
	buffer_load_dword v112, off, s[0:3], 0 offset:400
	s_waitcnt vmcnt(0)
	v_fmac_f64_e32 v[108:109], v[112:113], v[114:115]
	buffer_load_dword v113, off, s[0:3], 0 offset:412
	buffer_load_dword v112, off, s[0:3], 0 offset:408
	ds_read_b64 v[114:115], v110 offset:824
	s_waitcnt vmcnt(0) lgkmcnt(0)
	v_fmac_f64_e32 v[108:109], v[112:113], v[114:115]
	v_add_f64 v[106:107], v[106:107], -v[108:109]
	buffer_store_dword v107, off, s[0:3], 0 offset:164
	buffer_store_dword v106, off, s[0:3], 0 offset:160
	s_and_saveexec_b64 s[4:5], vcc
	s_cbranch_execz .LBB51_281
; %bb.280:
	buffer_load_dword v106, off, s[0:3], 0 offset:152
	buffer_load_dword v107, off, s[0:3], 0 offset:156
	s_waitcnt vmcnt(0)
	ds_write_b64 v1, v[106:107]
	buffer_store_dword v110, off, s[0:3], 0 offset:152
	buffer_store_dword v110, off, s[0:3], 0 offset:156
.LBB51_281:
	s_or_b64 exec, exec, s[4:5]
	s_waitcnt lgkmcnt(0)
	; wave barrier
	s_waitcnt lgkmcnt(0)
	buffer_load_dword v106, off, s[0:3], 0 offset:152
	buffer_load_dword v107, off, s[0:3], 0 offset:156
	;; [unrolled: 1-line block ×16, first 2 shown]
	ds_read_b128 v[112:115], v110 offset:576
	ds_read_b128 v[116:119], v110 offset:592
	;; [unrolled: 1-line block ×4, first 2 shown]
	v_cmp_lt_u32_e32 vcc, 18, v0
	s_waitcnt vmcnt(12) lgkmcnt(3)
	v_fma_f64 v[108:109], v[108:109], v[112:113], 0
	buffer_load_dword v113, off, s[0:3], 0 offset:220
	buffer_load_dword v112, off, s[0:3], 0 offset:216
	s_waitcnt vmcnt(12)
	v_fmac_f64_e32 v[108:109], v[128:129], v[114:115]
	s_waitcnt vmcnt(10) lgkmcnt(2)
	v_fmac_f64_e32 v[108:109], v[130:131], v[116:117]
	buffer_load_dword v117, off, s[0:3], 0 offset:228
	buffer_load_dword v116, off, s[0:3], 0 offset:224
	s_waitcnt vmcnt(10)
	v_fmac_f64_e32 v[108:109], v[132:133], v[118:119]
	s_waitcnt vmcnt(8) lgkmcnt(1)
	v_fmac_f64_e32 v[108:109], v[134:135], v[120:121]
	s_waitcnt vmcnt(6)
	v_fmac_f64_e32 v[108:109], v[136:137], v[122:123]
	s_waitcnt vmcnt(4) lgkmcnt(0)
	v_fmac_f64_e32 v[108:109], v[138:139], v[124:125]
	s_waitcnt vmcnt(2)
	v_fmac_f64_e32 v[108:109], v[112:113], v[126:127]
	ds_read_b128 v[112:115], v110 offset:640
	s_waitcnt vmcnt(0) lgkmcnt(0)
	v_fmac_f64_e32 v[108:109], v[116:117], v[112:113]
	buffer_load_dword v113, off, s[0:3], 0 offset:236
	buffer_load_dword v112, off, s[0:3], 0 offset:232
	buffer_load_dword v117, off, s[0:3], 0 offset:244
	buffer_load_dword v116, off, s[0:3], 0 offset:240
	s_waitcnt vmcnt(2)
	v_fmac_f64_e32 v[108:109], v[112:113], v[114:115]
	ds_read_b128 v[112:115], v110 offset:656
	s_waitcnt vmcnt(0) lgkmcnt(0)
	v_fmac_f64_e32 v[108:109], v[116:117], v[112:113]
	buffer_load_dword v113, off, s[0:3], 0 offset:252
	buffer_load_dword v112, off, s[0:3], 0 offset:248
	buffer_load_dword v117, off, s[0:3], 0 offset:260
	buffer_load_dword v116, off, s[0:3], 0 offset:256
	;; [unrolled: 9-line block ×10, first 2 shown]
	s_waitcnt vmcnt(2)
	v_fmac_f64_e32 v[108:109], v[112:113], v[114:115]
	ds_read_b128 v[112:115], v110 offset:800
	s_waitcnt vmcnt(0) lgkmcnt(0)
	v_fmac_f64_e32 v[108:109], v[116:117], v[112:113]
	buffer_load_dword v113, off, s[0:3], 0 offset:396
	buffer_load_dword v112, off, s[0:3], 0 offset:392
	s_waitcnt vmcnt(0)
	v_fmac_f64_e32 v[108:109], v[112:113], v[114:115]
	buffer_load_dword v115, off, s[0:3], 0 offset:404
	buffer_load_dword v114, off, s[0:3], 0 offset:400
	ds_read_b128 v[110:113], v110 offset:816
	s_waitcnt vmcnt(0) lgkmcnt(0)
	v_fmac_f64_e32 v[108:109], v[114:115], v[110:111]
	buffer_load_dword v111, off, s[0:3], 0 offset:412
	buffer_load_dword v110, off, s[0:3], 0 offset:408
	s_waitcnt vmcnt(0)
	v_fmac_f64_e32 v[108:109], v[110:111], v[112:113]
	v_add_f64 v[106:107], v[106:107], -v[108:109]
	buffer_store_dword v107, off, s[0:3], 0 offset:156
	buffer_store_dword v106, off, s[0:3], 0 offset:152
	s_and_saveexec_b64 s[4:5], vcc
	s_cbranch_execz .LBB51_283
; %bb.282:
	buffer_load_dword v106, off, s[0:3], 0 offset:144
	buffer_load_dword v107, off, s[0:3], 0 offset:148
	v_mov_b32_e32 v108, 0
	buffer_store_dword v108, off, s[0:3], 0 offset:144
	buffer_store_dword v108, off, s[0:3], 0 offset:148
	s_waitcnt vmcnt(2)
	ds_write_b64 v1, v[106:107]
.LBB51_283:
	s_or_b64 exec, exec, s[4:5]
	s_waitcnt lgkmcnt(0)
	; wave barrier
	s_waitcnt lgkmcnt(0)
	buffer_load_dword v106, off, s[0:3], 0 offset:144
	buffer_load_dword v107, off, s[0:3], 0 offset:148
	;; [unrolled: 1-line block ×16, first 2 shown]
	v_mov_b32_e32 v110, 0
	ds_read2_b64 v[112:115], v110 offset0:71 offset1:72
	v_cmp_lt_u32_e32 vcc, 17, v0
	s_waitcnt vmcnt(12) lgkmcnt(0)
	v_fma_f64 v[108:109], v[108:109], v[112:113], 0
	s_waitcnt vmcnt(10)
	v_fmac_f64_e32 v[108:109], v[116:117], v[114:115]
	ds_read2_b64 v[112:115], v110 offset0:73 offset1:74
	s_waitcnt vmcnt(8) lgkmcnt(0)
	v_fmac_f64_e32 v[108:109], v[118:119], v[112:113]
	s_waitcnt vmcnt(6)
	v_fmac_f64_e32 v[108:109], v[120:121], v[114:115]
	ds_read2_b64 v[112:115], v110 offset0:75 offset1:76
	s_waitcnt vmcnt(4) lgkmcnt(0)
	v_fmac_f64_e32 v[108:109], v[122:123], v[112:113]
	;; [unrolled: 5-line block ×3, first 2 shown]
	buffer_load_dword v113, off, s[0:3], 0 offset:212
	buffer_load_dword v112, off, s[0:3], 0 offset:208
	buffer_load_dword v117, off, s[0:3], 0 offset:220
	buffer_load_dword v116, off, s[0:3], 0 offset:216
	s_waitcnt vmcnt(2)
	v_fmac_f64_e32 v[108:109], v[112:113], v[114:115]
	ds_read2_b64 v[112:115], v110 offset0:79 offset1:80
	s_waitcnt vmcnt(0) lgkmcnt(0)
	v_fmac_f64_e32 v[108:109], v[116:117], v[112:113]
	buffer_load_dword v113, off, s[0:3], 0 offset:228
	buffer_load_dword v112, off, s[0:3], 0 offset:224
	buffer_load_dword v117, off, s[0:3], 0 offset:236
	buffer_load_dword v116, off, s[0:3], 0 offset:232
	s_waitcnt vmcnt(2)
	v_fmac_f64_e32 v[108:109], v[112:113], v[114:115]
	ds_read2_b64 v[112:115], v110 offset0:81 offset1:82
	s_waitcnt vmcnt(0) lgkmcnt(0)
	v_fmac_f64_e32 v[108:109], v[116:117], v[112:113]
	;; [unrolled: 9-line block ×12, first 2 shown]
	buffer_load_dword v113, off, s[0:3], 0 offset:404
	buffer_load_dword v112, off, s[0:3], 0 offset:400
	s_waitcnt vmcnt(0)
	v_fmac_f64_e32 v[108:109], v[112:113], v[114:115]
	buffer_load_dword v113, off, s[0:3], 0 offset:412
	buffer_load_dword v112, off, s[0:3], 0 offset:408
	ds_read_b64 v[114:115], v110 offset:824
	s_waitcnt vmcnt(0) lgkmcnt(0)
	v_fmac_f64_e32 v[108:109], v[112:113], v[114:115]
	v_add_f64 v[106:107], v[106:107], -v[108:109]
	buffer_store_dword v107, off, s[0:3], 0 offset:148
	buffer_store_dword v106, off, s[0:3], 0 offset:144
	s_and_saveexec_b64 s[4:5], vcc
	s_cbranch_execz .LBB51_285
; %bb.284:
	buffer_load_dword v106, off, s[0:3], 0 offset:136
	buffer_load_dword v107, off, s[0:3], 0 offset:140
	s_waitcnt vmcnt(0)
	ds_write_b64 v1, v[106:107]
	buffer_store_dword v110, off, s[0:3], 0 offset:136
	buffer_store_dword v110, off, s[0:3], 0 offset:140
.LBB51_285:
	s_or_b64 exec, exec, s[4:5]
	s_waitcnt lgkmcnt(0)
	; wave barrier
	s_waitcnt lgkmcnt(0)
	buffer_load_dword v106, off, s[0:3], 0 offset:136
	buffer_load_dword v107, off, s[0:3], 0 offset:140
	buffer_load_dword v108, off, s[0:3], 0 offset:144
	buffer_load_dword v109, off, s[0:3], 0 offset:148
	buffer_load_dword v128, off, s[0:3], 0 offset:152
	buffer_load_dword v129, off, s[0:3], 0 offset:156
	buffer_load_dword v130, off, s[0:3], 0 offset:160
	buffer_load_dword v131, off, s[0:3], 0 offset:164
	buffer_load_dword v132, off, s[0:3], 0 offset:168
	buffer_load_dword v133, off, s[0:3], 0 offset:172
	buffer_load_dword v134, off, s[0:3], 0 offset:176
	buffer_load_dword v135, off, s[0:3], 0 offset:180
	buffer_load_dword v136, off, s[0:3], 0 offset:184
	buffer_load_dword v137, off, s[0:3], 0 offset:188
	buffer_load_dword v138, off, s[0:3], 0 offset:192
	buffer_load_dword v139, off, s[0:3], 0 offset:196
	ds_read_b128 v[112:115], v110 offset:560
	ds_read_b128 v[116:119], v110 offset:576
	;; [unrolled: 1-line block ×4, first 2 shown]
	v_cmp_lt_u32_e32 vcc, 16, v0
	s_waitcnt vmcnt(12) lgkmcnt(3)
	v_fma_f64 v[108:109], v[108:109], v[112:113], 0
	buffer_load_dword v113, off, s[0:3], 0 offset:204
	buffer_load_dword v112, off, s[0:3], 0 offset:200
	s_waitcnt vmcnt(12)
	v_fmac_f64_e32 v[108:109], v[128:129], v[114:115]
	s_waitcnt vmcnt(10) lgkmcnt(2)
	v_fmac_f64_e32 v[108:109], v[130:131], v[116:117]
	buffer_load_dword v117, off, s[0:3], 0 offset:212
	buffer_load_dword v116, off, s[0:3], 0 offset:208
	s_waitcnt vmcnt(10)
	v_fmac_f64_e32 v[108:109], v[132:133], v[118:119]
	s_waitcnt vmcnt(8) lgkmcnt(1)
	v_fmac_f64_e32 v[108:109], v[134:135], v[120:121]
	s_waitcnt vmcnt(6)
	v_fmac_f64_e32 v[108:109], v[136:137], v[122:123]
	s_waitcnt vmcnt(4) lgkmcnt(0)
	v_fmac_f64_e32 v[108:109], v[138:139], v[124:125]
	s_waitcnt vmcnt(2)
	v_fmac_f64_e32 v[108:109], v[112:113], v[126:127]
	ds_read_b128 v[112:115], v110 offset:624
	s_waitcnt vmcnt(0) lgkmcnt(0)
	v_fmac_f64_e32 v[108:109], v[116:117], v[112:113]
	buffer_load_dword v113, off, s[0:3], 0 offset:220
	buffer_load_dword v112, off, s[0:3], 0 offset:216
	buffer_load_dword v117, off, s[0:3], 0 offset:228
	buffer_load_dword v116, off, s[0:3], 0 offset:224
	s_waitcnt vmcnt(2)
	v_fmac_f64_e32 v[108:109], v[112:113], v[114:115]
	ds_read_b128 v[112:115], v110 offset:640
	s_waitcnt vmcnt(0) lgkmcnt(0)
	v_fmac_f64_e32 v[108:109], v[116:117], v[112:113]
	buffer_load_dword v113, off, s[0:3], 0 offset:236
	buffer_load_dword v112, off, s[0:3], 0 offset:232
	buffer_load_dword v117, off, s[0:3], 0 offset:244
	buffer_load_dword v116, off, s[0:3], 0 offset:240
	s_waitcnt vmcnt(2)
	v_fmac_f64_e32 v[108:109], v[112:113], v[114:115]
	ds_read_b128 v[112:115], v110 offset:656
	s_waitcnt vmcnt(0) lgkmcnt(0)
	v_fmac_f64_e32 v[108:109], v[116:117], v[112:113]
	buffer_load_dword v113, off, s[0:3], 0 offset:252
	buffer_load_dword v112, off, s[0:3], 0 offset:248
	buffer_load_dword v117, off, s[0:3], 0 offset:260
	buffer_load_dword v116, off, s[0:3], 0 offset:256
	s_waitcnt vmcnt(2)
	v_fmac_f64_e32 v[108:109], v[112:113], v[114:115]
	ds_read_b128 v[112:115], v110 offset:672
	s_waitcnt vmcnt(0) lgkmcnt(0)
	v_fmac_f64_e32 v[108:109], v[116:117], v[112:113]
	buffer_load_dword v113, off, s[0:3], 0 offset:268
	buffer_load_dword v112, off, s[0:3], 0 offset:264
	buffer_load_dword v117, off, s[0:3], 0 offset:276
	buffer_load_dword v116, off, s[0:3], 0 offset:272
	s_waitcnt vmcnt(2)
	v_fmac_f64_e32 v[108:109], v[112:113], v[114:115]
	ds_read_b128 v[112:115], v110 offset:688
	s_waitcnt vmcnt(0) lgkmcnt(0)
	v_fmac_f64_e32 v[108:109], v[116:117], v[112:113]
	buffer_load_dword v113, off, s[0:3], 0 offset:284
	buffer_load_dword v112, off, s[0:3], 0 offset:280
	buffer_load_dword v117, off, s[0:3], 0 offset:292
	buffer_load_dword v116, off, s[0:3], 0 offset:288
	s_waitcnt vmcnt(2)
	v_fmac_f64_e32 v[108:109], v[112:113], v[114:115]
	ds_read_b128 v[112:115], v110 offset:704
	s_waitcnt vmcnt(0) lgkmcnt(0)
	v_fmac_f64_e32 v[108:109], v[116:117], v[112:113]
	buffer_load_dword v113, off, s[0:3], 0 offset:300
	buffer_load_dword v112, off, s[0:3], 0 offset:296
	buffer_load_dword v117, off, s[0:3], 0 offset:308
	buffer_load_dword v116, off, s[0:3], 0 offset:304
	s_waitcnt vmcnt(2)
	v_fmac_f64_e32 v[108:109], v[112:113], v[114:115]
	ds_read_b128 v[112:115], v110 offset:720
	s_waitcnt vmcnt(0) lgkmcnt(0)
	v_fmac_f64_e32 v[108:109], v[116:117], v[112:113]
	buffer_load_dword v113, off, s[0:3], 0 offset:316
	buffer_load_dword v112, off, s[0:3], 0 offset:312
	buffer_load_dword v117, off, s[0:3], 0 offset:324
	buffer_load_dword v116, off, s[0:3], 0 offset:320
	s_waitcnt vmcnt(2)
	v_fmac_f64_e32 v[108:109], v[112:113], v[114:115]
	ds_read_b128 v[112:115], v110 offset:736
	s_waitcnt vmcnt(0) lgkmcnt(0)
	v_fmac_f64_e32 v[108:109], v[116:117], v[112:113]
	buffer_load_dword v113, off, s[0:3], 0 offset:332
	buffer_load_dword v112, off, s[0:3], 0 offset:328
	buffer_load_dword v117, off, s[0:3], 0 offset:340
	buffer_load_dword v116, off, s[0:3], 0 offset:336
	s_waitcnt vmcnt(2)
	v_fmac_f64_e32 v[108:109], v[112:113], v[114:115]
	ds_read_b128 v[112:115], v110 offset:752
	s_waitcnt vmcnt(0) lgkmcnt(0)
	v_fmac_f64_e32 v[108:109], v[116:117], v[112:113]
	buffer_load_dword v113, off, s[0:3], 0 offset:348
	buffer_load_dword v112, off, s[0:3], 0 offset:344
	buffer_load_dword v117, off, s[0:3], 0 offset:356
	buffer_load_dword v116, off, s[0:3], 0 offset:352
	s_waitcnt vmcnt(2)
	v_fmac_f64_e32 v[108:109], v[112:113], v[114:115]
	ds_read_b128 v[112:115], v110 offset:768
	s_waitcnt vmcnt(0) lgkmcnt(0)
	v_fmac_f64_e32 v[108:109], v[116:117], v[112:113]
	buffer_load_dword v113, off, s[0:3], 0 offset:364
	buffer_load_dword v112, off, s[0:3], 0 offset:360
	buffer_load_dword v117, off, s[0:3], 0 offset:372
	buffer_load_dword v116, off, s[0:3], 0 offset:368
	s_waitcnt vmcnt(2)
	v_fmac_f64_e32 v[108:109], v[112:113], v[114:115]
	ds_read_b128 v[112:115], v110 offset:784
	s_waitcnt vmcnt(0) lgkmcnt(0)
	v_fmac_f64_e32 v[108:109], v[116:117], v[112:113]
	buffer_load_dword v113, off, s[0:3], 0 offset:380
	buffer_load_dword v112, off, s[0:3], 0 offset:376
	buffer_load_dword v117, off, s[0:3], 0 offset:388
	buffer_load_dword v116, off, s[0:3], 0 offset:384
	s_waitcnt vmcnt(2)
	v_fmac_f64_e32 v[108:109], v[112:113], v[114:115]
	ds_read_b128 v[112:115], v110 offset:800
	s_waitcnt vmcnt(0) lgkmcnt(0)
	v_fmac_f64_e32 v[108:109], v[116:117], v[112:113]
	buffer_load_dword v113, off, s[0:3], 0 offset:396
	buffer_load_dword v112, off, s[0:3], 0 offset:392
	s_waitcnt vmcnt(0)
	v_fmac_f64_e32 v[108:109], v[112:113], v[114:115]
	buffer_load_dword v115, off, s[0:3], 0 offset:404
	buffer_load_dword v114, off, s[0:3], 0 offset:400
	ds_read_b128 v[110:113], v110 offset:816
	s_waitcnt vmcnt(0) lgkmcnt(0)
	v_fmac_f64_e32 v[108:109], v[114:115], v[110:111]
	buffer_load_dword v111, off, s[0:3], 0 offset:412
	buffer_load_dword v110, off, s[0:3], 0 offset:408
	s_waitcnt vmcnt(0)
	v_fmac_f64_e32 v[108:109], v[110:111], v[112:113]
	v_add_f64 v[106:107], v[106:107], -v[108:109]
	buffer_store_dword v107, off, s[0:3], 0 offset:140
	buffer_store_dword v106, off, s[0:3], 0 offset:136
	s_and_saveexec_b64 s[4:5], vcc
	s_cbranch_execz .LBB51_287
; %bb.286:
	buffer_load_dword v106, off, s[0:3], 0 offset:128
	buffer_load_dword v107, off, s[0:3], 0 offset:132
	v_mov_b32_e32 v108, 0
	buffer_store_dword v108, off, s[0:3], 0 offset:128
	buffer_store_dword v108, off, s[0:3], 0 offset:132
	s_waitcnt vmcnt(2)
	ds_write_b64 v1, v[106:107]
.LBB51_287:
	s_or_b64 exec, exec, s[4:5]
	s_waitcnt lgkmcnt(0)
	; wave barrier
	s_waitcnt lgkmcnt(0)
	buffer_load_dword v106, off, s[0:3], 0 offset:128
	buffer_load_dword v107, off, s[0:3], 0 offset:132
	;; [unrolled: 1-line block ×16, first 2 shown]
	v_mov_b32_e32 v110, 0
	ds_read2_b64 v[112:115], v110 offset0:69 offset1:70
	v_cmp_lt_u32_e32 vcc, 15, v0
	s_waitcnt vmcnt(12) lgkmcnt(0)
	v_fma_f64 v[108:109], v[108:109], v[112:113], 0
	s_waitcnt vmcnt(10)
	v_fmac_f64_e32 v[108:109], v[116:117], v[114:115]
	ds_read2_b64 v[112:115], v110 offset0:71 offset1:72
	s_waitcnt vmcnt(8) lgkmcnt(0)
	v_fmac_f64_e32 v[108:109], v[118:119], v[112:113]
	s_waitcnt vmcnt(6)
	v_fmac_f64_e32 v[108:109], v[120:121], v[114:115]
	ds_read2_b64 v[112:115], v110 offset0:73 offset1:74
	s_waitcnt vmcnt(4) lgkmcnt(0)
	v_fmac_f64_e32 v[108:109], v[122:123], v[112:113]
	s_waitcnt vmcnt(2)
	v_fmac_f64_e32 v[108:109], v[124:125], v[114:115]
	ds_read2_b64 v[112:115], v110 offset0:75 offset1:76
	s_waitcnt vmcnt(0) lgkmcnt(0)
	v_fmac_f64_e32 v[108:109], v[126:127], v[112:113]
	buffer_load_dword v113, off, s[0:3], 0 offset:196
	buffer_load_dword v112, off, s[0:3], 0 offset:192
	buffer_load_dword v117, off, s[0:3], 0 offset:204
	buffer_load_dword v116, off, s[0:3], 0 offset:200
	s_waitcnt vmcnt(2)
	v_fmac_f64_e32 v[108:109], v[112:113], v[114:115]
	ds_read2_b64 v[112:115], v110 offset0:77 offset1:78
	s_waitcnt vmcnt(0) lgkmcnt(0)
	v_fmac_f64_e32 v[108:109], v[116:117], v[112:113]
	buffer_load_dword v113, off, s[0:3], 0 offset:212
	buffer_load_dword v112, off, s[0:3], 0 offset:208
	buffer_load_dword v117, off, s[0:3], 0 offset:220
	buffer_load_dword v116, off, s[0:3], 0 offset:216
	s_waitcnt vmcnt(2)
	v_fmac_f64_e32 v[108:109], v[112:113], v[114:115]
	ds_read2_b64 v[112:115], v110 offset0:79 offset1:80
	s_waitcnt vmcnt(0) lgkmcnt(0)
	v_fmac_f64_e32 v[108:109], v[116:117], v[112:113]
	;; [unrolled: 9-line block ×13, first 2 shown]
	buffer_load_dword v113, off, s[0:3], 0 offset:404
	buffer_load_dword v112, off, s[0:3], 0 offset:400
	s_waitcnt vmcnt(0)
	v_fmac_f64_e32 v[108:109], v[112:113], v[114:115]
	buffer_load_dword v113, off, s[0:3], 0 offset:412
	buffer_load_dword v112, off, s[0:3], 0 offset:408
	ds_read_b64 v[114:115], v110 offset:824
	s_waitcnt vmcnt(0) lgkmcnt(0)
	v_fmac_f64_e32 v[108:109], v[112:113], v[114:115]
	v_add_f64 v[106:107], v[106:107], -v[108:109]
	buffer_store_dword v107, off, s[0:3], 0 offset:132
	buffer_store_dword v106, off, s[0:3], 0 offset:128
	s_and_saveexec_b64 s[4:5], vcc
	s_cbranch_execz .LBB51_289
; %bb.288:
	buffer_load_dword v106, off, s[0:3], 0 offset:120
	buffer_load_dword v107, off, s[0:3], 0 offset:124
	s_waitcnt vmcnt(0)
	ds_write_b64 v1, v[106:107]
	buffer_store_dword v110, off, s[0:3], 0 offset:120
	buffer_store_dword v110, off, s[0:3], 0 offset:124
.LBB51_289:
	s_or_b64 exec, exec, s[4:5]
	s_waitcnt lgkmcnt(0)
	; wave barrier
	s_waitcnt lgkmcnt(0)
	buffer_load_dword v106, off, s[0:3], 0 offset:120
	buffer_load_dword v107, off, s[0:3], 0 offset:124
	;; [unrolled: 1-line block ×16, first 2 shown]
	ds_read_b128 v[112:115], v110 offset:544
	ds_read_b128 v[116:119], v110 offset:560
	;; [unrolled: 1-line block ×4, first 2 shown]
	v_cmp_lt_u32_e32 vcc, 14, v0
	s_waitcnt vmcnt(12) lgkmcnt(3)
	v_fma_f64 v[108:109], v[108:109], v[112:113], 0
	buffer_load_dword v113, off, s[0:3], 0 offset:188
	buffer_load_dword v112, off, s[0:3], 0 offset:184
	s_waitcnt vmcnt(12)
	v_fmac_f64_e32 v[108:109], v[128:129], v[114:115]
	s_waitcnt vmcnt(10) lgkmcnt(2)
	v_fmac_f64_e32 v[108:109], v[130:131], v[116:117]
	buffer_load_dword v117, off, s[0:3], 0 offset:196
	buffer_load_dword v116, off, s[0:3], 0 offset:192
	s_waitcnt vmcnt(10)
	v_fmac_f64_e32 v[108:109], v[132:133], v[118:119]
	s_waitcnt vmcnt(8) lgkmcnt(1)
	v_fmac_f64_e32 v[108:109], v[134:135], v[120:121]
	s_waitcnt vmcnt(6)
	v_fmac_f64_e32 v[108:109], v[136:137], v[122:123]
	s_waitcnt vmcnt(4) lgkmcnt(0)
	v_fmac_f64_e32 v[108:109], v[138:139], v[124:125]
	s_waitcnt vmcnt(2)
	v_fmac_f64_e32 v[108:109], v[112:113], v[126:127]
	ds_read_b128 v[112:115], v110 offset:608
	s_waitcnt vmcnt(0) lgkmcnt(0)
	v_fmac_f64_e32 v[108:109], v[116:117], v[112:113]
	buffer_load_dword v113, off, s[0:3], 0 offset:204
	buffer_load_dword v112, off, s[0:3], 0 offset:200
	buffer_load_dword v117, off, s[0:3], 0 offset:212
	buffer_load_dword v116, off, s[0:3], 0 offset:208
	s_waitcnt vmcnt(2)
	v_fmac_f64_e32 v[108:109], v[112:113], v[114:115]
	ds_read_b128 v[112:115], v110 offset:624
	s_waitcnt vmcnt(0) lgkmcnt(0)
	v_fmac_f64_e32 v[108:109], v[116:117], v[112:113]
	buffer_load_dword v113, off, s[0:3], 0 offset:220
	buffer_load_dword v112, off, s[0:3], 0 offset:216
	buffer_load_dword v117, off, s[0:3], 0 offset:228
	buffer_load_dword v116, off, s[0:3], 0 offset:224
	;; [unrolled: 9-line block ×12, first 2 shown]
	s_waitcnt vmcnt(2)
	v_fmac_f64_e32 v[108:109], v[112:113], v[114:115]
	ds_read_b128 v[112:115], v110 offset:800
	s_waitcnt vmcnt(0) lgkmcnt(0)
	v_fmac_f64_e32 v[108:109], v[116:117], v[112:113]
	buffer_load_dword v113, off, s[0:3], 0 offset:396
	buffer_load_dword v112, off, s[0:3], 0 offset:392
	s_waitcnt vmcnt(0)
	v_fmac_f64_e32 v[108:109], v[112:113], v[114:115]
	buffer_load_dword v115, off, s[0:3], 0 offset:404
	buffer_load_dword v114, off, s[0:3], 0 offset:400
	ds_read_b128 v[110:113], v110 offset:816
	s_waitcnt vmcnt(0) lgkmcnt(0)
	v_fmac_f64_e32 v[108:109], v[114:115], v[110:111]
	buffer_load_dword v111, off, s[0:3], 0 offset:412
	buffer_load_dword v110, off, s[0:3], 0 offset:408
	s_waitcnt vmcnt(0)
	v_fmac_f64_e32 v[108:109], v[110:111], v[112:113]
	v_add_f64 v[106:107], v[106:107], -v[108:109]
	buffer_store_dword v107, off, s[0:3], 0 offset:124
	buffer_store_dword v106, off, s[0:3], 0 offset:120
	s_and_saveexec_b64 s[4:5], vcc
	s_cbranch_execz .LBB51_291
; %bb.290:
	buffer_load_dword v106, off, s[0:3], 0 offset:112
	buffer_load_dword v107, off, s[0:3], 0 offset:116
	v_mov_b32_e32 v108, 0
	buffer_store_dword v108, off, s[0:3], 0 offset:112
	buffer_store_dword v108, off, s[0:3], 0 offset:116
	s_waitcnt vmcnt(2)
	ds_write_b64 v1, v[106:107]
.LBB51_291:
	s_or_b64 exec, exec, s[4:5]
	s_waitcnt lgkmcnt(0)
	; wave barrier
	s_waitcnt lgkmcnt(0)
	buffer_load_dword v106, off, s[0:3], 0 offset:112
	buffer_load_dword v107, off, s[0:3], 0 offset:116
	;; [unrolled: 1-line block ×16, first 2 shown]
	v_mov_b32_e32 v110, 0
	ds_read2_b64 v[112:115], v110 offset0:67 offset1:68
	v_cmp_lt_u32_e32 vcc, 13, v0
	s_waitcnt vmcnt(12) lgkmcnt(0)
	v_fma_f64 v[108:109], v[108:109], v[112:113], 0
	s_waitcnt vmcnt(10)
	v_fmac_f64_e32 v[108:109], v[116:117], v[114:115]
	ds_read2_b64 v[112:115], v110 offset0:69 offset1:70
	s_waitcnt vmcnt(8) lgkmcnt(0)
	v_fmac_f64_e32 v[108:109], v[118:119], v[112:113]
	s_waitcnt vmcnt(6)
	v_fmac_f64_e32 v[108:109], v[120:121], v[114:115]
	ds_read2_b64 v[112:115], v110 offset0:71 offset1:72
	s_waitcnt vmcnt(4) lgkmcnt(0)
	v_fmac_f64_e32 v[108:109], v[122:123], v[112:113]
	;; [unrolled: 5-line block ×3, first 2 shown]
	buffer_load_dword v113, off, s[0:3], 0 offset:180
	buffer_load_dword v112, off, s[0:3], 0 offset:176
	buffer_load_dword v117, off, s[0:3], 0 offset:188
	buffer_load_dword v116, off, s[0:3], 0 offset:184
	s_waitcnt vmcnt(2)
	v_fmac_f64_e32 v[108:109], v[112:113], v[114:115]
	ds_read2_b64 v[112:115], v110 offset0:75 offset1:76
	s_waitcnt vmcnt(0) lgkmcnt(0)
	v_fmac_f64_e32 v[108:109], v[116:117], v[112:113]
	buffer_load_dword v113, off, s[0:3], 0 offset:196
	buffer_load_dword v112, off, s[0:3], 0 offset:192
	buffer_load_dword v117, off, s[0:3], 0 offset:204
	buffer_load_dword v116, off, s[0:3], 0 offset:200
	s_waitcnt vmcnt(2)
	v_fmac_f64_e32 v[108:109], v[112:113], v[114:115]
	ds_read2_b64 v[112:115], v110 offset0:77 offset1:78
	s_waitcnt vmcnt(0) lgkmcnt(0)
	v_fmac_f64_e32 v[108:109], v[116:117], v[112:113]
	;; [unrolled: 9-line block ×14, first 2 shown]
	buffer_load_dword v113, off, s[0:3], 0 offset:404
	buffer_load_dword v112, off, s[0:3], 0 offset:400
	s_waitcnt vmcnt(0)
	v_fmac_f64_e32 v[108:109], v[112:113], v[114:115]
	buffer_load_dword v113, off, s[0:3], 0 offset:412
	buffer_load_dword v112, off, s[0:3], 0 offset:408
	ds_read_b64 v[114:115], v110 offset:824
	s_waitcnt vmcnt(0) lgkmcnt(0)
	v_fmac_f64_e32 v[108:109], v[112:113], v[114:115]
	v_add_f64 v[106:107], v[106:107], -v[108:109]
	buffer_store_dword v107, off, s[0:3], 0 offset:116
	buffer_store_dword v106, off, s[0:3], 0 offset:112
	s_and_saveexec_b64 s[4:5], vcc
	s_cbranch_execz .LBB51_293
; %bb.292:
	buffer_load_dword v106, off, s[0:3], 0 offset:104
	buffer_load_dword v107, off, s[0:3], 0 offset:108
	s_waitcnt vmcnt(0)
	ds_write_b64 v1, v[106:107]
	buffer_store_dword v110, off, s[0:3], 0 offset:104
	buffer_store_dword v110, off, s[0:3], 0 offset:108
.LBB51_293:
	s_or_b64 exec, exec, s[4:5]
	s_waitcnt lgkmcnt(0)
	; wave barrier
	s_waitcnt lgkmcnt(0)
	buffer_load_dword v106, off, s[0:3], 0 offset:104
	buffer_load_dword v107, off, s[0:3], 0 offset:108
	buffer_load_dword v108, off, s[0:3], 0 offset:112
	buffer_load_dword v109, off, s[0:3], 0 offset:116
	buffer_load_dword v128, off, s[0:3], 0 offset:120
	buffer_load_dword v129, off, s[0:3], 0 offset:124
	buffer_load_dword v130, off, s[0:3], 0 offset:128
	buffer_load_dword v131, off, s[0:3], 0 offset:132
	buffer_load_dword v132, off, s[0:3], 0 offset:136
	buffer_load_dword v133, off, s[0:3], 0 offset:140
	buffer_load_dword v134, off, s[0:3], 0 offset:144
	buffer_load_dword v135, off, s[0:3], 0 offset:148
	buffer_load_dword v136, off, s[0:3], 0 offset:152
	buffer_load_dword v137, off, s[0:3], 0 offset:156
	buffer_load_dword v138, off, s[0:3], 0 offset:160
	buffer_load_dword v139, off, s[0:3], 0 offset:164
	ds_read_b128 v[112:115], v110 offset:528
	ds_read_b128 v[116:119], v110 offset:544
	;; [unrolled: 1-line block ×4, first 2 shown]
	v_cmp_lt_u32_e32 vcc, 12, v0
	s_waitcnt vmcnt(12) lgkmcnt(3)
	v_fma_f64 v[108:109], v[108:109], v[112:113], 0
	buffer_load_dword v113, off, s[0:3], 0 offset:172
	buffer_load_dword v112, off, s[0:3], 0 offset:168
	s_waitcnt vmcnt(12)
	v_fmac_f64_e32 v[108:109], v[128:129], v[114:115]
	s_waitcnt vmcnt(10) lgkmcnt(2)
	v_fmac_f64_e32 v[108:109], v[130:131], v[116:117]
	buffer_load_dword v117, off, s[0:3], 0 offset:180
	buffer_load_dword v116, off, s[0:3], 0 offset:176
	s_waitcnt vmcnt(10)
	v_fmac_f64_e32 v[108:109], v[132:133], v[118:119]
	s_waitcnt vmcnt(8) lgkmcnt(1)
	v_fmac_f64_e32 v[108:109], v[134:135], v[120:121]
	s_waitcnt vmcnt(6)
	v_fmac_f64_e32 v[108:109], v[136:137], v[122:123]
	s_waitcnt vmcnt(4) lgkmcnt(0)
	v_fmac_f64_e32 v[108:109], v[138:139], v[124:125]
	s_waitcnt vmcnt(2)
	v_fmac_f64_e32 v[108:109], v[112:113], v[126:127]
	ds_read_b128 v[112:115], v110 offset:592
	s_waitcnt vmcnt(0) lgkmcnt(0)
	v_fmac_f64_e32 v[108:109], v[116:117], v[112:113]
	buffer_load_dword v113, off, s[0:3], 0 offset:188
	buffer_load_dword v112, off, s[0:3], 0 offset:184
	buffer_load_dword v117, off, s[0:3], 0 offset:196
	buffer_load_dword v116, off, s[0:3], 0 offset:192
	s_waitcnt vmcnt(2)
	v_fmac_f64_e32 v[108:109], v[112:113], v[114:115]
	ds_read_b128 v[112:115], v110 offset:608
	s_waitcnt vmcnt(0) lgkmcnt(0)
	v_fmac_f64_e32 v[108:109], v[116:117], v[112:113]
	buffer_load_dword v113, off, s[0:3], 0 offset:204
	buffer_load_dword v112, off, s[0:3], 0 offset:200
	buffer_load_dword v117, off, s[0:3], 0 offset:212
	buffer_load_dword v116, off, s[0:3], 0 offset:208
	;; [unrolled: 9-line block ×13, first 2 shown]
	s_waitcnt vmcnt(2)
	v_fmac_f64_e32 v[108:109], v[112:113], v[114:115]
	ds_read_b128 v[112:115], v110 offset:800
	s_waitcnt vmcnt(0) lgkmcnt(0)
	v_fmac_f64_e32 v[108:109], v[116:117], v[112:113]
	buffer_load_dword v113, off, s[0:3], 0 offset:396
	buffer_load_dword v112, off, s[0:3], 0 offset:392
	s_waitcnt vmcnt(0)
	v_fmac_f64_e32 v[108:109], v[112:113], v[114:115]
	buffer_load_dword v115, off, s[0:3], 0 offset:404
	buffer_load_dword v114, off, s[0:3], 0 offset:400
	ds_read_b128 v[110:113], v110 offset:816
	s_waitcnt vmcnt(0) lgkmcnt(0)
	v_fmac_f64_e32 v[108:109], v[114:115], v[110:111]
	buffer_load_dword v111, off, s[0:3], 0 offset:412
	buffer_load_dword v110, off, s[0:3], 0 offset:408
	s_waitcnt vmcnt(0)
	v_fmac_f64_e32 v[108:109], v[110:111], v[112:113]
	v_add_f64 v[106:107], v[106:107], -v[108:109]
	buffer_store_dword v107, off, s[0:3], 0 offset:108
	buffer_store_dword v106, off, s[0:3], 0 offset:104
	s_and_saveexec_b64 s[4:5], vcc
	s_cbranch_execz .LBB51_295
; %bb.294:
	buffer_load_dword v106, off, s[0:3], 0 offset:96
	buffer_load_dword v107, off, s[0:3], 0 offset:100
	v_mov_b32_e32 v108, 0
	buffer_store_dword v108, off, s[0:3], 0 offset:96
	buffer_store_dword v108, off, s[0:3], 0 offset:100
	s_waitcnt vmcnt(2)
	ds_write_b64 v1, v[106:107]
.LBB51_295:
	s_or_b64 exec, exec, s[4:5]
	s_waitcnt lgkmcnt(0)
	; wave barrier
	s_waitcnt lgkmcnt(0)
	buffer_load_dword v106, off, s[0:3], 0 offset:96
	buffer_load_dword v107, off, s[0:3], 0 offset:100
	;; [unrolled: 1-line block ×16, first 2 shown]
	v_mov_b32_e32 v110, 0
	ds_read2_b64 v[112:115], v110 offset0:65 offset1:66
	v_cmp_lt_u32_e32 vcc, 11, v0
	s_waitcnt vmcnt(12) lgkmcnt(0)
	v_fma_f64 v[108:109], v[108:109], v[112:113], 0
	s_waitcnt vmcnt(10)
	v_fmac_f64_e32 v[108:109], v[116:117], v[114:115]
	ds_read2_b64 v[112:115], v110 offset0:67 offset1:68
	s_waitcnt vmcnt(8) lgkmcnt(0)
	v_fmac_f64_e32 v[108:109], v[118:119], v[112:113]
	s_waitcnt vmcnt(6)
	v_fmac_f64_e32 v[108:109], v[120:121], v[114:115]
	ds_read2_b64 v[112:115], v110 offset0:69 offset1:70
	s_waitcnt vmcnt(4) lgkmcnt(0)
	v_fmac_f64_e32 v[108:109], v[122:123], v[112:113]
	;; [unrolled: 5-line block ×3, first 2 shown]
	buffer_load_dword v113, off, s[0:3], 0 offset:164
	buffer_load_dword v112, off, s[0:3], 0 offset:160
	buffer_load_dword v117, off, s[0:3], 0 offset:172
	buffer_load_dword v116, off, s[0:3], 0 offset:168
	s_waitcnt vmcnt(2)
	v_fmac_f64_e32 v[108:109], v[112:113], v[114:115]
	ds_read2_b64 v[112:115], v110 offset0:73 offset1:74
	s_waitcnt vmcnt(0) lgkmcnt(0)
	v_fmac_f64_e32 v[108:109], v[116:117], v[112:113]
	buffer_load_dword v113, off, s[0:3], 0 offset:180
	buffer_load_dword v112, off, s[0:3], 0 offset:176
	buffer_load_dword v117, off, s[0:3], 0 offset:188
	buffer_load_dword v116, off, s[0:3], 0 offset:184
	s_waitcnt vmcnt(2)
	v_fmac_f64_e32 v[108:109], v[112:113], v[114:115]
	ds_read2_b64 v[112:115], v110 offset0:75 offset1:76
	s_waitcnt vmcnt(0) lgkmcnt(0)
	v_fmac_f64_e32 v[108:109], v[116:117], v[112:113]
	;; [unrolled: 9-line block ×15, first 2 shown]
	buffer_load_dword v113, off, s[0:3], 0 offset:404
	buffer_load_dword v112, off, s[0:3], 0 offset:400
	s_waitcnt vmcnt(0)
	v_fmac_f64_e32 v[108:109], v[112:113], v[114:115]
	buffer_load_dword v113, off, s[0:3], 0 offset:412
	buffer_load_dword v112, off, s[0:3], 0 offset:408
	ds_read_b64 v[114:115], v110 offset:824
	s_waitcnt vmcnt(0) lgkmcnt(0)
	v_fmac_f64_e32 v[108:109], v[112:113], v[114:115]
	v_add_f64 v[106:107], v[106:107], -v[108:109]
	buffer_store_dword v107, off, s[0:3], 0 offset:100
	buffer_store_dword v106, off, s[0:3], 0 offset:96
	s_and_saveexec_b64 s[4:5], vcc
	s_cbranch_execz .LBB51_297
; %bb.296:
	buffer_load_dword v106, off, s[0:3], 0 offset:88
	buffer_load_dword v107, off, s[0:3], 0 offset:92
	s_waitcnt vmcnt(0)
	ds_write_b64 v1, v[106:107]
	buffer_store_dword v110, off, s[0:3], 0 offset:88
	buffer_store_dword v110, off, s[0:3], 0 offset:92
.LBB51_297:
	s_or_b64 exec, exec, s[4:5]
	s_waitcnt lgkmcnt(0)
	; wave barrier
	s_waitcnt lgkmcnt(0)
	buffer_load_dword v106, off, s[0:3], 0 offset:88
	buffer_load_dword v107, off, s[0:3], 0 offset:92
	;; [unrolled: 1-line block ×16, first 2 shown]
	ds_read_b128 v[112:115], v110 offset:512
	ds_read_b128 v[116:119], v110 offset:528
	;; [unrolled: 1-line block ×4, first 2 shown]
	v_cmp_lt_u32_e32 vcc, 10, v0
	s_waitcnt vmcnt(12) lgkmcnt(3)
	v_fma_f64 v[108:109], v[108:109], v[112:113], 0
	buffer_load_dword v113, off, s[0:3], 0 offset:156
	buffer_load_dword v112, off, s[0:3], 0 offset:152
	s_waitcnt vmcnt(12)
	v_fmac_f64_e32 v[108:109], v[128:129], v[114:115]
	s_waitcnt vmcnt(10) lgkmcnt(2)
	v_fmac_f64_e32 v[108:109], v[130:131], v[116:117]
	buffer_load_dword v117, off, s[0:3], 0 offset:164
	buffer_load_dword v116, off, s[0:3], 0 offset:160
	s_waitcnt vmcnt(10)
	v_fmac_f64_e32 v[108:109], v[132:133], v[118:119]
	s_waitcnt vmcnt(8) lgkmcnt(1)
	v_fmac_f64_e32 v[108:109], v[134:135], v[120:121]
	s_waitcnt vmcnt(6)
	v_fmac_f64_e32 v[108:109], v[136:137], v[122:123]
	s_waitcnt vmcnt(4) lgkmcnt(0)
	v_fmac_f64_e32 v[108:109], v[138:139], v[124:125]
	s_waitcnt vmcnt(2)
	v_fmac_f64_e32 v[108:109], v[112:113], v[126:127]
	ds_read_b128 v[112:115], v110 offset:576
	s_waitcnt vmcnt(0) lgkmcnt(0)
	v_fmac_f64_e32 v[108:109], v[116:117], v[112:113]
	buffer_load_dword v113, off, s[0:3], 0 offset:172
	buffer_load_dword v112, off, s[0:3], 0 offset:168
	buffer_load_dword v117, off, s[0:3], 0 offset:180
	buffer_load_dword v116, off, s[0:3], 0 offset:176
	s_waitcnt vmcnt(2)
	v_fmac_f64_e32 v[108:109], v[112:113], v[114:115]
	ds_read_b128 v[112:115], v110 offset:592
	s_waitcnt vmcnt(0) lgkmcnt(0)
	v_fmac_f64_e32 v[108:109], v[116:117], v[112:113]
	buffer_load_dword v113, off, s[0:3], 0 offset:188
	buffer_load_dword v112, off, s[0:3], 0 offset:184
	buffer_load_dword v117, off, s[0:3], 0 offset:196
	buffer_load_dword v116, off, s[0:3], 0 offset:192
	;; [unrolled: 9-line block ×14, first 2 shown]
	s_waitcnt vmcnt(2)
	v_fmac_f64_e32 v[108:109], v[112:113], v[114:115]
	ds_read_b128 v[112:115], v110 offset:800
	s_waitcnt vmcnt(0) lgkmcnt(0)
	v_fmac_f64_e32 v[108:109], v[116:117], v[112:113]
	buffer_load_dword v113, off, s[0:3], 0 offset:396
	buffer_load_dword v112, off, s[0:3], 0 offset:392
	s_waitcnt vmcnt(0)
	v_fmac_f64_e32 v[108:109], v[112:113], v[114:115]
	buffer_load_dword v115, off, s[0:3], 0 offset:404
	buffer_load_dword v114, off, s[0:3], 0 offset:400
	ds_read_b128 v[110:113], v110 offset:816
	s_waitcnt vmcnt(0) lgkmcnt(0)
	v_fmac_f64_e32 v[108:109], v[114:115], v[110:111]
	buffer_load_dword v111, off, s[0:3], 0 offset:412
	buffer_load_dword v110, off, s[0:3], 0 offset:408
	s_waitcnt vmcnt(0)
	v_fmac_f64_e32 v[108:109], v[110:111], v[112:113]
	v_add_f64 v[106:107], v[106:107], -v[108:109]
	buffer_store_dword v107, off, s[0:3], 0 offset:92
	buffer_store_dword v106, off, s[0:3], 0 offset:88
	s_and_saveexec_b64 s[4:5], vcc
	s_cbranch_execz .LBB51_299
; %bb.298:
	buffer_load_dword v106, off, s[0:3], 0 offset:80
	buffer_load_dword v107, off, s[0:3], 0 offset:84
	v_mov_b32_e32 v108, 0
	buffer_store_dword v108, off, s[0:3], 0 offset:80
	buffer_store_dword v108, off, s[0:3], 0 offset:84
	s_waitcnt vmcnt(2)
	ds_write_b64 v1, v[106:107]
.LBB51_299:
	s_or_b64 exec, exec, s[4:5]
	s_waitcnt lgkmcnt(0)
	; wave barrier
	s_waitcnt lgkmcnt(0)
	buffer_load_dword v106, off, s[0:3], 0 offset:80
	buffer_load_dword v107, off, s[0:3], 0 offset:84
	;; [unrolled: 1-line block ×16, first 2 shown]
	v_mov_b32_e32 v110, 0
	ds_read2_b64 v[112:115], v110 offset0:63 offset1:64
	v_cmp_lt_u32_e32 vcc, 9, v0
	s_waitcnt vmcnt(12) lgkmcnt(0)
	v_fma_f64 v[108:109], v[108:109], v[112:113], 0
	s_waitcnt vmcnt(10)
	v_fmac_f64_e32 v[108:109], v[116:117], v[114:115]
	ds_read2_b64 v[112:115], v110 offset0:65 offset1:66
	s_waitcnt vmcnt(8) lgkmcnt(0)
	v_fmac_f64_e32 v[108:109], v[118:119], v[112:113]
	s_waitcnt vmcnt(6)
	v_fmac_f64_e32 v[108:109], v[120:121], v[114:115]
	ds_read2_b64 v[112:115], v110 offset0:67 offset1:68
	s_waitcnt vmcnt(4) lgkmcnt(0)
	v_fmac_f64_e32 v[108:109], v[122:123], v[112:113]
	;; [unrolled: 5-line block ×3, first 2 shown]
	buffer_load_dword v113, off, s[0:3], 0 offset:148
	buffer_load_dword v112, off, s[0:3], 0 offset:144
	buffer_load_dword v117, off, s[0:3], 0 offset:156
	buffer_load_dword v116, off, s[0:3], 0 offset:152
	s_waitcnt vmcnt(2)
	v_fmac_f64_e32 v[108:109], v[112:113], v[114:115]
	ds_read2_b64 v[112:115], v110 offset0:71 offset1:72
	s_waitcnt vmcnt(0) lgkmcnt(0)
	v_fmac_f64_e32 v[108:109], v[116:117], v[112:113]
	buffer_load_dword v113, off, s[0:3], 0 offset:164
	buffer_load_dword v112, off, s[0:3], 0 offset:160
	buffer_load_dword v117, off, s[0:3], 0 offset:172
	buffer_load_dword v116, off, s[0:3], 0 offset:168
	s_waitcnt vmcnt(2)
	v_fmac_f64_e32 v[108:109], v[112:113], v[114:115]
	ds_read2_b64 v[112:115], v110 offset0:73 offset1:74
	s_waitcnt vmcnt(0) lgkmcnt(0)
	v_fmac_f64_e32 v[108:109], v[116:117], v[112:113]
	;; [unrolled: 9-line block ×16, first 2 shown]
	buffer_load_dword v113, off, s[0:3], 0 offset:404
	buffer_load_dword v112, off, s[0:3], 0 offset:400
	s_waitcnt vmcnt(0)
	v_fmac_f64_e32 v[108:109], v[112:113], v[114:115]
	buffer_load_dword v113, off, s[0:3], 0 offset:412
	buffer_load_dword v112, off, s[0:3], 0 offset:408
	ds_read_b64 v[114:115], v110 offset:824
	s_waitcnt vmcnt(0) lgkmcnt(0)
	v_fmac_f64_e32 v[108:109], v[112:113], v[114:115]
	v_add_f64 v[106:107], v[106:107], -v[108:109]
	buffer_store_dword v107, off, s[0:3], 0 offset:84
	buffer_store_dword v106, off, s[0:3], 0 offset:80
	s_and_saveexec_b64 s[4:5], vcc
	s_cbranch_execz .LBB51_301
; %bb.300:
	buffer_load_dword v106, off, s[0:3], 0 offset:72
	buffer_load_dword v107, off, s[0:3], 0 offset:76
	s_waitcnt vmcnt(0)
	ds_write_b64 v1, v[106:107]
	buffer_store_dword v110, off, s[0:3], 0 offset:72
	buffer_store_dword v110, off, s[0:3], 0 offset:76
.LBB51_301:
	s_or_b64 exec, exec, s[4:5]
	s_waitcnt lgkmcnt(0)
	; wave barrier
	s_waitcnt lgkmcnt(0)
	buffer_load_dword v106, off, s[0:3], 0 offset:72
	buffer_load_dword v107, off, s[0:3], 0 offset:76
	;; [unrolled: 1-line block ×16, first 2 shown]
	ds_read_b128 v[112:115], v110 offset:496
	ds_read_b128 v[116:119], v110 offset:512
	ds_read_b128 v[120:123], v110 offset:528
	ds_read_b128 v[124:127], v110 offset:544
	v_cmp_lt_u32_e32 vcc, 8, v0
	s_waitcnt vmcnt(12) lgkmcnt(3)
	v_fma_f64 v[108:109], v[108:109], v[112:113], 0
	buffer_load_dword v113, off, s[0:3], 0 offset:140
	buffer_load_dword v112, off, s[0:3], 0 offset:136
	s_waitcnt vmcnt(12)
	v_fmac_f64_e32 v[108:109], v[128:129], v[114:115]
	s_waitcnt vmcnt(10) lgkmcnt(2)
	v_fmac_f64_e32 v[108:109], v[130:131], v[116:117]
	buffer_load_dword v117, off, s[0:3], 0 offset:148
	buffer_load_dword v116, off, s[0:3], 0 offset:144
	s_waitcnt vmcnt(10)
	v_fmac_f64_e32 v[108:109], v[132:133], v[118:119]
	s_waitcnt vmcnt(8) lgkmcnt(1)
	v_fmac_f64_e32 v[108:109], v[134:135], v[120:121]
	s_waitcnt vmcnt(6)
	v_fmac_f64_e32 v[108:109], v[136:137], v[122:123]
	s_waitcnt vmcnt(4) lgkmcnt(0)
	v_fmac_f64_e32 v[108:109], v[138:139], v[124:125]
	s_waitcnt vmcnt(2)
	v_fmac_f64_e32 v[108:109], v[112:113], v[126:127]
	ds_read_b128 v[112:115], v110 offset:560
	s_waitcnt vmcnt(0) lgkmcnt(0)
	v_fmac_f64_e32 v[108:109], v[116:117], v[112:113]
	buffer_load_dword v113, off, s[0:3], 0 offset:156
	buffer_load_dword v112, off, s[0:3], 0 offset:152
	buffer_load_dword v117, off, s[0:3], 0 offset:164
	buffer_load_dword v116, off, s[0:3], 0 offset:160
	s_waitcnt vmcnt(2)
	v_fmac_f64_e32 v[108:109], v[112:113], v[114:115]
	ds_read_b128 v[112:115], v110 offset:576
	s_waitcnt vmcnt(0) lgkmcnt(0)
	v_fmac_f64_e32 v[108:109], v[116:117], v[112:113]
	buffer_load_dword v113, off, s[0:3], 0 offset:172
	buffer_load_dword v112, off, s[0:3], 0 offset:168
	buffer_load_dword v117, off, s[0:3], 0 offset:180
	buffer_load_dword v116, off, s[0:3], 0 offset:176
	;; [unrolled: 9-line block ×15, first 2 shown]
	s_waitcnt vmcnt(2)
	v_fmac_f64_e32 v[108:109], v[112:113], v[114:115]
	ds_read_b128 v[112:115], v110 offset:800
	s_waitcnt vmcnt(0) lgkmcnt(0)
	v_fmac_f64_e32 v[108:109], v[116:117], v[112:113]
	buffer_load_dword v113, off, s[0:3], 0 offset:396
	buffer_load_dword v112, off, s[0:3], 0 offset:392
	s_waitcnt vmcnt(0)
	v_fmac_f64_e32 v[108:109], v[112:113], v[114:115]
	buffer_load_dword v115, off, s[0:3], 0 offset:404
	buffer_load_dword v114, off, s[0:3], 0 offset:400
	ds_read_b128 v[110:113], v110 offset:816
	s_waitcnt vmcnt(0) lgkmcnt(0)
	v_fmac_f64_e32 v[108:109], v[114:115], v[110:111]
	buffer_load_dword v111, off, s[0:3], 0 offset:412
	buffer_load_dword v110, off, s[0:3], 0 offset:408
	s_waitcnt vmcnt(0)
	v_fmac_f64_e32 v[108:109], v[110:111], v[112:113]
	v_add_f64 v[106:107], v[106:107], -v[108:109]
	buffer_store_dword v107, off, s[0:3], 0 offset:76
	buffer_store_dword v106, off, s[0:3], 0 offset:72
	s_and_saveexec_b64 s[4:5], vcc
	s_cbranch_execz .LBB51_303
; %bb.302:
	buffer_load_dword v106, off, s[0:3], 0 offset:64
	buffer_load_dword v107, off, s[0:3], 0 offset:68
	v_mov_b32_e32 v108, 0
	buffer_store_dword v108, off, s[0:3], 0 offset:64
	buffer_store_dword v108, off, s[0:3], 0 offset:68
	s_waitcnt vmcnt(2)
	ds_write_b64 v1, v[106:107]
.LBB51_303:
	s_or_b64 exec, exec, s[4:5]
	s_waitcnt lgkmcnt(0)
	; wave barrier
	s_waitcnt lgkmcnt(0)
	buffer_load_dword v106, off, s[0:3], 0 offset:64
	buffer_load_dword v107, off, s[0:3], 0 offset:68
	;; [unrolled: 1-line block ×16, first 2 shown]
	v_mov_b32_e32 v110, 0
	ds_read2_b64 v[112:115], v110 offset0:61 offset1:62
	v_cmp_lt_u32_e32 vcc, 7, v0
	s_waitcnt vmcnt(12) lgkmcnt(0)
	v_fma_f64 v[108:109], v[108:109], v[112:113], 0
	s_waitcnt vmcnt(10)
	v_fmac_f64_e32 v[108:109], v[116:117], v[114:115]
	ds_read2_b64 v[112:115], v110 offset0:63 offset1:64
	s_waitcnt vmcnt(8) lgkmcnt(0)
	v_fmac_f64_e32 v[108:109], v[118:119], v[112:113]
	s_waitcnt vmcnt(6)
	v_fmac_f64_e32 v[108:109], v[120:121], v[114:115]
	ds_read2_b64 v[112:115], v110 offset0:65 offset1:66
	s_waitcnt vmcnt(4) lgkmcnt(0)
	v_fmac_f64_e32 v[108:109], v[122:123], v[112:113]
	;; [unrolled: 5-line block ×3, first 2 shown]
	buffer_load_dword v113, off, s[0:3], 0 offset:132
	buffer_load_dword v112, off, s[0:3], 0 offset:128
	buffer_load_dword v117, off, s[0:3], 0 offset:140
	buffer_load_dword v116, off, s[0:3], 0 offset:136
	s_waitcnt vmcnt(2)
	v_fmac_f64_e32 v[108:109], v[112:113], v[114:115]
	ds_read2_b64 v[112:115], v110 offset0:69 offset1:70
	s_waitcnt vmcnt(0) lgkmcnt(0)
	v_fmac_f64_e32 v[108:109], v[116:117], v[112:113]
	buffer_load_dword v113, off, s[0:3], 0 offset:148
	buffer_load_dword v112, off, s[0:3], 0 offset:144
	buffer_load_dword v117, off, s[0:3], 0 offset:156
	buffer_load_dword v116, off, s[0:3], 0 offset:152
	s_waitcnt vmcnt(2)
	v_fmac_f64_e32 v[108:109], v[112:113], v[114:115]
	ds_read2_b64 v[112:115], v110 offset0:71 offset1:72
	s_waitcnt vmcnt(0) lgkmcnt(0)
	v_fmac_f64_e32 v[108:109], v[116:117], v[112:113]
	;; [unrolled: 9-line block ×17, first 2 shown]
	buffer_load_dword v113, off, s[0:3], 0 offset:404
	buffer_load_dword v112, off, s[0:3], 0 offset:400
	s_waitcnt vmcnt(0)
	v_fmac_f64_e32 v[108:109], v[112:113], v[114:115]
	buffer_load_dword v113, off, s[0:3], 0 offset:412
	buffer_load_dword v112, off, s[0:3], 0 offset:408
	ds_read_b64 v[114:115], v110 offset:824
	s_waitcnt vmcnt(0) lgkmcnt(0)
	v_fmac_f64_e32 v[108:109], v[112:113], v[114:115]
	v_add_f64 v[106:107], v[106:107], -v[108:109]
	buffer_store_dword v107, off, s[0:3], 0 offset:68
	buffer_store_dword v106, off, s[0:3], 0 offset:64
	s_and_saveexec_b64 s[4:5], vcc
	s_cbranch_execz .LBB51_305
; %bb.304:
	buffer_load_dword v106, off, s[0:3], 0 offset:56
	buffer_load_dword v107, off, s[0:3], 0 offset:60
	s_waitcnt vmcnt(0)
	ds_write_b64 v1, v[106:107]
	buffer_store_dword v110, off, s[0:3], 0 offset:56
	buffer_store_dword v110, off, s[0:3], 0 offset:60
.LBB51_305:
	s_or_b64 exec, exec, s[4:5]
	s_waitcnt lgkmcnt(0)
	; wave barrier
	s_waitcnt lgkmcnt(0)
	buffer_load_dword v106, off, s[0:3], 0 offset:56
	buffer_load_dword v107, off, s[0:3], 0 offset:60
	buffer_load_dword v108, off, s[0:3], 0 offset:64
	buffer_load_dword v109, off, s[0:3], 0 offset:68
	buffer_load_dword v128, off, s[0:3], 0 offset:72
	buffer_load_dword v129, off, s[0:3], 0 offset:76
	buffer_load_dword v130, off, s[0:3], 0 offset:80
	buffer_load_dword v131, off, s[0:3], 0 offset:84
	buffer_load_dword v132, off, s[0:3], 0 offset:88
	buffer_load_dword v133, off, s[0:3], 0 offset:92
	buffer_load_dword v134, off, s[0:3], 0 offset:96
	buffer_load_dword v135, off, s[0:3], 0 offset:100
	buffer_load_dword v136, off, s[0:3], 0 offset:104
	buffer_load_dword v137, off, s[0:3], 0 offset:108
	buffer_load_dword v138, off, s[0:3], 0 offset:112
	buffer_load_dword v139, off, s[0:3], 0 offset:116
	ds_read_b128 v[112:115], v110 offset:480
	ds_read_b128 v[116:119], v110 offset:496
	;; [unrolled: 1-line block ×4, first 2 shown]
	v_cmp_lt_u32_e32 vcc, 6, v0
	s_waitcnt vmcnt(12) lgkmcnt(3)
	v_fma_f64 v[108:109], v[108:109], v[112:113], 0
	buffer_load_dword v113, off, s[0:3], 0 offset:124
	buffer_load_dword v112, off, s[0:3], 0 offset:120
	s_waitcnt vmcnt(12)
	v_fmac_f64_e32 v[108:109], v[128:129], v[114:115]
	s_waitcnt vmcnt(10) lgkmcnt(2)
	v_fmac_f64_e32 v[108:109], v[130:131], v[116:117]
	buffer_load_dword v117, off, s[0:3], 0 offset:132
	buffer_load_dword v116, off, s[0:3], 0 offset:128
	s_waitcnt vmcnt(10)
	v_fmac_f64_e32 v[108:109], v[132:133], v[118:119]
	s_waitcnt vmcnt(8) lgkmcnt(1)
	v_fmac_f64_e32 v[108:109], v[134:135], v[120:121]
	s_waitcnt vmcnt(6)
	v_fmac_f64_e32 v[108:109], v[136:137], v[122:123]
	s_waitcnt vmcnt(4) lgkmcnt(0)
	v_fmac_f64_e32 v[108:109], v[138:139], v[124:125]
	s_waitcnt vmcnt(2)
	v_fmac_f64_e32 v[108:109], v[112:113], v[126:127]
	ds_read_b128 v[112:115], v110 offset:544
	s_waitcnt vmcnt(0) lgkmcnt(0)
	v_fmac_f64_e32 v[108:109], v[116:117], v[112:113]
	buffer_load_dword v113, off, s[0:3], 0 offset:140
	buffer_load_dword v112, off, s[0:3], 0 offset:136
	buffer_load_dword v117, off, s[0:3], 0 offset:148
	buffer_load_dword v116, off, s[0:3], 0 offset:144
	s_waitcnt vmcnt(2)
	v_fmac_f64_e32 v[108:109], v[112:113], v[114:115]
	ds_read_b128 v[112:115], v110 offset:560
	s_waitcnt vmcnt(0) lgkmcnt(0)
	v_fmac_f64_e32 v[108:109], v[116:117], v[112:113]
	buffer_load_dword v113, off, s[0:3], 0 offset:156
	buffer_load_dword v112, off, s[0:3], 0 offset:152
	buffer_load_dword v117, off, s[0:3], 0 offset:164
	buffer_load_dword v116, off, s[0:3], 0 offset:160
	s_waitcnt vmcnt(2)
	v_fmac_f64_e32 v[108:109], v[112:113], v[114:115]
	ds_read_b128 v[112:115], v110 offset:576
	s_waitcnt vmcnt(0) lgkmcnt(0)
	v_fmac_f64_e32 v[108:109], v[116:117], v[112:113]
	buffer_load_dword v113, off, s[0:3], 0 offset:172
	buffer_load_dword v112, off, s[0:3], 0 offset:168
	buffer_load_dword v117, off, s[0:3], 0 offset:180
	buffer_load_dword v116, off, s[0:3], 0 offset:176
	s_waitcnt vmcnt(2)
	v_fmac_f64_e32 v[108:109], v[112:113], v[114:115]
	ds_read_b128 v[112:115], v110 offset:592
	s_waitcnt vmcnt(0) lgkmcnt(0)
	v_fmac_f64_e32 v[108:109], v[116:117], v[112:113]
	buffer_load_dword v113, off, s[0:3], 0 offset:188
	buffer_load_dword v112, off, s[0:3], 0 offset:184
	buffer_load_dword v117, off, s[0:3], 0 offset:196
	buffer_load_dword v116, off, s[0:3], 0 offset:192
	s_waitcnt vmcnt(2)
	v_fmac_f64_e32 v[108:109], v[112:113], v[114:115]
	ds_read_b128 v[112:115], v110 offset:608
	s_waitcnt vmcnt(0) lgkmcnt(0)
	v_fmac_f64_e32 v[108:109], v[116:117], v[112:113]
	buffer_load_dword v113, off, s[0:3], 0 offset:204
	buffer_load_dword v112, off, s[0:3], 0 offset:200
	buffer_load_dword v117, off, s[0:3], 0 offset:212
	buffer_load_dword v116, off, s[0:3], 0 offset:208
	s_waitcnt vmcnt(2)
	v_fmac_f64_e32 v[108:109], v[112:113], v[114:115]
	ds_read_b128 v[112:115], v110 offset:624
	s_waitcnt vmcnt(0) lgkmcnt(0)
	v_fmac_f64_e32 v[108:109], v[116:117], v[112:113]
	buffer_load_dword v113, off, s[0:3], 0 offset:220
	buffer_load_dword v112, off, s[0:3], 0 offset:216
	buffer_load_dword v117, off, s[0:3], 0 offset:228
	buffer_load_dword v116, off, s[0:3], 0 offset:224
	s_waitcnt vmcnt(2)
	v_fmac_f64_e32 v[108:109], v[112:113], v[114:115]
	ds_read_b128 v[112:115], v110 offset:640
	s_waitcnt vmcnt(0) lgkmcnt(0)
	v_fmac_f64_e32 v[108:109], v[116:117], v[112:113]
	buffer_load_dword v113, off, s[0:3], 0 offset:236
	buffer_load_dword v112, off, s[0:3], 0 offset:232
	buffer_load_dword v117, off, s[0:3], 0 offset:244
	buffer_load_dword v116, off, s[0:3], 0 offset:240
	s_waitcnt vmcnt(2)
	v_fmac_f64_e32 v[108:109], v[112:113], v[114:115]
	ds_read_b128 v[112:115], v110 offset:656
	s_waitcnt vmcnt(0) lgkmcnt(0)
	v_fmac_f64_e32 v[108:109], v[116:117], v[112:113]
	buffer_load_dword v113, off, s[0:3], 0 offset:252
	buffer_load_dword v112, off, s[0:3], 0 offset:248
	buffer_load_dword v117, off, s[0:3], 0 offset:260
	buffer_load_dword v116, off, s[0:3], 0 offset:256
	s_waitcnt vmcnt(2)
	v_fmac_f64_e32 v[108:109], v[112:113], v[114:115]
	ds_read_b128 v[112:115], v110 offset:672
	s_waitcnt vmcnt(0) lgkmcnt(0)
	v_fmac_f64_e32 v[108:109], v[116:117], v[112:113]
	buffer_load_dword v113, off, s[0:3], 0 offset:268
	buffer_load_dword v112, off, s[0:3], 0 offset:264
	buffer_load_dword v117, off, s[0:3], 0 offset:276
	buffer_load_dword v116, off, s[0:3], 0 offset:272
	s_waitcnt vmcnt(2)
	v_fmac_f64_e32 v[108:109], v[112:113], v[114:115]
	ds_read_b128 v[112:115], v110 offset:688
	s_waitcnt vmcnt(0) lgkmcnt(0)
	v_fmac_f64_e32 v[108:109], v[116:117], v[112:113]
	buffer_load_dword v113, off, s[0:3], 0 offset:284
	buffer_load_dword v112, off, s[0:3], 0 offset:280
	buffer_load_dword v117, off, s[0:3], 0 offset:292
	buffer_load_dword v116, off, s[0:3], 0 offset:288
	s_waitcnt vmcnt(2)
	v_fmac_f64_e32 v[108:109], v[112:113], v[114:115]
	ds_read_b128 v[112:115], v110 offset:704
	s_waitcnt vmcnt(0) lgkmcnt(0)
	v_fmac_f64_e32 v[108:109], v[116:117], v[112:113]
	buffer_load_dword v113, off, s[0:3], 0 offset:300
	buffer_load_dword v112, off, s[0:3], 0 offset:296
	buffer_load_dword v117, off, s[0:3], 0 offset:308
	buffer_load_dword v116, off, s[0:3], 0 offset:304
	s_waitcnt vmcnt(2)
	v_fmac_f64_e32 v[108:109], v[112:113], v[114:115]
	ds_read_b128 v[112:115], v110 offset:720
	s_waitcnt vmcnt(0) lgkmcnt(0)
	v_fmac_f64_e32 v[108:109], v[116:117], v[112:113]
	buffer_load_dword v113, off, s[0:3], 0 offset:316
	buffer_load_dword v112, off, s[0:3], 0 offset:312
	buffer_load_dword v117, off, s[0:3], 0 offset:324
	buffer_load_dword v116, off, s[0:3], 0 offset:320
	s_waitcnt vmcnt(2)
	v_fmac_f64_e32 v[108:109], v[112:113], v[114:115]
	ds_read_b128 v[112:115], v110 offset:736
	s_waitcnt vmcnt(0) lgkmcnt(0)
	v_fmac_f64_e32 v[108:109], v[116:117], v[112:113]
	buffer_load_dword v113, off, s[0:3], 0 offset:332
	buffer_load_dword v112, off, s[0:3], 0 offset:328
	buffer_load_dword v117, off, s[0:3], 0 offset:340
	buffer_load_dword v116, off, s[0:3], 0 offset:336
	s_waitcnt vmcnt(2)
	v_fmac_f64_e32 v[108:109], v[112:113], v[114:115]
	ds_read_b128 v[112:115], v110 offset:752
	s_waitcnt vmcnt(0) lgkmcnt(0)
	v_fmac_f64_e32 v[108:109], v[116:117], v[112:113]
	buffer_load_dword v113, off, s[0:3], 0 offset:348
	buffer_load_dword v112, off, s[0:3], 0 offset:344
	buffer_load_dword v117, off, s[0:3], 0 offset:356
	buffer_load_dword v116, off, s[0:3], 0 offset:352
	s_waitcnt vmcnt(2)
	v_fmac_f64_e32 v[108:109], v[112:113], v[114:115]
	ds_read_b128 v[112:115], v110 offset:768
	s_waitcnt vmcnt(0) lgkmcnt(0)
	v_fmac_f64_e32 v[108:109], v[116:117], v[112:113]
	buffer_load_dword v113, off, s[0:3], 0 offset:364
	buffer_load_dword v112, off, s[0:3], 0 offset:360
	buffer_load_dword v117, off, s[0:3], 0 offset:372
	buffer_load_dword v116, off, s[0:3], 0 offset:368
	s_waitcnt vmcnt(2)
	v_fmac_f64_e32 v[108:109], v[112:113], v[114:115]
	ds_read_b128 v[112:115], v110 offset:784
	s_waitcnt vmcnt(0) lgkmcnt(0)
	v_fmac_f64_e32 v[108:109], v[116:117], v[112:113]
	buffer_load_dword v113, off, s[0:3], 0 offset:380
	buffer_load_dword v112, off, s[0:3], 0 offset:376
	buffer_load_dword v117, off, s[0:3], 0 offset:388
	buffer_load_dword v116, off, s[0:3], 0 offset:384
	s_waitcnt vmcnt(2)
	v_fmac_f64_e32 v[108:109], v[112:113], v[114:115]
	ds_read_b128 v[112:115], v110 offset:800
	s_waitcnt vmcnt(0) lgkmcnt(0)
	v_fmac_f64_e32 v[108:109], v[116:117], v[112:113]
	buffer_load_dword v113, off, s[0:3], 0 offset:396
	buffer_load_dword v112, off, s[0:3], 0 offset:392
	s_waitcnt vmcnt(0)
	v_fmac_f64_e32 v[108:109], v[112:113], v[114:115]
	buffer_load_dword v115, off, s[0:3], 0 offset:404
	buffer_load_dword v114, off, s[0:3], 0 offset:400
	ds_read_b128 v[110:113], v110 offset:816
	s_waitcnt vmcnt(0) lgkmcnt(0)
	v_fmac_f64_e32 v[108:109], v[114:115], v[110:111]
	buffer_load_dword v111, off, s[0:3], 0 offset:412
	buffer_load_dword v110, off, s[0:3], 0 offset:408
	s_waitcnt vmcnt(0)
	v_fmac_f64_e32 v[108:109], v[110:111], v[112:113]
	v_add_f64 v[106:107], v[106:107], -v[108:109]
	buffer_store_dword v107, off, s[0:3], 0 offset:60
	buffer_store_dword v106, off, s[0:3], 0 offset:56
	s_and_saveexec_b64 s[4:5], vcc
	s_cbranch_execz .LBB51_307
; %bb.306:
	buffer_load_dword v106, off, s[0:3], 0 offset:48
	buffer_load_dword v107, off, s[0:3], 0 offset:52
	v_mov_b32_e32 v108, 0
	buffer_store_dword v108, off, s[0:3], 0 offset:48
	buffer_store_dword v108, off, s[0:3], 0 offset:52
	s_waitcnt vmcnt(2)
	ds_write_b64 v1, v[106:107]
.LBB51_307:
	s_or_b64 exec, exec, s[4:5]
	s_waitcnt lgkmcnt(0)
	; wave barrier
	s_waitcnt lgkmcnt(0)
	buffer_load_dword v106, off, s[0:3], 0 offset:48
	buffer_load_dword v107, off, s[0:3], 0 offset:52
	;; [unrolled: 1-line block ×16, first 2 shown]
	v_mov_b32_e32 v110, 0
	ds_read2_b64 v[112:115], v110 offset0:59 offset1:60
	v_cmp_lt_u32_e32 vcc, 5, v0
	s_waitcnt vmcnt(12) lgkmcnt(0)
	v_fma_f64 v[108:109], v[108:109], v[112:113], 0
	s_waitcnt vmcnt(10)
	v_fmac_f64_e32 v[108:109], v[116:117], v[114:115]
	ds_read2_b64 v[112:115], v110 offset0:61 offset1:62
	s_waitcnt vmcnt(8) lgkmcnt(0)
	v_fmac_f64_e32 v[108:109], v[118:119], v[112:113]
	s_waitcnt vmcnt(6)
	v_fmac_f64_e32 v[108:109], v[120:121], v[114:115]
	ds_read2_b64 v[112:115], v110 offset0:63 offset1:64
	s_waitcnt vmcnt(4) lgkmcnt(0)
	v_fmac_f64_e32 v[108:109], v[122:123], v[112:113]
	;; [unrolled: 5-line block ×3, first 2 shown]
	buffer_load_dword v113, off, s[0:3], 0 offset:116
	buffer_load_dword v112, off, s[0:3], 0 offset:112
	buffer_load_dword v117, off, s[0:3], 0 offset:124
	buffer_load_dword v116, off, s[0:3], 0 offset:120
	s_waitcnt vmcnt(2)
	v_fmac_f64_e32 v[108:109], v[112:113], v[114:115]
	ds_read2_b64 v[112:115], v110 offset0:67 offset1:68
	s_waitcnt vmcnt(0) lgkmcnt(0)
	v_fmac_f64_e32 v[108:109], v[116:117], v[112:113]
	buffer_load_dword v113, off, s[0:3], 0 offset:132
	buffer_load_dword v112, off, s[0:3], 0 offset:128
	buffer_load_dword v117, off, s[0:3], 0 offset:140
	buffer_load_dword v116, off, s[0:3], 0 offset:136
	s_waitcnt vmcnt(2)
	v_fmac_f64_e32 v[108:109], v[112:113], v[114:115]
	ds_read2_b64 v[112:115], v110 offset0:69 offset1:70
	s_waitcnt vmcnt(0) lgkmcnt(0)
	v_fmac_f64_e32 v[108:109], v[116:117], v[112:113]
	;; [unrolled: 9-line block ×18, first 2 shown]
	buffer_load_dword v113, off, s[0:3], 0 offset:404
	buffer_load_dword v112, off, s[0:3], 0 offset:400
	s_waitcnt vmcnt(0)
	v_fmac_f64_e32 v[108:109], v[112:113], v[114:115]
	buffer_load_dword v113, off, s[0:3], 0 offset:412
	buffer_load_dword v112, off, s[0:3], 0 offset:408
	ds_read_b64 v[114:115], v110 offset:824
	s_waitcnt vmcnt(0) lgkmcnt(0)
	v_fmac_f64_e32 v[108:109], v[112:113], v[114:115]
	v_add_f64 v[106:107], v[106:107], -v[108:109]
	buffer_store_dword v107, off, s[0:3], 0 offset:52
	buffer_store_dword v106, off, s[0:3], 0 offset:48
	s_and_saveexec_b64 s[4:5], vcc
	s_cbranch_execz .LBB51_309
; %bb.308:
	buffer_load_dword v106, off, s[0:3], 0 offset:40
	buffer_load_dword v107, off, s[0:3], 0 offset:44
	s_waitcnt vmcnt(0)
	ds_write_b64 v1, v[106:107]
	buffer_store_dword v110, off, s[0:3], 0 offset:40
	buffer_store_dword v110, off, s[0:3], 0 offset:44
.LBB51_309:
	s_or_b64 exec, exec, s[4:5]
	s_waitcnt lgkmcnt(0)
	; wave barrier
	s_waitcnt lgkmcnt(0)
	buffer_load_dword v106, off, s[0:3], 0 offset:40
	buffer_load_dword v107, off, s[0:3], 0 offset:44
	;; [unrolled: 1-line block ×16, first 2 shown]
	ds_read_b128 v[112:115], v110 offset:464
	ds_read_b128 v[116:119], v110 offset:480
	;; [unrolled: 1-line block ×4, first 2 shown]
	v_cmp_lt_u32_e32 vcc, 4, v0
	s_waitcnt vmcnt(12) lgkmcnt(3)
	v_fma_f64 v[108:109], v[108:109], v[112:113], 0
	buffer_load_dword v113, off, s[0:3], 0 offset:108
	buffer_load_dword v112, off, s[0:3], 0 offset:104
	s_waitcnt vmcnt(12)
	v_fmac_f64_e32 v[108:109], v[128:129], v[114:115]
	s_waitcnt vmcnt(10) lgkmcnt(2)
	v_fmac_f64_e32 v[108:109], v[130:131], v[116:117]
	buffer_load_dword v117, off, s[0:3], 0 offset:116
	buffer_load_dword v116, off, s[0:3], 0 offset:112
	s_waitcnt vmcnt(10)
	v_fmac_f64_e32 v[108:109], v[132:133], v[118:119]
	s_waitcnt vmcnt(8) lgkmcnt(1)
	v_fmac_f64_e32 v[108:109], v[134:135], v[120:121]
	s_waitcnt vmcnt(6)
	v_fmac_f64_e32 v[108:109], v[136:137], v[122:123]
	s_waitcnt vmcnt(4) lgkmcnt(0)
	v_fmac_f64_e32 v[108:109], v[138:139], v[124:125]
	s_waitcnt vmcnt(2)
	v_fmac_f64_e32 v[108:109], v[112:113], v[126:127]
	ds_read_b128 v[112:115], v110 offset:528
	s_waitcnt vmcnt(0) lgkmcnt(0)
	v_fmac_f64_e32 v[108:109], v[116:117], v[112:113]
	buffer_load_dword v113, off, s[0:3], 0 offset:124
	buffer_load_dword v112, off, s[0:3], 0 offset:120
	buffer_load_dword v117, off, s[0:3], 0 offset:132
	buffer_load_dword v116, off, s[0:3], 0 offset:128
	s_waitcnt vmcnt(2)
	v_fmac_f64_e32 v[108:109], v[112:113], v[114:115]
	ds_read_b128 v[112:115], v110 offset:544
	s_waitcnt vmcnt(0) lgkmcnt(0)
	v_fmac_f64_e32 v[108:109], v[116:117], v[112:113]
	buffer_load_dword v113, off, s[0:3], 0 offset:140
	buffer_load_dword v112, off, s[0:3], 0 offset:136
	buffer_load_dword v117, off, s[0:3], 0 offset:148
	buffer_load_dword v116, off, s[0:3], 0 offset:144
	;; [unrolled: 9-line block ×17, first 2 shown]
	s_waitcnt vmcnt(2)
	v_fmac_f64_e32 v[108:109], v[112:113], v[114:115]
	ds_read_b128 v[112:115], v110 offset:800
	s_waitcnt vmcnt(0) lgkmcnt(0)
	v_fmac_f64_e32 v[108:109], v[116:117], v[112:113]
	buffer_load_dword v113, off, s[0:3], 0 offset:396
	buffer_load_dword v112, off, s[0:3], 0 offset:392
	s_waitcnt vmcnt(0)
	v_fmac_f64_e32 v[108:109], v[112:113], v[114:115]
	buffer_load_dword v115, off, s[0:3], 0 offset:404
	buffer_load_dword v114, off, s[0:3], 0 offset:400
	ds_read_b128 v[110:113], v110 offset:816
	s_waitcnt vmcnt(0) lgkmcnt(0)
	v_fmac_f64_e32 v[108:109], v[114:115], v[110:111]
	buffer_load_dword v111, off, s[0:3], 0 offset:412
	buffer_load_dword v110, off, s[0:3], 0 offset:408
	s_waitcnt vmcnt(0)
	v_fmac_f64_e32 v[108:109], v[110:111], v[112:113]
	v_add_f64 v[106:107], v[106:107], -v[108:109]
	buffer_store_dword v107, off, s[0:3], 0 offset:44
	buffer_store_dword v106, off, s[0:3], 0 offset:40
	s_and_saveexec_b64 s[4:5], vcc
	s_cbranch_execz .LBB51_311
; %bb.310:
	buffer_load_dword v106, off, s[0:3], 0 offset:32
	buffer_load_dword v107, off, s[0:3], 0 offset:36
	v_mov_b32_e32 v108, 0
	buffer_store_dword v108, off, s[0:3], 0 offset:32
	buffer_store_dword v108, off, s[0:3], 0 offset:36
	s_waitcnt vmcnt(2)
	ds_write_b64 v1, v[106:107]
.LBB51_311:
	s_or_b64 exec, exec, s[4:5]
	s_waitcnt lgkmcnt(0)
	; wave barrier
	s_waitcnt lgkmcnt(0)
	buffer_load_dword v106, off, s[0:3], 0 offset:32
	buffer_load_dword v107, off, s[0:3], 0 offset:36
	;; [unrolled: 1-line block ×16, first 2 shown]
	v_mov_b32_e32 v110, 0
	ds_read2_b64 v[112:115], v110 offset0:57 offset1:58
	v_cmp_lt_u32_e32 vcc, 3, v0
	s_waitcnt vmcnt(12) lgkmcnt(0)
	v_fma_f64 v[108:109], v[108:109], v[112:113], 0
	s_waitcnt vmcnt(10)
	v_fmac_f64_e32 v[108:109], v[116:117], v[114:115]
	ds_read2_b64 v[112:115], v110 offset0:59 offset1:60
	s_waitcnt vmcnt(8) lgkmcnt(0)
	v_fmac_f64_e32 v[108:109], v[118:119], v[112:113]
	s_waitcnt vmcnt(6)
	v_fmac_f64_e32 v[108:109], v[120:121], v[114:115]
	ds_read2_b64 v[112:115], v110 offset0:61 offset1:62
	s_waitcnt vmcnt(4) lgkmcnt(0)
	v_fmac_f64_e32 v[108:109], v[122:123], v[112:113]
	;; [unrolled: 5-line block ×3, first 2 shown]
	buffer_load_dword v113, off, s[0:3], 0 offset:100
	buffer_load_dword v112, off, s[0:3], 0 offset:96
	buffer_load_dword v117, off, s[0:3], 0 offset:108
	buffer_load_dword v116, off, s[0:3], 0 offset:104
	s_waitcnt vmcnt(2)
	v_fmac_f64_e32 v[108:109], v[112:113], v[114:115]
	ds_read2_b64 v[112:115], v110 offset0:65 offset1:66
	s_waitcnt vmcnt(0) lgkmcnt(0)
	v_fmac_f64_e32 v[108:109], v[116:117], v[112:113]
	buffer_load_dword v113, off, s[0:3], 0 offset:116
	buffer_load_dword v112, off, s[0:3], 0 offset:112
	buffer_load_dword v117, off, s[0:3], 0 offset:124
	buffer_load_dword v116, off, s[0:3], 0 offset:120
	s_waitcnt vmcnt(2)
	v_fmac_f64_e32 v[108:109], v[112:113], v[114:115]
	ds_read2_b64 v[112:115], v110 offset0:67 offset1:68
	s_waitcnt vmcnt(0) lgkmcnt(0)
	v_fmac_f64_e32 v[108:109], v[116:117], v[112:113]
	;; [unrolled: 9-line block ×19, first 2 shown]
	buffer_load_dword v113, off, s[0:3], 0 offset:404
	buffer_load_dword v112, off, s[0:3], 0 offset:400
	s_waitcnt vmcnt(0)
	v_fmac_f64_e32 v[108:109], v[112:113], v[114:115]
	buffer_load_dword v113, off, s[0:3], 0 offset:412
	buffer_load_dword v112, off, s[0:3], 0 offset:408
	ds_read_b64 v[114:115], v110 offset:824
	s_waitcnt vmcnt(0) lgkmcnt(0)
	v_fmac_f64_e32 v[108:109], v[112:113], v[114:115]
	v_add_f64 v[106:107], v[106:107], -v[108:109]
	buffer_store_dword v107, off, s[0:3], 0 offset:36
	buffer_store_dword v106, off, s[0:3], 0 offset:32
	s_and_saveexec_b64 s[4:5], vcc
	s_cbranch_execz .LBB51_313
; %bb.312:
	buffer_load_dword v106, off, s[0:3], 0 offset:24
	buffer_load_dword v107, off, s[0:3], 0 offset:28
	s_waitcnt vmcnt(0)
	ds_write_b64 v1, v[106:107]
	buffer_store_dword v110, off, s[0:3], 0 offset:24
	buffer_store_dword v110, off, s[0:3], 0 offset:28
.LBB51_313:
	s_or_b64 exec, exec, s[4:5]
	s_waitcnt lgkmcnt(0)
	; wave barrier
	s_waitcnt lgkmcnt(0)
	buffer_load_dword v106, off, s[0:3], 0 offset:24
	buffer_load_dword v107, off, s[0:3], 0 offset:28
	;; [unrolled: 1-line block ×16, first 2 shown]
	ds_read_b128 v[112:115], v110 offset:448
	ds_read_b128 v[116:119], v110 offset:464
	;; [unrolled: 1-line block ×4, first 2 shown]
	v_cmp_lt_u32_e32 vcc, 2, v0
	s_waitcnt vmcnt(12) lgkmcnt(3)
	v_fma_f64 v[108:109], v[108:109], v[112:113], 0
	buffer_load_dword v113, off, s[0:3], 0 offset:92
	buffer_load_dword v112, off, s[0:3], 0 offset:88
	s_waitcnt vmcnt(12)
	v_fmac_f64_e32 v[108:109], v[128:129], v[114:115]
	s_waitcnt vmcnt(10) lgkmcnt(2)
	v_fmac_f64_e32 v[108:109], v[130:131], v[116:117]
	buffer_load_dword v117, off, s[0:3], 0 offset:100
	buffer_load_dword v116, off, s[0:3], 0 offset:96
	s_waitcnt vmcnt(10)
	v_fmac_f64_e32 v[108:109], v[132:133], v[118:119]
	s_waitcnt vmcnt(8) lgkmcnt(1)
	v_fmac_f64_e32 v[108:109], v[134:135], v[120:121]
	s_waitcnt vmcnt(6)
	v_fmac_f64_e32 v[108:109], v[136:137], v[122:123]
	s_waitcnt vmcnt(4) lgkmcnt(0)
	v_fmac_f64_e32 v[108:109], v[138:139], v[124:125]
	s_waitcnt vmcnt(2)
	v_fmac_f64_e32 v[108:109], v[112:113], v[126:127]
	ds_read_b128 v[112:115], v110 offset:512
	s_waitcnt vmcnt(0) lgkmcnt(0)
	v_fmac_f64_e32 v[108:109], v[116:117], v[112:113]
	buffer_load_dword v113, off, s[0:3], 0 offset:108
	buffer_load_dword v112, off, s[0:3], 0 offset:104
	buffer_load_dword v117, off, s[0:3], 0 offset:116
	buffer_load_dword v116, off, s[0:3], 0 offset:112
	s_waitcnt vmcnt(2)
	v_fmac_f64_e32 v[108:109], v[112:113], v[114:115]
	ds_read_b128 v[112:115], v110 offset:528
	s_waitcnt vmcnt(0) lgkmcnt(0)
	v_fmac_f64_e32 v[108:109], v[116:117], v[112:113]
	buffer_load_dword v113, off, s[0:3], 0 offset:124
	buffer_load_dword v112, off, s[0:3], 0 offset:120
	buffer_load_dword v117, off, s[0:3], 0 offset:132
	buffer_load_dword v116, off, s[0:3], 0 offset:128
	s_waitcnt vmcnt(2)
	v_fmac_f64_e32 v[108:109], v[112:113], v[114:115]
	ds_read_b128 v[112:115], v110 offset:544
	s_waitcnt vmcnt(0) lgkmcnt(0)
	v_fmac_f64_e32 v[108:109], v[116:117], v[112:113]
	buffer_load_dword v113, off, s[0:3], 0 offset:140
	buffer_load_dword v112, off, s[0:3], 0 offset:136
	buffer_load_dword v117, off, s[0:3], 0 offset:148
	buffer_load_dword v116, off, s[0:3], 0 offset:144
	s_waitcnt vmcnt(2)
	v_fmac_f64_e32 v[108:109], v[112:113], v[114:115]
	ds_read_b128 v[112:115], v110 offset:560
	s_waitcnt vmcnt(0) lgkmcnt(0)
	v_fmac_f64_e32 v[108:109], v[116:117], v[112:113]
	buffer_load_dword v113, off, s[0:3], 0 offset:156
	buffer_load_dword v112, off, s[0:3], 0 offset:152
	buffer_load_dword v117, off, s[0:3], 0 offset:164
	buffer_load_dword v116, off, s[0:3], 0 offset:160
	s_waitcnt vmcnt(2)
	v_fmac_f64_e32 v[108:109], v[112:113], v[114:115]
	ds_read_b128 v[112:115], v110 offset:576
	s_waitcnt vmcnt(0) lgkmcnt(0)
	v_fmac_f64_e32 v[108:109], v[116:117], v[112:113]
	buffer_load_dword v113, off, s[0:3], 0 offset:172
	buffer_load_dword v112, off, s[0:3], 0 offset:168
	buffer_load_dword v117, off, s[0:3], 0 offset:180
	buffer_load_dword v116, off, s[0:3], 0 offset:176
	s_waitcnt vmcnt(2)
	v_fmac_f64_e32 v[108:109], v[112:113], v[114:115]
	ds_read_b128 v[112:115], v110 offset:592
	s_waitcnt vmcnt(0) lgkmcnt(0)
	v_fmac_f64_e32 v[108:109], v[116:117], v[112:113]
	buffer_load_dword v113, off, s[0:3], 0 offset:188
	buffer_load_dword v112, off, s[0:3], 0 offset:184
	buffer_load_dword v117, off, s[0:3], 0 offset:196
	buffer_load_dword v116, off, s[0:3], 0 offset:192
	s_waitcnt vmcnt(2)
	v_fmac_f64_e32 v[108:109], v[112:113], v[114:115]
	ds_read_b128 v[112:115], v110 offset:608
	s_waitcnt vmcnt(0) lgkmcnt(0)
	v_fmac_f64_e32 v[108:109], v[116:117], v[112:113]
	buffer_load_dword v113, off, s[0:3], 0 offset:204
	buffer_load_dword v112, off, s[0:3], 0 offset:200
	buffer_load_dword v117, off, s[0:3], 0 offset:212
	buffer_load_dword v116, off, s[0:3], 0 offset:208
	s_waitcnt vmcnt(2)
	v_fmac_f64_e32 v[108:109], v[112:113], v[114:115]
	ds_read_b128 v[112:115], v110 offset:624
	s_waitcnt vmcnt(0) lgkmcnt(0)
	v_fmac_f64_e32 v[108:109], v[116:117], v[112:113]
	buffer_load_dword v113, off, s[0:3], 0 offset:220
	buffer_load_dword v112, off, s[0:3], 0 offset:216
	buffer_load_dword v117, off, s[0:3], 0 offset:228
	buffer_load_dword v116, off, s[0:3], 0 offset:224
	s_waitcnt vmcnt(2)
	v_fmac_f64_e32 v[108:109], v[112:113], v[114:115]
	ds_read_b128 v[112:115], v110 offset:640
	s_waitcnt vmcnt(0) lgkmcnt(0)
	v_fmac_f64_e32 v[108:109], v[116:117], v[112:113]
	buffer_load_dword v113, off, s[0:3], 0 offset:236
	buffer_load_dword v112, off, s[0:3], 0 offset:232
	buffer_load_dword v117, off, s[0:3], 0 offset:244
	buffer_load_dword v116, off, s[0:3], 0 offset:240
	s_waitcnt vmcnt(2)
	v_fmac_f64_e32 v[108:109], v[112:113], v[114:115]
	ds_read_b128 v[112:115], v110 offset:656
	s_waitcnt vmcnt(0) lgkmcnt(0)
	v_fmac_f64_e32 v[108:109], v[116:117], v[112:113]
	buffer_load_dword v113, off, s[0:3], 0 offset:252
	buffer_load_dword v112, off, s[0:3], 0 offset:248
	buffer_load_dword v117, off, s[0:3], 0 offset:260
	buffer_load_dword v116, off, s[0:3], 0 offset:256
	s_waitcnt vmcnt(2)
	v_fmac_f64_e32 v[108:109], v[112:113], v[114:115]
	ds_read_b128 v[112:115], v110 offset:672
	s_waitcnt vmcnt(0) lgkmcnt(0)
	v_fmac_f64_e32 v[108:109], v[116:117], v[112:113]
	buffer_load_dword v113, off, s[0:3], 0 offset:268
	buffer_load_dword v112, off, s[0:3], 0 offset:264
	buffer_load_dword v117, off, s[0:3], 0 offset:276
	buffer_load_dword v116, off, s[0:3], 0 offset:272
	s_waitcnt vmcnt(2)
	v_fmac_f64_e32 v[108:109], v[112:113], v[114:115]
	ds_read_b128 v[112:115], v110 offset:688
	s_waitcnt vmcnt(0) lgkmcnt(0)
	v_fmac_f64_e32 v[108:109], v[116:117], v[112:113]
	buffer_load_dword v113, off, s[0:3], 0 offset:284
	buffer_load_dword v112, off, s[0:3], 0 offset:280
	buffer_load_dword v117, off, s[0:3], 0 offset:292
	buffer_load_dword v116, off, s[0:3], 0 offset:288
	s_waitcnt vmcnt(2)
	v_fmac_f64_e32 v[108:109], v[112:113], v[114:115]
	ds_read_b128 v[112:115], v110 offset:704
	s_waitcnt vmcnt(0) lgkmcnt(0)
	v_fmac_f64_e32 v[108:109], v[116:117], v[112:113]
	buffer_load_dword v113, off, s[0:3], 0 offset:300
	buffer_load_dword v112, off, s[0:3], 0 offset:296
	buffer_load_dword v117, off, s[0:3], 0 offset:308
	buffer_load_dword v116, off, s[0:3], 0 offset:304
	s_waitcnt vmcnt(2)
	v_fmac_f64_e32 v[108:109], v[112:113], v[114:115]
	ds_read_b128 v[112:115], v110 offset:720
	s_waitcnt vmcnt(0) lgkmcnt(0)
	v_fmac_f64_e32 v[108:109], v[116:117], v[112:113]
	buffer_load_dword v113, off, s[0:3], 0 offset:316
	buffer_load_dword v112, off, s[0:3], 0 offset:312
	buffer_load_dword v117, off, s[0:3], 0 offset:324
	buffer_load_dword v116, off, s[0:3], 0 offset:320
	s_waitcnt vmcnt(2)
	v_fmac_f64_e32 v[108:109], v[112:113], v[114:115]
	ds_read_b128 v[112:115], v110 offset:736
	s_waitcnt vmcnt(0) lgkmcnt(0)
	v_fmac_f64_e32 v[108:109], v[116:117], v[112:113]
	buffer_load_dword v113, off, s[0:3], 0 offset:332
	buffer_load_dword v112, off, s[0:3], 0 offset:328
	buffer_load_dword v117, off, s[0:3], 0 offset:340
	buffer_load_dword v116, off, s[0:3], 0 offset:336
	s_waitcnt vmcnt(2)
	v_fmac_f64_e32 v[108:109], v[112:113], v[114:115]
	ds_read_b128 v[112:115], v110 offset:752
	s_waitcnt vmcnt(0) lgkmcnt(0)
	v_fmac_f64_e32 v[108:109], v[116:117], v[112:113]
	buffer_load_dword v113, off, s[0:3], 0 offset:348
	buffer_load_dword v112, off, s[0:3], 0 offset:344
	buffer_load_dword v117, off, s[0:3], 0 offset:356
	buffer_load_dword v116, off, s[0:3], 0 offset:352
	s_waitcnt vmcnt(2)
	v_fmac_f64_e32 v[108:109], v[112:113], v[114:115]
	ds_read_b128 v[112:115], v110 offset:768
	s_waitcnt vmcnt(0) lgkmcnt(0)
	v_fmac_f64_e32 v[108:109], v[116:117], v[112:113]
	buffer_load_dword v113, off, s[0:3], 0 offset:364
	buffer_load_dword v112, off, s[0:3], 0 offset:360
	buffer_load_dword v117, off, s[0:3], 0 offset:372
	buffer_load_dword v116, off, s[0:3], 0 offset:368
	s_waitcnt vmcnt(2)
	v_fmac_f64_e32 v[108:109], v[112:113], v[114:115]
	ds_read_b128 v[112:115], v110 offset:784
	s_waitcnt vmcnt(0) lgkmcnt(0)
	v_fmac_f64_e32 v[108:109], v[116:117], v[112:113]
	buffer_load_dword v113, off, s[0:3], 0 offset:380
	buffer_load_dword v112, off, s[0:3], 0 offset:376
	buffer_load_dword v117, off, s[0:3], 0 offset:388
	buffer_load_dword v116, off, s[0:3], 0 offset:384
	s_waitcnt vmcnt(2)
	v_fmac_f64_e32 v[108:109], v[112:113], v[114:115]
	ds_read_b128 v[112:115], v110 offset:800
	s_waitcnt vmcnt(0) lgkmcnt(0)
	v_fmac_f64_e32 v[108:109], v[116:117], v[112:113]
	buffer_load_dword v113, off, s[0:3], 0 offset:396
	buffer_load_dword v112, off, s[0:3], 0 offset:392
	s_waitcnt vmcnt(0)
	v_fmac_f64_e32 v[108:109], v[112:113], v[114:115]
	buffer_load_dword v115, off, s[0:3], 0 offset:404
	buffer_load_dword v114, off, s[0:3], 0 offset:400
	ds_read_b128 v[110:113], v110 offset:816
	s_waitcnt vmcnt(0) lgkmcnt(0)
	v_fmac_f64_e32 v[108:109], v[114:115], v[110:111]
	buffer_load_dword v111, off, s[0:3], 0 offset:412
	buffer_load_dword v110, off, s[0:3], 0 offset:408
	s_waitcnt vmcnt(0)
	v_fmac_f64_e32 v[108:109], v[110:111], v[112:113]
	v_add_f64 v[106:107], v[106:107], -v[108:109]
	buffer_store_dword v107, off, s[0:3], 0 offset:28
	buffer_store_dword v106, off, s[0:3], 0 offset:24
	s_and_saveexec_b64 s[4:5], vcc
	s_cbranch_execz .LBB51_315
; %bb.314:
	buffer_load_dword v106, off, s[0:3], 0 offset:16
	buffer_load_dword v107, off, s[0:3], 0 offset:20
	v_mov_b32_e32 v108, 0
	buffer_store_dword v108, off, s[0:3], 0 offset:16
	buffer_store_dword v108, off, s[0:3], 0 offset:20
	s_waitcnt vmcnt(2)
	ds_write_b64 v1, v[106:107]
.LBB51_315:
	s_or_b64 exec, exec, s[4:5]
	s_waitcnt lgkmcnt(0)
	; wave barrier
	s_waitcnt lgkmcnt(0)
	buffer_load_dword v106, off, s[0:3], 0 offset:16
	buffer_load_dword v107, off, s[0:3], 0 offset:20
	;; [unrolled: 1-line block ×16, first 2 shown]
	v_mov_b32_e32 v110, 0
	ds_read2_b64 v[112:115], v110 offset0:55 offset1:56
	v_cmp_lt_u32_e32 vcc, 1, v0
	s_waitcnt vmcnt(12) lgkmcnt(0)
	v_fma_f64 v[108:109], v[108:109], v[112:113], 0
	s_waitcnt vmcnt(10)
	v_fmac_f64_e32 v[108:109], v[116:117], v[114:115]
	ds_read2_b64 v[112:115], v110 offset0:57 offset1:58
	s_waitcnt vmcnt(8) lgkmcnt(0)
	v_fmac_f64_e32 v[108:109], v[118:119], v[112:113]
	s_waitcnt vmcnt(6)
	v_fmac_f64_e32 v[108:109], v[120:121], v[114:115]
	ds_read2_b64 v[112:115], v110 offset0:59 offset1:60
	s_waitcnt vmcnt(4) lgkmcnt(0)
	v_fmac_f64_e32 v[108:109], v[122:123], v[112:113]
	;; [unrolled: 5-line block ×3, first 2 shown]
	buffer_load_dword v113, off, s[0:3], 0 offset:84
	buffer_load_dword v112, off, s[0:3], 0 offset:80
	buffer_load_dword v117, off, s[0:3], 0 offset:92
	buffer_load_dword v116, off, s[0:3], 0 offset:88
	s_waitcnt vmcnt(2)
	v_fmac_f64_e32 v[108:109], v[112:113], v[114:115]
	ds_read2_b64 v[112:115], v110 offset0:63 offset1:64
	s_waitcnt vmcnt(0) lgkmcnt(0)
	v_fmac_f64_e32 v[108:109], v[116:117], v[112:113]
	buffer_load_dword v113, off, s[0:3], 0 offset:100
	buffer_load_dword v112, off, s[0:3], 0 offset:96
	buffer_load_dword v117, off, s[0:3], 0 offset:108
	buffer_load_dword v116, off, s[0:3], 0 offset:104
	s_waitcnt vmcnt(2)
	v_fmac_f64_e32 v[108:109], v[112:113], v[114:115]
	ds_read2_b64 v[112:115], v110 offset0:65 offset1:66
	s_waitcnt vmcnt(0) lgkmcnt(0)
	v_fmac_f64_e32 v[108:109], v[116:117], v[112:113]
	;; [unrolled: 9-line block ×20, first 2 shown]
	buffer_load_dword v113, off, s[0:3], 0 offset:404
	buffer_load_dword v112, off, s[0:3], 0 offset:400
	s_waitcnt vmcnt(0)
	v_fmac_f64_e32 v[108:109], v[112:113], v[114:115]
	buffer_load_dword v113, off, s[0:3], 0 offset:412
	buffer_load_dword v112, off, s[0:3], 0 offset:408
	ds_read_b64 v[114:115], v110 offset:824
	s_waitcnt vmcnt(0) lgkmcnt(0)
	v_fmac_f64_e32 v[108:109], v[112:113], v[114:115]
	v_add_f64 v[106:107], v[106:107], -v[108:109]
	buffer_store_dword v107, off, s[0:3], 0 offset:20
	buffer_store_dword v106, off, s[0:3], 0 offset:16
	s_and_saveexec_b64 s[4:5], vcc
	s_cbranch_execz .LBB51_317
; %bb.316:
	buffer_load_dword v106, off, s[0:3], 0 offset:8
	buffer_load_dword v107, off, s[0:3], 0 offset:12
	s_waitcnt vmcnt(0)
	ds_write_b64 v1, v[106:107]
	buffer_store_dword v110, off, s[0:3], 0 offset:8
	buffer_store_dword v110, off, s[0:3], 0 offset:12
.LBB51_317:
	s_or_b64 exec, exec, s[4:5]
	s_waitcnt lgkmcnt(0)
	; wave barrier
	s_waitcnt lgkmcnt(0)
	buffer_load_dword v106, off, s[0:3], 0 offset:8
	buffer_load_dword v107, off, s[0:3], 0 offset:12
	;; [unrolled: 1-line block ×16, first 2 shown]
	ds_read_b128 v[112:115], v110 offset:432
	v_cmp_ne_u32_e32 vcc, 0, v0
	s_waitcnt vmcnt(12) lgkmcnt(0)
	v_fma_f64 v[108:109], v[108:109], v[112:113], 0
	s_waitcnt vmcnt(10)
	v_fmac_f64_e32 v[108:109], v[116:117], v[114:115]
	ds_read_b128 v[112:115], v110 offset:448
	s_waitcnt vmcnt(8) lgkmcnt(0)
	v_fmac_f64_e32 v[108:109], v[118:119], v[112:113]
	s_waitcnt vmcnt(6)
	v_fmac_f64_e32 v[108:109], v[120:121], v[114:115]
	ds_read_b128 v[112:115], v110 offset:464
	s_waitcnt vmcnt(4) lgkmcnt(0)
	v_fmac_f64_e32 v[108:109], v[122:123], v[112:113]
	;; [unrolled: 5-line block ×3, first 2 shown]
	buffer_load_dword v113, off, s[0:3], 0 offset:76
	buffer_load_dword v112, off, s[0:3], 0 offset:72
	buffer_load_dword v117, off, s[0:3], 0 offset:84
	buffer_load_dword v116, off, s[0:3], 0 offset:80
	s_waitcnt vmcnt(2)
	v_fmac_f64_e32 v[108:109], v[112:113], v[114:115]
	ds_read_b128 v[112:115], v110 offset:496
	s_waitcnt vmcnt(0) lgkmcnt(0)
	v_fmac_f64_e32 v[108:109], v[116:117], v[112:113]
	buffer_load_dword v113, off, s[0:3], 0 offset:92
	buffer_load_dword v112, off, s[0:3], 0 offset:88
	buffer_load_dword v117, off, s[0:3], 0 offset:100
	buffer_load_dword v116, off, s[0:3], 0 offset:96
	s_waitcnt vmcnt(2)
	v_fmac_f64_e32 v[108:109], v[112:113], v[114:115]
	ds_read_b128 v[112:115], v110 offset:512
	s_waitcnt vmcnt(0) lgkmcnt(0)
	v_fmac_f64_e32 v[108:109], v[116:117], v[112:113]
	;; [unrolled: 9-line block ×20, first 2 shown]
	buffer_load_dword v113, off, s[0:3], 0 offset:396
	buffer_load_dword v112, off, s[0:3], 0 offset:392
	s_waitcnt vmcnt(0)
	v_fmac_f64_e32 v[108:109], v[112:113], v[114:115]
	buffer_load_dword v115, off, s[0:3], 0 offset:404
	buffer_load_dword v114, off, s[0:3], 0 offset:400
	ds_read_b128 v[110:113], v110 offset:816
	s_waitcnt vmcnt(0) lgkmcnt(0)
	v_fmac_f64_e32 v[108:109], v[114:115], v[110:111]
	buffer_load_dword v111, off, s[0:3], 0 offset:412
	buffer_load_dword v110, off, s[0:3], 0 offset:408
	s_waitcnt vmcnt(0)
	v_fmac_f64_e32 v[108:109], v[110:111], v[112:113]
	v_add_f64 v[106:107], v[106:107], -v[108:109]
	buffer_store_dword v107, off, s[0:3], 0 offset:12
	buffer_store_dword v106, off, s[0:3], 0 offset:8
	s_and_saveexec_b64 s[4:5], vcc
	s_cbranch_execz .LBB51_319
; %bb.318:
	buffer_load_dword v106, off, s[0:3], 0
	buffer_load_dword v107, off, s[0:3], 0 offset:4
	v_mov_b32_e32 v0, 0
	buffer_store_dword v0, off, s[0:3], 0
	buffer_store_dword v0, off, s[0:3], 0 offset:4
	s_waitcnt vmcnt(2)
	ds_write_b64 v1, v[106:107]
.LBB51_319:
	s_or_b64 exec, exec, s[4:5]
	s_waitcnt lgkmcnt(0)
	; wave barrier
	s_waitcnt lgkmcnt(0)
	buffer_load_dword v0, off, s[0:3], 0
	buffer_load_dword v1, off, s[0:3], 0 offset:4
	buffer_load_dword v112, off, s[0:3], 0 offset:8
	buffer_load_dword v113, off, s[0:3], 0 offset:12
	buffer_load_dword v114, off, s[0:3], 0 offset:16
	buffer_load_dword v115, off, s[0:3], 0 offset:20
	buffer_load_dword v116, off, s[0:3], 0 offset:24
	buffer_load_dword v117, off, s[0:3], 0 offset:28
	buffer_load_dword v118, off, s[0:3], 0 offset:32
	buffer_load_dword v119, off, s[0:3], 0 offset:36
	buffer_load_dword v120, off, s[0:3], 0 offset:40
	buffer_load_dword v121, off, s[0:3], 0 offset:44
	buffer_load_dword v122, off, s[0:3], 0 offset:48
	buffer_load_dword v123, off, s[0:3], 0 offset:52
	buffer_load_dword v124, off, s[0:3], 0 offset:56
	buffer_load_dword v125, off, s[0:3], 0 offset:60
	v_mov_b32_e32 v110, 0
	ds_read2_b64 v[106:109], v110 offset0:53 offset1:54
	s_and_b64 vcc, exec, s[20:21]
	s_waitcnt vmcnt(12) lgkmcnt(0)
	v_fma_f64 v[106:107], v[112:113], v[106:107], 0
	s_waitcnt vmcnt(10)
	v_fmac_f64_e32 v[106:107], v[114:115], v[108:109]
	ds_read2_b64 v[112:115], v110 offset0:55 offset1:56
	s_waitcnt vmcnt(8) lgkmcnt(0)
	v_fmac_f64_e32 v[106:107], v[116:117], v[112:113]
	s_waitcnt vmcnt(6)
	v_fmac_f64_e32 v[106:107], v[118:119], v[114:115]
	ds_read2_b64 v[112:115], v110 offset0:57 offset1:58
	s_waitcnt vmcnt(4) lgkmcnt(0)
	v_fmac_f64_e32 v[106:107], v[120:121], v[112:113]
	s_waitcnt vmcnt(2)
	v_fmac_f64_e32 v[106:107], v[122:123], v[114:115]
	ds_read2_b64 v[112:115], v110 offset0:59 offset1:60
	buffer_load_dword v109, off, s[0:3], 0 offset:68
	buffer_load_dword v108, off, s[0:3], 0 offset:64
	s_waitcnt vmcnt(2) lgkmcnt(0)
	v_fmac_f64_e32 v[106:107], v[124:125], v[112:113]
	s_waitcnt vmcnt(0)
	v_fmac_f64_e32 v[106:107], v[108:109], v[114:115]
	buffer_load_dword v109, off, s[0:3], 0 offset:76
	buffer_load_dword v108, off, s[0:3], 0 offset:72
	ds_read2_b64 v[112:115], v110 offset0:61 offset1:62
	s_waitcnt vmcnt(0) lgkmcnt(0)
	v_fmac_f64_e32 v[106:107], v[108:109], v[112:113]
	buffer_load_dword v109, off, s[0:3], 0 offset:84
	buffer_load_dword v108, off, s[0:3], 0 offset:80
	s_waitcnt vmcnt(0)
	v_fmac_f64_e32 v[106:107], v[108:109], v[114:115]
	buffer_load_dword v109, off, s[0:3], 0 offset:92
	buffer_load_dword v108, off, s[0:3], 0 offset:88
	ds_read2_b64 v[112:115], v110 offset0:63 offset1:64
	s_waitcnt vmcnt(0) lgkmcnt(0)
	v_fmac_f64_e32 v[106:107], v[108:109], v[112:113]
	buffer_load_dword v109, off, s[0:3], 0 offset:100
	buffer_load_dword v108, off, s[0:3], 0 offset:96
	;; [unrolled: 9-line block ×21, first 2 shown]
	buffer_load_dword v113, off, s[0:3], 0 offset:412
	buffer_load_dword v112, off, s[0:3], 0 offset:408
	ds_read_b64 v[110:111], v110 offset:824
	s_waitcnt vmcnt(2)
	v_fmac_f64_e32 v[106:107], v[108:109], v[114:115]
	s_waitcnt vmcnt(0) lgkmcnt(0)
	v_fmac_f64_e32 v[106:107], v[112:113], v[110:111]
	v_add_f64 v[0:1], v[0:1], -v[106:107]
	buffer_store_dword v1, off, s[0:3], 0 offset:4
	buffer_store_dword v0, off, s[0:3], 0
	s_cbranch_vccz .LBB51_423
; %bb.320:
	v_pk_mov_b32 v[0:1], s[10:11], s[10:11] op_sel:[0,1]
	flat_load_dword v0, v[0:1] offset:200
	s_waitcnt vmcnt(0) lgkmcnt(0)
	v_add_u32_e32 v0, -1, v0
	v_cmp_ne_u32_e32 vcc, 50, v0
	s_and_saveexec_b64 s[4:5], vcc
	s_cbranch_execz .LBB51_322
; %bb.321:
	v_mov_b32_e32 v1, 0
	v_lshl_add_u32 v0, v0, 3, v1
	buffer_load_dword v1, v0, s[0:3], 0 offen offset:4
	buffer_load_dword v106, v0, s[0:3], 0 offen
	s_waitcnt vmcnt(1)
	buffer_store_dword v1, off, s[0:3], 0 offset:404
	s_waitcnt vmcnt(1)
	buffer_store_dword v106, off, s[0:3], 0 offset:400
	buffer_store_dword v109, v0, s[0:3], 0 offen offset:4
	buffer_store_dword v108, v0, s[0:3], 0 offen
.LBB51_322:
	s_or_b64 exec, exec, s[4:5]
	v_pk_mov_b32 v[0:1], s[10:11], s[10:11] op_sel:[0,1]
	flat_load_dword v0, v[0:1] offset:196
	s_waitcnt vmcnt(0) lgkmcnt(0)
	v_add_u32_e32 v0, -1, v0
	v_cmp_ne_u32_e32 vcc, 49, v0
	s_and_saveexec_b64 s[4:5], vcc
	s_cbranch_execz .LBB51_324
; %bb.323:
	v_mov_b32_e32 v1, 0
	v_lshl_add_u32 v0, v0, 3, v1
	buffer_load_dword v1, v0, s[0:3], 0 offen
	buffer_load_dword v106, v0, s[0:3], 0 offen offset:4
	buffer_load_dword v107, off, s[0:3], 0 offset:392
	buffer_load_dword v108, off, s[0:3], 0 offset:396
	s_waitcnt vmcnt(3)
	buffer_store_dword v1, off, s[0:3], 0 offset:392
	s_waitcnt vmcnt(3)
	buffer_store_dword v106, off, s[0:3], 0 offset:396
	s_waitcnt vmcnt(3)
	buffer_store_dword v107, v0, s[0:3], 0 offen
	s_waitcnt vmcnt(3)
	buffer_store_dword v108, v0, s[0:3], 0 offen offset:4
.LBB51_324:
	s_or_b64 exec, exec, s[4:5]
	v_pk_mov_b32 v[0:1], s[10:11], s[10:11] op_sel:[0,1]
	flat_load_dword v0, v[0:1] offset:192
	s_waitcnt vmcnt(0) lgkmcnt(0)
	v_add_u32_e32 v0, -1, v0
	v_cmp_ne_u32_e32 vcc, 48, v0
	s_and_saveexec_b64 s[4:5], vcc
	s_cbranch_execz .LBB51_326
; %bb.325:
	v_mov_b32_e32 v1, 0
	v_lshl_add_u32 v0, v0, 3, v1
	buffer_load_dword v1, v0, s[0:3], 0 offen
	buffer_load_dword v106, v0, s[0:3], 0 offen offset:4
	buffer_load_dword v107, off, s[0:3], 0 offset:388
	buffer_load_dword v108, off, s[0:3], 0 offset:384
	s_waitcnt vmcnt(3)
	buffer_store_dword v1, off, s[0:3], 0 offset:384
	s_waitcnt vmcnt(3)
	buffer_store_dword v106, off, s[0:3], 0 offset:388
	s_waitcnt vmcnt(3)
	buffer_store_dword v107, v0, s[0:3], 0 offen offset:4
	s_waitcnt vmcnt(3)
	buffer_store_dword v108, v0, s[0:3], 0 offen
.LBB51_326:
	s_or_b64 exec, exec, s[4:5]
	v_pk_mov_b32 v[0:1], s[10:11], s[10:11] op_sel:[0,1]
	flat_load_dword v0, v[0:1] offset:188
	s_waitcnt vmcnt(0) lgkmcnt(0)
	v_add_u32_e32 v0, -1, v0
	v_cmp_ne_u32_e32 vcc, 47, v0
	s_and_saveexec_b64 s[4:5], vcc
	s_cbranch_execz .LBB51_328
; %bb.327:
	v_mov_b32_e32 v1, 0
	v_lshl_add_u32 v0, v0, 3, v1
	buffer_load_dword v1, v0, s[0:3], 0 offen
	buffer_load_dword v106, v0, s[0:3], 0 offen offset:4
	buffer_load_dword v107, off, s[0:3], 0 offset:376
	buffer_load_dword v108, off, s[0:3], 0 offset:380
	s_waitcnt vmcnt(3)
	buffer_store_dword v1, off, s[0:3], 0 offset:376
	s_waitcnt vmcnt(3)
	buffer_store_dword v106, off, s[0:3], 0 offset:380
	s_waitcnt vmcnt(3)
	buffer_store_dword v107, v0, s[0:3], 0 offen
	s_waitcnt vmcnt(3)
	buffer_store_dword v108, v0, s[0:3], 0 offen offset:4
.LBB51_328:
	s_or_b64 exec, exec, s[4:5]
	v_pk_mov_b32 v[0:1], s[10:11], s[10:11] op_sel:[0,1]
	flat_load_dword v0, v[0:1] offset:184
	s_waitcnt vmcnt(0) lgkmcnt(0)
	v_add_u32_e32 v0, -1, v0
	v_cmp_ne_u32_e32 vcc, 46, v0
	s_and_saveexec_b64 s[4:5], vcc
	s_cbranch_execz .LBB51_330
; %bb.329:
	v_mov_b32_e32 v1, 0
	v_lshl_add_u32 v0, v0, 3, v1
	buffer_load_dword v1, v0, s[0:3], 0 offen
	buffer_load_dword v106, v0, s[0:3], 0 offen offset:4
	buffer_load_dword v107, off, s[0:3], 0 offset:372
	buffer_load_dword v108, off, s[0:3], 0 offset:368
	s_waitcnt vmcnt(3)
	buffer_store_dword v1, off, s[0:3], 0 offset:368
	s_waitcnt vmcnt(3)
	buffer_store_dword v106, off, s[0:3], 0 offset:372
	s_waitcnt vmcnt(3)
	buffer_store_dword v107, v0, s[0:3], 0 offen offset:4
	s_waitcnt vmcnt(3)
	buffer_store_dword v108, v0, s[0:3], 0 offen
.LBB51_330:
	s_or_b64 exec, exec, s[4:5]
	v_pk_mov_b32 v[0:1], s[10:11], s[10:11] op_sel:[0,1]
	flat_load_dword v0, v[0:1] offset:180
	s_waitcnt vmcnt(0) lgkmcnt(0)
	v_add_u32_e32 v0, -1, v0
	v_cmp_ne_u32_e32 vcc, 45, v0
	s_and_saveexec_b64 s[4:5], vcc
	s_cbranch_execz .LBB51_332
; %bb.331:
	v_mov_b32_e32 v1, 0
	v_lshl_add_u32 v0, v0, 3, v1
	buffer_load_dword v1, v0, s[0:3], 0 offen
	buffer_load_dword v106, v0, s[0:3], 0 offen offset:4
	buffer_load_dword v107, off, s[0:3], 0 offset:360
	buffer_load_dword v108, off, s[0:3], 0 offset:364
	s_waitcnt vmcnt(3)
	buffer_store_dword v1, off, s[0:3], 0 offset:360
	s_waitcnt vmcnt(3)
	buffer_store_dword v106, off, s[0:3], 0 offset:364
	s_waitcnt vmcnt(3)
	buffer_store_dword v107, v0, s[0:3], 0 offen
	s_waitcnt vmcnt(3)
	buffer_store_dword v108, v0, s[0:3], 0 offen offset:4
.LBB51_332:
	s_or_b64 exec, exec, s[4:5]
	v_pk_mov_b32 v[0:1], s[10:11], s[10:11] op_sel:[0,1]
	flat_load_dword v0, v[0:1] offset:176
	s_waitcnt vmcnt(0) lgkmcnt(0)
	v_add_u32_e32 v0, -1, v0
	v_cmp_ne_u32_e32 vcc, 44, v0
	s_and_saveexec_b64 s[4:5], vcc
	s_cbranch_execz .LBB51_334
; %bb.333:
	v_mov_b32_e32 v1, 0
	v_lshl_add_u32 v0, v0, 3, v1
	buffer_load_dword v1, v0, s[0:3], 0 offen
	buffer_load_dword v106, v0, s[0:3], 0 offen offset:4
	buffer_load_dword v107, off, s[0:3], 0 offset:356
	buffer_load_dword v108, off, s[0:3], 0 offset:352
	s_waitcnt vmcnt(3)
	buffer_store_dword v1, off, s[0:3], 0 offset:352
	s_waitcnt vmcnt(3)
	buffer_store_dword v106, off, s[0:3], 0 offset:356
	s_waitcnt vmcnt(3)
	buffer_store_dword v107, v0, s[0:3], 0 offen offset:4
	s_waitcnt vmcnt(3)
	buffer_store_dword v108, v0, s[0:3], 0 offen
.LBB51_334:
	s_or_b64 exec, exec, s[4:5]
	v_pk_mov_b32 v[0:1], s[10:11], s[10:11] op_sel:[0,1]
	flat_load_dword v0, v[0:1] offset:172
	s_waitcnt vmcnt(0) lgkmcnt(0)
	v_add_u32_e32 v0, -1, v0
	v_cmp_ne_u32_e32 vcc, 43, v0
	s_and_saveexec_b64 s[4:5], vcc
	s_cbranch_execz .LBB51_336
; %bb.335:
	v_mov_b32_e32 v1, 0
	v_lshl_add_u32 v0, v0, 3, v1
	buffer_load_dword v1, v0, s[0:3], 0 offen
	buffer_load_dword v106, v0, s[0:3], 0 offen offset:4
	buffer_load_dword v107, off, s[0:3], 0 offset:344
	buffer_load_dword v108, off, s[0:3], 0 offset:348
	s_waitcnt vmcnt(3)
	buffer_store_dword v1, off, s[0:3], 0 offset:344
	s_waitcnt vmcnt(3)
	buffer_store_dword v106, off, s[0:3], 0 offset:348
	s_waitcnt vmcnt(3)
	buffer_store_dword v107, v0, s[0:3], 0 offen
	s_waitcnt vmcnt(3)
	buffer_store_dword v108, v0, s[0:3], 0 offen offset:4
.LBB51_336:
	s_or_b64 exec, exec, s[4:5]
	v_pk_mov_b32 v[0:1], s[10:11], s[10:11] op_sel:[0,1]
	flat_load_dword v0, v[0:1] offset:168
	s_waitcnt vmcnt(0) lgkmcnt(0)
	v_add_u32_e32 v0, -1, v0
	v_cmp_ne_u32_e32 vcc, 42, v0
	s_and_saveexec_b64 s[4:5], vcc
	s_cbranch_execz .LBB51_338
; %bb.337:
	v_mov_b32_e32 v1, 0
	v_lshl_add_u32 v0, v0, 3, v1
	buffer_load_dword v1, v0, s[0:3], 0 offen
	buffer_load_dword v106, v0, s[0:3], 0 offen offset:4
	buffer_load_dword v107, off, s[0:3], 0 offset:340
	buffer_load_dword v108, off, s[0:3], 0 offset:336
	s_waitcnt vmcnt(3)
	buffer_store_dword v1, off, s[0:3], 0 offset:336
	s_waitcnt vmcnt(3)
	buffer_store_dword v106, off, s[0:3], 0 offset:340
	s_waitcnt vmcnt(3)
	buffer_store_dword v107, v0, s[0:3], 0 offen offset:4
	s_waitcnt vmcnt(3)
	buffer_store_dword v108, v0, s[0:3], 0 offen
.LBB51_338:
	s_or_b64 exec, exec, s[4:5]
	v_pk_mov_b32 v[0:1], s[10:11], s[10:11] op_sel:[0,1]
	flat_load_dword v0, v[0:1] offset:164
	s_waitcnt vmcnt(0) lgkmcnt(0)
	v_add_u32_e32 v0, -1, v0
	v_cmp_ne_u32_e32 vcc, 41, v0
	s_and_saveexec_b64 s[4:5], vcc
	s_cbranch_execz .LBB51_340
; %bb.339:
	v_mov_b32_e32 v1, 0
	v_lshl_add_u32 v0, v0, 3, v1
	buffer_load_dword v1, v0, s[0:3], 0 offen
	buffer_load_dword v106, v0, s[0:3], 0 offen offset:4
	buffer_load_dword v107, off, s[0:3], 0 offset:328
	buffer_load_dword v108, off, s[0:3], 0 offset:332
	s_waitcnt vmcnt(3)
	buffer_store_dword v1, off, s[0:3], 0 offset:328
	s_waitcnt vmcnt(3)
	buffer_store_dword v106, off, s[0:3], 0 offset:332
	s_waitcnt vmcnt(3)
	buffer_store_dword v107, v0, s[0:3], 0 offen
	s_waitcnt vmcnt(3)
	buffer_store_dword v108, v0, s[0:3], 0 offen offset:4
.LBB51_340:
	s_or_b64 exec, exec, s[4:5]
	v_pk_mov_b32 v[0:1], s[10:11], s[10:11] op_sel:[0,1]
	flat_load_dword v0, v[0:1] offset:160
	s_waitcnt vmcnt(0) lgkmcnt(0)
	v_add_u32_e32 v0, -1, v0
	v_cmp_ne_u32_e32 vcc, 40, v0
	s_and_saveexec_b64 s[4:5], vcc
	s_cbranch_execz .LBB51_342
; %bb.341:
	v_mov_b32_e32 v1, 0
	v_lshl_add_u32 v0, v0, 3, v1
	buffer_load_dword v1, v0, s[0:3], 0 offen
	buffer_load_dword v106, v0, s[0:3], 0 offen offset:4
	buffer_load_dword v107, off, s[0:3], 0 offset:324
	buffer_load_dword v108, off, s[0:3], 0 offset:320
	s_waitcnt vmcnt(3)
	buffer_store_dword v1, off, s[0:3], 0 offset:320
	s_waitcnt vmcnt(3)
	buffer_store_dword v106, off, s[0:3], 0 offset:324
	s_waitcnt vmcnt(3)
	buffer_store_dword v107, v0, s[0:3], 0 offen offset:4
	s_waitcnt vmcnt(3)
	buffer_store_dword v108, v0, s[0:3], 0 offen
.LBB51_342:
	s_or_b64 exec, exec, s[4:5]
	v_pk_mov_b32 v[0:1], s[10:11], s[10:11] op_sel:[0,1]
	flat_load_dword v0, v[0:1] offset:156
	s_waitcnt vmcnt(0) lgkmcnt(0)
	v_add_u32_e32 v0, -1, v0
	v_cmp_ne_u32_e32 vcc, 39, v0
	s_and_saveexec_b64 s[4:5], vcc
	s_cbranch_execz .LBB51_344
; %bb.343:
	v_mov_b32_e32 v1, 0
	v_lshl_add_u32 v0, v0, 3, v1
	buffer_load_dword v1, v0, s[0:3], 0 offen
	buffer_load_dword v106, v0, s[0:3], 0 offen offset:4
	buffer_load_dword v107, off, s[0:3], 0 offset:312
	buffer_load_dword v108, off, s[0:3], 0 offset:316
	s_waitcnt vmcnt(3)
	buffer_store_dword v1, off, s[0:3], 0 offset:312
	s_waitcnt vmcnt(3)
	buffer_store_dword v106, off, s[0:3], 0 offset:316
	s_waitcnt vmcnt(3)
	buffer_store_dword v107, v0, s[0:3], 0 offen
	s_waitcnt vmcnt(3)
	buffer_store_dword v108, v0, s[0:3], 0 offen offset:4
.LBB51_344:
	s_or_b64 exec, exec, s[4:5]
	v_pk_mov_b32 v[0:1], s[10:11], s[10:11] op_sel:[0,1]
	flat_load_dword v0, v[0:1] offset:152
	s_waitcnt vmcnt(0) lgkmcnt(0)
	v_add_u32_e32 v0, -1, v0
	v_cmp_ne_u32_e32 vcc, 38, v0
	s_and_saveexec_b64 s[4:5], vcc
	s_cbranch_execz .LBB51_346
; %bb.345:
	v_mov_b32_e32 v1, 0
	v_lshl_add_u32 v0, v0, 3, v1
	buffer_load_dword v1, v0, s[0:3], 0 offen
	buffer_load_dword v106, v0, s[0:3], 0 offen offset:4
	buffer_load_dword v107, off, s[0:3], 0 offset:308
	buffer_load_dword v108, off, s[0:3], 0 offset:304
	s_waitcnt vmcnt(3)
	buffer_store_dword v1, off, s[0:3], 0 offset:304
	s_waitcnt vmcnt(3)
	buffer_store_dword v106, off, s[0:3], 0 offset:308
	s_waitcnt vmcnt(3)
	buffer_store_dword v107, v0, s[0:3], 0 offen offset:4
	s_waitcnt vmcnt(3)
	buffer_store_dword v108, v0, s[0:3], 0 offen
.LBB51_346:
	s_or_b64 exec, exec, s[4:5]
	v_pk_mov_b32 v[0:1], s[10:11], s[10:11] op_sel:[0,1]
	flat_load_dword v0, v[0:1] offset:148
	s_waitcnt vmcnt(0) lgkmcnt(0)
	v_add_u32_e32 v0, -1, v0
	v_cmp_ne_u32_e32 vcc, 37, v0
	s_and_saveexec_b64 s[4:5], vcc
	s_cbranch_execz .LBB51_348
; %bb.347:
	v_mov_b32_e32 v1, 0
	v_lshl_add_u32 v0, v0, 3, v1
	buffer_load_dword v1, v0, s[0:3], 0 offen
	buffer_load_dword v106, v0, s[0:3], 0 offen offset:4
	buffer_load_dword v107, off, s[0:3], 0 offset:296
	buffer_load_dword v108, off, s[0:3], 0 offset:300
	s_waitcnt vmcnt(3)
	buffer_store_dword v1, off, s[0:3], 0 offset:296
	s_waitcnt vmcnt(3)
	buffer_store_dword v106, off, s[0:3], 0 offset:300
	s_waitcnt vmcnt(3)
	buffer_store_dword v107, v0, s[0:3], 0 offen
	s_waitcnt vmcnt(3)
	buffer_store_dword v108, v0, s[0:3], 0 offen offset:4
.LBB51_348:
	s_or_b64 exec, exec, s[4:5]
	v_pk_mov_b32 v[0:1], s[10:11], s[10:11] op_sel:[0,1]
	flat_load_dword v0, v[0:1] offset:144
	s_waitcnt vmcnt(0) lgkmcnt(0)
	v_add_u32_e32 v0, -1, v0
	v_cmp_ne_u32_e32 vcc, 36, v0
	s_and_saveexec_b64 s[4:5], vcc
	s_cbranch_execz .LBB51_350
; %bb.349:
	v_mov_b32_e32 v1, 0
	v_lshl_add_u32 v0, v0, 3, v1
	buffer_load_dword v1, v0, s[0:3], 0 offen
	buffer_load_dword v106, v0, s[0:3], 0 offen offset:4
	buffer_load_dword v107, off, s[0:3], 0 offset:292
	buffer_load_dword v108, off, s[0:3], 0 offset:288
	s_waitcnt vmcnt(3)
	buffer_store_dword v1, off, s[0:3], 0 offset:288
	s_waitcnt vmcnt(3)
	buffer_store_dword v106, off, s[0:3], 0 offset:292
	s_waitcnt vmcnt(3)
	buffer_store_dword v107, v0, s[0:3], 0 offen offset:4
	s_waitcnt vmcnt(3)
	buffer_store_dword v108, v0, s[0:3], 0 offen
.LBB51_350:
	s_or_b64 exec, exec, s[4:5]
	v_pk_mov_b32 v[0:1], s[10:11], s[10:11] op_sel:[0,1]
	flat_load_dword v0, v[0:1] offset:140
	s_waitcnt vmcnt(0) lgkmcnt(0)
	v_add_u32_e32 v0, -1, v0
	v_cmp_ne_u32_e32 vcc, 35, v0
	s_and_saveexec_b64 s[4:5], vcc
	s_cbranch_execz .LBB51_352
; %bb.351:
	v_mov_b32_e32 v1, 0
	v_lshl_add_u32 v0, v0, 3, v1
	buffer_load_dword v1, v0, s[0:3], 0 offen
	buffer_load_dword v106, v0, s[0:3], 0 offen offset:4
	buffer_load_dword v107, off, s[0:3], 0 offset:280
	buffer_load_dword v108, off, s[0:3], 0 offset:284
	s_waitcnt vmcnt(3)
	buffer_store_dword v1, off, s[0:3], 0 offset:280
	s_waitcnt vmcnt(3)
	buffer_store_dword v106, off, s[0:3], 0 offset:284
	s_waitcnt vmcnt(3)
	buffer_store_dword v107, v0, s[0:3], 0 offen
	s_waitcnt vmcnt(3)
	buffer_store_dword v108, v0, s[0:3], 0 offen offset:4
.LBB51_352:
	s_or_b64 exec, exec, s[4:5]
	v_pk_mov_b32 v[0:1], s[10:11], s[10:11] op_sel:[0,1]
	flat_load_dword v0, v[0:1] offset:136
	s_waitcnt vmcnt(0) lgkmcnt(0)
	v_add_u32_e32 v0, -1, v0
	v_cmp_ne_u32_e32 vcc, 34, v0
	s_and_saveexec_b64 s[4:5], vcc
	s_cbranch_execz .LBB51_354
; %bb.353:
	v_mov_b32_e32 v1, 0
	v_lshl_add_u32 v0, v0, 3, v1
	buffer_load_dword v1, v0, s[0:3], 0 offen
	buffer_load_dword v106, v0, s[0:3], 0 offen offset:4
	buffer_load_dword v107, off, s[0:3], 0 offset:276
	buffer_load_dword v108, off, s[0:3], 0 offset:272
	s_waitcnt vmcnt(3)
	buffer_store_dword v1, off, s[0:3], 0 offset:272
	s_waitcnt vmcnt(3)
	buffer_store_dword v106, off, s[0:3], 0 offset:276
	s_waitcnt vmcnt(3)
	buffer_store_dword v107, v0, s[0:3], 0 offen offset:4
	s_waitcnt vmcnt(3)
	buffer_store_dword v108, v0, s[0:3], 0 offen
.LBB51_354:
	s_or_b64 exec, exec, s[4:5]
	v_pk_mov_b32 v[0:1], s[10:11], s[10:11] op_sel:[0,1]
	flat_load_dword v0, v[0:1] offset:132
	s_waitcnt vmcnt(0) lgkmcnt(0)
	v_add_u32_e32 v0, -1, v0
	v_cmp_ne_u32_e32 vcc, 33, v0
	s_and_saveexec_b64 s[4:5], vcc
	s_cbranch_execz .LBB51_356
; %bb.355:
	v_mov_b32_e32 v1, 0
	v_lshl_add_u32 v0, v0, 3, v1
	buffer_load_dword v1, v0, s[0:3], 0 offen
	buffer_load_dword v106, v0, s[0:3], 0 offen offset:4
	buffer_load_dword v107, off, s[0:3], 0 offset:264
	buffer_load_dword v108, off, s[0:3], 0 offset:268
	s_waitcnt vmcnt(3)
	buffer_store_dword v1, off, s[0:3], 0 offset:264
	s_waitcnt vmcnt(3)
	buffer_store_dword v106, off, s[0:3], 0 offset:268
	s_waitcnt vmcnt(3)
	buffer_store_dword v107, v0, s[0:3], 0 offen
	s_waitcnt vmcnt(3)
	buffer_store_dword v108, v0, s[0:3], 0 offen offset:4
.LBB51_356:
	s_or_b64 exec, exec, s[4:5]
	v_pk_mov_b32 v[0:1], s[10:11], s[10:11] op_sel:[0,1]
	flat_load_dword v0, v[0:1] offset:128
	s_waitcnt vmcnt(0) lgkmcnt(0)
	v_add_u32_e32 v0, -1, v0
	v_cmp_ne_u32_e32 vcc, 32, v0
	s_and_saveexec_b64 s[4:5], vcc
	s_cbranch_execz .LBB51_358
; %bb.357:
	v_mov_b32_e32 v1, 0
	v_lshl_add_u32 v0, v0, 3, v1
	buffer_load_dword v1, v0, s[0:3], 0 offen
	buffer_load_dword v106, v0, s[0:3], 0 offen offset:4
	buffer_load_dword v107, off, s[0:3], 0 offset:260
	buffer_load_dword v108, off, s[0:3], 0 offset:256
	s_waitcnt vmcnt(3)
	buffer_store_dword v1, off, s[0:3], 0 offset:256
	s_waitcnt vmcnt(3)
	buffer_store_dword v106, off, s[0:3], 0 offset:260
	s_waitcnt vmcnt(3)
	buffer_store_dword v107, v0, s[0:3], 0 offen offset:4
	s_waitcnt vmcnt(3)
	buffer_store_dword v108, v0, s[0:3], 0 offen
.LBB51_358:
	s_or_b64 exec, exec, s[4:5]
	v_pk_mov_b32 v[0:1], s[10:11], s[10:11] op_sel:[0,1]
	flat_load_dword v0, v[0:1] offset:124
	s_waitcnt vmcnt(0) lgkmcnt(0)
	v_add_u32_e32 v0, -1, v0
	v_cmp_ne_u32_e32 vcc, 31, v0
	s_and_saveexec_b64 s[4:5], vcc
	s_cbranch_execz .LBB51_360
; %bb.359:
	v_mov_b32_e32 v1, 0
	v_lshl_add_u32 v0, v0, 3, v1
	buffer_load_dword v1, v0, s[0:3], 0 offen
	buffer_load_dword v106, v0, s[0:3], 0 offen offset:4
	buffer_load_dword v107, off, s[0:3], 0 offset:248
	buffer_load_dword v108, off, s[0:3], 0 offset:252
	s_waitcnt vmcnt(3)
	buffer_store_dword v1, off, s[0:3], 0 offset:248
	s_waitcnt vmcnt(3)
	buffer_store_dword v106, off, s[0:3], 0 offset:252
	s_waitcnt vmcnt(3)
	buffer_store_dword v107, v0, s[0:3], 0 offen
	s_waitcnt vmcnt(3)
	buffer_store_dword v108, v0, s[0:3], 0 offen offset:4
.LBB51_360:
	s_or_b64 exec, exec, s[4:5]
	v_pk_mov_b32 v[0:1], s[10:11], s[10:11] op_sel:[0,1]
	flat_load_dword v0, v[0:1] offset:120
	s_waitcnt vmcnt(0) lgkmcnt(0)
	v_add_u32_e32 v0, -1, v0
	v_cmp_ne_u32_e32 vcc, 30, v0
	s_and_saveexec_b64 s[4:5], vcc
	s_cbranch_execz .LBB51_362
; %bb.361:
	v_mov_b32_e32 v1, 0
	v_lshl_add_u32 v0, v0, 3, v1
	buffer_load_dword v1, v0, s[0:3], 0 offen
	buffer_load_dword v106, v0, s[0:3], 0 offen offset:4
	buffer_load_dword v107, off, s[0:3], 0 offset:244
	buffer_load_dword v108, off, s[0:3], 0 offset:240
	s_waitcnt vmcnt(3)
	buffer_store_dword v1, off, s[0:3], 0 offset:240
	s_waitcnt vmcnt(3)
	buffer_store_dword v106, off, s[0:3], 0 offset:244
	s_waitcnt vmcnt(3)
	buffer_store_dword v107, v0, s[0:3], 0 offen offset:4
	s_waitcnt vmcnt(3)
	buffer_store_dword v108, v0, s[0:3], 0 offen
.LBB51_362:
	s_or_b64 exec, exec, s[4:5]
	v_pk_mov_b32 v[0:1], s[10:11], s[10:11] op_sel:[0,1]
	flat_load_dword v0, v[0:1] offset:116
	s_waitcnt vmcnt(0) lgkmcnt(0)
	v_add_u32_e32 v0, -1, v0
	v_cmp_ne_u32_e32 vcc, 29, v0
	s_and_saveexec_b64 s[4:5], vcc
	s_cbranch_execz .LBB51_364
; %bb.363:
	v_mov_b32_e32 v1, 0
	v_lshl_add_u32 v0, v0, 3, v1
	buffer_load_dword v1, v0, s[0:3], 0 offen
	buffer_load_dword v106, v0, s[0:3], 0 offen offset:4
	buffer_load_dword v107, off, s[0:3], 0 offset:232
	buffer_load_dword v108, off, s[0:3], 0 offset:236
	s_waitcnt vmcnt(3)
	buffer_store_dword v1, off, s[0:3], 0 offset:232
	s_waitcnt vmcnt(3)
	buffer_store_dword v106, off, s[0:3], 0 offset:236
	s_waitcnt vmcnt(3)
	buffer_store_dword v107, v0, s[0:3], 0 offen
	s_waitcnt vmcnt(3)
	buffer_store_dword v108, v0, s[0:3], 0 offen offset:4
.LBB51_364:
	s_or_b64 exec, exec, s[4:5]
	v_pk_mov_b32 v[0:1], s[10:11], s[10:11] op_sel:[0,1]
	flat_load_dword v0, v[0:1] offset:112
	s_waitcnt vmcnt(0) lgkmcnt(0)
	v_add_u32_e32 v0, -1, v0
	v_cmp_ne_u32_e32 vcc, 28, v0
	s_and_saveexec_b64 s[4:5], vcc
	s_cbranch_execz .LBB51_366
; %bb.365:
	v_mov_b32_e32 v1, 0
	v_lshl_add_u32 v0, v0, 3, v1
	buffer_load_dword v1, v0, s[0:3], 0 offen
	buffer_load_dword v106, v0, s[0:3], 0 offen offset:4
	buffer_load_dword v107, off, s[0:3], 0 offset:228
	buffer_load_dword v108, off, s[0:3], 0 offset:224
	s_waitcnt vmcnt(3)
	buffer_store_dword v1, off, s[0:3], 0 offset:224
	s_waitcnt vmcnt(3)
	buffer_store_dword v106, off, s[0:3], 0 offset:228
	s_waitcnt vmcnt(3)
	buffer_store_dword v107, v0, s[0:3], 0 offen offset:4
	s_waitcnt vmcnt(3)
	buffer_store_dword v108, v0, s[0:3], 0 offen
.LBB51_366:
	s_or_b64 exec, exec, s[4:5]
	v_pk_mov_b32 v[0:1], s[10:11], s[10:11] op_sel:[0,1]
	flat_load_dword v0, v[0:1] offset:108
	s_waitcnt vmcnt(0) lgkmcnt(0)
	v_add_u32_e32 v0, -1, v0
	v_cmp_ne_u32_e32 vcc, 27, v0
	s_and_saveexec_b64 s[4:5], vcc
	s_cbranch_execz .LBB51_368
; %bb.367:
	v_mov_b32_e32 v1, 0
	v_lshl_add_u32 v0, v0, 3, v1
	buffer_load_dword v1, v0, s[0:3], 0 offen
	buffer_load_dword v106, v0, s[0:3], 0 offen offset:4
	buffer_load_dword v107, off, s[0:3], 0 offset:216
	buffer_load_dword v108, off, s[0:3], 0 offset:220
	s_waitcnt vmcnt(3)
	buffer_store_dword v1, off, s[0:3], 0 offset:216
	s_waitcnt vmcnt(3)
	buffer_store_dword v106, off, s[0:3], 0 offset:220
	s_waitcnt vmcnt(3)
	buffer_store_dword v107, v0, s[0:3], 0 offen
	s_waitcnt vmcnt(3)
	buffer_store_dword v108, v0, s[0:3], 0 offen offset:4
.LBB51_368:
	s_or_b64 exec, exec, s[4:5]
	v_pk_mov_b32 v[0:1], s[10:11], s[10:11] op_sel:[0,1]
	flat_load_dword v0, v[0:1] offset:104
	s_waitcnt vmcnt(0) lgkmcnt(0)
	v_add_u32_e32 v0, -1, v0
	v_cmp_ne_u32_e32 vcc, 26, v0
	s_and_saveexec_b64 s[4:5], vcc
	s_cbranch_execz .LBB51_370
; %bb.369:
	v_mov_b32_e32 v1, 0
	v_lshl_add_u32 v0, v0, 3, v1
	buffer_load_dword v1, v0, s[0:3], 0 offen
	buffer_load_dword v106, v0, s[0:3], 0 offen offset:4
	buffer_load_dword v107, off, s[0:3], 0 offset:212
	buffer_load_dword v108, off, s[0:3], 0 offset:208
	s_waitcnt vmcnt(3)
	buffer_store_dword v1, off, s[0:3], 0 offset:208
	s_waitcnt vmcnt(3)
	buffer_store_dword v106, off, s[0:3], 0 offset:212
	s_waitcnt vmcnt(3)
	buffer_store_dword v107, v0, s[0:3], 0 offen offset:4
	s_waitcnt vmcnt(3)
	buffer_store_dword v108, v0, s[0:3], 0 offen
.LBB51_370:
	s_or_b64 exec, exec, s[4:5]
	v_pk_mov_b32 v[0:1], s[10:11], s[10:11] op_sel:[0,1]
	flat_load_dword v0, v[0:1] offset:100
	s_waitcnt vmcnt(0) lgkmcnt(0)
	v_add_u32_e32 v0, -1, v0
	v_cmp_ne_u32_e32 vcc, 25, v0
	s_and_saveexec_b64 s[4:5], vcc
	s_cbranch_execz .LBB51_372
; %bb.371:
	v_mov_b32_e32 v1, 0
	v_lshl_add_u32 v0, v0, 3, v1
	buffer_load_dword v1, v0, s[0:3], 0 offen
	buffer_load_dword v106, v0, s[0:3], 0 offen offset:4
	buffer_load_dword v107, off, s[0:3], 0 offset:200
	buffer_load_dword v108, off, s[0:3], 0 offset:204
	s_waitcnt vmcnt(3)
	buffer_store_dword v1, off, s[0:3], 0 offset:200
	s_waitcnt vmcnt(3)
	buffer_store_dword v106, off, s[0:3], 0 offset:204
	s_waitcnt vmcnt(3)
	buffer_store_dword v107, v0, s[0:3], 0 offen
	s_waitcnt vmcnt(3)
	buffer_store_dword v108, v0, s[0:3], 0 offen offset:4
.LBB51_372:
	s_or_b64 exec, exec, s[4:5]
	v_pk_mov_b32 v[0:1], s[10:11], s[10:11] op_sel:[0,1]
	flat_load_dword v0, v[0:1] offset:96
	s_waitcnt vmcnt(0) lgkmcnt(0)
	v_add_u32_e32 v0, -1, v0
	v_cmp_ne_u32_e32 vcc, 24, v0
	s_and_saveexec_b64 s[4:5], vcc
	s_cbranch_execz .LBB51_374
; %bb.373:
	v_mov_b32_e32 v1, 0
	v_lshl_add_u32 v0, v0, 3, v1
	buffer_load_dword v1, v0, s[0:3], 0 offen
	buffer_load_dword v106, v0, s[0:3], 0 offen offset:4
	buffer_load_dword v107, off, s[0:3], 0 offset:196
	buffer_load_dword v108, off, s[0:3], 0 offset:192
	s_waitcnt vmcnt(3)
	buffer_store_dword v1, off, s[0:3], 0 offset:192
	s_waitcnt vmcnt(3)
	buffer_store_dword v106, off, s[0:3], 0 offset:196
	s_waitcnt vmcnt(3)
	buffer_store_dword v107, v0, s[0:3], 0 offen offset:4
	s_waitcnt vmcnt(3)
	buffer_store_dword v108, v0, s[0:3], 0 offen
.LBB51_374:
	s_or_b64 exec, exec, s[4:5]
	v_pk_mov_b32 v[0:1], s[10:11], s[10:11] op_sel:[0,1]
	flat_load_dword v0, v[0:1] offset:92
	s_waitcnt vmcnt(0) lgkmcnt(0)
	v_add_u32_e32 v0, -1, v0
	v_cmp_ne_u32_e32 vcc, 23, v0
	s_and_saveexec_b64 s[4:5], vcc
	s_cbranch_execz .LBB51_376
; %bb.375:
	v_mov_b32_e32 v1, 0
	v_lshl_add_u32 v0, v0, 3, v1
	buffer_load_dword v1, v0, s[0:3], 0 offen
	buffer_load_dword v106, v0, s[0:3], 0 offen offset:4
	buffer_load_dword v107, off, s[0:3], 0 offset:184
	buffer_load_dword v108, off, s[0:3], 0 offset:188
	s_waitcnt vmcnt(3)
	buffer_store_dword v1, off, s[0:3], 0 offset:184
	s_waitcnt vmcnt(3)
	buffer_store_dword v106, off, s[0:3], 0 offset:188
	s_waitcnt vmcnt(3)
	buffer_store_dword v107, v0, s[0:3], 0 offen
	s_waitcnt vmcnt(3)
	buffer_store_dword v108, v0, s[0:3], 0 offen offset:4
.LBB51_376:
	s_or_b64 exec, exec, s[4:5]
	v_pk_mov_b32 v[0:1], s[10:11], s[10:11] op_sel:[0,1]
	flat_load_dword v0, v[0:1] offset:88
	s_waitcnt vmcnt(0) lgkmcnt(0)
	v_add_u32_e32 v0, -1, v0
	v_cmp_ne_u32_e32 vcc, 22, v0
	s_and_saveexec_b64 s[4:5], vcc
	s_cbranch_execz .LBB51_378
; %bb.377:
	v_mov_b32_e32 v1, 0
	v_lshl_add_u32 v0, v0, 3, v1
	buffer_load_dword v1, v0, s[0:3], 0 offen
	buffer_load_dword v106, v0, s[0:3], 0 offen offset:4
	buffer_load_dword v107, off, s[0:3], 0 offset:180
	buffer_load_dword v108, off, s[0:3], 0 offset:176
	s_waitcnt vmcnt(3)
	buffer_store_dword v1, off, s[0:3], 0 offset:176
	s_waitcnt vmcnt(3)
	buffer_store_dword v106, off, s[0:3], 0 offset:180
	s_waitcnt vmcnt(3)
	buffer_store_dword v107, v0, s[0:3], 0 offen offset:4
	s_waitcnt vmcnt(3)
	buffer_store_dword v108, v0, s[0:3], 0 offen
.LBB51_378:
	s_or_b64 exec, exec, s[4:5]
	v_pk_mov_b32 v[0:1], s[10:11], s[10:11] op_sel:[0,1]
	flat_load_dword v0, v[0:1] offset:84
	s_waitcnt vmcnt(0) lgkmcnt(0)
	v_add_u32_e32 v0, -1, v0
	v_cmp_ne_u32_e32 vcc, 21, v0
	s_and_saveexec_b64 s[4:5], vcc
	s_cbranch_execz .LBB51_380
; %bb.379:
	v_mov_b32_e32 v1, 0
	v_lshl_add_u32 v0, v0, 3, v1
	buffer_load_dword v1, v0, s[0:3], 0 offen
	buffer_load_dword v106, v0, s[0:3], 0 offen offset:4
	buffer_load_dword v107, off, s[0:3], 0 offset:168
	buffer_load_dword v108, off, s[0:3], 0 offset:172
	s_waitcnt vmcnt(3)
	buffer_store_dword v1, off, s[0:3], 0 offset:168
	s_waitcnt vmcnt(3)
	buffer_store_dword v106, off, s[0:3], 0 offset:172
	s_waitcnt vmcnt(3)
	buffer_store_dword v107, v0, s[0:3], 0 offen
	s_waitcnt vmcnt(3)
	buffer_store_dword v108, v0, s[0:3], 0 offen offset:4
.LBB51_380:
	s_or_b64 exec, exec, s[4:5]
	v_pk_mov_b32 v[0:1], s[10:11], s[10:11] op_sel:[0,1]
	flat_load_dword v0, v[0:1] offset:80
	s_waitcnt vmcnt(0) lgkmcnt(0)
	v_add_u32_e32 v0, -1, v0
	v_cmp_ne_u32_e32 vcc, 20, v0
	s_and_saveexec_b64 s[4:5], vcc
	s_cbranch_execz .LBB51_382
; %bb.381:
	v_mov_b32_e32 v1, 0
	v_lshl_add_u32 v0, v0, 3, v1
	buffer_load_dword v1, v0, s[0:3], 0 offen
	buffer_load_dword v106, v0, s[0:3], 0 offen offset:4
	buffer_load_dword v107, off, s[0:3], 0 offset:164
	buffer_load_dword v108, off, s[0:3], 0 offset:160
	s_waitcnt vmcnt(3)
	buffer_store_dword v1, off, s[0:3], 0 offset:160
	s_waitcnt vmcnt(3)
	buffer_store_dword v106, off, s[0:3], 0 offset:164
	s_waitcnt vmcnt(3)
	buffer_store_dword v107, v0, s[0:3], 0 offen offset:4
	s_waitcnt vmcnt(3)
	buffer_store_dword v108, v0, s[0:3], 0 offen
.LBB51_382:
	s_or_b64 exec, exec, s[4:5]
	v_pk_mov_b32 v[0:1], s[10:11], s[10:11] op_sel:[0,1]
	flat_load_dword v0, v[0:1] offset:76
	s_waitcnt vmcnt(0) lgkmcnt(0)
	v_add_u32_e32 v0, -1, v0
	v_cmp_ne_u32_e32 vcc, 19, v0
	s_and_saveexec_b64 s[4:5], vcc
	s_cbranch_execz .LBB51_384
; %bb.383:
	v_mov_b32_e32 v1, 0
	v_lshl_add_u32 v0, v0, 3, v1
	buffer_load_dword v1, v0, s[0:3], 0 offen
	buffer_load_dword v106, v0, s[0:3], 0 offen offset:4
	buffer_load_dword v107, off, s[0:3], 0 offset:152
	buffer_load_dword v108, off, s[0:3], 0 offset:156
	s_waitcnt vmcnt(3)
	buffer_store_dword v1, off, s[0:3], 0 offset:152
	s_waitcnt vmcnt(3)
	buffer_store_dword v106, off, s[0:3], 0 offset:156
	s_waitcnt vmcnt(3)
	buffer_store_dword v107, v0, s[0:3], 0 offen
	s_waitcnt vmcnt(3)
	buffer_store_dword v108, v0, s[0:3], 0 offen offset:4
.LBB51_384:
	s_or_b64 exec, exec, s[4:5]
	v_pk_mov_b32 v[0:1], s[10:11], s[10:11] op_sel:[0,1]
	flat_load_dword v0, v[0:1] offset:72
	s_waitcnt vmcnt(0) lgkmcnt(0)
	v_add_u32_e32 v0, -1, v0
	v_cmp_ne_u32_e32 vcc, 18, v0
	s_and_saveexec_b64 s[4:5], vcc
	s_cbranch_execz .LBB51_386
; %bb.385:
	v_mov_b32_e32 v1, 0
	v_lshl_add_u32 v0, v0, 3, v1
	buffer_load_dword v1, v0, s[0:3], 0 offen
	buffer_load_dword v106, v0, s[0:3], 0 offen offset:4
	buffer_load_dword v107, off, s[0:3], 0 offset:148
	buffer_load_dword v108, off, s[0:3], 0 offset:144
	s_waitcnt vmcnt(3)
	buffer_store_dword v1, off, s[0:3], 0 offset:144
	s_waitcnt vmcnt(3)
	buffer_store_dword v106, off, s[0:3], 0 offset:148
	s_waitcnt vmcnt(3)
	buffer_store_dword v107, v0, s[0:3], 0 offen offset:4
	s_waitcnt vmcnt(3)
	buffer_store_dword v108, v0, s[0:3], 0 offen
.LBB51_386:
	s_or_b64 exec, exec, s[4:5]
	v_pk_mov_b32 v[0:1], s[10:11], s[10:11] op_sel:[0,1]
	flat_load_dword v0, v[0:1] offset:68
	s_waitcnt vmcnt(0) lgkmcnt(0)
	v_add_u32_e32 v0, -1, v0
	v_cmp_ne_u32_e32 vcc, 17, v0
	s_and_saveexec_b64 s[4:5], vcc
	s_cbranch_execz .LBB51_388
; %bb.387:
	v_mov_b32_e32 v1, 0
	v_lshl_add_u32 v0, v0, 3, v1
	buffer_load_dword v1, v0, s[0:3], 0 offen
	buffer_load_dword v106, v0, s[0:3], 0 offen offset:4
	buffer_load_dword v107, off, s[0:3], 0 offset:136
	buffer_load_dword v108, off, s[0:3], 0 offset:140
	s_waitcnt vmcnt(3)
	buffer_store_dword v1, off, s[0:3], 0 offset:136
	s_waitcnt vmcnt(3)
	buffer_store_dword v106, off, s[0:3], 0 offset:140
	s_waitcnt vmcnt(3)
	buffer_store_dword v107, v0, s[0:3], 0 offen
	s_waitcnt vmcnt(3)
	buffer_store_dword v108, v0, s[0:3], 0 offen offset:4
.LBB51_388:
	s_or_b64 exec, exec, s[4:5]
	v_pk_mov_b32 v[0:1], s[10:11], s[10:11] op_sel:[0,1]
	flat_load_dword v0, v[0:1] offset:64
	s_waitcnt vmcnt(0) lgkmcnt(0)
	v_add_u32_e32 v0, -1, v0
	v_cmp_ne_u32_e32 vcc, 16, v0
	s_and_saveexec_b64 s[4:5], vcc
	s_cbranch_execz .LBB51_390
; %bb.389:
	v_mov_b32_e32 v1, 0
	v_lshl_add_u32 v0, v0, 3, v1
	buffer_load_dword v1, v0, s[0:3], 0 offen
	buffer_load_dword v106, v0, s[0:3], 0 offen offset:4
	buffer_load_dword v107, off, s[0:3], 0 offset:132
	buffer_load_dword v108, off, s[0:3], 0 offset:128
	s_waitcnt vmcnt(3)
	buffer_store_dword v1, off, s[0:3], 0 offset:128
	s_waitcnt vmcnt(3)
	buffer_store_dword v106, off, s[0:3], 0 offset:132
	s_waitcnt vmcnt(3)
	buffer_store_dword v107, v0, s[0:3], 0 offen offset:4
	s_waitcnt vmcnt(3)
	buffer_store_dword v108, v0, s[0:3], 0 offen
.LBB51_390:
	s_or_b64 exec, exec, s[4:5]
	v_pk_mov_b32 v[0:1], s[10:11], s[10:11] op_sel:[0,1]
	flat_load_dword v0, v[0:1] offset:60
	s_waitcnt vmcnt(0) lgkmcnt(0)
	v_add_u32_e32 v0, -1, v0
	v_cmp_ne_u32_e32 vcc, 15, v0
	s_and_saveexec_b64 s[4:5], vcc
	s_cbranch_execz .LBB51_392
; %bb.391:
	v_mov_b32_e32 v1, 0
	v_lshl_add_u32 v0, v0, 3, v1
	buffer_load_dword v1, v0, s[0:3], 0 offen
	buffer_load_dword v106, v0, s[0:3], 0 offen offset:4
	buffer_load_dword v107, off, s[0:3], 0 offset:120
	buffer_load_dword v108, off, s[0:3], 0 offset:124
	s_waitcnt vmcnt(3)
	buffer_store_dword v1, off, s[0:3], 0 offset:120
	s_waitcnt vmcnt(3)
	buffer_store_dword v106, off, s[0:3], 0 offset:124
	s_waitcnt vmcnt(3)
	buffer_store_dword v107, v0, s[0:3], 0 offen
	s_waitcnt vmcnt(3)
	buffer_store_dword v108, v0, s[0:3], 0 offen offset:4
.LBB51_392:
	s_or_b64 exec, exec, s[4:5]
	v_pk_mov_b32 v[0:1], s[10:11], s[10:11] op_sel:[0,1]
	flat_load_dword v0, v[0:1] offset:56
	s_waitcnt vmcnt(0) lgkmcnt(0)
	v_add_u32_e32 v0, -1, v0
	v_cmp_ne_u32_e32 vcc, 14, v0
	s_and_saveexec_b64 s[4:5], vcc
	s_cbranch_execz .LBB51_394
; %bb.393:
	v_mov_b32_e32 v1, 0
	v_lshl_add_u32 v0, v0, 3, v1
	buffer_load_dword v1, v0, s[0:3], 0 offen
	buffer_load_dword v106, v0, s[0:3], 0 offen offset:4
	buffer_load_dword v107, off, s[0:3], 0 offset:116
	buffer_load_dword v108, off, s[0:3], 0 offset:112
	s_waitcnt vmcnt(3)
	buffer_store_dword v1, off, s[0:3], 0 offset:112
	s_waitcnt vmcnt(3)
	buffer_store_dword v106, off, s[0:3], 0 offset:116
	s_waitcnt vmcnt(3)
	buffer_store_dword v107, v0, s[0:3], 0 offen offset:4
	s_waitcnt vmcnt(3)
	buffer_store_dword v108, v0, s[0:3], 0 offen
.LBB51_394:
	s_or_b64 exec, exec, s[4:5]
	v_pk_mov_b32 v[0:1], s[10:11], s[10:11] op_sel:[0,1]
	flat_load_dword v0, v[0:1] offset:52
	s_waitcnt vmcnt(0) lgkmcnt(0)
	v_add_u32_e32 v0, -1, v0
	v_cmp_ne_u32_e32 vcc, 13, v0
	s_and_saveexec_b64 s[4:5], vcc
	s_cbranch_execz .LBB51_396
; %bb.395:
	v_mov_b32_e32 v1, 0
	v_lshl_add_u32 v0, v0, 3, v1
	buffer_load_dword v1, v0, s[0:3], 0 offen
	buffer_load_dword v106, v0, s[0:3], 0 offen offset:4
	buffer_load_dword v107, off, s[0:3], 0 offset:104
	buffer_load_dword v108, off, s[0:3], 0 offset:108
	s_waitcnt vmcnt(3)
	buffer_store_dword v1, off, s[0:3], 0 offset:104
	s_waitcnt vmcnt(3)
	buffer_store_dword v106, off, s[0:3], 0 offset:108
	s_waitcnt vmcnt(3)
	buffer_store_dword v107, v0, s[0:3], 0 offen
	s_waitcnt vmcnt(3)
	buffer_store_dword v108, v0, s[0:3], 0 offen offset:4
.LBB51_396:
	s_or_b64 exec, exec, s[4:5]
	v_pk_mov_b32 v[0:1], s[10:11], s[10:11] op_sel:[0,1]
	flat_load_dword v0, v[0:1] offset:48
	s_waitcnt vmcnt(0) lgkmcnt(0)
	v_add_u32_e32 v0, -1, v0
	v_cmp_ne_u32_e32 vcc, 12, v0
	s_and_saveexec_b64 s[4:5], vcc
	s_cbranch_execz .LBB51_398
; %bb.397:
	v_mov_b32_e32 v1, 0
	v_lshl_add_u32 v0, v0, 3, v1
	buffer_load_dword v1, v0, s[0:3], 0 offen
	buffer_load_dword v106, v0, s[0:3], 0 offen offset:4
	buffer_load_dword v107, off, s[0:3], 0 offset:100
	buffer_load_dword v108, off, s[0:3], 0 offset:96
	s_waitcnt vmcnt(3)
	buffer_store_dword v1, off, s[0:3], 0 offset:96
	s_waitcnt vmcnt(3)
	buffer_store_dword v106, off, s[0:3], 0 offset:100
	s_waitcnt vmcnt(3)
	buffer_store_dword v107, v0, s[0:3], 0 offen offset:4
	s_waitcnt vmcnt(3)
	buffer_store_dword v108, v0, s[0:3], 0 offen
.LBB51_398:
	s_or_b64 exec, exec, s[4:5]
	v_pk_mov_b32 v[0:1], s[10:11], s[10:11] op_sel:[0,1]
	flat_load_dword v0, v[0:1] offset:44
	s_waitcnt vmcnt(0) lgkmcnt(0)
	v_add_u32_e32 v0, -1, v0
	v_cmp_ne_u32_e32 vcc, 11, v0
	s_and_saveexec_b64 s[4:5], vcc
	s_cbranch_execz .LBB51_400
; %bb.399:
	v_mov_b32_e32 v1, 0
	v_lshl_add_u32 v0, v0, 3, v1
	buffer_load_dword v1, v0, s[0:3], 0 offen
	buffer_load_dword v106, v0, s[0:3], 0 offen offset:4
	buffer_load_dword v107, off, s[0:3], 0 offset:88
	buffer_load_dword v108, off, s[0:3], 0 offset:92
	s_waitcnt vmcnt(3)
	buffer_store_dword v1, off, s[0:3], 0 offset:88
	s_waitcnt vmcnt(3)
	buffer_store_dword v106, off, s[0:3], 0 offset:92
	s_waitcnt vmcnt(3)
	buffer_store_dword v107, v0, s[0:3], 0 offen
	s_waitcnt vmcnt(3)
	buffer_store_dword v108, v0, s[0:3], 0 offen offset:4
.LBB51_400:
	s_or_b64 exec, exec, s[4:5]
	v_pk_mov_b32 v[0:1], s[10:11], s[10:11] op_sel:[0,1]
	flat_load_dword v0, v[0:1] offset:40
	s_waitcnt vmcnt(0) lgkmcnt(0)
	v_add_u32_e32 v0, -1, v0
	v_cmp_ne_u32_e32 vcc, 10, v0
	s_and_saveexec_b64 s[4:5], vcc
	s_cbranch_execz .LBB51_402
; %bb.401:
	v_mov_b32_e32 v1, 0
	v_lshl_add_u32 v0, v0, 3, v1
	buffer_load_dword v1, v0, s[0:3], 0 offen
	buffer_load_dword v106, v0, s[0:3], 0 offen offset:4
	buffer_load_dword v107, off, s[0:3], 0 offset:84
	buffer_load_dword v108, off, s[0:3], 0 offset:80
	s_waitcnt vmcnt(3)
	buffer_store_dword v1, off, s[0:3], 0 offset:80
	s_waitcnt vmcnt(3)
	buffer_store_dword v106, off, s[0:3], 0 offset:84
	s_waitcnt vmcnt(3)
	buffer_store_dword v107, v0, s[0:3], 0 offen offset:4
	s_waitcnt vmcnt(3)
	buffer_store_dword v108, v0, s[0:3], 0 offen
.LBB51_402:
	s_or_b64 exec, exec, s[4:5]
	v_pk_mov_b32 v[0:1], s[10:11], s[10:11] op_sel:[0,1]
	flat_load_dword v0, v[0:1] offset:36
	s_waitcnt vmcnt(0) lgkmcnt(0)
	v_add_u32_e32 v0, -1, v0
	v_cmp_ne_u32_e32 vcc, 9, v0
	s_and_saveexec_b64 s[4:5], vcc
	s_cbranch_execz .LBB51_404
; %bb.403:
	v_mov_b32_e32 v1, 0
	v_lshl_add_u32 v0, v0, 3, v1
	buffer_load_dword v1, v0, s[0:3], 0 offen
	buffer_load_dword v106, v0, s[0:3], 0 offen offset:4
	buffer_load_dword v107, off, s[0:3], 0 offset:72
	buffer_load_dword v108, off, s[0:3], 0 offset:76
	s_waitcnt vmcnt(3)
	buffer_store_dword v1, off, s[0:3], 0 offset:72
	s_waitcnt vmcnt(3)
	buffer_store_dword v106, off, s[0:3], 0 offset:76
	s_waitcnt vmcnt(3)
	buffer_store_dword v107, v0, s[0:3], 0 offen
	s_waitcnt vmcnt(3)
	buffer_store_dword v108, v0, s[0:3], 0 offen offset:4
.LBB51_404:
	s_or_b64 exec, exec, s[4:5]
	v_pk_mov_b32 v[0:1], s[10:11], s[10:11] op_sel:[0,1]
	flat_load_dword v0, v[0:1] offset:32
	s_waitcnt vmcnt(0) lgkmcnt(0)
	v_add_u32_e32 v0, -1, v0
	v_cmp_ne_u32_e32 vcc, 8, v0
	s_and_saveexec_b64 s[4:5], vcc
	s_cbranch_execz .LBB51_406
; %bb.405:
	v_mov_b32_e32 v1, 0
	v_lshl_add_u32 v0, v0, 3, v1
	buffer_load_dword v1, v0, s[0:3], 0 offen
	buffer_load_dword v106, v0, s[0:3], 0 offen offset:4
	buffer_load_dword v107, off, s[0:3], 0 offset:68
	buffer_load_dword v108, off, s[0:3], 0 offset:64
	s_waitcnt vmcnt(3)
	buffer_store_dword v1, off, s[0:3], 0 offset:64
	s_waitcnt vmcnt(3)
	buffer_store_dword v106, off, s[0:3], 0 offset:68
	s_waitcnt vmcnt(3)
	buffer_store_dword v107, v0, s[0:3], 0 offen offset:4
	s_waitcnt vmcnt(3)
	buffer_store_dword v108, v0, s[0:3], 0 offen
.LBB51_406:
	s_or_b64 exec, exec, s[4:5]
	v_pk_mov_b32 v[0:1], s[10:11], s[10:11] op_sel:[0,1]
	flat_load_dword v0, v[0:1] offset:28
	s_waitcnt vmcnt(0) lgkmcnt(0)
	v_add_u32_e32 v0, -1, v0
	v_cmp_ne_u32_e32 vcc, 7, v0
	s_and_saveexec_b64 s[4:5], vcc
	s_cbranch_execz .LBB51_408
; %bb.407:
	v_mov_b32_e32 v1, 0
	v_lshl_add_u32 v0, v0, 3, v1
	buffer_load_dword v1, v0, s[0:3], 0 offen
	buffer_load_dword v106, v0, s[0:3], 0 offen offset:4
	buffer_load_dword v107, off, s[0:3], 0 offset:56
	buffer_load_dword v108, off, s[0:3], 0 offset:60
	s_waitcnt vmcnt(3)
	buffer_store_dword v1, off, s[0:3], 0 offset:56
	s_waitcnt vmcnt(3)
	buffer_store_dword v106, off, s[0:3], 0 offset:60
	s_waitcnt vmcnt(3)
	buffer_store_dword v107, v0, s[0:3], 0 offen
	s_waitcnt vmcnt(3)
	buffer_store_dword v108, v0, s[0:3], 0 offen offset:4
.LBB51_408:
	s_or_b64 exec, exec, s[4:5]
	v_pk_mov_b32 v[0:1], s[10:11], s[10:11] op_sel:[0,1]
	flat_load_dword v0, v[0:1] offset:24
	s_waitcnt vmcnt(0) lgkmcnt(0)
	v_add_u32_e32 v0, -1, v0
	v_cmp_ne_u32_e32 vcc, 6, v0
	s_and_saveexec_b64 s[4:5], vcc
	s_cbranch_execz .LBB51_410
; %bb.409:
	v_mov_b32_e32 v1, 0
	v_lshl_add_u32 v0, v0, 3, v1
	buffer_load_dword v1, v0, s[0:3], 0 offen
	buffer_load_dword v106, v0, s[0:3], 0 offen offset:4
	buffer_load_dword v107, off, s[0:3], 0 offset:52
	buffer_load_dword v108, off, s[0:3], 0 offset:48
	s_waitcnt vmcnt(3)
	buffer_store_dword v1, off, s[0:3], 0 offset:48
	s_waitcnt vmcnt(3)
	buffer_store_dword v106, off, s[0:3], 0 offset:52
	s_waitcnt vmcnt(3)
	buffer_store_dword v107, v0, s[0:3], 0 offen offset:4
	s_waitcnt vmcnt(3)
	buffer_store_dword v108, v0, s[0:3], 0 offen
.LBB51_410:
	s_or_b64 exec, exec, s[4:5]
	v_pk_mov_b32 v[0:1], s[10:11], s[10:11] op_sel:[0,1]
	flat_load_dword v0, v[0:1] offset:20
	s_waitcnt vmcnt(0) lgkmcnt(0)
	v_add_u32_e32 v0, -1, v0
	v_cmp_ne_u32_e32 vcc, 5, v0
	s_and_saveexec_b64 s[4:5], vcc
	s_cbranch_execz .LBB51_412
; %bb.411:
	v_mov_b32_e32 v1, 0
	v_lshl_add_u32 v0, v0, 3, v1
	buffer_load_dword v1, v0, s[0:3], 0 offen
	buffer_load_dword v106, v0, s[0:3], 0 offen offset:4
	buffer_load_dword v107, off, s[0:3], 0 offset:40
	buffer_load_dword v108, off, s[0:3], 0 offset:44
	s_waitcnt vmcnt(3)
	buffer_store_dword v1, off, s[0:3], 0 offset:40
	s_waitcnt vmcnt(3)
	buffer_store_dword v106, off, s[0:3], 0 offset:44
	s_waitcnt vmcnt(3)
	buffer_store_dword v107, v0, s[0:3], 0 offen
	s_waitcnt vmcnt(3)
	buffer_store_dword v108, v0, s[0:3], 0 offen offset:4
.LBB51_412:
	s_or_b64 exec, exec, s[4:5]
	v_pk_mov_b32 v[0:1], s[10:11], s[10:11] op_sel:[0,1]
	flat_load_dword v0, v[0:1] offset:16
	s_waitcnt vmcnt(0) lgkmcnt(0)
	v_add_u32_e32 v0, -1, v0
	v_cmp_ne_u32_e32 vcc, 4, v0
	s_and_saveexec_b64 s[4:5], vcc
	s_cbranch_execz .LBB51_414
; %bb.413:
	v_mov_b32_e32 v1, 0
	v_lshl_add_u32 v0, v0, 3, v1
	buffer_load_dword v1, v0, s[0:3], 0 offen
	buffer_load_dword v106, v0, s[0:3], 0 offen offset:4
	buffer_load_dword v107, off, s[0:3], 0 offset:36
	buffer_load_dword v108, off, s[0:3], 0 offset:32
	s_waitcnt vmcnt(3)
	buffer_store_dword v1, off, s[0:3], 0 offset:32
	s_waitcnt vmcnt(3)
	buffer_store_dword v106, off, s[0:3], 0 offset:36
	s_waitcnt vmcnt(3)
	buffer_store_dword v107, v0, s[0:3], 0 offen offset:4
	s_waitcnt vmcnt(3)
	buffer_store_dword v108, v0, s[0:3], 0 offen
.LBB51_414:
	s_or_b64 exec, exec, s[4:5]
	v_pk_mov_b32 v[0:1], s[10:11], s[10:11] op_sel:[0,1]
	flat_load_dword v0, v[0:1] offset:12
	s_waitcnt vmcnt(0) lgkmcnt(0)
	v_add_u32_e32 v0, -1, v0
	v_cmp_ne_u32_e32 vcc, 3, v0
	s_and_saveexec_b64 s[4:5], vcc
	s_cbranch_execz .LBB51_416
; %bb.415:
	v_mov_b32_e32 v1, 0
	v_lshl_add_u32 v0, v0, 3, v1
	buffer_load_dword v1, v0, s[0:3], 0 offen
	buffer_load_dword v106, v0, s[0:3], 0 offen offset:4
	buffer_load_dword v107, off, s[0:3], 0 offset:24
	buffer_load_dword v108, off, s[0:3], 0 offset:28
	s_waitcnt vmcnt(3)
	buffer_store_dword v1, off, s[0:3], 0 offset:24
	s_waitcnt vmcnt(3)
	buffer_store_dword v106, off, s[0:3], 0 offset:28
	s_waitcnt vmcnt(3)
	buffer_store_dword v107, v0, s[0:3], 0 offen
	s_waitcnt vmcnt(3)
	buffer_store_dword v108, v0, s[0:3], 0 offen offset:4
.LBB51_416:
	s_or_b64 exec, exec, s[4:5]
	v_pk_mov_b32 v[0:1], s[10:11], s[10:11] op_sel:[0,1]
	flat_load_dword v0, v[0:1] offset:8
	s_waitcnt vmcnt(0) lgkmcnt(0)
	v_add_u32_e32 v0, -1, v0
	v_cmp_ne_u32_e32 vcc, 2, v0
	s_and_saveexec_b64 s[4:5], vcc
	s_cbranch_execz .LBB51_418
; %bb.417:
	v_mov_b32_e32 v1, 0
	v_lshl_add_u32 v0, v0, 3, v1
	buffer_load_dword v1, v0, s[0:3], 0 offen
	buffer_load_dword v106, v0, s[0:3], 0 offen offset:4
	buffer_load_dword v107, off, s[0:3], 0 offset:20
	buffer_load_dword v108, off, s[0:3], 0 offset:16
	s_waitcnt vmcnt(3)
	buffer_store_dword v1, off, s[0:3], 0 offset:16
	s_waitcnt vmcnt(3)
	buffer_store_dword v106, off, s[0:3], 0 offset:20
	s_waitcnt vmcnt(3)
	buffer_store_dword v107, v0, s[0:3], 0 offen offset:4
	s_waitcnt vmcnt(3)
	buffer_store_dword v108, v0, s[0:3], 0 offen
.LBB51_418:
	s_or_b64 exec, exec, s[4:5]
	v_pk_mov_b32 v[0:1], s[10:11], s[10:11] op_sel:[0,1]
	flat_load_dword v0, v[0:1] offset:4
	s_waitcnt vmcnt(0) lgkmcnt(0)
	v_add_u32_e32 v0, -1, v0
	v_cmp_ne_u32_e32 vcc, 1, v0
	s_and_saveexec_b64 s[4:5], vcc
	s_cbranch_execz .LBB51_420
; %bb.419:
	v_mov_b32_e32 v1, 0
	v_lshl_add_u32 v0, v0, 3, v1
	buffer_load_dword v1, v0, s[0:3], 0 offen
	buffer_load_dword v106, v0, s[0:3], 0 offen offset:4
	buffer_load_dword v107, off, s[0:3], 0 offset:8
	buffer_load_dword v108, off, s[0:3], 0 offset:12
	s_waitcnt vmcnt(3)
	buffer_store_dword v1, off, s[0:3], 0 offset:8
	s_waitcnt vmcnt(3)
	buffer_store_dword v106, off, s[0:3], 0 offset:12
	s_waitcnt vmcnt(3)
	buffer_store_dword v107, v0, s[0:3], 0 offen
	s_waitcnt vmcnt(3)
	buffer_store_dword v108, v0, s[0:3], 0 offen offset:4
.LBB51_420:
	s_or_b64 exec, exec, s[4:5]
	v_pk_mov_b32 v[0:1], s[10:11], s[10:11] op_sel:[0,1]
	flat_load_dword v106, v[0:1]
	s_nop 0
	buffer_load_dword v0, off, s[0:3], 0
	buffer_load_dword v1, off, s[0:3], 0 offset:4
	s_waitcnt vmcnt(0) lgkmcnt(0)
	v_add_u32_e32 v106, -1, v106
	v_cmp_ne_u32_e32 vcc, 0, v106
	s_and_saveexec_b64 s[4:5], vcc
	s_cbranch_execz .LBB51_422
; %bb.421:
	v_mov_b32_e32 v107, 0
	v_lshl_add_u32 v106, v106, 3, v107
	buffer_load_dword v107, v106, s[0:3], 0 offen offset:4
	buffer_load_dword v108, v106, s[0:3], 0 offen
	s_waitcnt vmcnt(1)
	buffer_store_dword v107, off, s[0:3], 0 offset:4
	s_waitcnt vmcnt(1)
	buffer_store_dword v108, off, s[0:3], 0
	buffer_store_dword v1, v106, s[0:3], 0 offen offset:4
	buffer_store_dword v0, v106, s[0:3], 0 offen
	buffer_load_dword v0, off, s[0:3], 0
	s_nop 0
	buffer_load_dword v1, off, s[0:3], 0 offset:4
.LBB51_422:
	s_or_b64 exec, exec, s[4:5]
.LBB51_423:
	s_waitcnt vmcnt(0)
	global_store_dwordx2 v[104:105], v[0:1], off
	buffer_load_dword v0, off, s[0:3], 0 offset:8
	s_nop 0
	buffer_load_dword v1, off, s[0:3], 0 offset:12
	buffer_load_dword v104, off, s[0:3], 0 offset:16
	;; [unrolled: 1-line block ×15, first 2 shown]
	s_waitcnt vmcnt(14)
	global_store_dwordx2 v[102:103], v[0:1], off
	s_waitcnt vmcnt(13)
	global_store_dwordx2 v[2:3], v[104:105], off
	s_waitcnt vmcnt(12)
	global_store_dwordx2 v[4:5], v[106:107], off
	s_waitcnt vmcnt(11)
	global_store_dwordx2 v[6:7], v[108:109], off
	s_waitcnt vmcnt(10)
	global_store_dwordx2 v[8:9], v[110:111], off
	s_waitcnt vmcnt(9)
	global_store_dwordx2 v[10:11], v[112:113], off
	s_waitcnt vmcnt(8)
	global_store_dwordx2 v[12:13], v[114:115], off
	s_waitcnt vmcnt(7)
	global_store_dwordx2 v[18:19], v[116:117], off
	buffer_load_dword v0, off, s[0:3], 0 offset:72
	buffer_load_dword v1, off, s[0:3], 0 offset:76
	s_waitcnt vmcnt(0)
	global_store_dwordx2 v[14:15], v[0:1], off
	buffer_load_dword v0, off, s[0:3], 0 offset:80
	s_nop 0
	buffer_load_dword v1, off, s[0:3], 0 offset:84
	s_waitcnt vmcnt(0)
	global_store_dwordx2 v[16:17], v[0:1], off
	buffer_load_dword v0, off, s[0:3], 0 offset:88
	s_nop 0
	;; [unrolled: 5-line block ×42, first 2 shown]
	buffer_load_dword v1, off, s[0:3], 0 offset:412
	s_waitcnt vmcnt(0)
	global_store_dwordx2 v[88:89], v[0:1], off
	s_endpgm
	.section	.rodata,"a",@progbits
	.p2align	6, 0x0
	.amdhsa_kernel _ZN9rocsolver6v33100L18getri_kernel_smallILi52EdPdEEvT1_iilPiilS4_bb
		.amdhsa_group_segment_fixed_size 840
		.amdhsa_private_segment_fixed_size 432
		.amdhsa_kernarg_size 60
		.amdhsa_user_sgpr_count 8
		.amdhsa_user_sgpr_private_segment_buffer 1
		.amdhsa_user_sgpr_dispatch_ptr 0
		.amdhsa_user_sgpr_queue_ptr 0
		.amdhsa_user_sgpr_kernarg_segment_ptr 1
		.amdhsa_user_sgpr_dispatch_id 0
		.amdhsa_user_sgpr_flat_scratch_init 1
		.amdhsa_user_sgpr_kernarg_preload_length 0
		.amdhsa_user_sgpr_kernarg_preload_offset 0
		.amdhsa_user_sgpr_private_segment_size 0
		.amdhsa_uses_dynamic_stack 0
		.amdhsa_system_sgpr_private_segment_wavefront_offset 1
		.amdhsa_system_sgpr_workgroup_id_x 1
		.amdhsa_system_sgpr_workgroup_id_y 0
		.amdhsa_system_sgpr_workgroup_id_z 0
		.amdhsa_system_sgpr_workgroup_info 0
		.amdhsa_system_vgpr_workitem_id 0
		.amdhsa_next_free_vgpr 166
		.amdhsa_next_free_sgpr 23
		.amdhsa_accum_offset 168
		.amdhsa_reserve_vcc 1
		.amdhsa_reserve_flat_scratch 1
		.amdhsa_float_round_mode_32 0
		.amdhsa_float_round_mode_16_64 0
		.amdhsa_float_denorm_mode_32 3
		.amdhsa_float_denorm_mode_16_64 3
		.amdhsa_dx10_clamp 1
		.amdhsa_ieee_mode 1
		.amdhsa_fp16_overflow 0
		.amdhsa_tg_split 0
		.amdhsa_exception_fp_ieee_invalid_op 0
		.amdhsa_exception_fp_denorm_src 0
		.amdhsa_exception_fp_ieee_div_zero 0
		.amdhsa_exception_fp_ieee_overflow 0
		.amdhsa_exception_fp_ieee_underflow 0
		.amdhsa_exception_fp_ieee_inexact 0
		.amdhsa_exception_int_div_zero 0
	.end_amdhsa_kernel
	.section	.text._ZN9rocsolver6v33100L18getri_kernel_smallILi52EdPdEEvT1_iilPiilS4_bb,"axG",@progbits,_ZN9rocsolver6v33100L18getri_kernel_smallILi52EdPdEEvT1_iilPiilS4_bb,comdat
.Lfunc_end51:
	.size	_ZN9rocsolver6v33100L18getri_kernel_smallILi52EdPdEEvT1_iilPiilS4_bb, .Lfunc_end51-_ZN9rocsolver6v33100L18getri_kernel_smallILi52EdPdEEvT1_iilPiilS4_bb
                                        ; -- End function
	.section	.AMDGPU.csdata,"",@progbits
; Kernel info:
; codeLenInByte = 64440
; NumSgprs: 29
; NumVgprs: 166
; NumAgprs: 0
; TotalNumVgprs: 166
; ScratchSize: 432
; MemoryBound: 1
; FloatMode: 240
; IeeeMode: 1
; LDSByteSize: 840 bytes/workgroup (compile time only)
; SGPRBlocks: 3
; VGPRBlocks: 20
; NumSGPRsForWavesPerEU: 29
; NumVGPRsForWavesPerEU: 166
; AccumOffset: 168
; Occupancy: 3
; WaveLimiterHint : 1
; COMPUTE_PGM_RSRC2:SCRATCH_EN: 1
; COMPUTE_PGM_RSRC2:USER_SGPR: 8
; COMPUTE_PGM_RSRC2:TRAP_HANDLER: 0
; COMPUTE_PGM_RSRC2:TGID_X_EN: 1
; COMPUTE_PGM_RSRC2:TGID_Y_EN: 0
; COMPUTE_PGM_RSRC2:TGID_Z_EN: 0
; COMPUTE_PGM_RSRC2:TIDIG_COMP_CNT: 0
; COMPUTE_PGM_RSRC3_GFX90A:ACCUM_OFFSET: 41
; COMPUTE_PGM_RSRC3_GFX90A:TG_SPLIT: 0
	.section	.text._ZN9rocsolver6v33100L18getri_kernel_smallILi53EdPdEEvT1_iilPiilS4_bb,"axG",@progbits,_ZN9rocsolver6v33100L18getri_kernel_smallILi53EdPdEEvT1_iilPiilS4_bb,comdat
	.globl	_ZN9rocsolver6v33100L18getri_kernel_smallILi53EdPdEEvT1_iilPiilS4_bb ; -- Begin function _ZN9rocsolver6v33100L18getri_kernel_smallILi53EdPdEEvT1_iilPiilS4_bb
	.p2align	8
	.type	_ZN9rocsolver6v33100L18getri_kernel_smallILi53EdPdEEvT1_iilPiilS4_bb,@function
_ZN9rocsolver6v33100L18getri_kernel_smallILi53EdPdEEvT1_iilPiilS4_bb: ; @_ZN9rocsolver6v33100L18getri_kernel_smallILi53EdPdEEvT1_iilPiilS4_bb
; %bb.0:
	s_add_u32 flat_scratch_lo, s6, s9
	s_addc_u32 flat_scratch_hi, s7, 0
	s_add_u32 s0, s0, s9
	s_addc_u32 s1, s1, 0
	v_cmp_gt_u32_e32 vcc, 53, v0
	s_and_saveexec_b64 s[6:7], vcc
	s_cbranch_execz .LBB52_220
; %bb.1:
	s_load_dword s22, s[4:5], 0x38
	s_load_dwordx4 s[16:19], s[4:5], 0x10
	s_load_dwordx4 s[12:15], s[4:5], 0x28
                                        ; implicit-def: $sgpr10_sgpr11
	s_waitcnt lgkmcnt(0)
	s_bitcmp1_b32 s22, 8
	s_cselect_b64 s[20:21], -1, 0
	s_ashr_i32 s9, s8, 31
	s_bfe_u32 s6, s22, 0x10008
	s_cmp_eq_u32 s6, 0
	s_cbranch_scc1 .LBB52_3
; %bb.2:
	s_load_dword s6, s[4:5], 0x20
	s_mul_i32 s7, s8, s13
	s_mul_hi_u32 s10, s8, s12
	s_mul_i32 s11, s9, s12
	s_add_i32 s10, s10, s7
	s_add_i32 s11, s10, s11
	s_mul_i32 s10, s8, s12
	s_waitcnt lgkmcnt(0)
	s_ashr_i32 s7, s6, 31
	s_lshl_b64 s[10:11], s[10:11], 2
	s_add_u32 s10, s18, s10
	s_addc_u32 s11, s19, s11
	s_lshl_b64 s[6:7], s[6:7], 2
	s_add_u32 s10, s10, s6
	s_addc_u32 s11, s11, s7
.LBB52_3:
	s_load_dwordx4 s[4:7], s[4:5], 0x0
	s_mul_i32 s12, s8, s17
	s_mul_hi_u32 s13, s8, s16
	s_add_i32 s17, s13, s12
	s_waitcnt lgkmcnt(0)
	s_ashr_i32 s13, s6, 31
	s_mov_b32 s12, s6
	s_mul_i32 s6, s9, s16
	s_add_i32 s17, s17, s6
	s_mul_i32 s16, s8, s16
	s_lshl_b64 s[16:17], s[16:17], 3
	s_add_u32 s6, s4, s16
	s_addc_u32 s16, s5, s17
	s_lshl_b64 s[4:5], s[12:13], 3
	s_add_u32 s4, s6, s4
	s_addc_u32 s5, s16, s5
	s_add_i32 s6, s7, s7
	v_add_u32_e32 v4, s6, v0
	v_ashrrev_i32_e32 v5, 31, v4
	v_lshlrev_b64 v[2:3], 3, v[4:5]
	v_add_u32_e32 v6, s7, v4
	v_mov_b32_e32 v1, s5
	v_add_co_u32_e32 v2, vcc, s4, v2
	v_ashrrev_i32_e32 v7, 31, v6
	v_addc_co_u32_e32 v3, vcc, v1, v3, vcc
	v_lshlrev_b64 v[4:5], 3, v[6:7]
	v_add_u32_e32 v8, s7, v6
	v_add_co_u32_e32 v4, vcc, s4, v4
	v_ashrrev_i32_e32 v9, 31, v8
	v_addc_co_u32_e32 v5, vcc, v1, v5, vcc
	v_lshlrev_b64 v[6:7], 3, v[8:9]
	v_add_u32_e32 v10, s7, v8
	;; [unrolled: 5-line block ×5, first 2 shown]
	v_add_co_u32_e32 v12, vcc, s4, v12
	v_ashrrev_i32_e32 v15, 31, v14
	v_addc_co_u32_e32 v13, vcc, v1, v13, vcc
	v_lshlrev_b64 v[16:17], 3, v[14:15]
	v_add_co_u32_e32 v18, vcc, s4, v16
	v_add_u32_e32 v16, s7, v14
	v_addc_co_u32_e32 v19, vcc, v1, v17, vcc
	v_ashrrev_i32_e32 v17, 31, v16
	v_lshlrev_b64 v[14:15], 3, v[16:17]
	v_add_u32_e32 v20, s7, v16
	v_add_co_u32_e32 v14, vcc, s4, v14
	v_ashrrev_i32_e32 v21, 31, v20
	v_addc_co_u32_e32 v15, vcc, v1, v15, vcc
	v_lshlrev_b64 v[16:17], 3, v[20:21]
	v_add_u32_e32 v22, s7, v20
	v_add_co_u32_e32 v16, vcc, s4, v16
	v_ashrrev_i32_e32 v23, 31, v22
	v_addc_co_u32_e32 v17, vcc, v1, v17, vcc
	;; [unrolled: 5-line block ×36, first 2 shown]
	v_lshlrev_b64 v[88:89], 3, v[90:91]
	v_add_co_u32_e32 v88, vcc, s4, v88
	v_addc_co_u32_e32 v89, vcc, v1, v89, vcc
	v_lshlrev_b32_e32 v1, 3, v0
	v_mov_b32_e32 v92, s5
	v_add_co_u32_e32 v106, vcc, s4, v1
	s_ashr_i32 s13, s7, 31
	s_mov_b32 s12, s7
	v_addc_co_u32_e32 v107, vcc, 0, v92, vcc
	s_lshl_b64 s[12:13], s[12:13], 3
	v_mov_b32_e32 v92, s13
	v_add_co_u32_e32 v104, vcc, s12, v106
	v_addc_co_u32_e32 v105, vcc, v107, v92, vcc
	global_load_dwordx2 v[108:109], v1, s[4:5]
	global_load_dwordx2 v[112:113], v[2:3], off
	global_load_dwordx2 v[110:111], v[104:105], off
	;; [unrolled: 1-line block ×18, first 2 shown]
	v_add_u32_e32 v90, s7, v90
	v_ashrrev_i32_e32 v91, 31, v90
	v_lshlrev_b64 v[92:93], 3, v[90:91]
	v_add_u32_e32 v90, s7, v90
	v_mov_b32_e32 v94, s5
	v_add_co_u32_e32 v92, vcc, s4, v92
	v_ashrrev_i32_e32 v91, 31, v90
	global_load_dwordx2 v[146:147], v[36:37], off
	global_load_dwordx2 v[148:149], v[38:39], off
	v_addc_co_u32_e32 v93, vcc, v94, v93, vcc
	v_lshlrev_b64 v[94:95], 3, v[90:91]
	v_add_u32_e32 v90, s7, v90
	v_mov_b32_e32 v96, s5
	v_add_co_u32_e32 v94, vcc, s4, v94
	v_ashrrev_i32_e32 v91, 31, v90
	v_addc_co_u32_e32 v95, vcc, v96, v95, vcc
	v_lshlrev_b64 v[96:97], 3, v[90:91]
	v_add_u32_e32 v90, s7, v90
	global_load_dwordx2 v[150:151], v[40:41], off
	global_load_dwordx2 v[152:153], v[42:43], off
	v_mov_b32_e32 v98, s5
	v_add_co_u32_e32 v96, vcc, s4, v96
	v_ashrrev_i32_e32 v91, 31, v90
	v_addc_co_u32_e32 v97, vcc, v98, v97, vcc
	v_lshlrev_b64 v[98:99], 3, v[90:91]
	v_add_u32_e32 v90, s7, v90
	v_mov_b32_e32 v100, s5
	v_add_co_u32_e32 v98, vcc, s4, v98
	v_ashrrev_i32_e32 v91, 31, v90
	v_addc_co_u32_e32 v99, vcc, v100, v99, vcc
	v_lshlrev_b64 v[100:101], 3, v[90:91]
	v_add_u32_e32 v90, s7, v90
	v_mov_b32_e32 v102, s5
	v_add_co_u32_e32 v100, vcc, s4, v100
	v_ashrrev_i32_e32 v91, 31, v90
	v_addc_co_u32_e32 v101, vcc, v102, v101, vcc
	v_lshlrev_b64 v[102:103], 3, v[90:91]
	v_mov_b32_e32 v154, s5
	v_add_co_u32_e32 v102, vcc, s4, v102
	v_addc_co_u32_e32 v103, vcc, v154, v103, vcc
	global_load_dwordx2 v[154:155], v[44:45], off
	global_load_dwordx2 v[156:157], v[46:47], off
	s_waitcnt vmcnt(24)
	buffer_store_dword v109, off, s[0:3], 0 offset:4
	buffer_store_dword v108, off, s[0:3], 0
	s_waitcnt vmcnt(24)
	buffer_store_dword v111, off, s[0:3], 0 offset:12
	buffer_store_dword v110, off, s[0:3], 0 offset:8
	;; [unrolled: 1-line block ×4, first 2 shown]
	s_waitcnt vmcnt(27)
	buffer_store_dword v115, off, s[0:3], 0 offset:28
	buffer_store_dword v114, off, s[0:3], 0 offset:24
	s_waitcnt vmcnt(28)
	buffer_store_dword v117, off, s[0:3], 0 offset:36
	buffer_store_dword v116, off, s[0:3], 0 offset:32
	;; [unrolled: 3-line block ×6, first 2 shown]
	buffer_store_dword v126, off, s[0:3], 0 offset:72
	buffer_store_dword v127, off, s[0:3], 0 offset:76
	;; [unrolled: 1-line block ×4, first 2 shown]
	s_waitcnt vmcnt(35)
	buffer_store_dword v130, off, s[0:3], 0 offset:88
	global_load_dwordx2 v[108:109], v[48:49], off
	global_load_dwordx2 v[110:111], v[50:51], off
	;; [unrolled: 1-line block ×11, first 2 shown]
	v_add_u32_e32 v90, s7, v90
	buffer_store_dword v131, off, s[0:3], 0 offset:92
	global_load_dwordx2 v[130:131], v[70:71], off
	v_ashrrev_i32_e32 v91, 31, v90
	s_waitcnt vmcnt(48)
	buffer_store_dword v132, off, s[0:3], 0 offset:96
	buffer_store_dword v133, off, s[0:3], 0 offset:100
	global_load_dwordx2 v[132:133], v[72:73], off
	v_lshlrev_b64 v[90:91], 3, v[90:91]
	s_waitcnt vmcnt(50)
	buffer_store_dword v134, off, s[0:3], 0 offset:104
	buffer_store_dword v135, off, s[0:3], 0 offset:108
	global_load_dwordx2 v[134:135], v[74:75], off
	v_mov_b32_e32 v158, s5
	s_waitcnt vmcnt(52)
	buffer_store_dword v137, off, s[0:3], 0 offset:116
	buffer_store_dword v136, off, s[0:3], 0 offset:112
	global_load_dwordx2 v[136:137], v[76:77], off
	v_add_co_u32_e32 v90, vcc, s4, v90
	s_waitcnt vmcnt(54)
	buffer_store_dword v138, off, s[0:3], 0 offset:120
	buffer_store_dword v139, off, s[0:3], 0 offset:124
	global_load_dwordx2 v[138:139], v[78:79], off
	v_addc_co_u32_e32 v91, vcc, v158, v91, vcc
	s_waitcnt vmcnt(56)
	buffer_store_dword v140, off, s[0:3], 0 offset:128
	buffer_store_dword v141, off, s[0:3], 0 offset:132
	global_load_dwordx2 v[140:141], v[80:81], off
	s_bitcmp0_b32 s22, 0
	s_waitcnt vmcnt(58)
	buffer_store_dword v142, off, s[0:3], 0 offset:136
	buffer_store_dword v143, off, s[0:3], 0 offset:140
	global_load_dwordx2 v[142:143], v[82:83], off
	s_mov_b64 s[6:7], -1
	s_waitcnt vmcnt(60)
	buffer_store_dword v144, off, s[0:3], 0 offset:144
	buffer_store_dword v145, off, s[0:3], 0 offset:148
	global_load_dwordx2 v[144:145], v[84:85], off
	s_waitcnt vmcnt(62)
	buffer_store_dword v147, off, s[0:3], 0 offset:156
	buffer_store_dword v146, off, s[0:3], 0 offset:152
	global_load_dwordx2 v[146:147], v[86:87], off
	;; [unrolled: 4-line block ×3, first 2 shown]
	s_nop 0
	buffer_store_dword v150, off, s[0:3], 0 offset:168
	buffer_store_dword v151, off, s[0:3], 0 offset:172
	global_load_dwordx2 v[150:151], v[92:93], off
	s_nop 0
	global_load_dwordx2 v[158:159], v[94:95], off
	global_load_dwordx2 v[160:161], v[98:99], off
	;; [unrolled: 1-line block ×3, first 2 shown]
	s_nop 0
	buffer_store_dword v152, off, s[0:3], 0 offset:176
	buffer_store_dword v153, off, s[0:3], 0 offset:180
	global_load_dwordx2 v[152:153], v[96:97], off
	s_waitcnt vmcnt(62)
	buffer_store_dword v154, off, s[0:3], 0 offset:184
	buffer_store_dword v155, off, s[0:3], 0 offset:188
	global_load_dwordx2 v[154:155], v[100:101], off
	s_nop 0
	buffer_store_dword v156, off, s[0:3], 0 offset:192
	buffer_store_dword v157, off, s[0:3], 0 offset:196
	global_load_dwordx2 v[156:157], v[90:91], off
	s_waitcnt vmcnt(54)
	buffer_store_dword v109, off, s[0:3], 0 offset:204
	buffer_store_dword v108, off, s[0:3], 0 offset:200
	s_waitcnt vmcnt(55)
	buffer_store_dword v111, off, s[0:3], 0 offset:212
	buffer_store_dword v110, off, s[0:3], 0 offset:208
	;; [unrolled: 3-line block ×10, first 2 shown]
	buffer_store_dword v128, off, s[0:3], 0 offset:280
	buffer_store_dword v129, off, s[0:3], 0 offset:284
	s_waitcnt vmcnt(62)
	buffer_store_dword v130, off, s[0:3], 0 offset:288
	buffer_store_dword v131, off, s[0:3], 0 offset:292
	s_waitcnt vmcnt(62)
	;; [unrolled: 3-line block ×13, first 2 shown]
	buffer_store_dword v152, off, s[0:3], 0 offset:384
	buffer_store_dword v153, off, s[0:3], 0 offset:388
	;; [unrolled: 1-line block ×4, first 2 shown]
	s_waitcnt vmcnt(53)
	buffer_store_dword v155, off, s[0:3], 0 offset:404
	buffer_store_dword v154, off, s[0:3], 0 offset:400
	;; [unrolled: 1-line block ×4, first 2 shown]
	s_waitcnt vmcnt(54)
	buffer_store_dword v156, off, s[0:3], 0 offset:416
	buffer_store_dword v157, off, s[0:3], 0 offset:420
	s_cbranch_scc1 .LBB52_218
; %bb.4:
	v_cmp_eq_u32_e64 s[4:5], 0, v0
	s_and_saveexec_b64 s[6:7], s[4:5]
	s_cbranch_execz .LBB52_6
; %bb.5:
	v_mov_b32_e32 v108, 0
	ds_write_b32 v108, v108 offset:424
.LBB52_6:
	s_or_b64 exec, exec, s[6:7]
	v_mov_b32_e32 v108, 0
	v_lshl_add_u32 v108, v0, 3, v108
	s_waitcnt lgkmcnt(0)
	; wave barrier
	s_waitcnt lgkmcnt(0)
	buffer_load_dword v110, v108, s[0:3], 0 offen
	buffer_load_dword v111, v108, s[0:3], 0 offen offset:4
	s_waitcnt vmcnt(0)
	v_cmp_eq_f64_e32 vcc, 0, v[110:111]
	s_and_saveexec_b64 s[12:13], vcc
	s_cbranch_execz .LBB52_10
; %bb.7:
	v_mov_b32_e32 v109, 0
	ds_read_b32 v111, v109 offset:424
	v_add_u32_e32 v110, 1, v0
	s_waitcnt lgkmcnt(0)
	v_readfirstlane_b32 s6, v111
	s_cmp_eq_u32 s6, 0
	s_cselect_b64 s[16:17], -1, 0
	v_cmp_gt_i32_e32 vcc, s6, v110
	s_or_b64 s[16:17], s[16:17], vcc
	s_and_b64 exec, exec, s[16:17]
	s_cbranch_execz .LBB52_10
; %bb.8:
	s_mov_b64 s[16:17], 0
	v_mov_b32_e32 v111, s6
.LBB52_9:                               ; =>This Inner Loop Header: Depth=1
	ds_cmpst_rtn_b32 v111, v109, v111, v110 offset:424
	s_waitcnt lgkmcnt(0)
	v_cmp_ne_u32_e32 vcc, 0, v111
	v_cmp_le_i32_e64 s[6:7], v111, v110
	s_and_b64 s[6:7], vcc, s[6:7]
	s_and_b64 s[6:7], exec, s[6:7]
	s_or_b64 s[16:17], s[6:7], s[16:17]
	s_andn2_b64 exec, exec, s[16:17]
	s_cbranch_execnz .LBB52_9
.LBB52_10:
	s_or_b64 exec, exec, s[12:13]
	v_mov_b32_e32 v110, 0
	s_waitcnt lgkmcnt(0)
	; wave barrier
	ds_read_b32 v109, v110 offset:424
	s_and_saveexec_b64 s[6:7], s[4:5]
	s_cbranch_execz .LBB52_12
; %bb.11:
	s_lshl_b64 s[12:13], s[8:9], 2
	s_add_u32 s12, s14, s12
	s_addc_u32 s13, s15, s13
	s_waitcnt lgkmcnt(0)
	global_store_dword v110, v109, s[12:13]
.LBB52_12:
	s_or_b64 exec, exec, s[6:7]
	s_waitcnt lgkmcnt(0)
	v_cmp_ne_u32_e32 vcc, 0, v109
	s_mov_b64 s[6:7], 0
	s_cbranch_vccnz .LBB52_218
; %bb.13:
	buffer_load_dword v110, v108, s[0:3], 0 offen
	buffer_load_dword v111, v108, s[0:3], 0 offen offset:4
	s_waitcnt vmcnt(0)
	v_div_scale_f64 v[112:113], s[6:7], v[110:111], v[110:111], 1.0
	v_rcp_f64_e32 v[114:115], v[112:113]
	v_div_scale_f64 v[116:117], vcc, 1.0, v[110:111], 1.0
	v_fma_f64 v[118:119], -v[112:113], v[114:115], 1.0
	v_fmac_f64_e32 v[114:115], v[114:115], v[118:119]
	v_fma_f64 v[118:119], -v[112:113], v[114:115], 1.0
	v_fmac_f64_e32 v[114:115], v[114:115], v[118:119]
	v_mul_f64 v[118:119], v[116:117], v[114:115]
	v_fma_f64 v[112:113], -v[112:113], v[118:119], v[116:117]
	v_div_fmas_f64 v[112:113], v[112:113], v[114:115], v[118:119]
	v_div_fixup_f64 v[112:113], v[112:113], v[110:111], 1.0
	buffer_store_dword v113, v108, s[0:3], 0 offen offset:4
	buffer_store_dword v112, v108, s[0:3], 0 offen
	buffer_load_dword v115, off, s[0:3], 0 offset:12
	buffer_load_dword v114, off, s[0:3], 0 offset:8
	v_add_u32_e32 v110, 0x1b0, v1
	v_xor_b32_e32 v113, 0x80000000, v113
	s_waitcnt vmcnt(0)
	ds_write2_b64 v1, v[112:113], v[114:115] offset1:54
	s_waitcnt lgkmcnt(0)
	; wave barrier
	s_waitcnt lgkmcnt(0)
	s_and_saveexec_b64 s[6:7], s[4:5]
	s_cbranch_execz .LBB52_15
; %bb.14:
	buffer_load_dword v112, v108, s[0:3], 0 offen
	buffer_load_dword v113, v108, s[0:3], 0 offen offset:4
	v_mov_b32_e32 v109, 0
	ds_read_b64 v[114:115], v110
	ds_read_b64 v[116:117], v109 offset:8
	s_waitcnt vmcnt(0) lgkmcnt(1)
	v_fma_f64 v[112:113], v[112:113], v[114:115], 0
	s_waitcnt lgkmcnt(0)
	v_mul_f64 v[112:113], v[112:113], v[116:117]
	buffer_store_dword v112, off, s[0:3], 0 offset:8
	buffer_store_dword v113, off, s[0:3], 0 offset:12
.LBB52_15:
	s_or_b64 exec, exec, s[6:7]
	s_waitcnt lgkmcnt(0)
	; wave barrier
	buffer_load_dword v112, off, s[0:3], 0 offset:16
	buffer_load_dword v113, off, s[0:3], 0 offset:20
	v_cmp_gt_u32_e32 vcc, 2, v0
	s_waitcnt vmcnt(0)
	ds_write_b64 v110, v[112:113]
	s_waitcnt lgkmcnt(0)
	; wave barrier
	s_waitcnt lgkmcnt(0)
	s_and_saveexec_b64 s[6:7], vcc
	s_cbranch_execz .LBB52_17
; %bb.16:
	buffer_load_dword v109, v108, s[0:3], 0 offen offset:4
	buffer_load_dword v116, off, s[0:3], 0 offset:8
	s_nop 0
	buffer_load_dword v108, v108, s[0:3], 0 offen
	s_nop 0
	buffer_load_dword v117, off, s[0:3], 0 offset:12
	ds_read_b64 v[118:119], v110
	v_mov_b32_e32 v111, 0
	ds_read2_b64 v[112:115], v111 offset0:2 offset1:55
	s_waitcnt vmcnt(1) lgkmcnt(1)
	v_fma_f64 v[108:109], v[108:109], v[118:119], 0
	s_waitcnt vmcnt(0) lgkmcnt(0)
	v_fma_f64 v[114:115], v[116:117], v[114:115], v[108:109]
	v_cndmask_b32_e64 v109, v109, v115, s[4:5]
	v_cndmask_b32_e64 v108, v108, v114, s[4:5]
	v_mul_f64 v[108:109], v[108:109], v[112:113]
	buffer_store_dword v109, off, s[0:3], 0 offset:20
	buffer_store_dword v108, off, s[0:3], 0 offset:16
.LBB52_17:
	s_or_b64 exec, exec, s[6:7]
	s_waitcnt lgkmcnt(0)
	; wave barrier
	buffer_load_dword v108, off, s[0:3], 0 offset:24
	buffer_load_dword v109, off, s[0:3], 0 offset:28
	v_cmp_gt_u32_e32 vcc, 3, v0
	v_add_u32_e32 v111, -1, v0
	s_waitcnt vmcnt(0)
	ds_write_b64 v110, v[108:109]
	s_waitcnt lgkmcnt(0)
	; wave barrier
	s_waitcnt lgkmcnt(0)
	s_and_saveexec_b64 s[4:5], vcc
	s_cbranch_execz .LBB52_21
; %bb.18:
	v_add_u32_e32 v112, -1, v0
	v_add_u32_e32 v113, 0x1b0, v1
	v_add_u32_e32 v114, 0, v1
	s_mov_b64 s[6:7], 0
	v_pk_mov_b32 v[108:109], 0, 0
.LBB52_19:                              ; =>This Inner Loop Header: Depth=1
	buffer_load_dword v116, v114, s[0:3], 0 offen
	buffer_load_dword v117, v114, s[0:3], 0 offen offset:4
	ds_read_b64 v[118:119], v113
	v_add_u32_e32 v112, 1, v112
	v_cmp_lt_u32_e32 vcc, 1, v112
	v_add_u32_e32 v113, 8, v113
	v_add_u32_e32 v114, 8, v114
	s_or_b64 s[6:7], vcc, s[6:7]
	s_waitcnt vmcnt(0) lgkmcnt(0)
	v_fmac_f64_e32 v[108:109], v[116:117], v[118:119]
	s_andn2_b64 exec, exec, s[6:7]
	s_cbranch_execnz .LBB52_19
; %bb.20:
	s_or_b64 exec, exec, s[6:7]
	v_mov_b32_e32 v112, 0
	ds_read_b64 v[112:113], v112 offset:24
	s_waitcnt lgkmcnt(0)
	v_mul_f64 v[108:109], v[108:109], v[112:113]
	buffer_store_dword v109, off, s[0:3], 0 offset:28
	buffer_store_dword v108, off, s[0:3], 0 offset:24
.LBB52_21:
	s_or_b64 exec, exec, s[4:5]
	s_waitcnt lgkmcnt(0)
	; wave barrier
	buffer_load_dword v108, off, s[0:3], 0 offset:32
	buffer_load_dword v109, off, s[0:3], 0 offset:36
	v_cmp_gt_u32_e32 vcc, 4, v0
	s_waitcnt vmcnt(0)
	ds_write_b64 v110, v[108:109]
	s_waitcnt lgkmcnt(0)
	; wave barrier
	s_waitcnt lgkmcnt(0)
	s_and_saveexec_b64 s[4:5], vcc
	s_cbranch_execz .LBB52_25
; %bb.22:
	v_add_u32_e32 v112, -1, v0
	v_add_u32_e32 v113, 0x1b0, v1
	v_add_u32_e32 v114, 0, v1
	s_mov_b64 s[6:7], 0
	v_pk_mov_b32 v[108:109], 0, 0
.LBB52_23:                              ; =>This Inner Loop Header: Depth=1
	buffer_load_dword v116, v114, s[0:3], 0 offen
	buffer_load_dword v117, v114, s[0:3], 0 offen offset:4
	ds_read_b64 v[118:119], v113
	v_add_u32_e32 v112, 1, v112
	v_cmp_lt_u32_e32 vcc, 2, v112
	v_add_u32_e32 v113, 8, v113
	v_add_u32_e32 v114, 8, v114
	s_or_b64 s[6:7], vcc, s[6:7]
	s_waitcnt vmcnt(0) lgkmcnt(0)
	v_fmac_f64_e32 v[108:109], v[116:117], v[118:119]
	s_andn2_b64 exec, exec, s[6:7]
	s_cbranch_execnz .LBB52_23
; %bb.24:
	s_or_b64 exec, exec, s[6:7]
	v_mov_b32_e32 v112, 0
	ds_read_b64 v[112:113], v112 offset:32
	s_waitcnt lgkmcnt(0)
	v_mul_f64 v[108:109], v[108:109], v[112:113]
	buffer_store_dword v109, off, s[0:3], 0 offset:36
	buffer_store_dword v108, off, s[0:3], 0 offset:32
.LBB52_25:
	s_or_b64 exec, exec, s[4:5]
	s_waitcnt lgkmcnt(0)
	; wave barrier
	buffer_load_dword v108, off, s[0:3], 0 offset:40
	buffer_load_dword v109, off, s[0:3], 0 offset:44
	v_cmp_gt_u32_e32 vcc, 5, v0
	;; [unrolled: 41-line block ×21, first 2 shown]
	s_waitcnt vmcnt(0)
	ds_write_b64 v110, v[108:109]
	s_waitcnt lgkmcnt(0)
	; wave barrier
	s_waitcnt lgkmcnt(0)
	s_and_saveexec_b64 s[4:5], vcc
	s_cbranch_execz .LBB52_105
; %bb.102:
	v_add_u32_e32 v112, -1, v0
	v_add_u32_e32 v113, 0x1b0, v1
	v_add_u32_e32 v114, 0, v1
	s_mov_b64 s[6:7], 0
	v_pk_mov_b32 v[108:109], 0, 0
.LBB52_103:                             ; =>This Inner Loop Header: Depth=1
	buffer_load_dword v116, v114, s[0:3], 0 offen
	buffer_load_dword v117, v114, s[0:3], 0 offen offset:4
	ds_read_b64 v[118:119], v113
	v_add_u32_e32 v112, 1, v112
	v_cmp_lt_u32_e32 vcc, 22, v112
	v_add_u32_e32 v113, 8, v113
	v_add_u32_e32 v114, 8, v114
	s_or_b64 s[6:7], vcc, s[6:7]
	s_waitcnt vmcnt(0) lgkmcnt(0)
	v_fmac_f64_e32 v[108:109], v[116:117], v[118:119]
	s_andn2_b64 exec, exec, s[6:7]
	s_cbranch_execnz .LBB52_103
; %bb.104:
	s_or_b64 exec, exec, s[6:7]
	v_mov_b32_e32 v112, 0
	ds_read_b64 v[112:113], v112 offset:192
	s_waitcnt lgkmcnt(0)
	v_mul_f64 v[108:109], v[108:109], v[112:113]
	buffer_store_dword v109, off, s[0:3], 0 offset:196
	buffer_store_dword v108, off, s[0:3], 0 offset:192
.LBB52_105:
	s_or_b64 exec, exec, s[4:5]
	s_waitcnt lgkmcnt(0)
	; wave barrier
	buffer_load_dword v108, off, s[0:3], 0 offset:200
	buffer_load_dword v109, off, s[0:3], 0 offset:204
	v_cmp_gt_u32_e32 vcc, 25, v0
	s_waitcnt vmcnt(0)
	ds_write_b64 v110, v[108:109]
	s_waitcnt lgkmcnt(0)
	; wave barrier
	s_waitcnt lgkmcnt(0)
	s_and_saveexec_b64 s[4:5], vcc
	s_cbranch_execz .LBB52_109
; %bb.106:
	v_add_u32_e32 v112, -1, v0
	v_add_u32_e32 v113, 0x1b0, v1
	v_add_u32_e32 v114, 0, v1
	s_mov_b64 s[6:7], 0
	v_pk_mov_b32 v[108:109], 0, 0
.LBB52_107:                             ; =>This Inner Loop Header: Depth=1
	buffer_load_dword v116, v114, s[0:3], 0 offen
	buffer_load_dword v117, v114, s[0:3], 0 offen offset:4
	ds_read_b64 v[118:119], v113
	v_add_u32_e32 v112, 1, v112
	v_cmp_lt_u32_e32 vcc, 23, v112
	v_add_u32_e32 v113, 8, v113
	v_add_u32_e32 v114, 8, v114
	s_or_b64 s[6:7], vcc, s[6:7]
	s_waitcnt vmcnt(0) lgkmcnt(0)
	v_fmac_f64_e32 v[108:109], v[116:117], v[118:119]
	s_andn2_b64 exec, exec, s[6:7]
	s_cbranch_execnz .LBB52_107
; %bb.108:
	s_or_b64 exec, exec, s[6:7]
	v_mov_b32_e32 v112, 0
	ds_read_b64 v[112:113], v112 offset:200
	s_waitcnt lgkmcnt(0)
	v_mul_f64 v[108:109], v[108:109], v[112:113]
	buffer_store_dword v109, off, s[0:3], 0 offset:204
	buffer_store_dword v108, off, s[0:3], 0 offset:200
.LBB52_109:
	s_or_b64 exec, exec, s[4:5]
	s_waitcnt lgkmcnt(0)
	; wave barrier
	buffer_load_dword v108, off, s[0:3], 0 offset:208
	buffer_load_dword v109, off, s[0:3], 0 offset:212
	v_cmp_gt_u32_e32 vcc, 26, v0
	;; [unrolled: 41-line block ×27, first 2 shown]
	s_waitcnt vmcnt(0)
	ds_write_b64 v110, v[108:109]
	s_waitcnt lgkmcnt(0)
	; wave barrier
	s_waitcnt lgkmcnt(0)
	s_and_saveexec_b64 s[4:5], vcc
	s_cbranch_execz .LBB52_213
; %bb.210:
	v_add_u32_e32 v112, -1, v0
	v_add_u32_e32 v113, 0x1b0, v1
	v_add_u32_e32 v114, 0, v1
	s_mov_b64 s[6:7], 0
	v_pk_mov_b32 v[108:109], 0, 0
.LBB52_211:                             ; =>This Inner Loop Header: Depth=1
	buffer_load_dword v116, v114, s[0:3], 0 offen
	buffer_load_dword v117, v114, s[0:3], 0 offen offset:4
	ds_read_b64 v[118:119], v113
	v_add_u32_e32 v112, 1, v112
	v_cmp_lt_u32_e32 vcc, 49, v112
	v_add_u32_e32 v113, 8, v113
	v_add_u32_e32 v114, 8, v114
	s_or_b64 s[6:7], vcc, s[6:7]
	s_waitcnt vmcnt(0) lgkmcnt(0)
	v_fmac_f64_e32 v[108:109], v[116:117], v[118:119]
	s_andn2_b64 exec, exec, s[6:7]
	s_cbranch_execnz .LBB52_211
; %bb.212:
	s_or_b64 exec, exec, s[6:7]
	v_mov_b32_e32 v112, 0
	ds_read_b64 v[112:113], v112 offset:408
	s_waitcnt lgkmcnt(0)
	v_mul_f64 v[108:109], v[108:109], v[112:113]
	buffer_store_dword v109, off, s[0:3], 0 offset:412
	buffer_store_dword v108, off, s[0:3], 0 offset:408
.LBB52_213:
	s_or_b64 exec, exec, s[4:5]
	s_waitcnt lgkmcnt(0)
	; wave barrier
	buffer_load_dword v108, off, s[0:3], 0 offset:416
	buffer_load_dword v109, off, s[0:3], 0 offset:420
	v_cmp_ne_u32_e32 vcc, 52, v0
	s_waitcnt vmcnt(0)
	ds_write_b64 v110, v[108:109]
	s_waitcnt lgkmcnt(0)
	; wave barrier
	s_waitcnt lgkmcnt(0)
	s_and_saveexec_b64 s[4:5], vcc
	s_cbranch_execz .LBB52_217
; %bb.214:
	v_add_u32_e32 v110, 0x1b0, v1
	v_add_u32_e32 v1, 0, v1
	s_mov_b64 s[6:7], 0
	v_pk_mov_b32 v[108:109], 0, 0
.LBB52_215:                             ; =>This Inner Loop Header: Depth=1
	buffer_load_dword v112, v1, s[0:3], 0 offen
	buffer_load_dword v113, v1, s[0:3], 0 offen offset:4
	ds_read_b64 v[114:115], v110
	v_add_u32_e32 v111, 1, v111
	v_cmp_lt_u32_e32 vcc, 50, v111
	v_add_u32_e32 v110, 8, v110
	v_add_u32_e32 v1, 8, v1
	s_or_b64 s[6:7], vcc, s[6:7]
	s_waitcnt vmcnt(0) lgkmcnt(0)
	v_fmac_f64_e32 v[108:109], v[112:113], v[114:115]
	s_andn2_b64 exec, exec, s[6:7]
	s_cbranch_execnz .LBB52_215
; %bb.216:
	s_or_b64 exec, exec, s[6:7]
	v_mov_b32_e32 v1, 0
	ds_read_b64 v[110:111], v1 offset:416
	s_waitcnt lgkmcnt(0)
	v_mul_f64 v[108:109], v[108:109], v[110:111]
	buffer_store_dword v109, off, s[0:3], 0 offset:420
	buffer_store_dword v108, off, s[0:3], 0 offset:416
.LBB52_217:
	s_or_b64 exec, exec, s[4:5]
	s_mov_b64 s[6:7], -1
	s_waitcnt lgkmcnt(0)
	; wave barrier
.LBB52_218:
	s_and_b64 vcc, exec, s[6:7]
	s_cbranch_vccz .LBB52_220
; %bb.219:
	s_lshl_b64 s[4:5], s[8:9], 2
	s_add_u32 s4, s14, s4
	s_addc_u32 s5, s15, s5
	v_mov_b32_e32 v1, 0
	global_load_dword v1, v1, s[4:5]
	s_waitcnt vmcnt(0)
	v_cmp_ne_u32_e32 vcc, 0, v1
	s_cbranch_vccz .LBB52_221
.LBB52_220:
	s_endpgm
.LBB52_221:
	v_mov_b32_e32 v1, 0x1b0
	v_lshl_add_u32 v1, v0, 3, v1
	v_cmp_eq_u32_e32 vcc, 52, v0
	s_and_saveexec_b64 s[4:5], vcc
	s_cbranch_execz .LBB52_223
; %bb.222:
	buffer_load_dword v108, off, s[0:3], 0 offset:408
	buffer_load_dword v109, off, s[0:3], 0 offset:412
	v_mov_b32_e32 v110, 0
	buffer_store_dword v110, off, s[0:3], 0 offset:408
	buffer_store_dword v110, off, s[0:3], 0 offset:412
	s_waitcnt vmcnt(2)
	ds_write_b64 v1, v[108:109]
.LBB52_223:
	s_or_b64 exec, exec, s[4:5]
	s_waitcnt lgkmcnt(0)
	; wave barrier
	s_waitcnt lgkmcnt(0)
	buffer_load_dword v110, off, s[0:3], 0 offset:416
	buffer_load_dword v111, off, s[0:3], 0 offset:420
	;; [unrolled: 1-line block ×4, first 2 shown]
	v_mov_b32_e32 v108, 0
	ds_read_b64 v[114:115], v108 offset:848
	v_cmp_lt_u32_e32 vcc, 50, v0
	s_waitcnt vmcnt(2) lgkmcnt(0)
	v_fma_f64 v[110:111], v[110:111], v[114:115], 0
	s_waitcnt vmcnt(0)
	v_add_f64 v[110:111], v[112:113], -v[110:111]
	buffer_store_dword v110, off, s[0:3], 0 offset:408
	buffer_store_dword v111, off, s[0:3], 0 offset:412
	s_and_saveexec_b64 s[4:5], vcc
	s_cbranch_execz .LBB52_225
; %bb.224:
	buffer_load_dword v110, off, s[0:3], 0 offset:400
	buffer_load_dword v111, off, s[0:3], 0 offset:404
	s_waitcnt vmcnt(0)
	ds_write_b64 v1, v[110:111]
	buffer_store_dword v108, off, s[0:3], 0 offset:400
	buffer_store_dword v108, off, s[0:3], 0 offset:404
.LBB52_225:
	s_or_b64 exec, exec, s[4:5]
	s_waitcnt lgkmcnt(0)
	; wave barrier
	s_waitcnt lgkmcnt(0)
	buffer_load_dword v112, off, s[0:3], 0 offset:408
	buffer_load_dword v113, off, s[0:3], 0 offset:412
	;; [unrolled: 1-line block ×6, first 2 shown]
	ds_read2_b64 v[108:111], v108 offset0:105 offset1:106
	v_cmp_lt_u32_e32 vcc, 49, v0
	s_waitcnt vmcnt(4) lgkmcnt(0)
	v_fma_f64 v[108:109], v[112:113], v[108:109], 0
	s_waitcnt vmcnt(2)
	v_fmac_f64_e32 v[108:109], v[114:115], v[110:111]
	s_waitcnt vmcnt(0)
	v_add_f64 v[108:109], v[116:117], -v[108:109]
	buffer_store_dword v108, off, s[0:3], 0 offset:400
	buffer_store_dword v109, off, s[0:3], 0 offset:404
	s_and_saveexec_b64 s[4:5], vcc
	s_cbranch_execz .LBB52_227
; %bb.226:
	buffer_load_dword v108, off, s[0:3], 0 offset:392
	buffer_load_dword v109, off, s[0:3], 0 offset:396
	v_mov_b32_e32 v110, 0
	buffer_store_dword v110, off, s[0:3], 0 offset:392
	buffer_store_dword v110, off, s[0:3], 0 offset:396
	s_waitcnt vmcnt(2)
	ds_write_b64 v1, v[108:109]
.LBB52_227:
	s_or_b64 exec, exec, s[4:5]
	s_waitcnt lgkmcnt(0)
	; wave barrier
	s_waitcnt lgkmcnt(0)
	buffer_load_dword v114, off, s[0:3], 0 offset:400
	buffer_load_dword v115, off, s[0:3], 0 offset:404
	;; [unrolled: 1-line block ×8, first 2 shown]
	v_mov_b32_e32 v108, 0
	ds_read_b128 v[110:113], v108 offset:832
	ds_read_b64 v[122:123], v108 offset:848
	v_cmp_lt_u32_e32 vcc, 48, v0
	s_waitcnt vmcnt(6) lgkmcnt(1)
	v_fma_f64 v[110:111], v[114:115], v[110:111], 0
	s_waitcnt vmcnt(4)
	v_fmac_f64_e32 v[110:111], v[116:117], v[112:113]
	s_waitcnt vmcnt(2) lgkmcnt(0)
	v_fmac_f64_e32 v[110:111], v[118:119], v[122:123]
	s_waitcnt vmcnt(0)
	v_add_f64 v[110:111], v[120:121], -v[110:111]
	buffer_store_dword v110, off, s[0:3], 0 offset:392
	buffer_store_dword v111, off, s[0:3], 0 offset:396
	s_and_saveexec_b64 s[4:5], vcc
	s_cbranch_execz .LBB52_229
; %bb.228:
	buffer_load_dword v110, off, s[0:3], 0 offset:384
	buffer_load_dword v111, off, s[0:3], 0 offset:388
	s_waitcnt vmcnt(0)
	ds_write_b64 v1, v[110:111]
	buffer_store_dword v108, off, s[0:3], 0 offset:384
	buffer_store_dword v108, off, s[0:3], 0 offset:388
.LBB52_229:
	s_or_b64 exec, exec, s[4:5]
	s_waitcnt lgkmcnt(0)
	; wave barrier
	s_waitcnt lgkmcnt(0)
	buffer_load_dword v118, off, s[0:3], 0 offset:392
	buffer_load_dword v119, off, s[0:3], 0 offset:396
	buffer_load_dword v120, off, s[0:3], 0 offset:400
	buffer_load_dword v121, off, s[0:3], 0 offset:404
	buffer_load_dword v122, off, s[0:3], 0 offset:408
	buffer_load_dword v123, off, s[0:3], 0 offset:412
	buffer_load_dword v124, off, s[0:3], 0 offset:416
	buffer_load_dword v125, off, s[0:3], 0 offset:420
	buffer_load_dword v126, off, s[0:3], 0 offset:384
	buffer_load_dword v127, off, s[0:3], 0 offset:388
	ds_read2_b64 v[110:113], v108 offset0:103 offset1:104
	ds_read2_b64 v[114:117], v108 offset0:105 offset1:106
	v_cmp_lt_u32_e32 vcc, 47, v0
	s_waitcnt vmcnt(8) lgkmcnt(1)
	v_fma_f64 v[108:109], v[118:119], v[110:111], 0
	s_waitcnt vmcnt(6)
	v_fmac_f64_e32 v[108:109], v[120:121], v[112:113]
	s_waitcnt vmcnt(4) lgkmcnt(0)
	v_fmac_f64_e32 v[108:109], v[122:123], v[114:115]
	s_waitcnt vmcnt(2)
	v_fmac_f64_e32 v[108:109], v[124:125], v[116:117]
	s_waitcnt vmcnt(0)
	v_add_f64 v[108:109], v[126:127], -v[108:109]
	buffer_store_dword v108, off, s[0:3], 0 offset:384
	buffer_store_dword v109, off, s[0:3], 0 offset:388
	s_and_saveexec_b64 s[4:5], vcc
	s_cbranch_execz .LBB52_231
; %bb.230:
	buffer_load_dword v108, off, s[0:3], 0 offset:376
	buffer_load_dword v109, off, s[0:3], 0 offset:380
	v_mov_b32_e32 v110, 0
	buffer_store_dword v110, off, s[0:3], 0 offset:376
	buffer_store_dword v110, off, s[0:3], 0 offset:380
	s_waitcnt vmcnt(2)
	ds_write_b64 v1, v[108:109]
.LBB52_231:
	s_or_b64 exec, exec, s[4:5]
	s_waitcnt lgkmcnt(0)
	; wave barrier
	s_waitcnt lgkmcnt(0)
	buffer_load_dword v118, off, s[0:3], 0 offset:384
	buffer_load_dword v119, off, s[0:3], 0 offset:388
	;; [unrolled: 1-line block ×12, first 2 shown]
	v_mov_b32_e32 v108, 0
	ds_read_b128 v[110:113], v108 offset:816
	ds_read_b128 v[114:117], v108 offset:832
	ds_read_b64 v[130:131], v108 offset:848
	v_cmp_lt_u32_e32 vcc, 46, v0
	s_waitcnt vmcnt(10) lgkmcnt(2)
	v_fma_f64 v[110:111], v[118:119], v[110:111], 0
	s_waitcnt vmcnt(8)
	v_fmac_f64_e32 v[110:111], v[120:121], v[112:113]
	s_waitcnt vmcnt(6) lgkmcnt(1)
	v_fmac_f64_e32 v[110:111], v[122:123], v[114:115]
	s_waitcnt vmcnt(4)
	v_fmac_f64_e32 v[110:111], v[124:125], v[116:117]
	s_waitcnt vmcnt(2) lgkmcnt(0)
	v_fmac_f64_e32 v[110:111], v[126:127], v[130:131]
	s_waitcnt vmcnt(0)
	v_add_f64 v[110:111], v[128:129], -v[110:111]
	buffer_store_dword v110, off, s[0:3], 0 offset:376
	buffer_store_dword v111, off, s[0:3], 0 offset:380
	s_and_saveexec_b64 s[4:5], vcc
	s_cbranch_execz .LBB52_233
; %bb.232:
	buffer_load_dword v110, off, s[0:3], 0 offset:368
	buffer_load_dword v111, off, s[0:3], 0 offset:372
	s_waitcnt vmcnt(0)
	ds_write_b64 v1, v[110:111]
	buffer_store_dword v108, off, s[0:3], 0 offset:368
	buffer_store_dword v108, off, s[0:3], 0 offset:372
.LBB52_233:
	s_or_b64 exec, exec, s[4:5]
	s_waitcnt lgkmcnt(0)
	; wave barrier
	s_waitcnt lgkmcnt(0)
	buffer_load_dword v122, off, s[0:3], 0 offset:376
	buffer_load_dword v123, off, s[0:3], 0 offset:380
	;; [unrolled: 1-line block ×14, first 2 shown]
	ds_read2_b64 v[110:113], v108 offset0:101 offset1:102
	ds_read2_b64 v[114:117], v108 offset0:103 offset1:104
	;; [unrolled: 1-line block ×3, first 2 shown]
	v_cmp_lt_u32_e32 vcc, 45, v0
	s_waitcnt vmcnt(12) lgkmcnt(2)
	v_fma_f64 v[108:109], v[122:123], v[110:111], 0
	s_waitcnt vmcnt(10)
	v_fmac_f64_e32 v[108:109], v[124:125], v[112:113]
	s_waitcnt vmcnt(8) lgkmcnt(1)
	v_fmac_f64_e32 v[108:109], v[126:127], v[114:115]
	s_waitcnt vmcnt(6)
	v_fmac_f64_e32 v[108:109], v[128:129], v[116:117]
	s_waitcnt vmcnt(4) lgkmcnt(0)
	v_fmac_f64_e32 v[108:109], v[130:131], v[118:119]
	s_waitcnt vmcnt(2)
	v_fmac_f64_e32 v[108:109], v[132:133], v[120:121]
	s_waitcnt vmcnt(0)
	v_add_f64 v[108:109], v[134:135], -v[108:109]
	buffer_store_dword v108, off, s[0:3], 0 offset:368
	buffer_store_dword v109, off, s[0:3], 0 offset:372
	s_and_saveexec_b64 s[4:5], vcc
	s_cbranch_execz .LBB52_235
; %bb.234:
	buffer_load_dword v108, off, s[0:3], 0 offset:360
	buffer_load_dword v109, off, s[0:3], 0 offset:364
	v_mov_b32_e32 v110, 0
	buffer_store_dword v110, off, s[0:3], 0 offset:360
	buffer_store_dword v110, off, s[0:3], 0 offset:364
	s_waitcnt vmcnt(2)
	ds_write_b64 v1, v[108:109]
.LBB52_235:
	s_or_b64 exec, exec, s[4:5]
	s_waitcnt lgkmcnt(0)
	; wave barrier
	s_waitcnt lgkmcnt(0)
	buffer_load_dword v122, off, s[0:3], 0 offset:368
	buffer_load_dword v123, off, s[0:3], 0 offset:372
	;; [unrolled: 1-line block ×16, first 2 shown]
	v_mov_b32_e32 v108, 0
	ds_read_b128 v[110:113], v108 offset:800
	ds_read_b128 v[114:117], v108 offset:816
	;; [unrolled: 1-line block ×3, first 2 shown]
	ds_read_b64 v[138:139], v108 offset:848
	v_cmp_lt_u32_e32 vcc, 44, v0
	s_waitcnt vmcnt(14) lgkmcnt(3)
	v_fma_f64 v[110:111], v[122:123], v[110:111], 0
	s_waitcnt vmcnt(12)
	v_fmac_f64_e32 v[110:111], v[124:125], v[112:113]
	s_waitcnt vmcnt(10) lgkmcnt(2)
	v_fmac_f64_e32 v[110:111], v[126:127], v[114:115]
	s_waitcnt vmcnt(8)
	v_fmac_f64_e32 v[110:111], v[128:129], v[116:117]
	s_waitcnt vmcnt(6) lgkmcnt(1)
	v_fmac_f64_e32 v[110:111], v[130:131], v[118:119]
	;; [unrolled: 4-line block ×3, first 2 shown]
	s_waitcnt vmcnt(0)
	v_add_f64 v[110:111], v[136:137], -v[110:111]
	buffer_store_dword v110, off, s[0:3], 0 offset:360
	buffer_store_dword v111, off, s[0:3], 0 offset:364
	s_and_saveexec_b64 s[4:5], vcc
	s_cbranch_execz .LBB52_237
; %bb.236:
	buffer_load_dword v110, off, s[0:3], 0 offset:352
	buffer_load_dword v111, off, s[0:3], 0 offset:356
	s_waitcnt vmcnt(0)
	ds_write_b64 v1, v[110:111]
	buffer_store_dword v108, off, s[0:3], 0 offset:352
	buffer_store_dword v108, off, s[0:3], 0 offset:356
.LBB52_237:
	s_or_b64 exec, exec, s[4:5]
	s_waitcnt lgkmcnt(0)
	; wave barrier
	s_waitcnt lgkmcnt(0)
	buffer_load_dword v126, off, s[0:3], 0 offset:360
	buffer_load_dword v127, off, s[0:3], 0 offset:364
	;; [unrolled: 1-line block ×18, first 2 shown]
	ds_read2_b64 v[110:113], v108 offset0:99 offset1:100
	ds_read2_b64 v[114:117], v108 offset0:101 offset1:102
	;; [unrolled: 1-line block ×4, first 2 shown]
	v_cmp_lt_u32_e32 vcc, 43, v0
	s_waitcnt vmcnt(16) lgkmcnt(3)
	v_fma_f64 v[108:109], v[126:127], v[110:111], 0
	s_waitcnt vmcnt(14)
	v_fmac_f64_e32 v[108:109], v[128:129], v[112:113]
	s_waitcnt vmcnt(12) lgkmcnt(2)
	v_fmac_f64_e32 v[108:109], v[130:131], v[114:115]
	s_waitcnt vmcnt(10)
	v_fmac_f64_e32 v[108:109], v[132:133], v[116:117]
	s_waitcnt vmcnt(8) lgkmcnt(1)
	v_fmac_f64_e32 v[108:109], v[134:135], v[118:119]
	;; [unrolled: 4-line block ×3, first 2 shown]
	s_waitcnt vmcnt(2)
	v_fmac_f64_e32 v[108:109], v[140:141], v[124:125]
	s_waitcnt vmcnt(0)
	v_add_f64 v[108:109], v[142:143], -v[108:109]
	buffer_store_dword v108, off, s[0:3], 0 offset:352
	buffer_store_dword v109, off, s[0:3], 0 offset:356
	s_and_saveexec_b64 s[4:5], vcc
	s_cbranch_execz .LBB52_239
; %bb.238:
	buffer_load_dword v108, off, s[0:3], 0 offset:344
	buffer_load_dword v109, off, s[0:3], 0 offset:348
	v_mov_b32_e32 v110, 0
	buffer_store_dword v110, off, s[0:3], 0 offset:344
	buffer_store_dword v110, off, s[0:3], 0 offset:348
	s_waitcnt vmcnt(2)
	ds_write_b64 v1, v[108:109]
.LBB52_239:
	s_or_b64 exec, exec, s[4:5]
	s_waitcnt lgkmcnt(0)
	; wave barrier
	s_waitcnt lgkmcnt(0)
	buffer_load_dword v126, off, s[0:3], 0 offset:352
	buffer_load_dword v127, off, s[0:3], 0 offset:356
	;; [unrolled: 1-line block ×20, first 2 shown]
	v_mov_b32_e32 v108, 0
	ds_read_b128 v[110:113], v108 offset:784
	ds_read_b128 v[114:117], v108 offset:800
	;; [unrolled: 1-line block ×4, first 2 shown]
	ds_read_b64 v[146:147], v108 offset:848
	v_cmp_lt_u32_e32 vcc, 42, v0
	s_waitcnt vmcnt(18) lgkmcnt(4)
	v_fma_f64 v[110:111], v[126:127], v[110:111], 0
	s_waitcnt vmcnt(16)
	v_fmac_f64_e32 v[110:111], v[128:129], v[112:113]
	s_waitcnt vmcnt(14) lgkmcnt(3)
	v_fmac_f64_e32 v[110:111], v[130:131], v[114:115]
	s_waitcnt vmcnt(12)
	v_fmac_f64_e32 v[110:111], v[132:133], v[116:117]
	s_waitcnt vmcnt(10) lgkmcnt(2)
	v_fmac_f64_e32 v[110:111], v[134:135], v[118:119]
	;; [unrolled: 4-line block ×3, first 2 shown]
	s_waitcnt vmcnt(2)
	v_fmac_f64_e32 v[110:111], v[142:143], v[124:125]
	s_waitcnt lgkmcnt(0)
	v_fmac_f64_e32 v[110:111], v[140:141], v[146:147]
	s_waitcnt vmcnt(0)
	v_add_f64 v[110:111], v[144:145], -v[110:111]
	buffer_store_dword v110, off, s[0:3], 0 offset:344
	buffer_store_dword v111, off, s[0:3], 0 offset:348
	s_and_saveexec_b64 s[4:5], vcc
	s_cbranch_execz .LBB52_241
; %bb.240:
	buffer_load_dword v110, off, s[0:3], 0 offset:336
	buffer_load_dword v111, off, s[0:3], 0 offset:340
	s_waitcnt vmcnt(0)
	ds_write_b64 v1, v[110:111]
	buffer_store_dword v108, off, s[0:3], 0 offset:336
	buffer_store_dword v108, off, s[0:3], 0 offset:340
.LBB52_241:
	s_or_b64 exec, exec, s[4:5]
	s_waitcnt lgkmcnt(0)
	; wave barrier
	s_waitcnt lgkmcnt(0)
	buffer_load_dword v130, off, s[0:3], 0 offset:344
	buffer_load_dword v131, off, s[0:3], 0 offset:348
	;; [unrolled: 1-line block ×22, first 2 shown]
	ds_read2_b64 v[110:113], v108 offset0:97 offset1:98
	ds_read2_b64 v[114:117], v108 offset0:99 offset1:100
	;; [unrolled: 1-line block ×5, first 2 shown]
	v_cmp_lt_u32_e32 vcc, 41, v0
	s_waitcnt vmcnt(20) lgkmcnt(4)
	v_fma_f64 v[108:109], v[130:131], v[110:111], 0
	s_waitcnt vmcnt(18)
	v_fmac_f64_e32 v[108:109], v[132:133], v[112:113]
	s_waitcnt vmcnt(16) lgkmcnt(3)
	v_fmac_f64_e32 v[108:109], v[134:135], v[114:115]
	s_waitcnt vmcnt(14)
	v_fmac_f64_e32 v[108:109], v[136:137], v[116:117]
	s_waitcnt vmcnt(12) lgkmcnt(2)
	v_fmac_f64_e32 v[108:109], v[138:139], v[118:119]
	;; [unrolled: 4-line block ×3, first 2 shown]
	s_waitcnt vmcnt(3)
	v_fmac_f64_e32 v[108:109], v[148:149], v[124:125]
	s_waitcnt lgkmcnt(0)
	v_fmac_f64_e32 v[108:109], v[146:147], v[126:127]
	s_waitcnt vmcnt(2)
	v_fmac_f64_e32 v[108:109], v[144:145], v[128:129]
	s_waitcnt vmcnt(0)
	v_add_f64 v[108:109], v[150:151], -v[108:109]
	buffer_store_dword v108, off, s[0:3], 0 offset:336
	buffer_store_dword v109, off, s[0:3], 0 offset:340
	s_and_saveexec_b64 s[4:5], vcc
	s_cbranch_execz .LBB52_243
; %bb.242:
	buffer_load_dword v108, off, s[0:3], 0 offset:328
	buffer_load_dword v109, off, s[0:3], 0 offset:332
	v_mov_b32_e32 v110, 0
	buffer_store_dword v110, off, s[0:3], 0 offset:328
	buffer_store_dword v110, off, s[0:3], 0 offset:332
	s_waitcnt vmcnt(2)
	ds_write_b64 v1, v[108:109]
.LBB52_243:
	s_or_b64 exec, exec, s[4:5]
	s_waitcnt lgkmcnt(0)
	; wave barrier
	s_waitcnt lgkmcnt(0)
	buffer_load_dword v130, off, s[0:3], 0 offset:336
	buffer_load_dword v131, off, s[0:3], 0 offset:340
	;; [unrolled: 1-line block ×24, first 2 shown]
	v_mov_b32_e32 v108, 0
	ds_read_b128 v[110:113], v108 offset:768
	ds_read_b128 v[114:117], v108 offset:784
	;; [unrolled: 1-line block ×5, first 2 shown]
	ds_read_b64 v[154:155], v108 offset:848
	v_cmp_lt_u32_e32 vcc, 40, v0
	s_waitcnt vmcnt(22) lgkmcnt(5)
	v_fma_f64 v[110:111], v[130:131], v[110:111], 0
	s_waitcnt vmcnt(20)
	v_fmac_f64_e32 v[110:111], v[132:133], v[112:113]
	s_waitcnt vmcnt(18) lgkmcnt(4)
	v_fmac_f64_e32 v[110:111], v[134:135], v[114:115]
	s_waitcnt vmcnt(16)
	v_fmac_f64_e32 v[110:111], v[136:137], v[116:117]
	s_waitcnt vmcnt(14) lgkmcnt(3)
	v_fmac_f64_e32 v[110:111], v[138:139], v[118:119]
	;; [unrolled: 4-line block ×3, first 2 shown]
	s_waitcnt vmcnt(4)
	v_fmac_f64_e32 v[110:111], v[150:151], v[124:125]
	s_waitcnt lgkmcnt(1)
	v_fmac_f64_e32 v[110:111], v[148:149], v[126:127]
	s_waitcnt vmcnt(3)
	v_fmac_f64_e32 v[110:111], v[146:147], v[128:129]
	s_waitcnt vmcnt(2) lgkmcnt(0)
	v_fmac_f64_e32 v[110:111], v[144:145], v[154:155]
	s_waitcnt vmcnt(0)
	v_add_f64 v[110:111], v[152:153], -v[110:111]
	buffer_store_dword v111, off, s[0:3], 0 offset:332
	buffer_store_dword v110, off, s[0:3], 0 offset:328
	s_and_saveexec_b64 s[4:5], vcc
	s_cbranch_execz .LBB52_245
; %bb.244:
	buffer_load_dword v110, off, s[0:3], 0 offset:320
	buffer_load_dword v111, off, s[0:3], 0 offset:324
	s_waitcnt vmcnt(0)
	ds_write_b64 v1, v[110:111]
	buffer_store_dword v108, off, s[0:3], 0 offset:320
	buffer_store_dword v108, off, s[0:3], 0 offset:324
.LBB52_245:
	s_or_b64 exec, exec, s[4:5]
	s_waitcnt lgkmcnt(0)
	; wave barrier
	s_waitcnt lgkmcnt(0)
	buffer_load_dword v134, off, s[0:3], 0 offset:328
	buffer_load_dword v135, off, s[0:3], 0 offset:332
	;; [unrolled: 1-line block ×26, first 2 shown]
	ds_read2_b64 v[110:113], v108 offset0:95 offset1:96
	ds_read2_b64 v[114:117], v108 offset0:97 offset1:98
	;; [unrolled: 1-line block ×6, first 2 shown]
	v_cmp_lt_u32_e32 vcc, 39, v0
	s_waitcnt vmcnt(24) lgkmcnt(5)
	v_fma_f64 v[108:109], v[134:135], v[110:111], 0
	s_waitcnt vmcnt(22)
	v_fmac_f64_e32 v[108:109], v[136:137], v[112:113]
	s_waitcnt vmcnt(20) lgkmcnt(4)
	v_fmac_f64_e32 v[108:109], v[138:139], v[114:115]
	s_waitcnt vmcnt(18)
	v_fmac_f64_e32 v[108:109], v[140:141], v[116:117]
	s_waitcnt vmcnt(16) lgkmcnt(3)
	v_fmac_f64_e32 v[108:109], v[142:143], v[118:119]
	;; [unrolled: 4-line block ×3, first 2 shown]
	s_waitcnt vmcnt(5)
	v_fmac_f64_e32 v[108:109], v[154:155], v[124:125]
	s_waitcnt lgkmcnt(1)
	v_fmac_f64_e32 v[108:109], v[152:153], v[126:127]
	v_fmac_f64_e32 v[108:109], v[150:151], v[128:129]
	s_waitcnt vmcnt(4) lgkmcnt(0)
	v_fmac_f64_e32 v[108:109], v[148:149], v[130:131]
	s_waitcnt vmcnt(2)
	v_fmac_f64_e32 v[108:109], v[156:157], v[132:133]
	s_waitcnt vmcnt(0)
	v_add_f64 v[108:109], v[158:159], -v[108:109]
	buffer_store_dword v109, off, s[0:3], 0 offset:324
	buffer_store_dword v108, off, s[0:3], 0 offset:320
	s_and_saveexec_b64 s[4:5], vcc
	s_cbranch_execz .LBB52_247
; %bb.246:
	buffer_load_dword v108, off, s[0:3], 0 offset:312
	buffer_load_dword v109, off, s[0:3], 0 offset:316
	v_mov_b32_e32 v110, 0
	buffer_store_dword v110, off, s[0:3], 0 offset:312
	buffer_store_dword v110, off, s[0:3], 0 offset:316
	s_waitcnt vmcnt(2)
	ds_write_b64 v1, v[108:109]
.LBB52_247:
	s_or_b64 exec, exec, s[4:5]
	s_waitcnt lgkmcnt(0)
	; wave barrier
	s_waitcnt lgkmcnt(0)
	buffer_load_dword v134, off, s[0:3], 0 offset:320
	buffer_load_dword v135, off, s[0:3], 0 offset:324
	buffer_load_dword v136, off, s[0:3], 0 offset:328
	buffer_load_dword v137, off, s[0:3], 0 offset:332
	buffer_load_dword v138, off, s[0:3], 0 offset:336
	buffer_load_dword v139, off, s[0:3], 0 offset:340
	buffer_load_dword v140, off, s[0:3], 0 offset:344
	buffer_load_dword v141, off, s[0:3], 0 offset:348
	buffer_load_dword v142, off, s[0:3], 0 offset:352
	buffer_load_dword v143, off, s[0:3], 0 offset:356
	buffer_load_dword v144, off, s[0:3], 0 offset:360
	buffer_load_dword v145, off, s[0:3], 0 offset:364
	buffer_load_dword v146, off, s[0:3], 0 offset:368
	buffer_load_dword v147, off, s[0:3], 0 offset:372
	buffer_load_dword v149, off, s[0:3], 0 offset:404
	buffer_load_dword v148, off, s[0:3], 0 offset:400
	buffer_load_dword v151, off, s[0:3], 0 offset:396
	buffer_load_dword v150, off, s[0:3], 0 offset:392
	buffer_load_dword v153, off, s[0:3], 0 offset:388
	buffer_load_dword v152, off, s[0:3], 0 offset:384
	buffer_load_dword v155, off, s[0:3], 0 offset:380
	buffer_load_dword v154, off, s[0:3], 0 offset:376
	buffer_load_dword v157, off, s[0:3], 0 offset:420
	buffer_load_dword v156, off, s[0:3], 0 offset:416
	buffer_load_dword v159, off, s[0:3], 0 offset:412
	buffer_load_dword v158, off, s[0:3], 0 offset:408
	buffer_load_dword v160, off, s[0:3], 0 offset:312
	buffer_load_dword v161, off, s[0:3], 0 offset:316
	v_mov_b32_e32 v108, 0
	ds_read_b128 v[110:113], v108 offset:752
	ds_read_b128 v[114:117], v108 offset:768
	;; [unrolled: 1-line block ×6, first 2 shown]
	ds_read_b64 v[162:163], v108 offset:848
	v_cmp_lt_u32_e32 vcc, 38, v0
	s_waitcnt vmcnt(26) lgkmcnt(6)
	v_fma_f64 v[110:111], v[134:135], v[110:111], 0
	s_waitcnt vmcnt(24)
	v_fmac_f64_e32 v[110:111], v[136:137], v[112:113]
	s_waitcnt vmcnt(22) lgkmcnt(5)
	v_fmac_f64_e32 v[110:111], v[138:139], v[114:115]
	s_waitcnt vmcnt(20)
	v_fmac_f64_e32 v[110:111], v[140:141], v[116:117]
	s_waitcnt vmcnt(18) lgkmcnt(4)
	v_fmac_f64_e32 v[110:111], v[142:143], v[118:119]
	;; [unrolled: 4-line block ×3, first 2 shown]
	s_waitcnt vmcnt(6)
	v_fmac_f64_e32 v[110:111], v[154:155], v[124:125]
	s_waitcnt lgkmcnt(2)
	v_fmac_f64_e32 v[110:111], v[152:153], v[126:127]
	v_fmac_f64_e32 v[110:111], v[150:151], v[128:129]
	s_waitcnt lgkmcnt(1)
	v_fmac_f64_e32 v[110:111], v[148:149], v[130:131]
	s_waitcnt vmcnt(2)
	v_fmac_f64_e32 v[110:111], v[158:159], v[132:133]
	s_waitcnt lgkmcnt(0)
	v_fmac_f64_e32 v[110:111], v[156:157], v[162:163]
	s_waitcnt vmcnt(0)
	v_add_f64 v[110:111], v[160:161], -v[110:111]
	buffer_store_dword v111, off, s[0:3], 0 offset:316
	buffer_store_dword v110, off, s[0:3], 0 offset:312
	s_and_saveexec_b64 s[4:5], vcc
	s_cbranch_execz .LBB52_249
; %bb.248:
	buffer_load_dword v110, off, s[0:3], 0 offset:304
	buffer_load_dword v111, off, s[0:3], 0 offset:308
	s_waitcnt vmcnt(0)
	ds_write_b64 v1, v[110:111]
	buffer_store_dword v108, off, s[0:3], 0 offset:304
	buffer_store_dword v108, off, s[0:3], 0 offset:308
.LBB52_249:
	s_or_b64 exec, exec, s[4:5]
	s_waitcnt lgkmcnt(0)
	; wave barrier
	s_waitcnt lgkmcnt(0)
	buffer_load_dword v138, off, s[0:3], 0 offset:312
	buffer_load_dword v139, off, s[0:3], 0 offset:316
	buffer_load_dword v140, off, s[0:3], 0 offset:320
	buffer_load_dword v141, off, s[0:3], 0 offset:324
	buffer_load_dword v142, off, s[0:3], 0 offset:328
	buffer_load_dword v143, off, s[0:3], 0 offset:332
	buffer_load_dword v144, off, s[0:3], 0 offset:336
	buffer_load_dword v145, off, s[0:3], 0 offset:340
	buffer_load_dword v146, off, s[0:3], 0 offset:344
	buffer_load_dword v147, off, s[0:3], 0 offset:348
	buffer_load_dword v148, off, s[0:3], 0 offset:352
	buffer_load_dword v149, off, s[0:3], 0 offset:356
	buffer_load_dword v150, off, s[0:3], 0 offset:360
	buffer_load_dword v151, off, s[0:3], 0 offset:364
	buffer_load_dword v153, off, s[0:3], 0 offset:396
	buffer_load_dword v152, off, s[0:3], 0 offset:392
	buffer_load_dword v155, off, s[0:3], 0 offset:388
	buffer_load_dword v154, off, s[0:3], 0 offset:384
	buffer_load_dword v157, off, s[0:3], 0 offset:380
	buffer_load_dword v156, off, s[0:3], 0 offset:376
	buffer_load_dword v159, off, s[0:3], 0 offset:372
	buffer_load_dword v158, off, s[0:3], 0 offset:368
	buffer_load_dword v160, off, s[0:3], 0 offset:416
	buffer_load_dword v163, off, s[0:3], 0 offset:412
	buffer_load_dword v162, off, s[0:3], 0 offset:408
	buffer_load_dword v165, off, s[0:3], 0 offset:404
	buffer_load_dword v164, off, s[0:3], 0 offset:400
	buffer_load_dword v161, off, s[0:3], 0 offset:420
	buffer_load_dword v166, off, s[0:3], 0 offset:304
	buffer_load_dword v167, off, s[0:3], 0 offset:308
	ds_read2_b64 v[110:113], v108 offset0:93 offset1:94
	ds_read2_b64 v[114:117], v108 offset0:95 offset1:96
	;; [unrolled: 1-line block ×7, first 2 shown]
	v_cmp_lt_u32_e32 vcc, 37, v0
	s_waitcnt vmcnt(28) lgkmcnt(6)
	v_fma_f64 v[108:109], v[138:139], v[110:111], 0
	s_waitcnt vmcnt(26)
	v_fmac_f64_e32 v[108:109], v[140:141], v[112:113]
	s_waitcnt vmcnt(24) lgkmcnt(5)
	v_fmac_f64_e32 v[108:109], v[142:143], v[114:115]
	s_waitcnt vmcnt(22)
	v_fmac_f64_e32 v[108:109], v[144:145], v[116:117]
	s_waitcnt vmcnt(20) lgkmcnt(4)
	v_fmac_f64_e32 v[108:109], v[146:147], v[118:119]
	;; [unrolled: 4-line block ×3, first 2 shown]
	s_waitcnt vmcnt(8)
	v_fmac_f64_e32 v[108:109], v[158:159], v[124:125]
	s_waitcnt lgkmcnt(2)
	v_fmac_f64_e32 v[108:109], v[156:157], v[126:127]
	v_fmac_f64_e32 v[108:109], v[154:155], v[128:129]
	s_waitcnt lgkmcnt(1)
	v_fmac_f64_e32 v[108:109], v[152:153], v[130:131]
	s_waitcnt vmcnt(3)
	v_fmac_f64_e32 v[108:109], v[164:165], v[132:133]
	s_waitcnt lgkmcnt(0)
	v_fmac_f64_e32 v[108:109], v[162:163], v[134:135]
	s_waitcnt vmcnt(2)
	v_fmac_f64_e32 v[108:109], v[160:161], v[136:137]
	s_waitcnt vmcnt(0)
	v_add_f64 v[108:109], v[166:167], -v[108:109]
	buffer_store_dword v109, off, s[0:3], 0 offset:308
	buffer_store_dword v108, off, s[0:3], 0 offset:304
	s_and_saveexec_b64 s[4:5], vcc
	s_cbranch_execz .LBB52_251
; %bb.250:
	buffer_load_dword v108, off, s[0:3], 0 offset:296
	buffer_load_dword v109, off, s[0:3], 0 offset:300
	v_mov_b32_e32 v110, 0
	buffer_store_dword v110, off, s[0:3], 0 offset:296
	buffer_store_dword v110, off, s[0:3], 0 offset:300
	s_waitcnt vmcnt(2)
	ds_write_b64 v1, v[108:109]
.LBB52_251:
	s_or_b64 exec, exec, s[4:5]
	s_waitcnt lgkmcnt(0)
	; wave barrier
	s_waitcnt lgkmcnt(0)
	buffer_load_dword v126, off, s[0:3], 0 offset:296
	buffer_load_dword v127, off, s[0:3], 0 offset:300
	;; [unrolled: 1-line block ×16, first 2 shown]
	v_mov_b32_e32 v108, 0
	ds_read_b128 v[110:113], v108 offset:736
	ds_read_b128 v[114:117], v108 offset:752
	;; [unrolled: 1-line block ×4, first 2 shown]
	v_cmp_lt_u32_e32 vcc, 36, v0
	s_waitcnt vmcnt(12) lgkmcnt(3)
	v_fma_f64 v[128:129], v[128:129], v[110:111], 0
	buffer_load_dword v111, off, s[0:3], 0 offset:364
	buffer_load_dword v110, off, s[0:3], 0 offset:360
	s_waitcnt vmcnt(12)
	v_fmac_f64_e32 v[128:129], v[130:131], v[112:113]
	s_waitcnt vmcnt(10) lgkmcnt(2)
	v_fmac_f64_e32 v[128:129], v[132:133], v[114:115]
	buffer_load_dword v115, off, s[0:3], 0 offset:372
	buffer_load_dword v114, off, s[0:3], 0 offset:368
	s_waitcnt vmcnt(10)
	v_fmac_f64_e32 v[128:129], v[134:135], v[116:117]
	s_waitcnt vmcnt(8) lgkmcnt(1)
	v_fmac_f64_e32 v[128:129], v[136:137], v[118:119]
	s_waitcnt vmcnt(6)
	v_fmac_f64_e32 v[128:129], v[138:139], v[120:121]
	s_waitcnt vmcnt(4) lgkmcnt(0)
	v_fmac_f64_e32 v[128:129], v[140:141], v[122:123]
	s_waitcnt vmcnt(2)
	v_fmac_f64_e32 v[128:129], v[110:111], v[124:125]
	ds_read_b128 v[110:113], v108 offset:800
	s_waitcnt vmcnt(0) lgkmcnt(0)
	v_fmac_f64_e32 v[128:129], v[114:115], v[110:111]
	buffer_load_dword v111, off, s[0:3], 0 offset:380
	buffer_load_dword v110, off, s[0:3], 0 offset:376
	;; [unrolled: 1-line block ×4, first 2 shown]
	s_waitcnt vmcnt(2)
	v_fmac_f64_e32 v[128:129], v[110:111], v[112:113]
	ds_read_b128 v[110:113], v108 offset:816
	s_waitcnt vmcnt(0) lgkmcnt(0)
	v_fmac_f64_e32 v[128:129], v[114:115], v[110:111]
	buffer_load_dword v111, off, s[0:3], 0 offset:396
	buffer_load_dword v110, off, s[0:3], 0 offset:392
	;; [unrolled: 1-line block ×4, first 2 shown]
	s_waitcnt vmcnt(2)
	v_fmac_f64_e32 v[128:129], v[110:111], v[112:113]
	ds_read_b128 v[110:113], v108 offset:832
	s_waitcnt vmcnt(0) lgkmcnt(0)
	v_fmac_f64_e32 v[128:129], v[114:115], v[110:111]
	buffer_load_dword v111, off, s[0:3], 0 offset:412
	buffer_load_dword v110, off, s[0:3], 0 offset:408
	s_waitcnt vmcnt(0)
	v_fmac_f64_e32 v[128:129], v[110:111], v[112:113]
	buffer_load_dword v111, off, s[0:3], 0 offset:420
	buffer_load_dword v110, off, s[0:3], 0 offset:416
	ds_read_b64 v[112:113], v108 offset:848
	s_waitcnt vmcnt(0) lgkmcnt(0)
	v_fmac_f64_e32 v[128:129], v[110:111], v[112:113]
	v_add_f64 v[110:111], v[126:127], -v[128:129]
	buffer_store_dword v111, off, s[0:3], 0 offset:300
	buffer_store_dword v110, off, s[0:3], 0 offset:296
	s_and_saveexec_b64 s[4:5], vcc
	s_cbranch_execz .LBB52_253
; %bb.252:
	buffer_load_dword v110, off, s[0:3], 0 offset:288
	buffer_load_dword v111, off, s[0:3], 0 offset:292
	s_waitcnt vmcnt(0)
	ds_write_b64 v1, v[110:111]
	buffer_store_dword v108, off, s[0:3], 0 offset:288
	buffer_store_dword v108, off, s[0:3], 0 offset:292
.LBB52_253:
	s_or_b64 exec, exec, s[4:5]
	s_waitcnt lgkmcnt(0)
	; wave barrier
	s_waitcnt lgkmcnt(0)
	buffer_load_dword v114, off, s[0:3], 0 offset:288
	buffer_load_dword v115, off, s[0:3], 0 offset:292
	;; [unrolled: 1-line block ×16, first 2 shown]
	ds_read2_b64 v[110:113], v108 offset0:91 offset1:92
	v_cmp_lt_u32_e32 vcc, 35, v0
	s_waitcnt vmcnt(12) lgkmcnt(0)
	v_fma_f64 v[116:117], v[116:117], v[110:111], 0
	s_waitcnt vmcnt(10)
	v_fmac_f64_e32 v[116:117], v[118:119], v[112:113]
	ds_read2_b64 v[110:113], v108 offset0:93 offset1:94
	s_waitcnt vmcnt(8) lgkmcnt(0)
	v_fmac_f64_e32 v[116:117], v[120:121], v[110:111]
	s_waitcnt vmcnt(6)
	v_fmac_f64_e32 v[116:117], v[122:123], v[112:113]
	ds_read2_b64 v[110:113], v108 offset0:95 offset1:96
	s_waitcnt vmcnt(4) lgkmcnt(0)
	v_fmac_f64_e32 v[116:117], v[124:125], v[110:111]
	;; [unrolled: 5-line block ×3, first 2 shown]
	buffer_load_dword v111, off, s[0:3], 0 offset:356
	buffer_load_dword v110, off, s[0:3], 0 offset:352
	buffer_load_dword v119, off, s[0:3], 0 offset:364
	buffer_load_dword v118, off, s[0:3], 0 offset:360
	s_waitcnt vmcnt(2)
	v_fmac_f64_e32 v[116:117], v[110:111], v[112:113]
	ds_read2_b64 v[110:113], v108 offset0:99 offset1:100
	s_waitcnt vmcnt(0) lgkmcnt(0)
	v_fmac_f64_e32 v[116:117], v[118:119], v[110:111]
	buffer_load_dword v111, off, s[0:3], 0 offset:372
	buffer_load_dword v110, off, s[0:3], 0 offset:368
	buffer_load_dword v119, off, s[0:3], 0 offset:380
	buffer_load_dword v118, off, s[0:3], 0 offset:376
	s_waitcnt vmcnt(2)
	v_fmac_f64_e32 v[116:117], v[110:111], v[112:113]
	ds_read2_b64 v[110:113], v108 offset0:101 offset1:102
	s_waitcnt vmcnt(0) lgkmcnt(0)
	v_fmac_f64_e32 v[116:117], v[118:119], v[110:111]
	;; [unrolled: 9-line block ×3, first 2 shown]
	buffer_load_dword v111, off, s[0:3], 0 offset:404
	buffer_load_dword v110, off, s[0:3], 0 offset:400
	s_waitcnt vmcnt(0)
	v_fmac_f64_e32 v[116:117], v[110:111], v[112:113]
	buffer_load_dword v113, off, s[0:3], 0 offset:412
	buffer_load_dword v112, off, s[0:3], 0 offset:408
	ds_read2_b64 v[108:111], v108 offset0:105 offset1:106
	s_waitcnt vmcnt(0) lgkmcnt(0)
	v_fmac_f64_e32 v[116:117], v[112:113], v[108:109]
	buffer_load_dword v109, off, s[0:3], 0 offset:420
	buffer_load_dword v108, off, s[0:3], 0 offset:416
	s_waitcnt vmcnt(0)
	v_fmac_f64_e32 v[116:117], v[108:109], v[110:111]
	v_add_f64 v[108:109], v[114:115], -v[116:117]
	buffer_store_dword v109, off, s[0:3], 0 offset:292
	buffer_store_dword v108, off, s[0:3], 0 offset:288
	s_and_saveexec_b64 s[4:5], vcc
	s_cbranch_execz .LBB52_255
; %bb.254:
	buffer_load_dword v108, off, s[0:3], 0 offset:280
	buffer_load_dword v109, off, s[0:3], 0 offset:284
	v_mov_b32_e32 v110, 0
	buffer_store_dword v110, off, s[0:3], 0 offset:280
	buffer_store_dword v110, off, s[0:3], 0 offset:284
	s_waitcnt vmcnt(2)
	ds_write_b64 v1, v[108:109]
.LBB52_255:
	s_or_b64 exec, exec, s[4:5]
	s_waitcnt lgkmcnt(0)
	; wave barrier
	s_waitcnt lgkmcnt(0)
	buffer_load_dword v108, off, s[0:3], 0 offset:280
	buffer_load_dword v109, off, s[0:3], 0 offset:284
	;; [unrolled: 1-line block ×16, first 2 shown]
	v_mov_b32_e32 v112, 0
	ds_read_b128 v[114:117], v112 offset:720
	ds_read_b128 v[118:121], v112 offset:736
	;; [unrolled: 1-line block ×4, first 2 shown]
	v_cmp_lt_u32_e32 vcc, 34, v0
	s_waitcnt vmcnt(12) lgkmcnt(3)
	v_fma_f64 v[110:111], v[110:111], v[114:115], 0
	buffer_load_dword v115, off, s[0:3], 0 offset:348
	buffer_load_dword v114, off, s[0:3], 0 offset:344
	s_waitcnt vmcnt(12)
	v_fmac_f64_e32 v[110:111], v[130:131], v[116:117]
	s_waitcnt vmcnt(10) lgkmcnt(2)
	v_fmac_f64_e32 v[110:111], v[132:133], v[118:119]
	buffer_load_dword v119, off, s[0:3], 0 offset:356
	buffer_load_dword v118, off, s[0:3], 0 offset:352
	s_waitcnt vmcnt(10)
	v_fmac_f64_e32 v[110:111], v[134:135], v[120:121]
	s_waitcnt vmcnt(8) lgkmcnt(1)
	v_fmac_f64_e32 v[110:111], v[136:137], v[122:123]
	s_waitcnt vmcnt(6)
	v_fmac_f64_e32 v[110:111], v[138:139], v[124:125]
	s_waitcnt vmcnt(4) lgkmcnt(0)
	v_fmac_f64_e32 v[110:111], v[140:141], v[126:127]
	s_waitcnt vmcnt(2)
	v_fmac_f64_e32 v[110:111], v[114:115], v[128:129]
	ds_read_b128 v[114:117], v112 offset:784
	s_waitcnt vmcnt(0) lgkmcnt(0)
	v_fmac_f64_e32 v[110:111], v[118:119], v[114:115]
	buffer_load_dword v115, off, s[0:3], 0 offset:364
	buffer_load_dword v114, off, s[0:3], 0 offset:360
	buffer_load_dword v119, off, s[0:3], 0 offset:372
	buffer_load_dword v118, off, s[0:3], 0 offset:368
	s_waitcnt vmcnt(2)
	v_fmac_f64_e32 v[110:111], v[114:115], v[116:117]
	ds_read_b128 v[114:117], v112 offset:800
	s_waitcnt vmcnt(0) lgkmcnt(0)
	v_fmac_f64_e32 v[110:111], v[118:119], v[114:115]
	buffer_load_dword v115, off, s[0:3], 0 offset:380
	buffer_load_dword v114, off, s[0:3], 0 offset:376
	buffer_load_dword v119, off, s[0:3], 0 offset:388
	buffer_load_dword v118, off, s[0:3], 0 offset:384
	;; [unrolled: 9-line block ×3, first 2 shown]
	s_waitcnt vmcnt(2)
	v_fmac_f64_e32 v[110:111], v[114:115], v[116:117]
	ds_read_b128 v[114:117], v112 offset:832
	s_waitcnt vmcnt(0) lgkmcnt(0)
	v_fmac_f64_e32 v[110:111], v[118:119], v[114:115]
	buffer_load_dword v115, off, s[0:3], 0 offset:412
	buffer_load_dword v114, off, s[0:3], 0 offset:408
	s_waitcnt vmcnt(0)
	v_fmac_f64_e32 v[110:111], v[114:115], v[116:117]
	buffer_load_dword v115, off, s[0:3], 0 offset:420
	buffer_load_dword v114, off, s[0:3], 0 offset:416
	ds_read_b64 v[116:117], v112 offset:848
	s_waitcnt vmcnt(0) lgkmcnt(0)
	v_fmac_f64_e32 v[110:111], v[114:115], v[116:117]
	v_add_f64 v[108:109], v[108:109], -v[110:111]
	buffer_store_dword v109, off, s[0:3], 0 offset:284
	buffer_store_dword v108, off, s[0:3], 0 offset:280
	s_and_saveexec_b64 s[4:5], vcc
	s_cbranch_execz .LBB52_257
; %bb.256:
	buffer_load_dword v108, off, s[0:3], 0 offset:272
	buffer_load_dword v109, off, s[0:3], 0 offset:276
	s_waitcnt vmcnt(0)
	ds_write_b64 v1, v[108:109]
	buffer_store_dword v112, off, s[0:3], 0 offset:272
	buffer_store_dword v112, off, s[0:3], 0 offset:276
.LBB52_257:
	s_or_b64 exec, exec, s[4:5]
	s_waitcnt lgkmcnt(0)
	; wave barrier
	s_waitcnt lgkmcnt(0)
	buffer_load_dword v108, off, s[0:3], 0 offset:272
	buffer_load_dword v109, off, s[0:3], 0 offset:276
	;; [unrolled: 1-line block ×16, first 2 shown]
	ds_read2_b64 v[114:117], v112 offset0:89 offset1:90
	v_cmp_lt_u32_e32 vcc, 33, v0
	s_waitcnt vmcnt(12) lgkmcnt(0)
	v_fma_f64 v[110:111], v[110:111], v[114:115], 0
	s_waitcnt vmcnt(10)
	v_fmac_f64_e32 v[110:111], v[118:119], v[116:117]
	ds_read2_b64 v[114:117], v112 offset0:91 offset1:92
	s_waitcnt vmcnt(8) lgkmcnt(0)
	v_fmac_f64_e32 v[110:111], v[120:121], v[114:115]
	s_waitcnt vmcnt(6)
	v_fmac_f64_e32 v[110:111], v[122:123], v[116:117]
	ds_read2_b64 v[114:117], v112 offset0:93 offset1:94
	s_waitcnt vmcnt(4) lgkmcnt(0)
	v_fmac_f64_e32 v[110:111], v[124:125], v[114:115]
	;; [unrolled: 5-line block ×3, first 2 shown]
	buffer_load_dword v115, off, s[0:3], 0 offset:340
	buffer_load_dword v114, off, s[0:3], 0 offset:336
	buffer_load_dword v119, off, s[0:3], 0 offset:348
	buffer_load_dword v118, off, s[0:3], 0 offset:344
	s_waitcnt vmcnt(2)
	v_fmac_f64_e32 v[110:111], v[114:115], v[116:117]
	ds_read2_b64 v[114:117], v112 offset0:97 offset1:98
	s_waitcnt vmcnt(0) lgkmcnt(0)
	v_fmac_f64_e32 v[110:111], v[118:119], v[114:115]
	buffer_load_dword v115, off, s[0:3], 0 offset:356
	buffer_load_dword v114, off, s[0:3], 0 offset:352
	buffer_load_dword v119, off, s[0:3], 0 offset:364
	buffer_load_dword v118, off, s[0:3], 0 offset:360
	s_waitcnt vmcnt(2)
	v_fmac_f64_e32 v[110:111], v[114:115], v[116:117]
	ds_read2_b64 v[114:117], v112 offset0:99 offset1:100
	s_waitcnt vmcnt(0) lgkmcnt(0)
	v_fmac_f64_e32 v[110:111], v[118:119], v[114:115]
	;; [unrolled: 9-line block ×4, first 2 shown]
	buffer_load_dword v115, off, s[0:3], 0 offset:404
	buffer_load_dword v114, off, s[0:3], 0 offset:400
	s_waitcnt vmcnt(0)
	v_fmac_f64_e32 v[110:111], v[114:115], v[116:117]
	buffer_load_dword v117, off, s[0:3], 0 offset:412
	buffer_load_dword v116, off, s[0:3], 0 offset:408
	ds_read2_b64 v[112:115], v112 offset0:105 offset1:106
	s_waitcnt vmcnt(0) lgkmcnt(0)
	v_fmac_f64_e32 v[110:111], v[116:117], v[112:113]
	buffer_load_dword v113, off, s[0:3], 0 offset:420
	buffer_load_dword v112, off, s[0:3], 0 offset:416
	s_waitcnt vmcnt(0)
	v_fmac_f64_e32 v[110:111], v[112:113], v[114:115]
	v_add_f64 v[108:109], v[108:109], -v[110:111]
	buffer_store_dword v109, off, s[0:3], 0 offset:276
	buffer_store_dword v108, off, s[0:3], 0 offset:272
	s_and_saveexec_b64 s[4:5], vcc
	s_cbranch_execz .LBB52_259
; %bb.258:
	buffer_load_dword v108, off, s[0:3], 0 offset:264
	buffer_load_dword v109, off, s[0:3], 0 offset:268
	v_mov_b32_e32 v110, 0
	buffer_store_dword v110, off, s[0:3], 0 offset:264
	buffer_store_dword v110, off, s[0:3], 0 offset:268
	s_waitcnt vmcnt(2)
	ds_write_b64 v1, v[108:109]
.LBB52_259:
	s_or_b64 exec, exec, s[4:5]
	s_waitcnt lgkmcnt(0)
	; wave barrier
	s_waitcnt lgkmcnt(0)
	buffer_load_dword v108, off, s[0:3], 0 offset:264
	buffer_load_dword v109, off, s[0:3], 0 offset:268
	;; [unrolled: 1-line block ×16, first 2 shown]
	v_mov_b32_e32 v112, 0
	ds_read_b128 v[114:117], v112 offset:704
	ds_read_b128 v[118:121], v112 offset:720
	;; [unrolled: 1-line block ×4, first 2 shown]
	v_cmp_lt_u32_e32 vcc, 32, v0
	s_waitcnt vmcnt(12) lgkmcnt(3)
	v_fma_f64 v[110:111], v[110:111], v[114:115], 0
	buffer_load_dword v115, off, s[0:3], 0 offset:332
	buffer_load_dword v114, off, s[0:3], 0 offset:328
	s_waitcnt vmcnt(12)
	v_fmac_f64_e32 v[110:111], v[130:131], v[116:117]
	s_waitcnt vmcnt(10) lgkmcnt(2)
	v_fmac_f64_e32 v[110:111], v[132:133], v[118:119]
	buffer_load_dword v119, off, s[0:3], 0 offset:340
	buffer_load_dword v118, off, s[0:3], 0 offset:336
	s_waitcnt vmcnt(10)
	v_fmac_f64_e32 v[110:111], v[134:135], v[120:121]
	s_waitcnt vmcnt(8) lgkmcnt(1)
	v_fmac_f64_e32 v[110:111], v[136:137], v[122:123]
	s_waitcnt vmcnt(6)
	v_fmac_f64_e32 v[110:111], v[138:139], v[124:125]
	s_waitcnt vmcnt(4) lgkmcnt(0)
	v_fmac_f64_e32 v[110:111], v[140:141], v[126:127]
	s_waitcnt vmcnt(2)
	v_fmac_f64_e32 v[110:111], v[114:115], v[128:129]
	ds_read_b128 v[114:117], v112 offset:768
	s_waitcnt vmcnt(0) lgkmcnt(0)
	v_fmac_f64_e32 v[110:111], v[118:119], v[114:115]
	buffer_load_dword v115, off, s[0:3], 0 offset:348
	buffer_load_dword v114, off, s[0:3], 0 offset:344
	buffer_load_dword v119, off, s[0:3], 0 offset:356
	buffer_load_dword v118, off, s[0:3], 0 offset:352
	s_waitcnt vmcnt(2)
	v_fmac_f64_e32 v[110:111], v[114:115], v[116:117]
	ds_read_b128 v[114:117], v112 offset:784
	s_waitcnt vmcnt(0) lgkmcnt(0)
	v_fmac_f64_e32 v[110:111], v[118:119], v[114:115]
	buffer_load_dword v115, off, s[0:3], 0 offset:364
	buffer_load_dword v114, off, s[0:3], 0 offset:360
	buffer_load_dword v119, off, s[0:3], 0 offset:372
	buffer_load_dword v118, off, s[0:3], 0 offset:368
	;; [unrolled: 9-line block ×4, first 2 shown]
	s_waitcnt vmcnt(2)
	v_fmac_f64_e32 v[110:111], v[114:115], v[116:117]
	ds_read_b128 v[114:117], v112 offset:832
	s_waitcnt vmcnt(0) lgkmcnt(0)
	v_fmac_f64_e32 v[110:111], v[118:119], v[114:115]
	buffer_load_dword v115, off, s[0:3], 0 offset:412
	buffer_load_dword v114, off, s[0:3], 0 offset:408
	s_waitcnt vmcnt(0)
	v_fmac_f64_e32 v[110:111], v[114:115], v[116:117]
	buffer_load_dword v115, off, s[0:3], 0 offset:420
	buffer_load_dword v114, off, s[0:3], 0 offset:416
	ds_read_b64 v[116:117], v112 offset:848
	s_waitcnt vmcnt(0) lgkmcnt(0)
	v_fmac_f64_e32 v[110:111], v[114:115], v[116:117]
	v_add_f64 v[108:109], v[108:109], -v[110:111]
	buffer_store_dword v109, off, s[0:3], 0 offset:268
	buffer_store_dword v108, off, s[0:3], 0 offset:264
	s_and_saveexec_b64 s[4:5], vcc
	s_cbranch_execz .LBB52_261
; %bb.260:
	buffer_load_dword v108, off, s[0:3], 0 offset:256
	buffer_load_dword v109, off, s[0:3], 0 offset:260
	s_waitcnt vmcnt(0)
	ds_write_b64 v1, v[108:109]
	buffer_store_dword v112, off, s[0:3], 0 offset:256
	buffer_store_dword v112, off, s[0:3], 0 offset:260
.LBB52_261:
	s_or_b64 exec, exec, s[4:5]
	s_waitcnt lgkmcnt(0)
	; wave barrier
	s_waitcnt lgkmcnt(0)
	buffer_load_dword v108, off, s[0:3], 0 offset:256
	buffer_load_dword v109, off, s[0:3], 0 offset:260
	;; [unrolled: 1-line block ×16, first 2 shown]
	ds_read2_b64 v[114:117], v112 offset0:87 offset1:88
	v_cmp_lt_u32_e32 vcc, 31, v0
	s_waitcnt vmcnt(12) lgkmcnt(0)
	v_fma_f64 v[110:111], v[110:111], v[114:115], 0
	s_waitcnt vmcnt(10)
	v_fmac_f64_e32 v[110:111], v[118:119], v[116:117]
	ds_read2_b64 v[114:117], v112 offset0:89 offset1:90
	s_waitcnt vmcnt(8) lgkmcnt(0)
	v_fmac_f64_e32 v[110:111], v[120:121], v[114:115]
	s_waitcnt vmcnt(6)
	v_fmac_f64_e32 v[110:111], v[122:123], v[116:117]
	ds_read2_b64 v[114:117], v112 offset0:91 offset1:92
	s_waitcnt vmcnt(4) lgkmcnt(0)
	v_fmac_f64_e32 v[110:111], v[124:125], v[114:115]
	;; [unrolled: 5-line block ×3, first 2 shown]
	buffer_load_dword v115, off, s[0:3], 0 offset:324
	buffer_load_dword v114, off, s[0:3], 0 offset:320
	buffer_load_dword v119, off, s[0:3], 0 offset:332
	buffer_load_dword v118, off, s[0:3], 0 offset:328
	s_waitcnt vmcnt(2)
	v_fmac_f64_e32 v[110:111], v[114:115], v[116:117]
	ds_read2_b64 v[114:117], v112 offset0:95 offset1:96
	s_waitcnt vmcnt(0) lgkmcnt(0)
	v_fmac_f64_e32 v[110:111], v[118:119], v[114:115]
	buffer_load_dword v115, off, s[0:3], 0 offset:340
	buffer_load_dword v114, off, s[0:3], 0 offset:336
	buffer_load_dword v119, off, s[0:3], 0 offset:348
	buffer_load_dword v118, off, s[0:3], 0 offset:344
	s_waitcnt vmcnt(2)
	v_fmac_f64_e32 v[110:111], v[114:115], v[116:117]
	ds_read2_b64 v[114:117], v112 offset0:97 offset1:98
	s_waitcnt vmcnt(0) lgkmcnt(0)
	v_fmac_f64_e32 v[110:111], v[118:119], v[114:115]
	;; [unrolled: 9-line block ×5, first 2 shown]
	buffer_load_dword v115, off, s[0:3], 0 offset:404
	buffer_load_dword v114, off, s[0:3], 0 offset:400
	s_waitcnt vmcnt(0)
	v_fmac_f64_e32 v[110:111], v[114:115], v[116:117]
	buffer_load_dword v117, off, s[0:3], 0 offset:412
	buffer_load_dword v116, off, s[0:3], 0 offset:408
	ds_read2_b64 v[112:115], v112 offset0:105 offset1:106
	s_waitcnt vmcnt(0) lgkmcnt(0)
	v_fmac_f64_e32 v[110:111], v[116:117], v[112:113]
	buffer_load_dword v113, off, s[0:3], 0 offset:420
	buffer_load_dword v112, off, s[0:3], 0 offset:416
	s_waitcnt vmcnt(0)
	v_fmac_f64_e32 v[110:111], v[112:113], v[114:115]
	v_add_f64 v[108:109], v[108:109], -v[110:111]
	buffer_store_dword v109, off, s[0:3], 0 offset:260
	buffer_store_dword v108, off, s[0:3], 0 offset:256
	s_and_saveexec_b64 s[4:5], vcc
	s_cbranch_execz .LBB52_263
; %bb.262:
	buffer_load_dword v108, off, s[0:3], 0 offset:248
	buffer_load_dword v109, off, s[0:3], 0 offset:252
	v_mov_b32_e32 v110, 0
	buffer_store_dword v110, off, s[0:3], 0 offset:248
	buffer_store_dword v110, off, s[0:3], 0 offset:252
	s_waitcnt vmcnt(2)
	ds_write_b64 v1, v[108:109]
.LBB52_263:
	s_or_b64 exec, exec, s[4:5]
	s_waitcnt lgkmcnt(0)
	; wave barrier
	s_waitcnt lgkmcnt(0)
	buffer_load_dword v108, off, s[0:3], 0 offset:248
	buffer_load_dword v109, off, s[0:3], 0 offset:252
	;; [unrolled: 1-line block ×16, first 2 shown]
	v_mov_b32_e32 v112, 0
	ds_read_b128 v[114:117], v112 offset:688
	ds_read_b128 v[118:121], v112 offset:704
	;; [unrolled: 1-line block ×4, first 2 shown]
	v_cmp_lt_u32_e32 vcc, 30, v0
	s_waitcnt vmcnt(12) lgkmcnt(3)
	v_fma_f64 v[110:111], v[110:111], v[114:115], 0
	buffer_load_dword v115, off, s[0:3], 0 offset:316
	buffer_load_dword v114, off, s[0:3], 0 offset:312
	s_waitcnt vmcnt(12)
	v_fmac_f64_e32 v[110:111], v[130:131], v[116:117]
	s_waitcnt vmcnt(10) lgkmcnt(2)
	v_fmac_f64_e32 v[110:111], v[132:133], v[118:119]
	buffer_load_dword v119, off, s[0:3], 0 offset:324
	buffer_load_dword v118, off, s[0:3], 0 offset:320
	s_waitcnt vmcnt(10)
	v_fmac_f64_e32 v[110:111], v[134:135], v[120:121]
	s_waitcnt vmcnt(8) lgkmcnt(1)
	v_fmac_f64_e32 v[110:111], v[136:137], v[122:123]
	s_waitcnt vmcnt(6)
	v_fmac_f64_e32 v[110:111], v[138:139], v[124:125]
	s_waitcnt vmcnt(4) lgkmcnt(0)
	v_fmac_f64_e32 v[110:111], v[140:141], v[126:127]
	s_waitcnt vmcnt(2)
	v_fmac_f64_e32 v[110:111], v[114:115], v[128:129]
	ds_read_b128 v[114:117], v112 offset:752
	s_waitcnt vmcnt(0) lgkmcnt(0)
	v_fmac_f64_e32 v[110:111], v[118:119], v[114:115]
	buffer_load_dword v115, off, s[0:3], 0 offset:332
	buffer_load_dword v114, off, s[0:3], 0 offset:328
	buffer_load_dword v119, off, s[0:3], 0 offset:340
	buffer_load_dword v118, off, s[0:3], 0 offset:336
	s_waitcnt vmcnt(2)
	v_fmac_f64_e32 v[110:111], v[114:115], v[116:117]
	ds_read_b128 v[114:117], v112 offset:768
	s_waitcnt vmcnt(0) lgkmcnt(0)
	v_fmac_f64_e32 v[110:111], v[118:119], v[114:115]
	buffer_load_dword v115, off, s[0:3], 0 offset:348
	buffer_load_dword v114, off, s[0:3], 0 offset:344
	buffer_load_dword v119, off, s[0:3], 0 offset:356
	buffer_load_dword v118, off, s[0:3], 0 offset:352
	;; [unrolled: 9-line block ×5, first 2 shown]
	s_waitcnt vmcnt(2)
	v_fmac_f64_e32 v[110:111], v[114:115], v[116:117]
	ds_read_b128 v[114:117], v112 offset:832
	s_waitcnt vmcnt(0) lgkmcnt(0)
	v_fmac_f64_e32 v[110:111], v[118:119], v[114:115]
	buffer_load_dword v115, off, s[0:3], 0 offset:412
	buffer_load_dword v114, off, s[0:3], 0 offset:408
	s_waitcnt vmcnt(0)
	v_fmac_f64_e32 v[110:111], v[114:115], v[116:117]
	buffer_load_dword v115, off, s[0:3], 0 offset:420
	buffer_load_dword v114, off, s[0:3], 0 offset:416
	ds_read_b64 v[116:117], v112 offset:848
	s_waitcnt vmcnt(0) lgkmcnt(0)
	v_fmac_f64_e32 v[110:111], v[114:115], v[116:117]
	v_add_f64 v[108:109], v[108:109], -v[110:111]
	buffer_store_dword v109, off, s[0:3], 0 offset:252
	buffer_store_dword v108, off, s[0:3], 0 offset:248
	s_and_saveexec_b64 s[4:5], vcc
	s_cbranch_execz .LBB52_265
; %bb.264:
	buffer_load_dword v108, off, s[0:3], 0 offset:240
	buffer_load_dword v109, off, s[0:3], 0 offset:244
	s_waitcnt vmcnt(0)
	ds_write_b64 v1, v[108:109]
	buffer_store_dword v112, off, s[0:3], 0 offset:240
	buffer_store_dword v112, off, s[0:3], 0 offset:244
.LBB52_265:
	s_or_b64 exec, exec, s[4:5]
	s_waitcnt lgkmcnt(0)
	; wave barrier
	s_waitcnt lgkmcnt(0)
	buffer_load_dword v108, off, s[0:3], 0 offset:240
	buffer_load_dword v109, off, s[0:3], 0 offset:244
	;; [unrolled: 1-line block ×16, first 2 shown]
	ds_read2_b64 v[114:117], v112 offset0:85 offset1:86
	v_cmp_lt_u32_e32 vcc, 29, v0
	s_waitcnt vmcnt(12) lgkmcnt(0)
	v_fma_f64 v[110:111], v[110:111], v[114:115], 0
	s_waitcnt vmcnt(10)
	v_fmac_f64_e32 v[110:111], v[118:119], v[116:117]
	ds_read2_b64 v[114:117], v112 offset0:87 offset1:88
	s_waitcnt vmcnt(8) lgkmcnt(0)
	v_fmac_f64_e32 v[110:111], v[120:121], v[114:115]
	s_waitcnt vmcnt(6)
	v_fmac_f64_e32 v[110:111], v[122:123], v[116:117]
	ds_read2_b64 v[114:117], v112 offset0:89 offset1:90
	s_waitcnt vmcnt(4) lgkmcnt(0)
	v_fmac_f64_e32 v[110:111], v[124:125], v[114:115]
	;; [unrolled: 5-line block ×3, first 2 shown]
	buffer_load_dword v115, off, s[0:3], 0 offset:308
	buffer_load_dword v114, off, s[0:3], 0 offset:304
	buffer_load_dword v119, off, s[0:3], 0 offset:316
	buffer_load_dword v118, off, s[0:3], 0 offset:312
	s_waitcnt vmcnt(2)
	v_fmac_f64_e32 v[110:111], v[114:115], v[116:117]
	ds_read2_b64 v[114:117], v112 offset0:93 offset1:94
	s_waitcnt vmcnt(0) lgkmcnt(0)
	v_fmac_f64_e32 v[110:111], v[118:119], v[114:115]
	buffer_load_dword v115, off, s[0:3], 0 offset:324
	buffer_load_dword v114, off, s[0:3], 0 offset:320
	buffer_load_dword v119, off, s[0:3], 0 offset:332
	buffer_load_dword v118, off, s[0:3], 0 offset:328
	s_waitcnt vmcnt(2)
	v_fmac_f64_e32 v[110:111], v[114:115], v[116:117]
	ds_read2_b64 v[114:117], v112 offset0:95 offset1:96
	s_waitcnt vmcnt(0) lgkmcnt(0)
	v_fmac_f64_e32 v[110:111], v[118:119], v[114:115]
	;; [unrolled: 9-line block ×6, first 2 shown]
	buffer_load_dword v115, off, s[0:3], 0 offset:404
	buffer_load_dword v114, off, s[0:3], 0 offset:400
	s_waitcnt vmcnt(0)
	v_fmac_f64_e32 v[110:111], v[114:115], v[116:117]
	buffer_load_dword v117, off, s[0:3], 0 offset:412
	buffer_load_dword v116, off, s[0:3], 0 offset:408
	ds_read2_b64 v[112:115], v112 offset0:105 offset1:106
	s_waitcnt vmcnt(0) lgkmcnt(0)
	v_fmac_f64_e32 v[110:111], v[116:117], v[112:113]
	buffer_load_dword v113, off, s[0:3], 0 offset:420
	buffer_load_dword v112, off, s[0:3], 0 offset:416
	s_waitcnt vmcnt(0)
	v_fmac_f64_e32 v[110:111], v[112:113], v[114:115]
	v_add_f64 v[108:109], v[108:109], -v[110:111]
	buffer_store_dword v109, off, s[0:3], 0 offset:244
	buffer_store_dword v108, off, s[0:3], 0 offset:240
	s_and_saveexec_b64 s[4:5], vcc
	s_cbranch_execz .LBB52_267
; %bb.266:
	buffer_load_dword v108, off, s[0:3], 0 offset:232
	buffer_load_dword v109, off, s[0:3], 0 offset:236
	v_mov_b32_e32 v110, 0
	buffer_store_dword v110, off, s[0:3], 0 offset:232
	buffer_store_dword v110, off, s[0:3], 0 offset:236
	s_waitcnt vmcnt(2)
	ds_write_b64 v1, v[108:109]
.LBB52_267:
	s_or_b64 exec, exec, s[4:5]
	s_waitcnt lgkmcnt(0)
	; wave barrier
	s_waitcnt lgkmcnt(0)
	buffer_load_dword v108, off, s[0:3], 0 offset:232
	buffer_load_dword v109, off, s[0:3], 0 offset:236
	;; [unrolled: 1-line block ×16, first 2 shown]
	v_mov_b32_e32 v112, 0
	ds_read_b128 v[114:117], v112 offset:672
	ds_read_b128 v[118:121], v112 offset:688
	;; [unrolled: 1-line block ×4, first 2 shown]
	v_cmp_lt_u32_e32 vcc, 28, v0
	s_waitcnt vmcnt(12) lgkmcnt(3)
	v_fma_f64 v[110:111], v[110:111], v[114:115], 0
	buffer_load_dword v115, off, s[0:3], 0 offset:300
	buffer_load_dword v114, off, s[0:3], 0 offset:296
	s_waitcnt vmcnt(12)
	v_fmac_f64_e32 v[110:111], v[130:131], v[116:117]
	s_waitcnt vmcnt(10) lgkmcnt(2)
	v_fmac_f64_e32 v[110:111], v[132:133], v[118:119]
	buffer_load_dword v119, off, s[0:3], 0 offset:308
	buffer_load_dword v118, off, s[0:3], 0 offset:304
	s_waitcnt vmcnt(10)
	v_fmac_f64_e32 v[110:111], v[134:135], v[120:121]
	s_waitcnt vmcnt(8) lgkmcnt(1)
	v_fmac_f64_e32 v[110:111], v[136:137], v[122:123]
	s_waitcnt vmcnt(6)
	v_fmac_f64_e32 v[110:111], v[138:139], v[124:125]
	s_waitcnt vmcnt(4) lgkmcnt(0)
	v_fmac_f64_e32 v[110:111], v[140:141], v[126:127]
	s_waitcnt vmcnt(2)
	v_fmac_f64_e32 v[110:111], v[114:115], v[128:129]
	ds_read_b128 v[114:117], v112 offset:736
	s_waitcnt vmcnt(0) lgkmcnt(0)
	v_fmac_f64_e32 v[110:111], v[118:119], v[114:115]
	buffer_load_dword v115, off, s[0:3], 0 offset:316
	buffer_load_dword v114, off, s[0:3], 0 offset:312
	buffer_load_dword v119, off, s[0:3], 0 offset:324
	buffer_load_dword v118, off, s[0:3], 0 offset:320
	s_waitcnt vmcnt(2)
	v_fmac_f64_e32 v[110:111], v[114:115], v[116:117]
	ds_read_b128 v[114:117], v112 offset:752
	s_waitcnt vmcnt(0) lgkmcnt(0)
	v_fmac_f64_e32 v[110:111], v[118:119], v[114:115]
	buffer_load_dword v115, off, s[0:3], 0 offset:332
	buffer_load_dword v114, off, s[0:3], 0 offset:328
	buffer_load_dword v119, off, s[0:3], 0 offset:340
	buffer_load_dword v118, off, s[0:3], 0 offset:336
	;; [unrolled: 9-line block ×6, first 2 shown]
	s_waitcnt vmcnt(2)
	v_fmac_f64_e32 v[110:111], v[114:115], v[116:117]
	ds_read_b128 v[114:117], v112 offset:832
	s_waitcnt vmcnt(0) lgkmcnt(0)
	v_fmac_f64_e32 v[110:111], v[118:119], v[114:115]
	buffer_load_dword v115, off, s[0:3], 0 offset:412
	buffer_load_dword v114, off, s[0:3], 0 offset:408
	s_waitcnt vmcnt(0)
	v_fmac_f64_e32 v[110:111], v[114:115], v[116:117]
	buffer_load_dword v115, off, s[0:3], 0 offset:420
	buffer_load_dword v114, off, s[0:3], 0 offset:416
	ds_read_b64 v[116:117], v112 offset:848
	s_waitcnt vmcnt(0) lgkmcnt(0)
	v_fmac_f64_e32 v[110:111], v[114:115], v[116:117]
	v_add_f64 v[108:109], v[108:109], -v[110:111]
	buffer_store_dword v109, off, s[0:3], 0 offset:236
	buffer_store_dword v108, off, s[0:3], 0 offset:232
	s_and_saveexec_b64 s[4:5], vcc
	s_cbranch_execz .LBB52_269
; %bb.268:
	buffer_load_dword v108, off, s[0:3], 0 offset:224
	buffer_load_dword v109, off, s[0:3], 0 offset:228
	s_waitcnt vmcnt(0)
	ds_write_b64 v1, v[108:109]
	buffer_store_dword v112, off, s[0:3], 0 offset:224
	buffer_store_dword v112, off, s[0:3], 0 offset:228
.LBB52_269:
	s_or_b64 exec, exec, s[4:5]
	s_waitcnt lgkmcnt(0)
	; wave barrier
	s_waitcnt lgkmcnt(0)
	buffer_load_dword v108, off, s[0:3], 0 offset:224
	buffer_load_dword v109, off, s[0:3], 0 offset:228
	;; [unrolled: 1-line block ×16, first 2 shown]
	ds_read2_b64 v[114:117], v112 offset0:83 offset1:84
	v_cmp_lt_u32_e32 vcc, 27, v0
	s_waitcnt vmcnt(12) lgkmcnt(0)
	v_fma_f64 v[110:111], v[110:111], v[114:115], 0
	s_waitcnt vmcnt(10)
	v_fmac_f64_e32 v[110:111], v[118:119], v[116:117]
	ds_read2_b64 v[114:117], v112 offset0:85 offset1:86
	s_waitcnt vmcnt(8) lgkmcnt(0)
	v_fmac_f64_e32 v[110:111], v[120:121], v[114:115]
	s_waitcnt vmcnt(6)
	v_fmac_f64_e32 v[110:111], v[122:123], v[116:117]
	ds_read2_b64 v[114:117], v112 offset0:87 offset1:88
	s_waitcnt vmcnt(4) lgkmcnt(0)
	v_fmac_f64_e32 v[110:111], v[124:125], v[114:115]
	;; [unrolled: 5-line block ×3, first 2 shown]
	buffer_load_dword v115, off, s[0:3], 0 offset:292
	buffer_load_dword v114, off, s[0:3], 0 offset:288
	buffer_load_dword v119, off, s[0:3], 0 offset:300
	buffer_load_dword v118, off, s[0:3], 0 offset:296
	s_waitcnt vmcnt(2)
	v_fmac_f64_e32 v[110:111], v[114:115], v[116:117]
	ds_read2_b64 v[114:117], v112 offset0:91 offset1:92
	s_waitcnt vmcnt(0) lgkmcnt(0)
	v_fmac_f64_e32 v[110:111], v[118:119], v[114:115]
	buffer_load_dword v115, off, s[0:3], 0 offset:308
	buffer_load_dword v114, off, s[0:3], 0 offset:304
	buffer_load_dword v119, off, s[0:3], 0 offset:316
	buffer_load_dword v118, off, s[0:3], 0 offset:312
	s_waitcnt vmcnt(2)
	v_fmac_f64_e32 v[110:111], v[114:115], v[116:117]
	ds_read2_b64 v[114:117], v112 offset0:93 offset1:94
	s_waitcnt vmcnt(0) lgkmcnt(0)
	v_fmac_f64_e32 v[110:111], v[118:119], v[114:115]
	;; [unrolled: 9-line block ×7, first 2 shown]
	buffer_load_dword v115, off, s[0:3], 0 offset:404
	buffer_load_dword v114, off, s[0:3], 0 offset:400
	s_waitcnt vmcnt(0)
	v_fmac_f64_e32 v[110:111], v[114:115], v[116:117]
	buffer_load_dword v117, off, s[0:3], 0 offset:412
	buffer_load_dword v116, off, s[0:3], 0 offset:408
	ds_read2_b64 v[112:115], v112 offset0:105 offset1:106
	s_waitcnt vmcnt(0) lgkmcnt(0)
	v_fmac_f64_e32 v[110:111], v[116:117], v[112:113]
	buffer_load_dword v113, off, s[0:3], 0 offset:420
	buffer_load_dword v112, off, s[0:3], 0 offset:416
	s_waitcnt vmcnt(0)
	v_fmac_f64_e32 v[110:111], v[112:113], v[114:115]
	v_add_f64 v[108:109], v[108:109], -v[110:111]
	buffer_store_dword v109, off, s[0:3], 0 offset:228
	buffer_store_dword v108, off, s[0:3], 0 offset:224
	s_and_saveexec_b64 s[4:5], vcc
	s_cbranch_execz .LBB52_271
; %bb.270:
	buffer_load_dword v108, off, s[0:3], 0 offset:216
	buffer_load_dword v109, off, s[0:3], 0 offset:220
	v_mov_b32_e32 v110, 0
	buffer_store_dword v110, off, s[0:3], 0 offset:216
	buffer_store_dword v110, off, s[0:3], 0 offset:220
	s_waitcnt vmcnt(2)
	ds_write_b64 v1, v[108:109]
.LBB52_271:
	s_or_b64 exec, exec, s[4:5]
	s_waitcnt lgkmcnt(0)
	; wave barrier
	s_waitcnt lgkmcnt(0)
	buffer_load_dword v108, off, s[0:3], 0 offset:216
	buffer_load_dword v109, off, s[0:3], 0 offset:220
	;; [unrolled: 1-line block ×16, first 2 shown]
	v_mov_b32_e32 v112, 0
	ds_read_b128 v[114:117], v112 offset:656
	ds_read_b128 v[118:121], v112 offset:672
	;; [unrolled: 1-line block ×4, first 2 shown]
	v_cmp_lt_u32_e32 vcc, 26, v0
	s_waitcnt vmcnt(12) lgkmcnt(3)
	v_fma_f64 v[110:111], v[110:111], v[114:115], 0
	buffer_load_dword v115, off, s[0:3], 0 offset:284
	buffer_load_dword v114, off, s[0:3], 0 offset:280
	s_waitcnt vmcnt(12)
	v_fmac_f64_e32 v[110:111], v[130:131], v[116:117]
	s_waitcnt vmcnt(10) lgkmcnt(2)
	v_fmac_f64_e32 v[110:111], v[132:133], v[118:119]
	buffer_load_dword v119, off, s[0:3], 0 offset:292
	buffer_load_dword v118, off, s[0:3], 0 offset:288
	s_waitcnt vmcnt(10)
	v_fmac_f64_e32 v[110:111], v[134:135], v[120:121]
	s_waitcnt vmcnt(8) lgkmcnt(1)
	v_fmac_f64_e32 v[110:111], v[136:137], v[122:123]
	s_waitcnt vmcnt(6)
	v_fmac_f64_e32 v[110:111], v[138:139], v[124:125]
	s_waitcnt vmcnt(4) lgkmcnt(0)
	v_fmac_f64_e32 v[110:111], v[140:141], v[126:127]
	s_waitcnt vmcnt(2)
	v_fmac_f64_e32 v[110:111], v[114:115], v[128:129]
	ds_read_b128 v[114:117], v112 offset:720
	s_waitcnt vmcnt(0) lgkmcnt(0)
	v_fmac_f64_e32 v[110:111], v[118:119], v[114:115]
	buffer_load_dword v115, off, s[0:3], 0 offset:300
	buffer_load_dword v114, off, s[0:3], 0 offset:296
	buffer_load_dword v119, off, s[0:3], 0 offset:308
	buffer_load_dword v118, off, s[0:3], 0 offset:304
	s_waitcnt vmcnt(2)
	v_fmac_f64_e32 v[110:111], v[114:115], v[116:117]
	ds_read_b128 v[114:117], v112 offset:736
	s_waitcnt vmcnt(0) lgkmcnt(0)
	v_fmac_f64_e32 v[110:111], v[118:119], v[114:115]
	buffer_load_dword v115, off, s[0:3], 0 offset:316
	buffer_load_dword v114, off, s[0:3], 0 offset:312
	buffer_load_dword v119, off, s[0:3], 0 offset:324
	buffer_load_dword v118, off, s[0:3], 0 offset:320
	;; [unrolled: 9-line block ×7, first 2 shown]
	s_waitcnt vmcnt(2)
	v_fmac_f64_e32 v[110:111], v[114:115], v[116:117]
	ds_read_b128 v[114:117], v112 offset:832
	s_waitcnt vmcnt(0) lgkmcnt(0)
	v_fmac_f64_e32 v[110:111], v[118:119], v[114:115]
	buffer_load_dword v115, off, s[0:3], 0 offset:412
	buffer_load_dword v114, off, s[0:3], 0 offset:408
	s_waitcnt vmcnt(0)
	v_fmac_f64_e32 v[110:111], v[114:115], v[116:117]
	buffer_load_dword v115, off, s[0:3], 0 offset:420
	buffer_load_dword v114, off, s[0:3], 0 offset:416
	ds_read_b64 v[116:117], v112 offset:848
	s_waitcnt vmcnt(0) lgkmcnt(0)
	v_fmac_f64_e32 v[110:111], v[114:115], v[116:117]
	v_add_f64 v[108:109], v[108:109], -v[110:111]
	buffer_store_dword v109, off, s[0:3], 0 offset:220
	buffer_store_dword v108, off, s[0:3], 0 offset:216
	s_and_saveexec_b64 s[4:5], vcc
	s_cbranch_execz .LBB52_273
; %bb.272:
	buffer_load_dword v108, off, s[0:3], 0 offset:208
	buffer_load_dword v109, off, s[0:3], 0 offset:212
	s_waitcnt vmcnt(0)
	ds_write_b64 v1, v[108:109]
	buffer_store_dword v112, off, s[0:3], 0 offset:208
	buffer_store_dword v112, off, s[0:3], 0 offset:212
.LBB52_273:
	s_or_b64 exec, exec, s[4:5]
	s_waitcnt lgkmcnt(0)
	; wave barrier
	s_waitcnt lgkmcnt(0)
	buffer_load_dword v108, off, s[0:3], 0 offset:208
	buffer_load_dword v109, off, s[0:3], 0 offset:212
	;; [unrolled: 1-line block ×16, first 2 shown]
	ds_read2_b64 v[114:117], v112 offset0:81 offset1:82
	v_cmp_lt_u32_e32 vcc, 25, v0
	s_waitcnt vmcnt(12) lgkmcnt(0)
	v_fma_f64 v[110:111], v[110:111], v[114:115], 0
	s_waitcnt vmcnt(10)
	v_fmac_f64_e32 v[110:111], v[118:119], v[116:117]
	ds_read2_b64 v[114:117], v112 offset0:83 offset1:84
	s_waitcnt vmcnt(8) lgkmcnt(0)
	v_fmac_f64_e32 v[110:111], v[120:121], v[114:115]
	s_waitcnt vmcnt(6)
	v_fmac_f64_e32 v[110:111], v[122:123], v[116:117]
	ds_read2_b64 v[114:117], v112 offset0:85 offset1:86
	s_waitcnt vmcnt(4) lgkmcnt(0)
	v_fmac_f64_e32 v[110:111], v[124:125], v[114:115]
	;; [unrolled: 5-line block ×3, first 2 shown]
	buffer_load_dword v115, off, s[0:3], 0 offset:276
	buffer_load_dword v114, off, s[0:3], 0 offset:272
	buffer_load_dword v119, off, s[0:3], 0 offset:284
	buffer_load_dword v118, off, s[0:3], 0 offset:280
	s_waitcnt vmcnt(2)
	v_fmac_f64_e32 v[110:111], v[114:115], v[116:117]
	ds_read2_b64 v[114:117], v112 offset0:89 offset1:90
	s_waitcnt vmcnt(0) lgkmcnt(0)
	v_fmac_f64_e32 v[110:111], v[118:119], v[114:115]
	buffer_load_dword v115, off, s[0:3], 0 offset:292
	buffer_load_dword v114, off, s[0:3], 0 offset:288
	buffer_load_dword v119, off, s[0:3], 0 offset:300
	buffer_load_dword v118, off, s[0:3], 0 offset:296
	s_waitcnt vmcnt(2)
	v_fmac_f64_e32 v[110:111], v[114:115], v[116:117]
	ds_read2_b64 v[114:117], v112 offset0:91 offset1:92
	s_waitcnt vmcnt(0) lgkmcnt(0)
	v_fmac_f64_e32 v[110:111], v[118:119], v[114:115]
	buffer_load_dword v115, off, s[0:3], 0 offset:308
	buffer_load_dword v114, off, s[0:3], 0 offset:304
	buffer_load_dword v119, off, s[0:3], 0 offset:316
	buffer_load_dword v118, off, s[0:3], 0 offset:312
	s_waitcnt vmcnt(2)
	v_fmac_f64_e32 v[110:111], v[114:115], v[116:117]
	ds_read2_b64 v[114:117], v112 offset0:93 offset1:94
	s_waitcnt vmcnt(0) lgkmcnt(0)
	v_fmac_f64_e32 v[110:111], v[118:119], v[114:115]
	buffer_load_dword v115, off, s[0:3], 0 offset:324
	buffer_load_dword v114, off, s[0:3], 0 offset:320
	buffer_load_dword v119, off, s[0:3], 0 offset:332
	buffer_load_dword v118, off, s[0:3], 0 offset:328
	s_waitcnt vmcnt(2)
	v_fmac_f64_e32 v[110:111], v[114:115], v[116:117]
	ds_read2_b64 v[114:117], v112 offset0:95 offset1:96
	s_waitcnt vmcnt(0) lgkmcnt(0)
	v_fmac_f64_e32 v[110:111], v[118:119], v[114:115]
	buffer_load_dword v115, off, s[0:3], 0 offset:340
	buffer_load_dword v114, off, s[0:3], 0 offset:336
	buffer_load_dword v119, off, s[0:3], 0 offset:348
	buffer_load_dword v118, off, s[0:3], 0 offset:344
	s_waitcnt vmcnt(2)
	v_fmac_f64_e32 v[110:111], v[114:115], v[116:117]
	ds_read2_b64 v[114:117], v112 offset0:97 offset1:98
	s_waitcnt vmcnt(0) lgkmcnt(0)
	v_fmac_f64_e32 v[110:111], v[118:119], v[114:115]
	buffer_load_dword v115, off, s[0:3], 0 offset:356
	buffer_load_dword v114, off, s[0:3], 0 offset:352
	buffer_load_dword v119, off, s[0:3], 0 offset:364
	buffer_load_dword v118, off, s[0:3], 0 offset:360
	s_waitcnt vmcnt(2)
	v_fmac_f64_e32 v[110:111], v[114:115], v[116:117]
	ds_read2_b64 v[114:117], v112 offset0:99 offset1:100
	s_waitcnt vmcnt(0) lgkmcnt(0)
	v_fmac_f64_e32 v[110:111], v[118:119], v[114:115]
	buffer_load_dword v115, off, s[0:3], 0 offset:372
	buffer_load_dword v114, off, s[0:3], 0 offset:368
	buffer_load_dword v119, off, s[0:3], 0 offset:380
	buffer_load_dword v118, off, s[0:3], 0 offset:376
	s_waitcnt vmcnt(2)
	v_fmac_f64_e32 v[110:111], v[114:115], v[116:117]
	ds_read2_b64 v[114:117], v112 offset0:101 offset1:102
	s_waitcnt vmcnt(0) lgkmcnt(0)
	v_fmac_f64_e32 v[110:111], v[118:119], v[114:115]
	buffer_load_dword v115, off, s[0:3], 0 offset:388
	buffer_load_dword v114, off, s[0:3], 0 offset:384
	buffer_load_dword v119, off, s[0:3], 0 offset:396
	buffer_load_dword v118, off, s[0:3], 0 offset:392
	s_waitcnt vmcnt(2)
	v_fmac_f64_e32 v[110:111], v[114:115], v[116:117]
	ds_read2_b64 v[114:117], v112 offset0:103 offset1:104
	s_waitcnt vmcnt(0) lgkmcnt(0)
	v_fmac_f64_e32 v[110:111], v[118:119], v[114:115]
	buffer_load_dword v115, off, s[0:3], 0 offset:404
	buffer_load_dword v114, off, s[0:3], 0 offset:400
	s_waitcnt vmcnt(0)
	v_fmac_f64_e32 v[110:111], v[114:115], v[116:117]
	buffer_load_dword v117, off, s[0:3], 0 offset:412
	buffer_load_dword v116, off, s[0:3], 0 offset:408
	ds_read2_b64 v[112:115], v112 offset0:105 offset1:106
	s_waitcnt vmcnt(0) lgkmcnt(0)
	v_fmac_f64_e32 v[110:111], v[116:117], v[112:113]
	buffer_load_dword v113, off, s[0:3], 0 offset:420
	buffer_load_dword v112, off, s[0:3], 0 offset:416
	s_waitcnt vmcnt(0)
	v_fmac_f64_e32 v[110:111], v[112:113], v[114:115]
	v_add_f64 v[108:109], v[108:109], -v[110:111]
	buffer_store_dword v109, off, s[0:3], 0 offset:212
	buffer_store_dword v108, off, s[0:3], 0 offset:208
	s_and_saveexec_b64 s[4:5], vcc
	s_cbranch_execz .LBB52_275
; %bb.274:
	buffer_load_dword v108, off, s[0:3], 0 offset:200
	buffer_load_dword v109, off, s[0:3], 0 offset:204
	v_mov_b32_e32 v110, 0
	buffer_store_dword v110, off, s[0:3], 0 offset:200
	buffer_store_dword v110, off, s[0:3], 0 offset:204
	s_waitcnt vmcnt(2)
	ds_write_b64 v1, v[108:109]
.LBB52_275:
	s_or_b64 exec, exec, s[4:5]
	s_waitcnt lgkmcnt(0)
	; wave barrier
	s_waitcnt lgkmcnt(0)
	buffer_load_dword v108, off, s[0:3], 0 offset:200
	buffer_load_dword v109, off, s[0:3], 0 offset:204
	;; [unrolled: 1-line block ×16, first 2 shown]
	v_mov_b32_e32 v112, 0
	ds_read_b128 v[114:117], v112 offset:640
	ds_read_b128 v[118:121], v112 offset:656
	;; [unrolled: 1-line block ×4, first 2 shown]
	v_cmp_lt_u32_e32 vcc, 24, v0
	s_waitcnt vmcnt(12) lgkmcnt(3)
	v_fma_f64 v[110:111], v[110:111], v[114:115], 0
	buffer_load_dword v115, off, s[0:3], 0 offset:268
	buffer_load_dword v114, off, s[0:3], 0 offset:264
	s_waitcnt vmcnt(12)
	v_fmac_f64_e32 v[110:111], v[130:131], v[116:117]
	s_waitcnt vmcnt(10) lgkmcnt(2)
	v_fmac_f64_e32 v[110:111], v[132:133], v[118:119]
	buffer_load_dword v119, off, s[0:3], 0 offset:276
	buffer_load_dword v118, off, s[0:3], 0 offset:272
	s_waitcnt vmcnt(10)
	v_fmac_f64_e32 v[110:111], v[134:135], v[120:121]
	s_waitcnt vmcnt(8) lgkmcnt(1)
	v_fmac_f64_e32 v[110:111], v[136:137], v[122:123]
	s_waitcnt vmcnt(6)
	v_fmac_f64_e32 v[110:111], v[138:139], v[124:125]
	s_waitcnt vmcnt(4) lgkmcnt(0)
	v_fmac_f64_e32 v[110:111], v[140:141], v[126:127]
	s_waitcnt vmcnt(2)
	v_fmac_f64_e32 v[110:111], v[114:115], v[128:129]
	ds_read_b128 v[114:117], v112 offset:704
	s_waitcnt vmcnt(0) lgkmcnt(0)
	v_fmac_f64_e32 v[110:111], v[118:119], v[114:115]
	buffer_load_dword v115, off, s[0:3], 0 offset:284
	buffer_load_dword v114, off, s[0:3], 0 offset:280
	buffer_load_dword v119, off, s[0:3], 0 offset:292
	buffer_load_dword v118, off, s[0:3], 0 offset:288
	s_waitcnt vmcnt(2)
	v_fmac_f64_e32 v[110:111], v[114:115], v[116:117]
	ds_read_b128 v[114:117], v112 offset:720
	s_waitcnt vmcnt(0) lgkmcnt(0)
	v_fmac_f64_e32 v[110:111], v[118:119], v[114:115]
	buffer_load_dword v115, off, s[0:3], 0 offset:300
	buffer_load_dword v114, off, s[0:3], 0 offset:296
	buffer_load_dword v119, off, s[0:3], 0 offset:308
	buffer_load_dword v118, off, s[0:3], 0 offset:304
	;; [unrolled: 9-line block ×8, first 2 shown]
	s_waitcnt vmcnt(2)
	v_fmac_f64_e32 v[110:111], v[114:115], v[116:117]
	ds_read_b128 v[114:117], v112 offset:832
	s_waitcnt vmcnt(0) lgkmcnt(0)
	v_fmac_f64_e32 v[110:111], v[118:119], v[114:115]
	buffer_load_dword v115, off, s[0:3], 0 offset:412
	buffer_load_dword v114, off, s[0:3], 0 offset:408
	s_waitcnt vmcnt(0)
	v_fmac_f64_e32 v[110:111], v[114:115], v[116:117]
	buffer_load_dword v115, off, s[0:3], 0 offset:420
	buffer_load_dword v114, off, s[0:3], 0 offset:416
	ds_read_b64 v[116:117], v112 offset:848
	s_waitcnt vmcnt(0) lgkmcnt(0)
	v_fmac_f64_e32 v[110:111], v[114:115], v[116:117]
	v_add_f64 v[108:109], v[108:109], -v[110:111]
	buffer_store_dword v109, off, s[0:3], 0 offset:204
	buffer_store_dword v108, off, s[0:3], 0 offset:200
	s_and_saveexec_b64 s[4:5], vcc
	s_cbranch_execz .LBB52_277
; %bb.276:
	buffer_load_dword v108, off, s[0:3], 0 offset:192
	buffer_load_dword v109, off, s[0:3], 0 offset:196
	s_waitcnt vmcnt(0)
	ds_write_b64 v1, v[108:109]
	buffer_store_dword v112, off, s[0:3], 0 offset:192
	buffer_store_dword v112, off, s[0:3], 0 offset:196
.LBB52_277:
	s_or_b64 exec, exec, s[4:5]
	s_waitcnt lgkmcnt(0)
	; wave barrier
	s_waitcnt lgkmcnt(0)
	buffer_load_dword v108, off, s[0:3], 0 offset:192
	buffer_load_dword v109, off, s[0:3], 0 offset:196
	;; [unrolled: 1-line block ×16, first 2 shown]
	ds_read2_b64 v[114:117], v112 offset0:79 offset1:80
	v_cmp_lt_u32_e32 vcc, 23, v0
	s_waitcnt vmcnt(12) lgkmcnt(0)
	v_fma_f64 v[110:111], v[110:111], v[114:115], 0
	s_waitcnt vmcnt(10)
	v_fmac_f64_e32 v[110:111], v[118:119], v[116:117]
	ds_read2_b64 v[114:117], v112 offset0:81 offset1:82
	s_waitcnt vmcnt(8) lgkmcnt(0)
	v_fmac_f64_e32 v[110:111], v[120:121], v[114:115]
	s_waitcnt vmcnt(6)
	v_fmac_f64_e32 v[110:111], v[122:123], v[116:117]
	ds_read2_b64 v[114:117], v112 offset0:83 offset1:84
	s_waitcnt vmcnt(4) lgkmcnt(0)
	v_fmac_f64_e32 v[110:111], v[124:125], v[114:115]
	;; [unrolled: 5-line block ×3, first 2 shown]
	buffer_load_dword v115, off, s[0:3], 0 offset:260
	buffer_load_dword v114, off, s[0:3], 0 offset:256
	buffer_load_dword v119, off, s[0:3], 0 offset:268
	buffer_load_dword v118, off, s[0:3], 0 offset:264
	s_waitcnt vmcnt(2)
	v_fmac_f64_e32 v[110:111], v[114:115], v[116:117]
	ds_read2_b64 v[114:117], v112 offset0:87 offset1:88
	s_waitcnt vmcnt(0) lgkmcnt(0)
	v_fmac_f64_e32 v[110:111], v[118:119], v[114:115]
	buffer_load_dword v115, off, s[0:3], 0 offset:276
	buffer_load_dword v114, off, s[0:3], 0 offset:272
	buffer_load_dword v119, off, s[0:3], 0 offset:284
	buffer_load_dword v118, off, s[0:3], 0 offset:280
	s_waitcnt vmcnt(2)
	v_fmac_f64_e32 v[110:111], v[114:115], v[116:117]
	ds_read2_b64 v[114:117], v112 offset0:89 offset1:90
	s_waitcnt vmcnt(0) lgkmcnt(0)
	v_fmac_f64_e32 v[110:111], v[118:119], v[114:115]
	;; [unrolled: 9-line block ×9, first 2 shown]
	buffer_load_dword v115, off, s[0:3], 0 offset:404
	buffer_load_dword v114, off, s[0:3], 0 offset:400
	s_waitcnt vmcnt(0)
	v_fmac_f64_e32 v[110:111], v[114:115], v[116:117]
	buffer_load_dword v117, off, s[0:3], 0 offset:412
	buffer_load_dword v116, off, s[0:3], 0 offset:408
	ds_read2_b64 v[112:115], v112 offset0:105 offset1:106
	s_waitcnt vmcnt(0) lgkmcnt(0)
	v_fmac_f64_e32 v[110:111], v[116:117], v[112:113]
	buffer_load_dword v113, off, s[0:3], 0 offset:420
	buffer_load_dword v112, off, s[0:3], 0 offset:416
	s_waitcnt vmcnt(0)
	v_fmac_f64_e32 v[110:111], v[112:113], v[114:115]
	v_add_f64 v[108:109], v[108:109], -v[110:111]
	buffer_store_dword v109, off, s[0:3], 0 offset:196
	buffer_store_dword v108, off, s[0:3], 0 offset:192
	s_and_saveexec_b64 s[4:5], vcc
	s_cbranch_execz .LBB52_279
; %bb.278:
	buffer_load_dword v108, off, s[0:3], 0 offset:184
	buffer_load_dword v109, off, s[0:3], 0 offset:188
	v_mov_b32_e32 v110, 0
	buffer_store_dword v110, off, s[0:3], 0 offset:184
	buffer_store_dword v110, off, s[0:3], 0 offset:188
	s_waitcnt vmcnt(2)
	ds_write_b64 v1, v[108:109]
.LBB52_279:
	s_or_b64 exec, exec, s[4:5]
	s_waitcnt lgkmcnt(0)
	; wave barrier
	s_waitcnt lgkmcnt(0)
	buffer_load_dword v108, off, s[0:3], 0 offset:184
	buffer_load_dword v109, off, s[0:3], 0 offset:188
	;; [unrolled: 1-line block ×16, first 2 shown]
	v_mov_b32_e32 v112, 0
	ds_read_b128 v[114:117], v112 offset:624
	ds_read_b128 v[118:121], v112 offset:640
	ds_read_b128 v[122:125], v112 offset:656
	ds_read_b128 v[126:129], v112 offset:672
	v_cmp_lt_u32_e32 vcc, 22, v0
	s_waitcnt vmcnt(12) lgkmcnt(3)
	v_fma_f64 v[110:111], v[110:111], v[114:115], 0
	buffer_load_dword v115, off, s[0:3], 0 offset:252
	buffer_load_dword v114, off, s[0:3], 0 offset:248
	s_waitcnt vmcnt(12)
	v_fmac_f64_e32 v[110:111], v[130:131], v[116:117]
	s_waitcnt vmcnt(10) lgkmcnt(2)
	v_fmac_f64_e32 v[110:111], v[132:133], v[118:119]
	buffer_load_dword v119, off, s[0:3], 0 offset:260
	buffer_load_dword v118, off, s[0:3], 0 offset:256
	s_waitcnt vmcnt(10)
	v_fmac_f64_e32 v[110:111], v[134:135], v[120:121]
	s_waitcnt vmcnt(8) lgkmcnt(1)
	v_fmac_f64_e32 v[110:111], v[136:137], v[122:123]
	s_waitcnt vmcnt(6)
	v_fmac_f64_e32 v[110:111], v[138:139], v[124:125]
	s_waitcnt vmcnt(4) lgkmcnt(0)
	v_fmac_f64_e32 v[110:111], v[140:141], v[126:127]
	s_waitcnt vmcnt(2)
	v_fmac_f64_e32 v[110:111], v[114:115], v[128:129]
	ds_read_b128 v[114:117], v112 offset:688
	s_waitcnt vmcnt(0) lgkmcnt(0)
	v_fmac_f64_e32 v[110:111], v[118:119], v[114:115]
	buffer_load_dword v115, off, s[0:3], 0 offset:268
	buffer_load_dword v114, off, s[0:3], 0 offset:264
	buffer_load_dword v119, off, s[0:3], 0 offset:276
	buffer_load_dword v118, off, s[0:3], 0 offset:272
	s_waitcnt vmcnt(2)
	v_fmac_f64_e32 v[110:111], v[114:115], v[116:117]
	ds_read_b128 v[114:117], v112 offset:704
	s_waitcnt vmcnt(0) lgkmcnt(0)
	v_fmac_f64_e32 v[110:111], v[118:119], v[114:115]
	buffer_load_dword v115, off, s[0:3], 0 offset:284
	buffer_load_dword v114, off, s[0:3], 0 offset:280
	buffer_load_dword v119, off, s[0:3], 0 offset:292
	buffer_load_dword v118, off, s[0:3], 0 offset:288
	;; [unrolled: 9-line block ×9, first 2 shown]
	s_waitcnt vmcnt(2)
	v_fmac_f64_e32 v[110:111], v[114:115], v[116:117]
	ds_read_b128 v[114:117], v112 offset:832
	s_waitcnt vmcnt(0) lgkmcnt(0)
	v_fmac_f64_e32 v[110:111], v[118:119], v[114:115]
	buffer_load_dword v115, off, s[0:3], 0 offset:412
	buffer_load_dword v114, off, s[0:3], 0 offset:408
	s_waitcnt vmcnt(0)
	v_fmac_f64_e32 v[110:111], v[114:115], v[116:117]
	buffer_load_dword v115, off, s[0:3], 0 offset:420
	buffer_load_dword v114, off, s[0:3], 0 offset:416
	ds_read_b64 v[116:117], v112 offset:848
	s_waitcnt vmcnt(0) lgkmcnt(0)
	v_fmac_f64_e32 v[110:111], v[114:115], v[116:117]
	v_add_f64 v[108:109], v[108:109], -v[110:111]
	buffer_store_dword v109, off, s[0:3], 0 offset:188
	buffer_store_dword v108, off, s[0:3], 0 offset:184
	s_and_saveexec_b64 s[4:5], vcc
	s_cbranch_execz .LBB52_281
; %bb.280:
	buffer_load_dword v108, off, s[0:3], 0 offset:176
	buffer_load_dword v109, off, s[0:3], 0 offset:180
	s_waitcnt vmcnt(0)
	ds_write_b64 v1, v[108:109]
	buffer_store_dword v112, off, s[0:3], 0 offset:176
	buffer_store_dword v112, off, s[0:3], 0 offset:180
.LBB52_281:
	s_or_b64 exec, exec, s[4:5]
	s_waitcnt lgkmcnt(0)
	; wave barrier
	s_waitcnt lgkmcnt(0)
	buffer_load_dword v108, off, s[0:3], 0 offset:176
	buffer_load_dword v109, off, s[0:3], 0 offset:180
	;; [unrolled: 1-line block ×16, first 2 shown]
	ds_read2_b64 v[114:117], v112 offset0:77 offset1:78
	v_cmp_lt_u32_e32 vcc, 21, v0
	s_waitcnt vmcnt(12) lgkmcnt(0)
	v_fma_f64 v[110:111], v[110:111], v[114:115], 0
	s_waitcnt vmcnt(10)
	v_fmac_f64_e32 v[110:111], v[118:119], v[116:117]
	ds_read2_b64 v[114:117], v112 offset0:79 offset1:80
	s_waitcnt vmcnt(8) lgkmcnt(0)
	v_fmac_f64_e32 v[110:111], v[120:121], v[114:115]
	s_waitcnt vmcnt(6)
	v_fmac_f64_e32 v[110:111], v[122:123], v[116:117]
	ds_read2_b64 v[114:117], v112 offset0:81 offset1:82
	s_waitcnt vmcnt(4) lgkmcnt(0)
	v_fmac_f64_e32 v[110:111], v[124:125], v[114:115]
	;; [unrolled: 5-line block ×3, first 2 shown]
	buffer_load_dword v115, off, s[0:3], 0 offset:244
	buffer_load_dword v114, off, s[0:3], 0 offset:240
	buffer_load_dword v119, off, s[0:3], 0 offset:252
	buffer_load_dword v118, off, s[0:3], 0 offset:248
	s_waitcnt vmcnt(2)
	v_fmac_f64_e32 v[110:111], v[114:115], v[116:117]
	ds_read2_b64 v[114:117], v112 offset0:85 offset1:86
	s_waitcnt vmcnt(0) lgkmcnt(0)
	v_fmac_f64_e32 v[110:111], v[118:119], v[114:115]
	buffer_load_dword v115, off, s[0:3], 0 offset:260
	buffer_load_dword v114, off, s[0:3], 0 offset:256
	buffer_load_dword v119, off, s[0:3], 0 offset:268
	buffer_load_dword v118, off, s[0:3], 0 offset:264
	s_waitcnt vmcnt(2)
	v_fmac_f64_e32 v[110:111], v[114:115], v[116:117]
	ds_read2_b64 v[114:117], v112 offset0:87 offset1:88
	s_waitcnt vmcnt(0) lgkmcnt(0)
	v_fmac_f64_e32 v[110:111], v[118:119], v[114:115]
	;; [unrolled: 9-line block ×10, first 2 shown]
	buffer_load_dword v115, off, s[0:3], 0 offset:404
	buffer_load_dword v114, off, s[0:3], 0 offset:400
	s_waitcnt vmcnt(0)
	v_fmac_f64_e32 v[110:111], v[114:115], v[116:117]
	buffer_load_dword v117, off, s[0:3], 0 offset:412
	buffer_load_dword v116, off, s[0:3], 0 offset:408
	ds_read2_b64 v[112:115], v112 offset0:105 offset1:106
	s_waitcnt vmcnt(0) lgkmcnt(0)
	v_fmac_f64_e32 v[110:111], v[116:117], v[112:113]
	buffer_load_dword v113, off, s[0:3], 0 offset:420
	buffer_load_dword v112, off, s[0:3], 0 offset:416
	s_waitcnt vmcnt(0)
	v_fmac_f64_e32 v[110:111], v[112:113], v[114:115]
	v_add_f64 v[108:109], v[108:109], -v[110:111]
	buffer_store_dword v109, off, s[0:3], 0 offset:180
	buffer_store_dword v108, off, s[0:3], 0 offset:176
	s_and_saveexec_b64 s[4:5], vcc
	s_cbranch_execz .LBB52_283
; %bb.282:
	buffer_load_dword v108, off, s[0:3], 0 offset:168
	buffer_load_dword v109, off, s[0:3], 0 offset:172
	v_mov_b32_e32 v110, 0
	buffer_store_dword v110, off, s[0:3], 0 offset:168
	buffer_store_dword v110, off, s[0:3], 0 offset:172
	s_waitcnt vmcnt(2)
	ds_write_b64 v1, v[108:109]
.LBB52_283:
	s_or_b64 exec, exec, s[4:5]
	s_waitcnt lgkmcnt(0)
	; wave barrier
	s_waitcnt lgkmcnt(0)
	buffer_load_dword v108, off, s[0:3], 0 offset:168
	buffer_load_dword v109, off, s[0:3], 0 offset:172
	buffer_load_dword v110, off, s[0:3], 0 offset:176
	buffer_load_dword v111, off, s[0:3], 0 offset:180
	buffer_load_dword v130, off, s[0:3], 0 offset:184
	buffer_load_dword v131, off, s[0:3], 0 offset:188
	buffer_load_dword v132, off, s[0:3], 0 offset:192
	buffer_load_dword v133, off, s[0:3], 0 offset:196
	buffer_load_dword v134, off, s[0:3], 0 offset:200
	buffer_load_dword v135, off, s[0:3], 0 offset:204
	buffer_load_dword v136, off, s[0:3], 0 offset:208
	buffer_load_dword v137, off, s[0:3], 0 offset:212
	buffer_load_dword v138, off, s[0:3], 0 offset:216
	buffer_load_dword v139, off, s[0:3], 0 offset:220
	buffer_load_dword v140, off, s[0:3], 0 offset:224
	buffer_load_dword v141, off, s[0:3], 0 offset:228
	v_mov_b32_e32 v112, 0
	ds_read_b128 v[114:117], v112 offset:608
	ds_read_b128 v[118:121], v112 offset:624
	;; [unrolled: 1-line block ×4, first 2 shown]
	v_cmp_lt_u32_e32 vcc, 20, v0
	s_waitcnt vmcnt(12) lgkmcnt(3)
	v_fma_f64 v[110:111], v[110:111], v[114:115], 0
	buffer_load_dword v115, off, s[0:3], 0 offset:236
	buffer_load_dword v114, off, s[0:3], 0 offset:232
	s_waitcnt vmcnt(12)
	v_fmac_f64_e32 v[110:111], v[130:131], v[116:117]
	s_waitcnt vmcnt(10) lgkmcnt(2)
	v_fmac_f64_e32 v[110:111], v[132:133], v[118:119]
	buffer_load_dword v119, off, s[0:3], 0 offset:244
	buffer_load_dword v118, off, s[0:3], 0 offset:240
	s_waitcnt vmcnt(10)
	v_fmac_f64_e32 v[110:111], v[134:135], v[120:121]
	s_waitcnt vmcnt(8) lgkmcnt(1)
	v_fmac_f64_e32 v[110:111], v[136:137], v[122:123]
	s_waitcnt vmcnt(6)
	v_fmac_f64_e32 v[110:111], v[138:139], v[124:125]
	s_waitcnt vmcnt(4) lgkmcnt(0)
	v_fmac_f64_e32 v[110:111], v[140:141], v[126:127]
	s_waitcnt vmcnt(2)
	v_fmac_f64_e32 v[110:111], v[114:115], v[128:129]
	ds_read_b128 v[114:117], v112 offset:672
	s_waitcnt vmcnt(0) lgkmcnt(0)
	v_fmac_f64_e32 v[110:111], v[118:119], v[114:115]
	buffer_load_dword v115, off, s[0:3], 0 offset:252
	buffer_load_dword v114, off, s[0:3], 0 offset:248
	buffer_load_dword v119, off, s[0:3], 0 offset:260
	buffer_load_dword v118, off, s[0:3], 0 offset:256
	s_waitcnt vmcnt(2)
	v_fmac_f64_e32 v[110:111], v[114:115], v[116:117]
	ds_read_b128 v[114:117], v112 offset:688
	s_waitcnt vmcnt(0) lgkmcnt(0)
	v_fmac_f64_e32 v[110:111], v[118:119], v[114:115]
	buffer_load_dword v115, off, s[0:3], 0 offset:268
	buffer_load_dword v114, off, s[0:3], 0 offset:264
	buffer_load_dword v119, off, s[0:3], 0 offset:276
	buffer_load_dword v118, off, s[0:3], 0 offset:272
	;; [unrolled: 9-line block ×10, first 2 shown]
	s_waitcnt vmcnt(2)
	v_fmac_f64_e32 v[110:111], v[114:115], v[116:117]
	ds_read_b128 v[114:117], v112 offset:832
	s_waitcnt vmcnt(0) lgkmcnt(0)
	v_fmac_f64_e32 v[110:111], v[118:119], v[114:115]
	buffer_load_dword v115, off, s[0:3], 0 offset:412
	buffer_load_dword v114, off, s[0:3], 0 offset:408
	s_waitcnt vmcnt(0)
	v_fmac_f64_e32 v[110:111], v[114:115], v[116:117]
	buffer_load_dword v115, off, s[0:3], 0 offset:420
	buffer_load_dword v114, off, s[0:3], 0 offset:416
	ds_read_b64 v[116:117], v112 offset:848
	s_waitcnt vmcnt(0) lgkmcnt(0)
	v_fmac_f64_e32 v[110:111], v[114:115], v[116:117]
	v_add_f64 v[108:109], v[108:109], -v[110:111]
	buffer_store_dword v109, off, s[0:3], 0 offset:172
	buffer_store_dword v108, off, s[0:3], 0 offset:168
	s_and_saveexec_b64 s[4:5], vcc
	s_cbranch_execz .LBB52_285
; %bb.284:
	buffer_load_dword v108, off, s[0:3], 0 offset:160
	buffer_load_dword v109, off, s[0:3], 0 offset:164
	s_waitcnt vmcnt(0)
	ds_write_b64 v1, v[108:109]
	buffer_store_dword v112, off, s[0:3], 0 offset:160
	buffer_store_dword v112, off, s[0:3], 0 offset:164
.LBB52_285:
	s_or_b64 exec, exec, s[4:5]
	s_waitcnt lgkmcnt(0)
	; wave barrier
	s_waitcnt lgkmcnt(0)
	buffer_load_dword v108, off, s[0:3], 0 offset:160
	buffer_load_dword v109, off, s[0:3], 0 offset:164
	;; [unrolled: 1-line block ×16, first 2 shown]
	ds_read2_b64 v[114:117], v112 offset0:75 offset1:76
	v_cmp_lt_u32_e32 vcc, 19, v0
	s_waitcnt vmcnt(12) lgkmcnt(0)
	v_fma_f64 v[110:111], v[110:111], v[114:115], 0
	s_waitcnt vmcnt(10)
	v_fmac_f64_e32 v[110:111], v[118:119], v[116:117]
	ds_read2_b64 v[114:117], v112 offset0:77 offset1:78
	s_waitcnt vmcnt(8) lgkmcnt(0)
	v_fmac_f64_e32 v[110:111], v[120:121], v[114:115]
	s_waitcnt vmcnt(6)
	v_fmac_f64_e32 v[110:111], v[122:123], v[116:117]
	ds_read2_b64 v[114:117], v112 offset0:79 offset1:80
	s_waitcnt vmcnt(4) lgkmcnt(0)
	v_fmac_f64_e32 v[110:111], v[124:125], v[114:115]
	;; [unrolled: 5-line block ×3, first 2 shown]
	buffer_load_dword v115, off, s[0:3], 0 offset:228
	buffer_load_dword v114, off, s[0:3], 0 offset:224
	buffer_load_dword v119, off, s[0:3], 0 offset:236
	buffer_load_dword v118, off, s[0:3], 0 offset:232
	s_waitcnt vmcnt(2)
	v_fmac_f64_e32 v[110:111], v[114:115], v[116:117]
	ds_read2_b64 v[114:117], v112 offset0:83 offset1:84
	s_waitcnt vmcnt(0) lgkmcnt(0)
	v_fmac_f64_e32 v[110:111], v[118:119], v[114:115]
	buffer_load_dword v115, off, s[0:3], 0 offset:244
	buffer_load_dword v114, off, s[0:3], 0 offset:240
	buffer_load_dword v119, off, s[0:3], 0 offset:252
	buffer_load_dword v118, off, s[0:3], 0 offset:248
	s_waitcnt vmcnt(2)
	v_fmac_f64_e32 v[110:111], v[114:115], v[116:117]
	ds_read2_b64 v[114:117], v112 offset0:85 offset1:86
	s_waitcnt vmcnt(0) lgkmcnt(0)
	v_fmac_f64_e32 v[110:111], v[118:119], v[114:115]
	;; [unrolled: 9-line block ×11, first 2 shown]
	buffer_load_dword v115, off, s[0:3], 0 offset:404
	buffer_load_dword v114, off, s[0:3], 0 offset:400
	s_waitcnt vmcnt(0)
	v_fmac_f64_e32 v[110:111], v[114:115], v[116:117]
	buffer_load_dword v117, off, s[0:3], 0 offset:412
	buffer_load_dword v116, off, s[0:3], 0 offset:408
	ds_read2_b64 v[112:115], v112 offset0:105 offset1:106
	s_waitcnt vmcnt(0) lgkmcnt(0)
	v_fmac_f64_e32 v[110:111], v[116:117], v[112:113]
	buffer_load_dword v113, off, s[0:3], 0 offset:420
	buffer_load_dword v112, off, s[0:3], 0 offset:416
	s_waitcnt vmcnt(0)
	v_fmac_f64_e32 v[110:111], v[112:113], v[114:115]
	v_add_f64 v[108:109], v[108:109], -v[110:111]
	buffer_store_dword v109, off, s[0:3], 0 offset:164
	buffer_store_dword v108, off, s[0:3], 0 offset:160
	s_and_saveexec_b64 s[4:5], vcc
	s_cbranch_execz .LBB52_287
; %bb.286:
	buffer_load_dword v108, off, s[0:3], 0 offset:152
	buffer_load_dword v109, off, s[0:3], 0 offset:156
	v_mov_b32_e32 v110, 0
	buffer_store_dword v110, off, s[0:3], 0 offset:152
	buffer_store_dword v110, off, s[0:3], 0 offset:156
	s_waitcnt vmcnt(2)
	ds_write_b64 v1, v[108:109]
.LBB52_287:
	s_or_b64 exec, exec, s[4:5]
	s_waitcnt lgkmcnt(0)
	; wave barrier
	s_waitcnt lgkmcnt(0)
	buffer_load_dword v108, off, s[0:3], 0 offset:152
	buffer_load_dword v109, off, s[0:3], 0 offset:156
	;; [unrolled: 1-line block ×16, first 2 shown]
	v_mov_b32_e32 v112, 0
	ds_read_b128 v[114:117], v112 offset:592
	ds_read_b128 v[118:121], v112 offset:608
	;; [unrolled: 1-line block ×4, first 2 shown]
	v_cmp_lt_u32_e32 vcc, 18, v0
	s_waitcnt vmcnt(12) lgkmcnt(3)
	v_fma_f64 v[110:111], v[110:111], v[114:115], 0
	buffer_load_dword v115, off, s[0:3], 0 offset:220
	buffer_load_dword v114, off, s[0:3], 0 offset:216
	s_waitcnt vmcnt(12)
	v_fmac_f64_e32 v[110:111], v[130:131], v[116:117]
	s_waitcnt vmcnt(10) lgkmcnt(2)
	v_fmac_f64_e32 v[110:111], v[132:133], v[118:119]
	buffer_load_dword v119, off, s[0:3], 0 offset:228
	buffer_load_dword v118, off, s[0:3], 0 offset:224
	s_waitcnt vmcnt(10)
	v_fmac_f64_e32 v[110:111], v[134:135], v[120:121]
	s_waitcnt vmcnt(8) lgkmcnt(1)
	v_fmac_f64_e32 v[110:111], v[136:137], v[122:123]
	s_waitcnt vmcnt(6)
	v_fmac_f64_e32 v[110:111], v[138:139], v[124:125]
	s_waitcnt vmcnt(4) lgkmcnt(0)
	v_fmac_f64_e32 v[110:111], v[140:141], v[126:127]
	s_waitcnt vmcnt(2)
	v_fmac_f64_e32 v[110:111], v[114:115], v[128:129]
	ds_read_b128 v[114:117], v112 offset:656
	s_waitcnt vmcnt(0) lgkmcnt(0)
	v_fmac_f64_e32 v[110:111], v[118:119], v[114:115]
	buffer_load_dword v115, off, s[0:3], 0 offset:236
	buffer_load_dword v114, off, s[0:3], 0 offset:232
	buffer_load_dword v119, off, s[0:3], 0 offset:244
	buffer_load_dword v118, off, s[0:3], 0 offset:240
	s_waitcnt vmcnt(2)
	v_fmac_f64_e32 v[110:111], v[114:115], v[116:117]
	ds_read_b128 v[114:117], v112 offset:672
	s_waitcnt vmcnt(0) lgkmcnt(0)
	v_fmac_f64_e32 v[110:111], v[118:119], v[114:115]
	buffer_load_dword v115, off, s[0:3], 0 offset:252
	buffer_load_dword v114, off, s[0:3], 0 offset:248
	buffer_load_dword v119, off, s[0:3], 0 offset:260
	buffer_load_dword v118, off, s[0:3], 0 offset:256
	;; [unrolled: 9-line block ×11, first 2 shown]
	s_waitcnt vmcnt(2)
	v_fmac_f64_e32 v[110:111], v[114:115], v[116:117]
	ds_read_b128 v[114:117], v112 offset:832
	s_waitcnt vmcnt(0) lgkmcnt(0)
	v_fmac_f64_e32 v[110:111], v[118:119], v[114:115]
	buffer_load_dword v115, off, s[0:3], 0 offset:412
	buffer_load_dword v114, off, s[0:3], 0 offset:408
	s_waitcnt vmcnt(0)
	v_fmac_f64_e32 v[110:111], v[114:115], v[116:117]
	buffer_load_dword v115, off, s[0:3], 0 offset:420
	buffer_load_dword v114, off, s[0:3], 0 offset:416
	ds_read_b64 v[116:117], v112 offset:848
	s_waitcnt vmcnt(0) lgkmcnt(0)
	v_fmac_f64_e32 v[110:111], v[114:115], v[116:117]
	v_add_f64 v[108:109], v[108:109], -v[110:111]
	buffer_store_dword v109, off, s[0:3], 0 offset:156
	buffer_store_dword v108, off, s[0:3], 0 offset:152
	s_and_saveexec_b64 s[4:5], vcc
	s_cbranch_execz .LBB52_289
; %bb.288:
	buffer_load_dword v108, off, s[0:3], 0 offset:144
	buffer_load_dword v109, off, s[0:3], 0 offset:148
	s_waitcnt vmcnt(0)
	ds_write_b64 v1, v[108:109]
	buffer_store_dword v112, off, s[0:3], 0 offset:144
	buffer_store_dword v112, off, s[0:3], 0 offset:148
.LBB52_289:
	s_or_b64 exec, exec, s[4:5]
	s_waitcnt lgkmcnt(0)
	; wave barrier
	s_waitcnt lgkmcnt(0)
	buffer_load_dword v108, off, s[0:3], 0 offset:144
	buffer_load_dword v109, off, s[0:3], 0 offset:148
	buffer_load_dword v110, off, s[0:3], 0 offset:152
	buffer_load_dword v111, off, s[0:3], 0 offset:156
	buffer_load_dword v118, off, s[0:3], 0 offset:160
	buffer_load_dword v119, off, s[0:3], 0 offset:164
	buffer_load_dword v120, off, s[0:3], 0 offset:168
	buffer_load_dword v121, off, s[0:3], 0 offset:172
	buffer_load_dword v122, off, s[0:3], 0 offset:176
	buffer_load_dword v123, off, s[0:3], 0 offset:180
	buffer_load_dword v124, off, s[0:3], 0 offset:184
	buffer_load_dword v125, off, s[0:3], 0 offset:188
	buffer_load_dword v126, off, s[0:3], 0 offset:192
	buffer_load_dword v127, off, s[0:3], 0 offset:196
	buffer_load_dword v128, off, s[0:3], 0 offset:200
	buffer_load_dword v129, off, s[0:3], 0 offset:204
	ds_read2_b64 v[114:117], v112 offset0:73 offset1:74
	v_cmp_lt_u32_e32 vcc, 17, v0
	s_waitcnt vmcnt(12) lgkmcnt(0)
	v_fma_f64 v[110:111], v[110:111], v[114:115], 0
	s_waitcnt vmcnt(10)
	v_fmac_f64_e32 v[110:111], v[118:119], v[116:117]
	ds_read2_b64 v[114:117], v112 offset0:75 offset1:76
	s_waitcnt vmcnt(8) lgkmcnt(0)
	v_fmac_f64_e32 v[110:111], v[120:121], v[114:115]
	s_waitcnt vmcnt(6)
	v_fmac_f64_e32 v[110:111], v[122:123], v[116:117]
	ds_read2_b64 v[114:117], v112 offset0:77 offset1:78
	s_waitcnt vmcnt(4) lgkmcnt(0)
	v_fmac_f64_e32 v[110:111], v[124:125], v[114:115]
	;; [unrolled: 5-line block ×3, first 2 shown]
	buffer_load_dword v115, off, s[0:3], 0 offset:212
	buffer_load_dword v114, off, s[0:3], 0 offset:208
	buffer_load_dword v119, off, s[0:3], 0 offset:220
	buffer_load_dword v118, off, s[0:3], 0 offset:216
	s_waitcnt vmcnt(2)
	v_fmac_f64_e32 v[110:111], v[114:115], v[116:117]
	ds_read2_b64 v[114:117], v112 offset0:81 offset1:82
	s_waitcnt vmcnt(0) lgkmcnt(0)
	v_fmac_f64_e32 v[110:111], v[118:119], v[114:115]
	buffer_load_dword v115, off, s[0:3], 0 offset:228
	buffer_load_dword v114, off, s[0:3], 0 offset:224
	buffer_load_dword v119, off, s[0:3], 0 offset:236
	buffer_load_dword v118, off, s[0:3], 0 offset:232
	s_waitcnt vmcnt(2)
	v_fmac_f64_e32 v[110:111], v[114:115], v[116:117]
	ds_read2_b64 v[114:117], v112 offset0:83 offset1:84
	s_waitcnt vmcnt(0) lgkmcnt(0)
	v_fmac_f64_e32 v[110:111], v[118:119], v[114:115]
	;; [unrolled: 9-line block ×12, first 2 shown]
	buffer_load_dword v115, off, s[0:3], 0 offset:404
	buffer_load_dword v114, off, s[0:3], 0 offset:400
	s_waitcnt vmcnt(0)
	v_fmac_f64_e32 v[110:111], v[114:115], v[116:117]
	buffer_load_dword v117, off, s[0:3], 0 offset:412
	buffer_load_dword v116, off, s[0:3], 0 offset:408
	ds_read2_b64 v[112:115], v112 offset0:105 offset1:106
	s_waitcnt vmcnt(0) lgkmcnt(0)
	v_fmac_f64_e32 v[110:111], v[116:117], v[112:113]
	buffer_load_dword v113, off, s[0:3], 0 offset:420
	buffer_load_dword v112, off, s[0:3], 0 offset:416
	s_waitcnt vmcnt(0)
	v_fmac_f64_e32 v[110:111], v[112:113], v[114:115]
	v_add_f64 v[108:109], v[108:109], -v[110:111]
	buffer_store_dword v109, off, s[0:3], 0 offset:148
	buffer_store_dword v108, off, s[0:3], 0 offset:144
	s_and_saveexec_b64 s[4:5], vcc
	s_cbranch_execz .LBB52_291
; %bb.290:
	buffer_load_dword v108, off, s[0:3], 0 offset:136
	buffer_load_dword v109, off, s[0:3], 0 offset:140
	v_mov_b32_e32 v110, 0
	buffer_store_dword v110, off, s[0:3], 0 offset:136
	buffer_store_dword v110, off, s[0:3], 0 offset:140
	s_waitcnt vmcnt(2)
	ds_write_b64 v1, v[108:109]
.LBB52_291:
	s_or_b64 exec, exec, s[4:5]
	s_waitcnt lgkmcnt(0)
	; wave barrier
	s_waitcnt lgkmcnt(0)
	buffer_load_dword v108, off, s[0:3], 0 offset:136
	buffer_load_dword v109, off, s[0:3], 0 offset:140
	;; [unrolled: 1-line block ×16, first 2 shown]
	v_mov_b32_e32 v112, 0
	ds_read_b128 v[114:117], v112 offset:576
	ds_read_b128 v[118:121], v112 offset:592
	;; [unrolled: 1-line block ×4, first 2 shown]
	v_cmp_lt_u32_e32 vcc, 16, v0
	s_waitcnt vmcnt(12) lgkmcnt(3)
	v_fma_f64 v[110:111], v[110:111], v[114:115], 0
	buffer_load_dword v115, off, s[0:3], 0 offset:204
	buffer_load_dword v114, off, s[0:3], 0 offset:200
	s_waitcnt vmcnt(12)
	v_fmac_f64_e32 v[110:111], v[130:131], v[116:117]
	s_waitcnt vmcnt(10) lgkmcnt(2)
	v_fmac_f64_e32 v[110:111], v[132:133], v[118:119]
	buffer_load_dword v119, off, s[0:3], 0 offset:212
	buffer_load_dword v118, off, s[0:3], 0 offset:208
	s_waitcnt vmcnt(10)
	v_fmac_f64_e32 v[110:111], v[134:135], v[120:121]
	s_waitcnt vmcnt(8) lgkmcnt(1)
	v_fmac_f64_e32 v[110:111], v[136:137], v[122:123]
	s_waitcnt vmcnt(6)
	v_fmac_f64_e32 v[110:111], v[138:139], v[124:125]
	s_waitcnt vmcnt(4) lgkmcnt(0)
	v_fmac_f64_e32 v[110:111], v[140:141], v[126:127]
	s_waitcnt vmcnt(2)
	v_fmac_f64_e32 v[110:111], v[114:115], v[128:129]
	ds_read_b128 v[114:117], v112 offset:640
	s_waitcnt vmcnt(0) lgkmcnt(0)
	v_fmac_f64_e32 v[110:111], v[118:119], v[114:115]
	buffer_load_dword v115, off, s[0:3], 0 offset:220
	buffer_load_dword v114, off, s[0:3], 0 offset:216
	buffer_load_dword v119, off, s[0:3], 0 offset:228
	buffer_load_dword v118, off, s[0:3], 0 offset:224
	s_waitcnt vmcnt(2)
	v_fmac_f64_e32 v[110:111], v[114:115], v[116:117]
	ds_read_b128 v[114:117], v112 offset:656
	s_waitcnt vmcnt(0) lgkmcnt(0)
	v_fmac_f64_e32 v[110:111], v[118:119], v[114:115]
	buffer_load_dword v115, off, s[0:3], 0 offset:236
	buffer_load_dword v114, off, s[0:3], 0 offset:232
	buffer_load_dword v119, off, s[0:3], 0 offset:244
	buffer_load_dword v118, off, s[0:3], 0 offset:240
	;; [unrolled: 9-line block ×12, first 2 shown]
	s_waitcnt vmcnt(2)
	v_fmac_f64_e32 v[110:111], v[114:115], v[116:117]
	ds_read_b128 v[114:117], v112 offset:832
	s_waitcnt vmcnt(0) lgkmcnt(0)
	v_fmac_f64_e32 v[110:111], v[118:119], v[114:115]
	buffer_load_dword v115, off, s[0:3], 0 offset:412
	buffer_load_dword v114, off, s[0:3], 0 offset:408
	s_waitcnt vmcnt(0)
	v_fmac_f64_e32 v[110:111], v[114:115], v[116:117]
	buffer_load_dword v115, off, s[0:3], 0 offset:420
	buffer_load_dword v114, off, s[0:3], 0 offset:416
	ds_read_b64 v[116:117], v112 offset:848
	s_waitcnt vmcnt(0) lgkmcnt(0)
	v_fmac_f64_e32 v[110:111], v[114:115], v[116:117]
	v_add_f64 v[108:109], v[108:109], -v[110:111]
	buffer_store_dword v109, off, s[0:3], 0 offset:140
	buffer_store_dword v108, off, s[0:3], 0 offset:136
	s_and_saveexec_b64 s[4:5], vcc
	s_cbranch_execz .LBB52_293
; %bb.292:
	buffer_load_dword v108, off, s[0:3], 0 offset:128
	buffer_load_dword v109, off, s[0:3], 0 offset:132
	s_waitcnt vmcnt(0)
	ds_write_b64 v1, v[108:109]
	buffer_store_dword v112, off, s[0:3], 0 offset:128
	buffer_store_dword v112, off, s[0:3], 0 offset:132
.LBB52_293:
	s_or_b64 exec, exec, s[4:5]
	s_waitcnt lgkmcnt(0)
	; wave barrier
	s_waitcnt lgkmcnt(0)
	buffer_load_dword v108, off, s[0:3], 0 offset:128
	buffer_load_dword v109, off, s[0:3], 0 offset:132
	;; [unrolled: 1-line block ×16, first 2 shown]
	ds_read2_b64 v[114:117], v112 offset0:71 offset1:72
	v_cmp_lt_u32_e32 vcc, 15, v0
	s_waitcnt vmcnt(12) lgkmcnt(0)
	v_fma_f64 v[110:111], v[110:111], v[114:115], 0
	s_waitcnt vmcnt(10)
	v_fmac_f64_e32 v[110:111], v[118:119], v[116:117]
	ds_read2_b64 v[114:117], v112 offset0:73 offset1:74
	s_waitcnt vmcnt(8) lgkmcnt(0)
	v_fmac_f64_e32 v[110:111], v[120:121], v[114:115]
	s_waitcnt vmcnt(6)
	v_fmac_f64_e32 v[110:111], v[122:123], v[116:117]
	ds_read2_b64 v[114:117], v112 offset0:75 offset1:76
	s_waitcnt vmcnt(4) lgkmcnt(0)
	v_fmac_f64_e32 v[110:111], v[124:125], v[114:115]
	;; [unrolled: 5-line block ×3, first 2 shown]
	buffer_load_dword v115, off, s[0:3], 0 offset:196
	buffer_load_dword v114, off, s[0:3], 0 offset:192
	buffer_load_dword v119, off, s[0:3], 0 offset:204
	buffer_load_dword v118, off, s[0:3], 0 offset:200
	s_waitcnt vmcnt(2)
	v_fmac_f64_e32 v[110:111], v[114:115], v[116:117]
	ds_read2_b64 v[114:117], v112 offset0:79 offset1:80
	s_waitcnt vmcnt(0) lgkmcnt(0)
	v_fmac_f64_e32 v[110:111], v[118:119], v[114:115]
	buffer_load_dword v115, off, s[0:3], 0 offset:212
	buffer_load_dword v114, off, s[0:3], 0 offset:208
	buffer_load_dword v119, off, s[0:3], 0 offset:220
	buffer_load_dword v118, off, s[0:3], 0 offset:216
	s_waitcnt vmcnt(2)
	v_fmac_f64_e32 v[110:111], v[114:115], v[116:117]
	ds_read2_b64 v[114:117], v112 offset0:81 offset1:82
	s_waitcnt vmcnt(0) lgkmcnt(0)
	v_fmac_f64_e32 v[110:111], v[118:119], v[114:115]
	;; [unrolled: 9-line block ×13, first 2 shown]
	buffer_load_dword v115, off, s[0:3], 0 offset:404
	buffer_load_dword v114, off, s[0:3], 0 offset:400
	s_waitcnt vmcnt(0)
	v_fmac_f64_e32 v[110:111], v[114:115], v[116:117]
	buffer_load_dword v117, off, s[0:3], 0 offset:412
	buffer_load_dword v116, off, s[0:3], 0 offset:408
	ds_read2_b64 v[112:115], v112 offset0:105 offset1:106
	s_waitcnt vmcnt(0) lgkmcnt(0)
	v_fmac_f64_e32 v[110:111], v[116:117], v[112:113]
	buffer_load_dword v113, off, s[0:3], 0 offset:420
	buffer_load_dword v112, off, s[0:3], 0 offset:416
	s_waitcnt vmcnt(0)
	v_fmac_f64_e32 v[110:111], v[112:113], v[114:115]
	v_add_f64 v[108:109], v[108:109], -v[110:111]
	buffer_store_dword v109, off, s[0:3], 0 offset:132
	buffer_store_dword v108, off, s[0:3], 0 offset:128
	s_and_saveexec_b64 s[4:5], vcc
	s_cbranch_execz .LBB52_295
; %bb.294:
	buffer_load_dword v108, off, s[0:3], 0 offset:120
	buffer_load_dword v109, off, s[0:3], 0 offset:124
	v_mov_b32_e32 v110, 0
	buffer_store_dword v110, off, s[0:3], 0 offset:120
	buffer_store_dword v110, off, s[0:3], 0 offset:124
	s_waitcnt vmcnt(2)
	ds_write_b64 v1, v[108:109]
.LBB52_295:
	s_or_b64 exec, exec, s[4:5]
	s_waitcnt lgkmcnt(0)
	; wave barrier
	s_waitcnt lgkmcnt(0)
	buffer_load_dword v108, off, s[0:3], 0 offset:120
	buffer_load_dword v109, off, s[0:3], 0 offset:124
	;; [unrolled: 1-line block ×16, first 2 shown]
	v_mov_b32_e32 v112, 0
	ds_read_b128 v[114:117], v112 offset:560
	ds_read_b128 v[118:121], v112 offset:576
	;; [unrolled: 1-line block ×4, first 2 shown]
	v_cmp_lt_u32_e32 vcc, 14, v0
	s_waitcnt vmcnt(12) lgkmcnt(3)
	v_fma_f64 v[110:111], v[110:111], v[114:115], 0
	buffer_load_dword v115, off, s[0:3], 0 offset:188
	buffer_load_dword v114, off, s[0:3], 0 offset:184
	s_waitcnt vmcnt(12)
	v_fmac_f64_e32 v[110:111], v[130:131], v[116:117]
	s_waitcnt vmcnt(10) lgkmcnt(2)
	v_fmac_f64_e32 v[110:111], v[132:133], v[118:119]
	buffer_load_dword v119, off, s[0:3], 0 offset:196
	buffer_load_dword v118, off, s[0:3], 0 offset:192
	s_waitcnt vmcnt(10)
	v_fmac_f64_e32 v[110:111], v[134:135], v[120:121]
	s_waitcnt vmcnt(8) lgkmcnt(1)
	v_fmac_f64_e32 v[110:111], v[136:137], v[122:123]
	s_waitcnt vmcnt(6)
	v_fmac_f64_e32 v[110:111], v[138:139], v[124:125]
	s_waitcnt vmcnt(4) lgkmcnt(0)
	v_fmac_f64_e32 v[110:111], v[140:141], v[126:127]
	s_waitcnt vmcnt(2)
	v_fmac_f64_e32 v[110:111], v[114:115], v[128:129]
	ds_read_b128 v[114:117], v112 offset:624
	s_waitcnt vmcnt(0) lgkmcnt(0)
	v_fmac_f64_e32 v[110:111], v[118:119], v[114:115]
	buffer_load_dword v115, off, s[0:3], 0 offset:204
	buffer_load_dword v114, off, s[0:3], 0 offset:200
	buffer_load_dword v119, off, s[0:3], 0 offset:212
	buffer_load_dword v118, off, s[0:3], 0 offset:208
	s_waitcnt vmcnt(2)
	v_fmac_f64_e32 v[110:111], v[114:115], v[116:117]
	ds_read_b128 v[114:117], v112 offset:640
	s_waitcnt vmcnt(0) lgkmcnt(0)
	v_fmac_f64_e32 v[110:111], v[118:119], v[114:115]
	buffer_load_dword v115, off, s[0:3], 0 offset:220
	buffer_load_dword v114, off, s[0:3], 0 offset:216
	buffer_load_dword v119, off, s[0:3], 0 offset:228
	buffer_load_dword v118, off, s[0:3], 0 offset:224
	;; [unrolled: 9-line block ×13, first 2 shown]
	s_waitcnt vmcnt(2)
	v_fmac_f64_e32 v[110:111], v[114:115], v[116:117]
	ds_read_b128 v[114:117], v112 offset:832
	s_waitcnt vmcnt(0) lgkmcnt(0)
	v_fmac_f64_e32 v[110:111], v[118:119], v[114:115]
	buffer_load_dword v115, off, s[0:3], 0 offset:412
	buffer_load_dword v114, off, s[0:3], 0 offset:408
	s_waitcnt vmcnt(0)
	v_fmac_f64_e32 v[110:111], v[114:115], v[116:117]
	buffer_load_dword v115, off, s[0:3], 0 offset:420
	buffer_load_dword v114, off, s[0:3], 0 offset:416
	ds_read_b64 v[116:117], v112 offset:848
	s_waitcnt vmcnt(0) lgkmcnt(0)
	v_fmac_f64_e32 v[110:111], v[114:115], v[116:117]
	v_add_f64 v[108:109], v[108:109], -v[110:111]
	buffer_store_dword v109, off, s[0:3], 0 offset:124
	buffer_store_dword v108, off, s[0:3], 0 offset:120
	s_and_saveexec_b64 s[4:5], vcc
	s_cbranch_execz .LBB52_297
; %bb.296:
	buffer_load_dword v108, off, s[0:3], 0 offset:112
	buffer_load_dword v109, off, s[0:3], 0 offset:116
	s_waitcnt vmcnt(0)
	ds_write_b64 v1, v[108:109]
	buffer_store_dword v112, off, s[0:3], 0 offset:112
	buffer_store_dword v112, off, s[0:3], 0 offset:116
.LBB52_297:
	s_or_b64 exec, exec, s[4:5]
	s_waitcnt lgkmcnt(0)
	; wave barrier
	s_waitcnt lgkmcnt(0)
	buffer_load_dword v108, off, s[0:3], 0 offset:112
	buffer_load_dword v109, off, s[0:3], 0 offset:116
	;; [unrolled: 1-line block ×16, first 2 shown]
	ds_read2_b64 v[114:117], v112 offset0:69 offset1:70
	v_cmp_lt_u32_e32 vcc, 13, v0
	s_waitcnt vmcnt(12) lgkmcnt(0)
	v_fma_f64 v[110:111], v[110:111], v[114:115], 0
	s_waitcnt vmcnt(10)
	v_fmac_f64_e32 v[110:111], v[118:119], v[116:117]
	ds_read2_b64 v[114:117], v112 offset0:71 offset1:72
	s_waitcnt vmcnt(8) lgkmcnt(0)
	v_fmac_f64_e32 v[110:111], v[120:121], v[114:115]
	s_waitcnt vmcnt(6)
	v_fmac_f64_e32 v[110:111], v[122:123], v[116:117]
	ds_read2_b64 v[114:117], v112 offset0:73 offset1:74
	s_waitcnt vmcnt(4) lgkmcnt(0)
	v_fmac_f64_e32 v[110:111], v[124:125], v[114:115]
	;; [unrolled: 5-line block ×3, first 2 shown]
	buffer_load_dword v115, off, s[0:3], 0 offset:180
	buffer_load_dword v114, off, s[0:3], 0 offset:176
	buffer_load_dword v119, off, s[0:3], 0 offset:188
	buffer_load_dword v118, off, s[0:3], 0 offset:184
	s_waitcnt vmcnt(2)
	v_fmac_f64_e32 v[110:111], v[114:115], v[116:117]
	ds_read2_b64 v[114:117], v112 offset0:77 offset1:78
	s_waitcnt vmcnt(0) lgkmcnt(0)
	v_fmac_f64_e32 v[110:111], v[118:119], v[114:115]
	buffer_load_dword v115, off, s[0:3], 0 offset:196
	buffer_load_dword v114, off, s[0:3], 0 offset:192
	buffer_load_dword v119, off, s[0:3], 0 offset:204
	buffer_load_dword v118, off, s[0:3], 0 offset:200
	s_waitcnt vmcnt(2)
	v_fmac_f64_e32 v[110:111], v[114:115], v[116:117]
	ds_read2_b64 v[114:117], v112 offset0:79 offset1:80
	s_waitcnt vmcnt(0) lgkmcnt(0)
	v_fmac_f64_e32 v[110:111], v[118:119], v[114:115]
	;; [unrolled: 9-line block ×14, first 2 shown]
	buffer_load_dword v115, off, s[0:3], 0 offset:404
	buffer_load_dword v114, off, s[0:3], 0 offset:400
	s_waitcnt vmcnt(0)
	v_fmac_f64_e32 v[110:111], v[114:115], v[116:117]
	buffer_load_dword v117, off, s[0:3], 0 offset:412
	buffer_load_dword v116, off, s[0:3], 0 offset:408
	ds_read2_b64 v[112:115], v112 offset0:105 offset1:106
	s_waitcnt vmcnt(0) lgkmcnt(0)
	v_fmac_f64_e32 v[110:111], v[116:117], v[112:113]
	buffer_load_dword v113, off, s[0:3], 0 offset:420
	buffer_load_dword v112, off, s[0:3], 0 offset:416
	s_waitcnt vmcnt(0)
	v_fmac_f64_e32 v[110:111], v[112:113], v[114:115]
	v_add_f64 v[108:109], v[108:109], -v[110:111]
	buffer_store_dword v109, off, s[0:3], 0 offset:116
	buffer_store_dword v108, off, s[0:3], 0 offset:112
	s_and_saveexec_b64 s[4:5], vcc
	s_cbranch_execz .LBB52_299
; %bb.298:
	buffer_load_dword v108, off, s[0:3], 0 offset:104
	buffer_load_dword v109, off, s[0:3], 0 offset:108
	v_mov_b32_e32 v110, 0
	buffer_store_dword v110, off, s[0:3], 0 offset:104
	buffer_store_dword v110, off, s[0:3], 0 offset:108
	s_waitcnt vmcnt(2)
	ds_write_b64 v1, v[108:109]
.LBB52_299:
	s_or_b64 exec, exec, s[4:5]
	s_waitcnt lgkmcnt(0)
	; wave barrier
	s_waitcnt lgkmcnt(0)
	buffer_load_dword v108, off, s[0:3], 0 offset:104
	buffer_load_dword v109, off, s[0:3], 0 offset:108
	buffer_load_dword v110, off, s[0:3], 0 offset:112
	buffer_load_dword v111, off, s[0:3], 0 offset:116
	buffer_load_dword v130, off, s[0:3], 0 offset:120
	buffer_load_dword v131, off, s[0:3], 0 offset:124
	buffer_load_dword v132, off, s[0:3], 0 offset:128
	buffer_load_dword v133, off, s[0:3], 0 offset:132
	buffer_load_dword v134, off, s[0:3], 0 offset:136
	buffer_load_dword v135, off, s[0:3], 0 offset:140
	buffer_load_dword v136, off, s[0:3], 0 offset:144
	buffer_load_dword v137, off, s[0:3], 0 offset:148
	buffer_load_dword v138, off, s[0:3], 0 offset:152
	buffer_load_dword v139, off, s[0:3], 0 offset:156
	buffer_load_dword v140, off, s[0:3], 0 offset:160
	buffer_load_dword v141, off, s[0:3], 0 offset:164
	v_mov_b32_e32 v112, 0
	ds_read_b128 v[114:117], v112 offset:544
	ds_read_b128 v[118:121], v112 offset:560
	;; [unrolled: 1-line block ×4, first 2 shown]
	v_cmp_lt_u32_e32 vcc, 12, v0
	s_waitcnt vmcnt(12) lgkmcnt(3)
	v_fma_f64 v[110:111], v[110:111], v[114:115], 0
	buffer_load_dword v115, off, s[0:3], 0 offset:172
	buffer_load_dword v114, off, s[0:3], 0 offset:168
	s_waitcnt vmcnt(12)
	v_fmac_f64_e32 v[110:111], v[130:131], v[116:117]
	s_waitcnt vmcnt(10) lgkmcnt(2)
	v_fmac_f64_e32 v[110:111], v[132:133], v[118:119]
	buffer_load_dword v119, off, s[0:3], 0 offset:180
	buffer_load_dword v118, off, s[0:3], 0 offset:176
	s_waitcnt vmcnt(10)
	v_fmac_f64_e32 v[110:111], v[134:135], v[120:121]
	s_waitcnt vmcnt(8) lgkmcnt(1)
	v_fmac_f64_e32 v[110:111], v[136:137], v[122:123]
	s_waitcnt vmcnt(6)
	v_fmac_f64_e32 v[110:111], v[138:139], v[124:125]
	s_waitcnt vmcnt(4) lgkmcnt(0)
	v_fmac_f64_e32 v[110:111], v[140:141], v[126:127]
	s_waitcnt vmcnt(2)
	v_fmac_f64_e32 v[110:111], v[114:115], v[128:129]
	ds_read_b128 v[114:117], v112 offset:608
	s_waitcnt vmcnt(0) lgkmcnt(0)
	v_fmac_f64_e32 v[110:111], v[118:119], v[114:115]
	buffer_load_dword v115, off, s[0:3], 0 offset:188
	buffer_load_dword v114, off, s[0:3], 0 offset:184
	buffer_load_dword v119, off, s[0:3], 0 offset:196
	buffer_load_dword v118, off, s[0:3], 0 offset:192
	s_waitcnt vmcnt(2)
	v_fmac_f64_e32 v[110:111], v[114:115], v[116:117]
	ds_read_b128 v[114:117], v112 offset:624
	s_waitcnt vmcnt(0) lgkmcnt(0)
	v_fmac_f64_e32 v[110:111], v[118:119], v[114:115]
	buffer_load_dword v115, off, s[0:3], 0 offset:204
	buffer_load_dword v114, off, s[0:3], 0 offset:200
	buffer_load_dword v119, off, s[0:3], 0 offset:212
	buffer_load_dword v118, off, s[0:3], 0 offset:208
	s_waitcnt vmcnt(2)
	v_fmac_f64_e32 v[110:111], v[114:115], v[116:117]
	ds_read_b128 v[114:117], v112 offset:640
	s_waitcnt vmcnt(0) lgkmcnt(0)
	v_fmac_f64_e32 v[110:111], v[118:119], v[114:115]
	buffer_load_dword v115, off, s[0:3], 0 offset:220
	buffer_load_dword v114, off, s[0:3], 0 offset:216
	buffer_load_dword v119, off, s[0:3], 0 offset:228
	buffer_load_dword v118, off, s[0:3], 0 offset:224
	s_waitcnt vmcnt(2)
	v_fmac_f64_e32 v[110:111], v[114:115], v[116:117]
	ds_read_b128 v[114:117], v112 offset:656
	s_waitcnt vmcnt(0) lgkmcnt(0)
	v_fmac_f64_e32 v[110:111], v[118:119], v[114:115]
	buffer_load_dword v115, off, s[0:3], 0 offset:236
	buffer_load_dword v114, off, s[0:3], 0 offset:232
	buffer_load_dword v119, off, s[0:3], 0 offset:244
	buffer_load_dword v118, off, s[0:3], 0 offset:240
	s_waitcnt vmcnt(2)
	v_fmac_f64_e32 v[110:111], v[114:115], v[116:117]
	ds_read_b128 v[114:117], v112 offset:672
	s_waitcnt vmcnt(0) lgkmcnt(0)
	v_fmac_f64_e32 v[110:111], v[118:119], v[114:115]
	buffer_load_dword v115, off, s[0:3], 0 offset:252
	buffer_load_dword v114, off, s[0:3], 0 offset:248
	buffer_load_dword v119, off, s[0:3], 0 offset:260
	buffer_load_dword v118, off, s[0:3], 0 offset:256
	s_waitcnt vmcnt(2)
	v_fmac_f64_e32 v[110:111], v[114:115], v[116:117]
	ds_read_b128 v[114:117], v112 offset:688
	s_waitcnt vmcnt(0) lgkmcnt(0)
	v_fmac_f64_e32 v[110:111], v[118:119], v[114:115]
	buffer_load_dword v115, off, s[0:3], 0 offset:268
	buffer_load_dword v114, off, s[0:3], 0 offset:264
	buffer_load_dword v119, off, s[0:3], 0 offset:276
	buffer_load_dword v118, off, s[0:3], 0 offset:272
	s_waitcnt vmcnt(2)
	v_fmac_f64_e32 v[110:111], v[114:115], v[116:117]
	ds_read_b128 v[114:117], v112 offset:704
	s_waitcnt vmcnt(0) lgkmcnt(0)
	v_fmac_f64_e32 v[110:111], v[118:119], v[114:115]
	buffer_load_dword v115, off, s[0:3], 0 offset:284
	buffer_load_dword v114, off, s[0:3], 0 offset:280
	buffer_load_dword v119, off, s[0:3], 0 offset:292
	buffer_load_dword v118, off, s[0:3], 0 offset:288
	s_waitcnt vmcnt(2)
	v_fmac_f64_e32 v[110:111], v[114:115], v[116:117]
	ds_read_b128 v[114:117], v112 offset:720
	s_waitcnt vmcnt(0) lgkmcnt(0)
	v_fmac_f64_e32 v[110:111], v[118:119], v[114:115]
	buffer_load_dword v115, off, s[0:3], 0 offset:300
	buffer_load_dword v114, off, s[0:3], 0 offset:296
	buffer_load_dword v119, off, s[0:3], 0 offset:308
	buffer_load_dword v118, off, s[0:3], 0 offset:304
	s_waitcnt vmcnt(2)
	v_fmac_f64_e32 v[110:111], v[114:115], v[116:117]
	ds_read_b128 v[114:117], v112 offset:736
	s_waitcnt vmcnt(0) lgkmcnt(0)
	v_fmac_f64_e32 v[110:111], v[118:119], v[114:115]
	buffer_load_dword v115, off, s[0:3], 0 offset:316
	buffer_load_dword v114, off, s[0:3], 0 offset:312
	buffer_load_dword v119, off, s[0:3], 0 offset:324
	buffer_load_dword v118, off, s[0:3], 0 offset:320
	s_waitcnt vmcnt(2)
	v_fmac_f64_e32 v[110:111], v[114:115], v[116:117]
	ds_read_b128 v[114:117], v112 offset:752
	s_waitcnt vmcnt(0) lgkmcnt(0)
	v_fmac_f64_e32 v[110:111], v[118:119], v[114:115]
	buffer_load_dword v115, off, s[0:3], 0 offset:332
	buffer_load_dword v114, off, s[0:3], 0 offset:328
	buffer_load_dword v119, off, s[0:3], 0 offset:340
	buffer_load_dword v118, off, s[0:3], 0 offset:336
	s_waitcnt vmcnt(2)
	v_fmac_f64_e32 v[110:111], v[114:115], v[116:117]
	ds_read_b128 v[114:117], v112 offset:768
	s_waitcnt vmcnt(0) lgkmcnt(0)
	v_fmac_f64_e32 v[110:111], v[118:119], v[114:115]
	buffer_load_dword v115, off, s[0:3], 0 offset:348
	buffer_load_dword v114, off, s[0:3], 0 offset:344
	buffer_load_dword v119, off, s[0:3], 0 offset:356
	buffer_load_dword v118, off, s[0:3], 0 offset:352
	s_waitcnt vmcnt(2)
	v_fmac_f64_e32 v[110:111], v[114:115], v[116:117]
	ds_read_b128 v[114:117], v112 offset:784
	s_waitcnt vmcnt(0) lgkmcnt(0)
	v_fmac_f64_e32 v[110:111], v[118:119], v[114:115]
	buffer_load_dword v115, off, s[0:3], 0 offset:364
	buffer_load_dword v114, off, s[0:3], 0 offset:360
	buffer_load_dword v119, off, s[0:3], 0 offset:372
	buffer_load_dword v118, off, s[0:3], 0 offset:368
	s_waitcnt vmcnt(2)
	v_fmac_f64_e32 v[110:111], v[114:115], v[116:117]
	ds_read_b128 v[114:117], v112 offset:800
	s_waitcnt vmcnt(0) lgkmcnt(0)
	v_fmac_f64_e32 v[110:111], v[118:119], v[114:115]
	buffer_load_dword v115, off, s[0:3], 0 offset:380
	buffer_load_dword v114, off, s[0:3], 0 offset:376
	buffer_load_dword v119, off, s[0:3], 0 offset:388
	buffer_load_dword v118, off, s[0:3], 0 offset:384
	s_waitcnt vmcnt(2)
	v_fmac_f64_e32 v[110:111], v[114:115], v[116:117]
	ds_read_b128 v[114:117], v112 offset:816
	s_waitcnt vmcnt(0) lgkmcnt(0)
	v_fmac_f64_e32 v[110:111], v[118:119], v[114:115]
	buffer_load_dword v115, off, s[0:3], 0 offset:396
	buffer_load_dword v114, off, s[0:3], 0 offset:392
	buffer_load_dword v119, off, s[0:3], 0 offset:404
	buffer_load_dword v118, off, s[0:3], 0 offset:400
	s_waitcnt vmcnt(2)
	v_fmac_f64_e32 v[110:111], v[114:115], v[116:117]
	ds_read_b128 v[114:117], v112 offset:832
	s_waitcnt vmcnt(0) lgkmcnt(0)
	v_fmac_f64_e32 v[110:111], v[118:119], v[114:115]
	buffer_load_dword v115, off, s[0:3], 0 offset:412
	buffer_load_dword v114, off, s[0:3], 0 offset:408
	s_waitcnt vmcnt(0)
	v_fmac_f64_e32 v[110:111], v[114:115], v[116:117]
	buffer_load_dword v115, off, s[0:3], 0 offset:420
	buffer_load_dword v114, off, s[0:3], 0 offset:416
	ds_read_b64 v[116:117], v112 offset:848
	s_waitcnt vmcnt(0) lgkmcnt(0)
	v_fmac_f64_e32 v[110:111], v[114:115], v[116:117]
	v_add_f64 v[108:109], v[108:109], -v[110:111]
	buffer_store_dword v109, off, s[0:3], 0 offset:108
	buffer_store_dword v108, off, s[0:3], 0 offset:104
	s_and_saveexec_b64 s[4:5], vcc
	s_cbranch_execz .LBB52_301
; %bb.300:
	buffer_load_dword v108, off, s[0:3], 0 offset:96
	buffer_load_dword v109, off, s[0:3], 0 offset:100
	s_waitcnt vmcnt(0)
	ds_write_b64 v1, v[108:109]
	buffer_store_dword v112, off, s[0:3], 0 offset:96
	buffer_store_dword v112, off, s[0:3], 0 offset:100
.LBB52_301:
	s_or_b64 exec, exec, s[4:5]
	s_waitcnt lgkmcnt(0)
	; wave barrier
	s_waitcnt lgkmcnt(0)
	buffer_load_dword v108, off, s[0:3], 0 offset:96
	buffer_load_dword v109, off, s[0:3], 0 offset:100
	;; [unrolled: 1-line block ×16, first 2 shown]
	ds_read2_b64 v[114:117], v112 offset0:67 offset1:68
	v_cmp_lt_u32_e32 vcc, 11, v0
	s_waitcnt vmcnt(12) lgkmcnt(0)
	v_fma_f64 v[110:111], v[110:111], v[114:115], 0
	s_waitcnt vmcnt(10)
	v_fmac_f64_e32 v[110:111], v[118:119], v[116:117]
	ds_read2_b64 v[114:117], v112 offset0:69 offset1:70
	s_waitcnt vmcnt(8) lgkmcnt(0)
	v_fmac_f64_e32 v[110:111], v[120:121], v[114:115]
	s_waitcnt vmcnt(6)
	v_fmac_f64_e32 v[110:111], v[122:123], v[116:117]
	ds_read2_b64 v[114:117], v112 offset0:71 offset1:72
	s_waitcnt vmcnt(4) lgkmcnt(0)
	v_fmac_f64_e32 v[110:111], v[124:125], v[114:115]
	s_waitcnt vmcnt(2)
	v_fmac_f64_e32 v[110:111], v[126:127], v[116:117]
	ds_read2_b64 v[114:117], v112 offset0:73 offset1:74
	s_waitcnt vmcnt(0) lgkmcnt(0)
	v_fmac_f64_e32 v[110:111], v[128:129], v[114:115]
	buffer_load_dword v115, off, s[0:3], 0 offset:164
	buffer_load_dword v114, off, s[0:3], 0 offset:160
	buffer_load_dword v119, off, s[0:3], 0 offset:172
	buffer_load_dword v118, off, s[0:3], 0 offset:168
	s_waitcnt vmcnt(2)
	v_fmac_f64_e32 v[110:111], v[114:115], v[116:117]
	ds_read2_b64 v[114:117], v112 offset0:75 offset1:76
	s_waitcnt vmcnt(0) lgkmcnt(0)
	v_fmac_f64_e32 v[110:111], v[118:119], v[114:115]
	buffer_load_dword v115, off, s[0:3], 0 offset:180
	buffer_load_dword v114, off, s[0:3], 0 offset:176
	buffer_load_dword v119, off, s[0:3], 0 offset:188
	buffer_load_dword v118, off, s[0:3], 0 offset:184
	s_waitcnt vmcnt(2)
	v_fmac_f64_e32 v[110:111], v[114:115], v[116:117]
	ds_read2_b64 v[114:117], v112 offset0:77 offset1:78
	s_waitcnt vmcnt(0) lgkmcnt(0)
	v_fmac_f64_e32 v[110:111], v[118:119], v[114:115]
	;; [unrolled: 9-line block ×15, first 2 shown]
	buffer_load_dword v115, off, s[0:3], 0 offset:404
	buffer_load_dword v114, off, s[0:3], 0 offset:400
	s_waitcnt vmcnt(0)
	v_fmac_f64_e32 v[110:111], v[114:115], v[116:117]
	buffer_load_dword v117, off, s[0:3], 0 offset:412
	buffer_load_dword v116, off, s[0:3], 0 offset:408
	ds_read2_b64 v[112:115], v112 offset0:105 offset1:106
	s_waitcnt vmcnt(0) lgkmcnt(0)
	v_fmac_f64_e32 v[110:111], v[116:117], v[112:113]
	buffer_load_dword v113, off, s[0:3], 0 offset:420
	buffer_load_dword v112, off, s[0:3], 0 offset:416
	s_waitcnt vmcnt(0)
	v_fmac_f64_e32 v[110:111], v[112:113], v[114:115]
	v_add_f64 v[108:109], v[108:109], -v[110:111]
	buffer_store_dword v109, off, s[0:3], 0 offset:100
	buffer_store_dword v108, off, s[0:3], 0 offset:96
	s_and_saveexec_b64 s[4:5], vcc
	s_cbranch_execz .LBB52_303
; %bb.302:
	buffer_load_dword v108, off, s[0:3], 0 offset:88
	buffer_load_dword v109, off, s[0:3], 0 offset:92
	v_mov_b32_e32 v110, 0
	buffer_store_dword v110, off, s[0:3], 0 offset:88
	buffer_store_dword v110, off, s[0:3], 0 offset:92
	s_waitcnt vmcnt(2)
	ds_write_b64 v1, v[108:109]
.LBB52_303:
	s_or_b64 exec, exec, s[4:5]
	s_waitcnt lgkmcnt(0)
	; wave barrier
	s_waitcnt lgkmcnt(0)
	buffer_load_dword v108, off, s[0:3], 0 offset:88
	buffer_load_dword v109, off, s[0:3], 0 offset:92
	;; [unrolled: 1-line block ×16, first 2 shown]
	v_mov_b32_e32 v112, 0
	ds_read_b128 v[114:117], v112 offset:528
	ds_read_b128 v[118:121], v112 offset:544
	;; [unrolled: 1-line block ×4, first 2 shown]
	v_cmp_lt_u32_e32 vcc, 10, v0
	s_waitcnt vmcnt(12) lgkmcnt(3)
	v_fma_f64 v[110:111], v[110:111], v[114:115], 0
	buffer_load_dword v115, off, s[0:3], 0 offset:156
	buffer_load_dword v114, off, s[0:3], 0 offset:152
	s_waitcnt vmcnt(12)
	v_fmac_f64_e32 v[110:111], v[130:131], v[116:117]
	s_waitcnt vmcnt(10) lgkmcnt(2)
	v_fmac_f64_e32 v[110:111], v[132:133], v[118:119]
	buffer_load_dword v119, off, s[0:3], 0 offset:164
	buffer_load_dword v118, off, s[0:3], 0 offset:160
	s_waitcnt vmcnt(10)
	v_fmac_f64_e32 v[110:111], v[134:135], v[120:121]
	s_waitcnt vmcnt(8) lgkmcnt(1)
	v_fmac_f64_e32 v[110:111], v[136:137], v[122:123]
	s_waitcnt vmcnt(6)
	v_fmac_f64_e32 v[110:111], v[138:139], v[124:125]
	s_waitcnt vmcnt(4) lgkmcnt(0)
	v_fmac_f64_e32 v[110:111], v[140:141], v[126:127]
	s_waitcnt vmcnt(2)
	v_fmac_f64_e32 v[110:111], v[114:115], v[128:129]
	ds_read_b128 v[114:117], v112 offset:592
	s_waitcnt vmcnt(0) lgkmcnt(0)
	v_fmac_f64_e32 v[110:111], v[118:119], v[114:115]
	buffer_load_dword v115, off, s[0:3], 0 offset:172
	buffer_load_dword v114, off, s[0:3], 0 offset:168
	buffer_load_dword v119, off, s[0:3], 0 offset:180
	buffer_load_dword v118, off, s[0:3], 0 offset:176
	s_waitcnt vmcnt(2)
	v_fmac_f64_e32 v[110:111], v[114:115], v[116:117]
	ds_read_b128 v[114:117], v112 offset:608
	s_waitcnt vmcnt(0) lgkmcnt(0)
	v_fmac_f64_e32 v[110:111], v[118:119], v[114:115]
	buffer_load_dword v115, off, s[0:3], 0 offset:188
	buffer_load_dword v114, off, s[0:3], 0 offset:184
	buffer_load_dword v119, off, s[0:3], 0 offset:196
	buffer_load_dword v118, off, s[0:3], 0 offset:192
	;; [unrolled: 9-line block ×15, first 2 shown]
	s_waitcnt vmcnt(2)
	v_fmac_f64_e32 v[110:111], v[114:115], v[116:117]
	ds_read_b128 v[114:117], v112 offset:832
	s_waitcnt vmcnt(0) lgkmcnt(0)
	v_fmac_f64_e32 v[110:111], v[118:119], v[114:115]
	buffer_load_dword v115, off, s[0:3], 0 offset:412
	buffer_load_dword v114, off, s[0:3], 0 offset:408
	s_waitcnt vmcnt(0)
	v_fmac_f64_e32 v[110:111], v[114:115], v[116:117]
	buffer_load_dword v115, off, s[0:3], 0 offset:420
	buffer_load_dword v114, off, s[0:3], 0 offset:416
	ds_read_b64 v[116:117], v112 offset:848
	s_waitcnt vmcnt(0) lgkmcnt(0)
	v_fmac_f64_e32 v[110:111], v[114:115], v[116:117]
	v_add_f64 v[108:109], v[108:109], -v[110:111]
	buffer_store_dword v109, off, s[0:3], 0 offset:92
	buffer_store_dword v108, off, s[0:3], 0 offset:88
	s_and_saveexec_b64 s[4:5], vcc
	s_cbranch_execz .LBB52_305
; %bb.304:
	buffer_load_dword v108, off, s[0:3], 0 offset:80
	buffer_load_dword v109, off, s[0:3], 0 offset:84
	s_waitcnt vmcnt(0)
	ds_write_b64 v1, v[108:109]
	buffer_store_dword v112, off, s[0:3], 0 offset:80
	buffer_store_dword v112, off, s[0:3], 0 offset:84
.LBB52_305:
	s_or_b64 exec, exec, s[4:5]
	s_waitcnt lgkmcnt(0)
	; wave barrier
	s_waitcnt lgkmcnt(0)
	buffer_load_dword v108, off, s[0:3], 0 offset:80
	buffer_load_dword v109, off, s[0:3], 0 offset:84
	;; [unrolled: 1-line block ×16, first 2 shown]
	ds_read2_b64 v[114:117], v112 offset0:65 offset1:66
	v_cmp_lt_u32_e32 vcc, 9, v0
	s_waitcnt vmcnt(12) lgkmcnt(0)
	v_fma_f64 v[110:111], v[110:111], v[114:115], 0
	s_waitcnt vmcnt(10)
	v_fmac_f64_e32 v[110:111], v[118:119], v[116:117]
	ds_read2_b64 v[114:117], v112 offset0:67 offset1:68
	s_waitcnt vmcnt(8) lgkmcnt(0)
	v_fmac_f64_e32 v[110:111], v[120:121], v[114:115]
	s_waitcnt vmcnt(6)
	v_fmac_f64_e32 v[110:111], v[122:123], v[116:117]
	ds_read2_b64 v[114:117], v112 offset0:69 offset1:70
	s_waitcnt vmcnt(4) lgkmcnt(0)
	v_fmac_f64_e32 v[110:111], v[124:125], v[114:115]
	;; [unrolled: 5-line block ×3, first 2 shown]
	buffer_load_dword v115, off, s[0:3], 0 offset:148
	buffer_load_dword v114, off, s[0:3], 0 offset:144
	buffer_load_dword v119, off, s[0:3], 0 offset:156
	buffer_load_dword v118, off, s[0:3], 0 offset:152
	s_waitcnt vmcnt(2)
	v_fmac_f64_e32 v[110:111], v[114:115], v[116:117]
	ds_read2_b64 v[114:117], v112 offset0:73 offset1:74
	s_waitcnt vmcnt(0) lgkmcnt(0)
	v_fmac_f64_e32 v[110:111], v[118:119], v[114:115]
	buffer_load_dword v115, off, s[0:3], 0 offset:164
	buffer_load_dword v114, off, s[0:3], 0 offset:160
	buffer_load_dword v119, off, s[0:3], 0 offset:172
	buffer_load_dword v118, off, s[0:3], 0 offset:168
	s_waitcnt vmcnt(2)
	v_fmac_f64_e32 v[110:111], v[114:115], v[116:117]
	ds_read2_b64 v[114:117], v112 offset0:75 offset1:76
	s_waitcnt vmcnt(0) lgkmcnt(0)
	v_fmac_f64_e32 v[110:111], v[118:119], v[114:115]
	;; [unrolled: 9-line block ×16, first 2 shown]
	buffer_load_dword v115, off, s[0:3], 0 offset:404
	buffer_load_dword v114, off, s[0:3], 0 offset:400
	s_waitcnt vmcnt(0)
	v_fmac_f64_e32 v[110:111], v[114:115], v[116:117]
	buffer_load_dword v117, off, s[0:3], 0 offset:412
	buffer_load_dword v116, off, s[0:3], 0 offset:408
	ds_read2_b64 v[112:115], v112 offset0:105 offset1:106
	s_waitcnt vmcnt(0) lgkmcnt(0)
	v_fmac_f64_e32 v[110:111], v[116:117], v[112:113]
	buffer_load_dword v113, off, s[0:3], 0 offset:420
	buffer_load_dword v112, off, s[0:3], 0 offset:416
	s_waitcnt vmcnt(0)
	v_fmac_f64_e32 v[110:111], v[112:113], v[114:115]
	v_add_f64 v[108:109], v[108:109], -v[110:111]
	buffer_store_dword v109, off, s[0:3], 0 offset:84
	buffer_store_dword v108, off, s[0:3], 0 offset:80
	s_and_saveexec_b64 s[4:5], vcc
	s_cbranch_execz .LBB52_307
; %bb.306:
	buffer_load_dword v108, off, s[0:3], 0 offset:72
	buffer_load_dword v109, off, s[0:3], 0 offset:76
	v_mov_b32_e32 v110, 0
	buffer_store_dword v110, off, s[0:3], 0 offset:72
	buffer_store_dword v110, off, s[0:3], 0 offset:76
	s_waitcnt vmcnt(2)
	ds_write_b64 v1, v[108:109]
.LBB52_307:
	s_or_b64 exec, exec, s[4:5]
	s_waitcnt lgkmcnt(0)
	; wave barrier
	s_waitcnt lgkmcnt(0)
	buffer_load_dword v108, off, s[0:3], 0 offset:72
	buffer_load_dword v109, off, s[0:3], 0 offset:76
	;; [unrolled: 1-line block ×16, first 2 shown]
	v_mov_b32_e32 v112, 0
	ds_read_b128 v[114:117], v112 offset:512
	ds_read_b128 v[118:121], v112 offset:528
	;; [unrolled: 1-line block ×4, first 2 shown]
	v_cmp_lt_u32_e32 vcc, 8, v0
	s_waitcnt vmcnt(12) lgkmcnt(3)
	v_fma_f64 v[110:111], v[110:111], v[114:115], 0
	buffer_load_dword v115, off, s[0:3], 0 offset:140
	buffer_load_dword v114, off, s[0:3], 0 offset:136
	s_waitcnt vmcnt(12)
	v_fmac_f64_e32 v[110:111], v[130:131], v[116:117]
	s_waitcnt vmcnt(10) lgkmcnt(2)
	v_fmac_f64_e32 v[110:111], v[132:133], v[118:119]
	buffer_load_dword v119, off, s[0:3], 0 offset:148
	buffer_load_dword v118, off, s[0:3], 0 offset:144
	s_waitcnt vmcnt(10)
	v_fmac_f64_e32 v[110:111], v[134:135], v[120:121]
	s_waitcnt vmcnt(8) lgkmcnt(1)
	v_fmac_f64_e32 v[110:111], v[136:137], v[122:123]
	s_waitcnt vmcnt(6)
	v_fmac_f64_e32 v[110:111], v[138:139], v[124:125]
	s_waitcnt vmcnt(4) lgkmcnt(0)
	v_fmac_f64_e32 v[110:111], v[140:141], v[126:127]
	s_waitcnt vmcnt(2)
	v_fmac_f64_e32 v[110:111], v[114:115], v[128:129]
	ds_read_b128 v[114:117], v112 offset:576
	s_waitcnt vmcnt(0) lgkmcnt(0)
	v_fmac_f64_e32 v[110:111], v[118:119], v[114:115]
	buffer_load_dword v115, off, s[0:3], 0 offset:156
	buffer_load_dword v114, off, s[0:3], 0 offset:152
	buffer_load_dword v119, off, s[0:3], 0 offset:164
	buffer_load_dword v118, off, s[0:3], 0 offset:160
	s_waitcnt vmcnt(2)
	v_fmac_f64_e32 v[110:111], v[114:115], v[116:117]
	ds_read_b128 v[114:117], v112 offset:592
	s_waitcnt vmcnt(0) lgkmcnt(0)
	v_fmac_f64_e32 v[110:111], v[118:119], v[114:115]
	buffer_load_dword v115, off, s[0:3], 0 offset:172
	buffer_load_dword v114, off, s[0:3], 0 offset:168
	buffer_load_dword v119, off, s[0:3], 0 offset:180
	buffer_load_dword v118, off, s[0:3], 0 offset:176
	;; [unrolled: 9-line block ×16, first 2 shown]
	s_waitcnt vmcnt(2)
	v_fmac_f64_e32 v[110:111], v[114:115], v[116:117]
	ds_read_b128 v[114:117], v112 offset:832
	s_waitcnt vmcnt(0) lgkmcnt(0)
	v_fmac_f64_e32 v[110:111], v[118:119], v[114:115]
	buffer_load_dword v115, off, s[0:3], 0 offset:412
	buffer_load_dword v114, off, s[0:3], 0 offset:408
	s_waitcnt vmcnt(0)
	v_fmac_f64_e32 v[110:111], v[114:115], v[116:117]
	buffer_load_dword v115, off, s[0:3], 0 offset:420
	buffer_load_dword v114, off, s[0:3], 0 offset:416
	ds_read_b64 v[116:117], v112 offset:848
	s_waitcnt vmcnt(0) lgkmcnt(0)
	v_fmac_f64_e32 v[110:111], v[114:115], v[116:117]
	v_add_f64 v[108:109], v[108:109], -v[110:111]
	buffer_store_dword v109, off, s[0:3], 0 offset:76
	buffer_store_dword v108, off, s[0:3], 0 offset:72
	s_and_saveexec_b64 s[4:5], vcc
	s_cbranch_execz .LBB52_309
; %bb.308:
	buffer_load_dword v108, off, s[0:3], 0 offset:64
	buffer_load_dword v109, off, s[0:3], 0 offset:68
	s_waitcnt vmcnt(0)
	ds_write_b64 v1, v[108:109]
	buffer_store_dword v112, off, s[0:3], 0 offset:64
	buffer_store_dword v112, off, s[0:3], 0 offset:68
.LBB52_309:
	s_or_b64 exec, exec, s[4:5]
	s_waitcnt lgkmcnt(0)
	; wave barrier
	s_waitcnt lgkmcnt(0)
	buffer_load_dword v108, off, s[0:3], 0 offset:64
	buffer_load_dword v109, off, s[0:3], 0 offset:68
	;; [unrolled: 1-line block ×16, first 2 shown]
	ds_read2_b64 v[114:117], v112 offset0:63 offset1:64
	v_cmp_lt_u32_e32 vcc, 7, v0
	s_waitcnt vmcnt(12) lgkmcnt(0)
	v_fma_f64 v[110:111], v[110:111], v[114:115], 0
	s_waitcnt vmcnt(10)
	v_fmac_f64_e32 v[110:111], v[118:119], v[116:117]
	ds_read2_b64 v[114:117], v112 offset0:65 offset1:66
	s_waitcnt vmcnt(8) lgkmcnt(0)
	v_fmac_f64_e32 v[110:111], v[120:121], v[114:115]
	s_waitcnt vmcnt(6)
	v_fmac_f64_e32 v[110:111], v[122:123], v[116:117]
	ds_read2_b64 v[114:117], v112 offset0:67 offset1:68
	s_waitcnt vmcnt(4) lgkmcnt(0)
	v_fmac_f64_e32 v[110:111], v[124:125], v[114:115]
	;; [unrolled: 5-line block ×3, first 2 shown]
	buffer_load_dword v115, off, s[0:3], 0 offset:132
	buffer_load_dword v114, off, s[0:3], 0 offset:128
	buffer_load_dword v119, off, s[0:3], 0 offset:140
	buffer_load_dword v118, off, s[0:3], 0 offset:136
	s_waitcnt vmcnt(2)
	v_fmac_f64_e32 v[110:111], v[114:115], v[116:117]
	ds_read2_b64 v[114:117], v112 offset0:71 offset1:72
	s_waitcnt vmcnt(0) lgkmcnt(0)
	v_fmac_f64_e32 v[110:111], v[118:119], v[114:115]
	buffer_load_dword v115, off, s[0:3], 0 offset:148
	buffer_load_dword v114, off, s[0:3], 0 offset:144
	buffer_load_dword v119, off, s[0:3], 0 offset:156
	buffer_load_dword v118, off, s[0:3], 0 offset:152
	s_waitcnt vmcnt(2)
	v_fmac_f64_e32 v[110:111], v[114:115], v[116:117]
	ds_read2_b64 v[114:117], v112 offset0:73 offset1:74
	s_waitcnt vmcnt(0) lgkmcnt(0)
	v_fmac_f64_e32 v[110:111], v[118:119], v[114:115]
	;; [unrolled: 9-line block ×17, first 2 shown]
	buffer_load_dword v115, off, s[0:3], 0 offset:404
	buffer_load_dword v114, off, s[0:3], 0 offset:400
	s_waitcnt vmcnt(0)
	v_fmac_f64_e32 v[110:111], v[114:115], v[116:117]
	buffer_load_dword v117, off, s[0:3], 0 offset:412
	buffer_load_dword v116, off, s[0:3], 0 offset:408
	ds_read2_b64 v[112:115], v112 offset0:105 offset1:106
	s_waitcnt vmcnt(0) lgkmcnt(0)
	v_fmac_f64_e32 v[110:111], v[116:117], v[112:113]
	buffer_load_dword v113, off, s[0:3], 0 offset:420
	buffer_load_dword v112, off, s[0:3], 0 offset:416
	s_waitcnt vmcnt(0)
	v_fmac_f64_e32 v[110:111], v[112:113], v[114:115]
	v_add_f64 v[108:109], v[108:109], -v[110:111]
	buffer_store_dword v109, off, s[0:3], 0 offset:68
	buffer_store_dword v108, off, s[0:3], 0 offset:64
	s_and_saveexec_b64 s[4:5], vcc
	s_cbranch_execz .LBB52_311
; %bb.310:
	buffer_load_dword v108, off, s[0:3], 0 offset:56
	buffer_load_dword v109, off, s[0:3], 0 offset:60
	v_mov_b32_e32 v110, 0
	buffer_store_dword v110, off, s[0:3], 0 offset:56
	buffer_store_dword v110, off, s[0:3], 0 offset:60
	s_waitcnt vmcnt(2)
	ds_write_b64 v1, v[108:109]
.LBB52_311:
	s_or_b64 exec, exec, s[4:5]
	s_waitcnt lgkmcnt(0)
	; wave barrier
	s_waitcnt lgkmcnt(0)
	buffer_load_dword v108, off, s[0:3], 0 offset:56
	buffer_load_dword v109, off, s[0:3], 0 offset:60
	;; [unrolled: 1-line block ×16, first 2 shown]
	v_mov_b32_e32 v112, 0
	ds_read_b128 v[114:117], v112 offset:496
	ds_read_b128 v[118:121], v112 offset:512
	;; [unrolled: 1-line block ×4, first 2 shown]
	v_cmp_lt_u32_e32 vcc, 6, v0
	s_waitcnt vmcnt(12) lgkmcnt(3)
	v_fma_f64 v[110:111], v[110:111], v[114:115], 0
	buffer_load_dword v115, off, s[0:3], 0 offset:124
	buffer_load_dword v114, off, s[0:3], 0 offset:120
	s_waitcnt vmcnt(12)
	v_fmac_f64_e32 v[110:111], v[130:131], v[116:117]
	s_waitcnt vmcnt(10) lgkmcnt(2)
	v_fmac_f64_e32 v[110:111], v[132:133], v[118:119]
	buffer_load_dword v119, off, s[0:3], 0 offset:132
	buffer_load_dword v118, off, s[0:3], 0 offset:128
	s_waitcnt vmcnt(10)
	v_fmac_f64_e32 v[110:111], v[134:135], v[120:121]
	s_waitcnt vmcnt(8) lgkmcnt(1)
	v_fmac_f64_e32 v[110:111], v[136:137], v[122:123]
	s_waitcnt vmcnt(6)
	v_fmac_f64_e32 v[110:111], v[138:139], v[124:125]
	s_waitcnt vmcnt(4) lgkmcnt(0)
	v_fmac_f64_e32 v[110:111], v[140:141], v[126:127]
	s_waitcnt vmcnt(2)
	v_fmac_f64_e32 v[110:111], v[114:115], v[128:129]
	ds_read_b128 v[114:117], v112 offset:560
	s_waitcnt vmcnt(0) lgkmcnt(0)
	v_fmac_f64_e32 v[110:111], v[118:119], v[114:115]
	buffer_load_dword v115, off, s[0:3], 0 offset:140
	buffer_load_dword v114, off, s[0:3], 0 offset:136
	buffer_load_dword v119, off, s[0:3], 0 offset:148
	buffer_load_dword v118, off, s[0:3], 0 offset:144
	s_waitcnt vmcnt(2)
	v_fmac_f64_e32 v[110:111], v[114:115], v[116:117]
	ds_read_b128 v[114:117], v112 offset:576
	s_waitcnt vmcnt(0) lgkmcnt(0)
	v_fmac_f64_e32 v[110:111], v[118:119], v[114:115]
	buffer_load_dword v115, off, s[0:3], 0 offset:156
	buffer_load_dword v114, off, s[0:3], 0 offset:152
	buffer_load_dword v119, off, s[0:3], 0 offset:164
	buffer_load_dword v118, off, s[0:3], 0 offset:160
	;; [unrolled: 9-line block ×17, first 2 shown]
	s_waitcnt vmcnt(2)
	v_fmac_f64_e32 v[110:111], v[114:115], v[116:117]
	ds_read_b128 v[114:117], v112 offset:832
	s_waitcnt vmcnt(0) lgkmcnt(0)
	v_fmac_f64_e32 v[110:111], v[118:119], v[114:115]
	buffer_load_dword v115, off, s[0:3], 0 offset:412
	buffer_load_dword v114, off, s[0:3], 0 offset:408
	s_waitcnt vmcnt(0)
	v_fmac_f64_e32 v[110:111], v[114:115], v[116:117]
	buffer_load_dword v115, off, s[0:3], 0 offset:420
	buffer_load_dword v114, off, s[0:3], 0 offset:416
	ds_read_b64 v[116:117], v112 offset:848
	s_waitcnt vmcnt(0) lgkmcnt(0)
	v_fmac_f64_e32 v[110:111], v[114:115], v[116:117]
	v_add_f64 v[108:109], v[108:109], -v[110:111]
	buffer_store_dword v109, off, s[0:3], 0 offset:60
	buffer_store_dword v108, off, s[0:3], 0 offset:56
	s_and_saveexec_b64 s[4:5], vcc
	s_cbranch_execz .LBB52_313
; %bb.312:
	buffer_load_dword v108, off, s[0:3], 0 offset:48
	buffer_load_dword v109, off, s[0:3], 0 offset:52
	s_waitcnt vmcnt(0)
	ds_write_b64 v1, v[108:109]
	buffer_store_dword v112, off, s[0:3], 0 offset:48
	buffer_store_dword v112, off, s[0:3], 0 offset:52
.LBB52_313:
	s_or_b64 exec, exec, s[4:5]
	s_waitcnt lgkmcnt(0)
	; wave barrier
	s_waitcnt lgkmcnt(0)
	buffer_load_dword v108, off, s[0:3], 0 offset:48
	buffer_load_dword v109, off, s[0:3], 0 offset:52
	;; [unrolled: 1-line block ×16, first 2 shown]
	ds_read2_b64 v[114:117], v112 offset0:61 offset1:62
	v_cmp_lt_u32_e32 vcc, 5, v0
	s_waitcnt vmcnt(12) lgkmcnt(0)
	v_fma_f64 v[110:111], v[110:111], v[114:115], 0
	s_waitcnt vmcnt(10)
	v_fmac_f64_e32 v[110:111], v[118:119], v[116:117]
	ds_read2_b64 v[114:117], v112 offset0:63 offset1:64
	s_waitcnt vmcnt(8) lgkmcnt(0)
	v_fmac_f64_e32 v[110:111], v[120:121], v[114:115]
	s_waitcnt vmcnt(6)
	v_fmac_f64_e32 v[110:111], v[122:123], v[116:117]
	ds_read2_b64 v[114:117], v112 offset0:65 offset1:66
	s_waitcnt vmcnt(4) lgkmcnt(0)
	v_fmac_f64_e32 v[110:111], v[124:125], v[114:115]
	;; [unrolled: 5-line block ×3, first 2 shown]
	buffer_load_dword v115, off, s[0:3], 0 offset:116
	buffer_load_dword v114, off, s[0:3], 0 offset:112
	buffer_load_dword v119, off, s[0:3], 0 offset:124
	buffer_load_dword v118, off, s[0:3], 0 offset:120
	s_waitcnt vmcnt(2)
	v_fmac_f64_e32 v[110:111], v[114:115], v[116:117]
	ds_read2_b64 v[114:117], v112 offset0:69 offset1:70
	s_waitcnt vmcnt(0) lgkmcnt(0)
	v_fmac_f64_e32 v[110:111], v[118:119], v[114:115]
	buffer_load_dword v115, off, s[0:3], 0 offset:132
	buffer_load_dword v114, off, s[0:3], 0 offset:128
	buffer_load_dword v119, off, s[0:3], 0 offset:140
	buffer_load_dword v118, off, s[0:3], 0 offset:136
	s_waitcnt vmcnt(2)
	v_fmac_f64_e32 v[110:111], v[114:115], v[116:117]
	ds_read2_b64 v[114:117], v112 offset0:71 offset1:72
	s_waitcnt vmcnt(0) lgkmcnt(0)
	v_fmac_f64_e32 v[110:111], v[118:119], v[114:115]
	;; [unrolled: 9-line block ×18, first 2 shown]
	buffer_load_dword v115, off, s[0:3], 0 offset:404
	buffer_load_dword v114, off, s[0:3], 0 offset:400
	s_waitcnt vmcnt(0)
	v_fmac_f64_e32 v[110:111], v[114:115], v[116:117]
	buffer_load_dword v117, off, s[0:3], 0 offset:412
	buffer_load_dword v116, off, s[0:3], 0 offset:408
	ds_read2_b64 v[112:115], v112 offset0:105 offset1:106
	s_waitcnt vmcnt(0) lgkmcnt(0)
	v_fmac_f64_e32 v[110:111], v[116:117], v[112:113]
	buffer_load_dword v113, off, s[0:3], 0 offset:420
	buffer_load_dword v112, off, s[0:3], 0 offset:416
	s_waitcnt vmcnt(0)
	v_fmac_f64_e32 v[110:111], v[112:113], v[114:115]
	v_add_f64 v[108:109], v[108:109], -v[110:111]
	buffer_store_dword v109, off, s[0:3], 0 offset:52
	buffer_store_dword v108, off, s[0:3], 0 offset:48
	s_and_saveexec_b64 s[4:5], vcc
	s_cbranch_execz .LBB52_315
; %bb.314:
	buffer_load_dword v108, off, s[0:3], 0 offset:40
	buffer_load_dword v109, off, s[0:3], 0 offset:44
	v_mov_b32_e32 v110, 0
	buffer_store_dword v110, off, s[0:3], 0 offset:40
	buffer_store_dword v110, off, s[0:3], 0 offset:44
	s_waitcnt vmcnt(2)
	ds_write_b64 v1, v[108:109]
.LBB52_315:
	s_or_b64 exec, exec, s[4:5]
	s_waitcnt lgkmcnt(0)
	; wave barrier
	s_waitcnt lgkmcnt(0)
	buffer_load_dword v108, off, s[0:3], 0 offset:40
	buffer_load_dword v109, off, s[0:3], 0 offset:44
	;; [unrolled: 1-line block ×16, first 2 shown]
	v_mov_b32_e32 v112, 0
	ds_read_b128 v[114:117], v112 offset:480
	ds_read_b128 v[118:121], v112 offset:496
	;; [unrolled: 1-line block ×4, first 2 shown]
	v_cmp_lt_u32_e32 vcc, 4, v0
	s_waitcnt vmcnt(12) lgkmcnt(3)
	v_fma_f64 v[110:111], v[110:111], v[114:115], 0
	buffer_load_dword v115, off, s[0:3], 0 offset:108
	buffer_load_dword v114, off, s[0:3], 0 offset:104
	s_waitcnt vmcnt(12)
	v_fmac_f64_e32 v[110:111], v[130:131], v[116:117]
	s_waitcnt vmcnt(10) lgkmcnt(2)
	v_fmac_f64_e32 v[110:111], v[132:133], v[118:119]
	buffer_load_dword v119, off, s[0:3], 0 offset:116
	buffer_load_dword v118, off, s[0:3], 0 offset:112
	s_waitcnt vmcnt(10)
	v_fmac_f64_e32 v[110:111], v[134:135], v[120:121]
	s_waitcnt vmcnt(8) lgkmcnt(1)
	v_fmac_f64_e32 v[110:111], v[136:137], v[122:123]
	s_waitcnt vmcnt(6)
	v_fmac_f64_e32 v[110:111], v[138:139], v[124:125]
	s_waitcnt vmcnt(4) lgkmcnt(0)
	v_fmac_f64_e32 v[110:111], v[140:141], v[126:127]
	s_waitcnt vmcnt(2)
	v_fmac_f64_e32 v[110:111], v[114:115], v[128:129]
	ds_read_b128 v[114:117], v112 offset:544
	s_waitcnt vmcnt(0) lgkmcnt(0)
	v_fmac_f64_e32 v[110:111], v[118:119], v[114:115]
	buffer_load_dword v115, off, s[0:3], 0 offset:124
	buffer_load_dword v114, off, s[0:3], 0 offset:120
	buffer_load_dword v119, off, s[0:3], 0 offset:132
	buffer_load_dword v118, off, s[0:3], 0 offset:128
	s_waitcnt vmcnt(2)
	v_fmac_f64_e32 v[110:111], v[114:115], v[116:117]
	ds_read_b128 v[114:117], v112 offset:560
	s_waitcnt vmcnt(0) lgkmcnt(0)
	v_fmac_f64_e32 v[110:111], v[118:119], v[114:115]
	buffer_load_dword v115, off, s[0:3], 0 offset:140
	buffer_load_dword v114, off, s[0:3], 0 offset:136
	buffer_load_dword v119, off, s[0:3], 0 offset:148
	buffer_load_dword v118, off, s[0:3], 0 offset:144
	;; [unrolled: 9-line block ×18, first 2 shown]
	s_waitcnt vmcnt(2)
	v_fmac_f64_e32 v[110:111], v[114:115], v[116:117]
	ds_read_b128 v[114:117], v112 offset:832
	s_waitcnt vmcnt(0) lgkmcnt(0)
	v_fmac_f64_e32 v[110:111], v[118:119], v[114:115]
	buffer_load_dword v115, off, s[0:3], 0 offset:412
	buffer_load_dword v114, off, s[0:3], 0 offset:408
	s_waitcnt vmcnt(0)
	v_fmac_f64_e32 v[110:111], v[114:115], v[116:117]
	buffer_load_dword v115, off, s[0:3], 0 offset:420
	buffer_load_dword v114, off, s[0:3], 0 offset:416
	ds_read_b64 v[116:117], v112 offset:848
	s_waitcnt vmcnt(0) lgkmcnt(0)
	v_fmac_f64_e32 v[110:111], v[114:115], v[116:117]
	v_add_f64 v[108:109], v[108:109], -v[110:111]
	buffer_store_dword v109, off, s[0:3], 0 offset:44
	buffer_store_dword v108, off, s[0:3], 0 offset:40
	s_and_saveexec_b64 s[4:5], vcc
	s_cbranch_execz .LBB52_317
; %bb.316:
	buffer_load_dword v108, off, s[0:3], 0 offset:32
	buffer_load_dword v109, off, s[0:3], 0 offset:36
	s_waitcnt vmcnt(0)
	ds_write_b64 v1, v[108:109]
	buffer_store_dword v112, off, s[0:3], 0 offset:32
	buffer_store_dword v112, off, s[0:3], 0 offset:36
.LBB52_317:
	s_or_b64 exec, exec, s[4:5]
	s_waitcnt lgkmcnt(0)
	; wave barrier
	s_waitcnt lgkmcnt(0)
	buffer_load_dword v108, off, s[0:3], 0 offset:32
	buffer_load_dword v109, off, s[0:3], 0 offset:36
	;; [unrolled: 1-line block ×16, first 2 shown]
	ds_read2_b64 v[114:117], v112 offset0:59 offset1:60
	v_cmp_lt_u32_e32 vcc, 3, v0
	s_waitcnt vmcnt(12) lgkmcnt(0)
	v_fma_f64 v[110:111], v[110:111], v[114:115], 0
	s_waitcnt vmcnt(10)
	v_fmac_f64_e32 v[110:111], v[118:119], v[116:117]
	ds_read2_b64 v[114:117], v112 offset0:61 offset1:62
	s_waitcnt vmcnt(8) lgkmcnt(0)
	v_fmac_f64_e32 v[110:111], v[120:121], v[114:115]
	s_waitcnt vmcnt(6)
	v_fmac_f64_e32 v[110:111], v[122:123], v[116:117]
	ds_read2_b64 v[114:117], v112 offset0:63 offset1:64
	s_waitcnt vmcnt(4) lgkmcnt(0)
	v_fmac_f64_e32 v[110:111], v[124:125], v[114:115]
	;; [unrolled: 5-line block ×3, first 2 shown]
	buffer_load_dword v115, off, s[0:3], 0 offset:100
	buffer_load_dword v114, off, s[0:3], 0 offset:96
	buffer_load_dword v119, off, s[0:3], 0 offset:108
	buffer_load_dword v118, off, s[0:3], 0 offset:104
	s_waitcnt vmcnt(2)
	v_fmac_f64_e32 v[110:111], v[114:115], v[116:117]
	ds_read2_b64 v[114:117], v112 offset0:67 offset1:68
	s_waitcnt vmcnt(0) lgkmcnt(0)
	v_fmac_f64_e32 v[110:111], v[118:119], v[114:115]
	buffer_load_dword v115, off, s[0:3], 0 offset:116
	buffer_load_dword v114, off, s[0:3], 0 offset:112
	buffer_load_dword v119, off, s[0:3], 0 offset:124
	buffer_load_dword v118, off, s[0:3], 0 offset:120
	s_waitcnt vmcnt(2)
	v_fmac_f64_e32 v[110:111], v[114:115], v[116:117]
	ds_read2_b64 v[114:117], v112 offset0:69 offset1:70
	s_waitcnt vmcnt(0) lgkmcnt(0)
	v_fmac_f64_e32 v[110:111], v[118:119], v[114:115]
	;; [unrolled: 9-line block ×19, first 2 shown]
	buffer_load_dword v115, off, s[0:3], 0 offset:404
	buffer_load_dword v114, off, s[0:3], 0 offset:400
	s_waitcnt vmcnt(0)
	v_fmac_f64_e32 v[110:111], v[114:115], v[116:117]
	buffer_load_dword v117, off, s[0:3], 0 offset:412
	buffer_load_dword v116, off, s[0:3], 0 offset:408
	ds_read2_b64 v[112:115], v112 offset0:105 offset1:106
	s_waitcnt vmcnt(0) lgkmcnt(0)
	v_fmac_f64_e32 v[110:111], v[116:117], v[112:113]
	buffer_load_dword v113, off, s[0:3], 0 offset:420
	buffer_load_dword v112, off, s[0:3], 0 offset:416
	s_waitcnt vmcnt(0)
	v_fmac_f64_e32 v[110:111], v[112:113], v[114:115]
	v_add_f64 v[108:109], v[108:109], -v[110:111]
	buffer_store_dword v109, off, s[0:3], 0 offset:36
	buffer_store_dword v108, off, s[0:3], 0 offset:32
	s_and_saveexec_b64 s[4:5], vcc
	s_cbranch_execz .LBB52_319
; %bb.318:
	buffer_load_dword v108, off, s[0:3], 0 offset:24
	buffer_load_dword v109, off, s[0:3], 0 offset:28
	v_mov_b32_e32 v110, 0
	buffer_store_dword v110, off, s[0:3], 0 offset:24
	buffer_store_dword v110, off, s[0:3], 0 offset:28
	s_waitcnt vmcnt(2)
	ds_write_b64 v1, v[108:109]
.LBB52_319:
	s_or_b64 exec, exec, s[4:5]
	s_waitcnt lgkmcnt(0)
	; wave barrier
	s_waitcnt lgkmcnt(0)
	buffer_load_dword v108, off, s[0:3], 0 offset:24
	buffer_load_dword v109, off, s[0:3], 0 offset:28
	buffer_load_dword v110, off, s[0:3], 0 offset:32
	buffer_load_dword v111, off, s[0:3], 0 offset:36
	buffer_load_dword v118, off, s[0:3], 0 offset:40
	buffer_load_dword v119, off, s[0:3], 0 offset:44
	buffer_load_dword v120, off, s[0:3], 0 offset:48
	buffer_load_dword v121, off, s[0:3], 0 offset:52
	buffer_load_dword v122, off, s[0:3], 0 offset:56
	buffer_load_dword v123, off, s[0:3], 0 offset:60
	buffer_load_dword v124, off, s[0:3], 0 offset:64
	buffer_load_dword v125, off, s[0:3], 0 offset:68
	buffer_load_dword v126, off, s[0:3], 0 offset:72
	buffer_load_dword v127, off, s[0:3], 0 offset:76
	buffer_load_dword v128, off, s[0:3], 0 offset:80
	buffer_load_dword v129, off, s[0:3], 0 offset:84
	v_mov_b32_e32 v112, 0
	ds_read_b128 v[114:117], v112 offset:464
	v_cmp_lt_u32_e32 vcc, 2, v0
	s_waitcnt vmcnt(12) lgkmcnt(0)
	v_fma_f64 v[110:111], v[110:111], v[114:115], 0
	s_waitcnt vmcnt(10)
	v_fmac_f64_e32 v[110:111], v[118:119], v[116:117]
	ds_read_b128 v[114:117], v112 offset:480
	s_waitcnt vmcnt(8) lgkmcnt(0)
	v_fmac_f64_e32 v[110:111], v[120:121], v[114:115]
	s_waitcnt vmcnt(6)
	v_fmac_f64_e32 v[110:111], v[122:123], v[116:117]
	ds_read_b128 v[114:117], v112 offset:496
	s_waitcnt vmcnt(4) lgkmcnt(0)
	v_fmac_f64_e32 v[110:111], v[124:125], v[114:115]
	;; [unrolled: 5-line block ×3, first 2 shown]
	buffer_load_dword v115, off, s[0:3], 0 offset:92
	buffer_load_dword v114, off, s[0:3], 0 offset:88
	buffer_load_dword v119, off, s[0:3], 0 offset:100
	buffer_load_dword v118, off, s[0:3], 0 offset:96
	s_waitcnt vmcnt(2)
	v_fmac_f64_e32 v[110:111], v[114:115], v[116:117]
	ds_read_b128 v[114:117], v112 offset:528
	s_waitcnt vmcnt(0) lgkmcnt(0)
	v_fmac_f64_e32 v[110:111], v[118:119], v[114:115]
	buffer_load_dword v115, off, s[0:3], 0 offset:108
	buffer_load_dword v114, off, s[0:3], 0 offset:104
	buffer_load_dword v119, off, s[0:3], 0 offset:116
	buffer_load_dword v118, off, s[0:3], 0 offset:112
	s_waitcnt vmcnt(2)
	v_fmac_f64_e32 v[110:111], v[114:115], v[116:117]
	ds_read_b128 v[114:117], v112 offset:544
	s_waitcnt vmcnt(0) lgkmcnt(0)
	v_fmac_f64_e32 v[110:111], v[118:119], v[114:115]
	;; [unrolled: 9-line block ×20, first 2 shown]
	buffer_load_dword v115, off, s[0:3], 0 offset:412
	buffer_load_dword v114, off, s[0:3], 0 offset:408
	s_waitcnt vmcnt(0)
	v_fmac_f64_e32 v[110:111], v[114:115], v[116:117]
	buffer_load_dword v115, off, s[0:3], 0 offset:420
	buffer_load_dword v114, off, s[0:3], 0 offset:416
	ds_read_b64 v[116:117], v112 offset:848
	s_waitcnt vmcnt(0) lgkmcnt(0)
	v_fmac_f64_e32 v[110:111], v[114:115], v[116:117]
	v_add_f64 v[108:109], v[108:109], -v[110:111]
	buffer_store_dword v109, off, s[0:3], 0 offset:28
	buffer_store_dword v108, off, s[0:3], 0 offset:24
	s_and_saveexec_b64 s[4:5], vcc
	s_cbranch_execz .LBB52_321
; %bb.320:
	buffer_load_dword v108, off, s[0:3], 0 offset:16
	buffer_load_dword v109, off, s[0:3], 0 offset:20
	s_waitcnt vmcnt(0)
	ds_write_b64 v1, v[108:109]
	buffer_store_dword v112, off, s[0:3], 0 offset:16
	buffer_store_dword v112, off, s[0:3], 0 offset:20
.LBB52_321:
	s_or_b64 exec, exec, s[4:5]
	s_waitcnt lgkmcnt(0)
	; wave barrier
	s_waitcnt lgkmcnt(0)
	buffer_load_dword v108, off, s[0:3], 0 offset:16
	buffer_load_dword v109, off, s[0:3], 0 offset:20
	;; [unrolled: 1-line block ×16, first 2 shown]
	ds_read2_b64 v[114:117], v112 offset0:57 offset1:58
	v_cmp_lt_u32_e32 vcc, 1, v0
	s_waitcnt vmcnt(12) lgkmcnt(0)
	v_fma_f64 v[110:111], v[110:111], v[114:115], 0
	s_waitcnt vmcnt(10)
	v_fmac_f64_e32 v[110:111], v[118:119], v[116:117]
	ds_read2_b64 v[114:117], v112 offset0:59 offset1:60
	s_waitcnt vmcnt(8) lgkmcnt(0)
	v_fmac_f64_e32 v[110:111], v[120:121], v[114:115]
	s_waitcnt vmcnt(6)
	v_fmac_f64_e32 v[110:111], v[122:123], v[116:117]
	ds_read2_b64 v[114:117], v112 offset0:61 offset1:62
	s_waitcnt vmcnt(4) lgkmcnt(0)
	v_fmac_f64_e32 v[110:111], v[124:125], v[114:115]
	;; [unrolled: 5-line block ×3, first 2 shown]
	buffer_load_dword v115, off, s[0:3], 0 offset:84
	buffer_load_dword v114, off, s[0:3], 0 offset:80
	buffer_load_dword v119, off, s[0:3], 0 offset:92
	buffer_load_dword v118, off, s[0:3], 0 offset:88
	s_waitcnt vmcnt(2)
	v_fmac_f64_e32 v[110:111], v[114:115], v[116:117]
	ds_read2_b64 v[114:117], v112 offset0:65 offset1:66
	s_waitcnt vmcnt(0) lgkmcnt(0)
	v_fmac_f64_e32 v[110:111], v[118:119], v[114:115]
	buffer_load_dword v115, off, s[0:3], 0 offset:100
	buffer_load_dword v114, off, s[0:3], 0 offset:96
	buffer_load_dword v119, off, s[0:3], 0 offset:108
	buffer_load_dword v118, off, s[0:3], 0 offset:104
	s_waitcnt vmcnt(2)
	v_fmac_f64_e32 v[110:111], v[114:115], v[116:117]
	ds_read2_b64 v[114:117], v112 offset0:67 offset1:68
	s_waitcnt vmcnt(0) lgkmcnt(0)
	v_fmac_f64_e32 v[110:111], v[118:119], v[114:115]
	;; [unrolled: 9-line block ×20, first 2 shown]
	buffer_load_dword v115, off, s[0:3], 0 offset:404
	buffer_load_dword v114, off, s[0:3], 0 offset:400
	s_waitcnt vmcnt(0)
	v_fmac_f64_e32 v[110:111], v[114:115], v[116:117]
	buffer_load_dword v117, off, s[0:3], 0 offset:412
	buffer_load_dword v116, off, s[0:3], 0 offset:408
	ds_read2_b64 v[112:115], v112 offset0:105 offset1:106
	s_waitcnt vmcnt(0) lgkmcnt(0)
	v_fmac_f64_e32 v[110:111], v[116:117], v[112:113]
	buffer_load_dword v113, off, s[0:3], 0 offset:420
	buffer_load_dword v112, off, s[0:3], 0 offset:416
	s_waitcnt vmcnt(0)
	v_fmac_f64_e32 v[110:111], v[112:113], v[114:115]
	v_add_f64 v[108:109], v[108:109], -v[110:111]
	buffer_store_dword v109, off, s[0:3], 0 offset:20
	buffer_store_dword v108, off, s[0:3], 0 offset:16
	s_and_saveexec_b64 s[4:5], vcc
	s_cbranch_execz .LBB52_323
; %bb.322:
	buffer_load_dword v108, off, s[0:3], 0 offset:8
	buffer_load_dword v109, off, s[0:3], 0 offset:12
	v_mov_b32_e32 v110, 0
	buffer_store_dword v110, off, s[0:3], 0 offset:8
	buffer_store_dword v110, off, s[0:3], 0 offset:12
	s_waitcnt vmcnt(2)
	ds_write_b64 v1, v[108:109]
.LBB52_323:
	s_or_b64 exec, exec, s[4:5]
	s_waitcnt lgkmcnt(0)
	; wave barrier
	s_waitcnt lgkmcnt(0)
	buffer_load_dword v108, off, s[0:3], 0 offset:8
	buffer_load_dword v109, off, s[0:3], 0 offset:12
	;; [unrolled: 1-line block ×16, first 2 shown]
	v_mov_b32_e32 v112, 0
	ds_read_b128 v[114:117], v112 offset:448
	v_cmp_ne_u32_e32 vcc, 0, v0
	s_waitcnt vmcnt(12) lgkmcnt(0)
	v_fma_f64 v[110:111], v[110:111], v[114:115], 0
	s_waitcnt vmcnt(10)
	v_fmac_f64_e32 v[110:111], v[118:119], v[116:117]
	ds_read_b128 v[114:117], v112 offset:464
	s_waitcnt vmcnt(8) lgkmcnt(0)
	v_fmac_f64_e32 v[110:111], v[120:121], v[114:115]
	s_waitcnt vmcnt(6)
	v_fmac_f64_e32 v[110:111], v[122:123], v[116:117]
	ds_read_b128 v[114:117], v112 offset:480
	s_waitcnt vmcnt(4) lgkmcnt(0)
	v_fmac_f64_e32 v[110:111], v[124:125], v[114:115]
	;; [unrolled: 5-line block ×3, first 2 shown]
	buffer_load_dword v115, off, s[0:3], 0 offset:76
	buffer_load_dword v114, off, s[0:3], 0 offset:72
	buffer_load_dword v119, off, s[0:3], 0 offset:84
	buffer_load_dword v118, off, s[0:3], 0 offset:80
	s_waitcnt vmcnt(2)
	v_fmac_f64_e32 v[110:111], v[114:115], v[116:117]
	ds_read_b128 v[114:117], v112 offset:512
	s_waitcnt vmcnt(0) lgkmcnt(0)
	v_fmac_f64_e32 v[110:111], v[118:119], v[114:115]
	buffer_load_dword v115, off, s[0:3], 0 offset:92
	buffer_load_dword v114, off, s[0:3], 0 offset:88
	buffer_load_dword v119, off, s[0:3], 0 offset:100
	buffer_load_dword v118, off, s[0:3], 0 offset:96
	s_waitcnt vmcnt(2)
	v_fmac_f64_e32 v[110:111], v[114:115], v[116:117]
	ds_read_b128 v[114:117], v112 offset:528
	s_waitcnt vmcnt(0) lgkmcnt(0)
	v_fmac_f64_e32 v[110:111], v[118:119], v[114:115]
	;; [unrolled: 9-line block ×21, first 2 shown]
	buffer_load_dword v115, off, s[0:3], 0 offset:412
	buffer_load_dword v114, off, s[0:3], 0 offset:408
	s_waitcnt vmcnt(0)
	v_fmac_f64_e32 v[110:111], v[114:115], v[116:117]
	buffer_load_dword v115, off, s[0:3], 0 offset:420
	buffer_load_dword v114, off, s[0:3], 0 offset:416
	ds_read_b64 v[116:117], v112 offset:848
	s_waitcnt vmcnt(0) lgkmcnt(0)
	v_fmac_f64_e32 v[110:111], v[114:115], v[116:117]
	v_add_f64 v[108:109], v[108:109], -v[110:111]
	buffer_store_dword v109, off, s[0:3], 0 offset:12
	buffer_store_dword v108, off, s[0:3], 0 offset:8
	s_and_saveexec_b64 s[4:5], vcc
	s_cbranch_execz .LBB52_325
; %bb.324:
	buffer_load_dword v108, off, s[0:3], 0
	buffer_load_dword v109, off, s[0:3], 0 offset:4
	s_waitcnt vmcnt(0)
	ds_write_b64 v1, v[108:109]
	buffer_store_dword v112, off, s[0:3], 0
	buffer_store_dword v112, off, s[0:3], 0 offset:4
.LBB52_325:
	s_or_b64 exec, exec, s[4:5]
	s_waitcnt lgkmcnt(0)
	; wave barrier
	s_waitcnt lgkmcnt(0)
	buffer_load_dword v0, off, s[0:3], 0
	buffer_load_dword v1, off, s[0:3], 0 offset:4
	buffer_load_dword v114, off, s[0:3], 0 offset:8
	;; [unrolled: 1-line block ×15, first 2 shown]
	ds_read2_b64 v[108:111], v112 offset0:55 offset1:56
	s_and_b64 vcc, exec, s[20:21]
	s_waitcnt vmcnt(12) lgkmcnt(0)
	v_fma_f64 v[108:109], v[114:115], v[108:109], 0
	s_waitcnt vmcnt(10)
	v_fmac_f64_e32 v[108:109], v[116:117], v[110:111]
	ds_read2_b64 v[114:117], v112 offset0:57 offset1:58
	s_waitcnt vmcnt(8) lgkmcnt(0)
	v_fmac_f64_e32 v[108:109], v[118:119], v[114:115]
	s_waitcnt vmcnt(6)
	v_fmac_f64_e32 v[108:109], v[120:121], v[116:117]
	ds_read2_b64 v[114:117], v112 offset0:59 offset1:60
	s_waitcnt vmcnt(4) lgkmcnt(0)
	v_fmac_f64_e32 v[108:109], v[122:123], v[114:115]
	s_waitcnt vmcnt(2)
	v_fmac_f64_e32 v[108:109], v[124:125], v[116:117]
	ds_read2_b64 v[114:117], v112 offset0:61 offset1:62
	buffer_load_dword v111, off, s[0:3], 0 offset:68
	buffer_load_dword v110, off, s[0:3], 0 offset:64
	s_waitcnt vmcnt(2) lgkmcnt(0)
	v_fmac_f64_e32 v[108:109], v[126:127], v[114:115]
	s_waitcnt vmcnt(0)
	v_fmac_f64_e32 v[108:109], v[110:111], v[116:117]
	buffer_load_dword v111, off, s[0:3], 0 offset:76
	buffer_load_dword v110, off, s[0:3], 0 offset:72
	ds_read2_b64 v[114:117], v112 offset0:63 offset1:64
	s_waitcnt vmcnt(0) lgkmcnt(0)
	v_fmac_f64_e32 v[108:109], v[110:111], v[114:115]
	buffer_load_dword v111, off, s[0:3], 0 offset:84
	buffer_load_dword v110, off, s[0:3], 0 offset:80
	s_waitcnt vmcnt(0)
	v_fmac_f64_e32 v[108:109], v[110:111], v[116:117]
	buffer_load_dword v111, off, s[0:3], 0 offset:92
	buffer_load_dword v110, off, s[0:3], 0 offset:88
	ds_read2_b64 v[114:117], v112 offset0:65 offset1:66
	s_waitcnt vmcnt(0) lgkmcnt(0)
	v_fmac_f64_e32 v[108:109], v[110:111], v[114:115]
	buffer_load_dword v111, off, s[0:3], 0 offset:100
	buffer_load_dword v110, off, s[0:3], 0 offset:96
	;; [unrolled: 9-line block ×22, first 2 shown]
	s_waitcnt vmcnt(0)
	v_fmac_f64_e32 v[108:109], v[112:113], v[114:115]
	v_add_f64 v[0:1], v[0:1], -v[108:109]
	buffer_store_dword v1, off, s[0:3], 0 offset:4
	buffer_store_dword v0, off, s[0:3], 0
	s_cbranch_vccz .LBB52_431
; %bb.326:
	v_pk_mov_b32 v[0:1], s[10:11], s[10:11] op_sel:[0,1]
	flat_load_dword v0, v[0:1] offset:204
	s_waitcnt vmcnt(0) lgkmcnt(0)
	v_add_u32_e32 v0, -1, v0
	v_cmp_ne_u32_e32 vcc, 51, v0
	s_and_saveexec_b64 s[4:5], vcc
	s_cbranch_execz .LBB52_328
; %bb.327:
	v_mov_b32_e32 v1, 0
	v_lshl_add_u32 v0, v0, 3, v1
	buffer_load_dword v1, v0, s[0:3], 0 offen
	buffer_load_dword v108, v0, s[0:3], 0 offen offset:4
	s_waitcnt vmcnt(1)
	buffer_store_dword v1, off, s[0:3], 0 offset:408
	s_waitcnt vmcnt(1)
	buffer_store_dword v108, off, s[0:3], 0 offset:412
	buffer_store_dword v110, v0, s[0:3], 0 offen
	buffer_store_dword v111, v0, s[0:3], 0 offen offset:4
.LBB52_328:
	s_or_b64 exec, exec, s[4:5]
	v_pk_mov_b32 v[0:1], s[10:11], s[10:11] op_sel:[0,1]
	flat_load_dword v0, v[0:1] offset:200
	s_waitcnt vmcnt(0) lgkmcnt(0)
	v_add_u32_e32 v0, -1, v0
	v_cmp_ne_u32_e32 vcc, 50, v0
	s_and_saveexec_b64 s[4:5], vcc
	s_cbranch_execz .LBB52_330
; %bb.329:
	v_mov_b32_e32 v1, 0
	v_lshl_add_u32 v0, v0, 3, v1
	buffer_load_dword v1, v0, s[0:3], 0 offen
	buffer_load_dword v108, v0, s[0:3], 0 offen offset:4
	buffer_load_dword v109, off, s[0:3], 0 offset:404
	buffer_load_dword v110, off, s[0:3], 0 offset:400
	s_waitcnt vmcnt(3)
	buffer_store_dword v1, off, s[0:3], 0 offset:400
	s_waitcnt vmcnt(3)
	buffer_store_dword v108, off, s[0:3], 0 offset:404
	s_waitcnt vmcnt(3)
	buffer_store_dword v109, v0, s[0:3], 0 offen offset:4
	s_waitcnt vmcnt(3)
	buffer_store_dword v110, v0, s[0:3], 0 offen
.LBB52_330:
	s_or_b64 exec, exec, s[4:5]
	v_pk_mov_b32 v[0:1], s[10:11], s[10:11] op_sel:[0,1]
	flat_load_dword v0, v[0:1] offset:196
	s_waitcnt vmcnt(0) lgkmcnt(0)
	v_add_u32_e32 v0, -1, v0
	v_cmp_ne_u32_e32 vcc, 49, v0
	s_and_saveexec_b64 s[4:5], vcc
	s_cbranch_execz .LBB52_332
; %bb.331:
	v_mov_b32_e32 v1, 0
	v_lshl_add_u32 v0, v0, 3, v1
	buffer_load_dword v1, v0, s[0:3], 0 offen
	buffer_load_dword v108, v0, s[0:3], 0 offen offset:4
	buffer_load_dword v109, off, s[0:3], 0 offset:392
	buffer_load_dword v110, off, s[0:3], 0 offset:396
	s_waitcnt vmcnt(3)
	buffer_store_dword v1, off, s[0:3], 0 offset:392
	s_waitcnt vmcnt(3)
	buffer_store_dword v108, off, s[0:3], 0 offset:396
	s_waitcnt vmcnt(3)
	buffer_store_dword v109, v0, s[0:3], 0 offen
	s_waitcnt vmcnt(3)
	buffer_store_dword v110, v0, s[0:3], 0 offen offset:4
.LBB52_332:
	s_or_b64 exec, exec, s[4:5]
	v_pk_mov_b32 v[0:1], s[10:11], s[10:11] op_sel:[0,1]
	flat_load_dword v0, v[0:1] offset:192
	s_waitcnt vmcnt(0) lgkmcnt(0)
	v_add_u32_e32 v0, -1, v0
	v_cmp_ne_u32_e32 vcc, 48, v0
	s_and_saveexec_b64 s[4:5], vcc
	s_cbranch_execz .LBB52_334
; %bb.333:
	v_mov_b32_e32 v1, 0
	v_lshl_add_u32 v0, v0, 3, v1
	buffer_load_dword v1, v0, s[0:3], 0 offen
	buffer_load_dword v108, v0, s[0:3], 0 offen offset:4
	buffer_load_dword v109, off, s[0:3], 0 offset:388
	buffer_load_dword v110, off, s[0:3], 0 offset:384
	s_waitcnt vmcnt(3)
	buffer_store_dword v1, off, s[0:3], 0 offset:384
	s_waitcnt vmcnt(3)
	buffer_store_dword v108, off, s[0:3], 0 offset:388
	s_waitcnt vmcnt(3)
	buffer_store_dword v109, v0, s[0:3], 0 offen offset:4
	s_waitcnt vmcnt(3)
	buffer_store_dword v110, v0, s[0:3], 0 offen
.LBB52_334:
	s_or_b64 exec, exec, s[4:5]
	v_pk_mov_b32 v[0:1], s[10:11], s[10:11] op_sel:[0,1]
	flat_load_dword v0, v[0:1] offset:188
	s_waitcnt vmcnt(0) lgkmcnt(0)
	v_add_u32_e32 v0, -1, v0
	v_cmp_ne_u32_e32 vcc, 47, v0
	s_and_saveexec_b64 s[4:5], vcc
	s_cbranch_execz .LBB52_336
; %bb.335:
	v_mov_b32_e32 v1, 0
	v_lshl_add_u32 v0, v0, 3, v1
	buffer_load_dword v1, v0, s[0:3], 0 offen
	buffer_load_dword v108, v0, s[0:3], 0 offen offset:4
	buffer_load_dword v109, off, s[0:3], 0 offset:376
	buffer_load_dword v110, off, s[0:3], 0 offset:380
	s_waitcnt vmcnt(3)
	buffer_store_dword v1, off, s[0:3], 0 offset:376
	s_waitcnt vmcnt(3)
	buffer_store_dword v108, off, s[0:3], 0 offset:380
	s_waitcnt vmcnt(3)
	buffer_store_dword v109, v0, s[0:3], 0 offen
	s_waitcnt vmcnt(3)
	buffer_store_dword v110, v0, s[0:3], 0 offen offset:4
.LBB52_336:
	;; [unrolled: 48-line block ×25, first 2 shown]
	s_or_b64 exec, exec, s[4:5]
	v_pk_mov_b32 v[0:1], s[10:11], s[10:11] op_sel:[0,1]
	flat_load_dword v108, v[0:1]
	s_nop 0
	buffer_load_dword v0, off, s[0:3], 0
	buffer_load_dword v1, off, s[0:3], 0 offset:4
	s_waitcnt vmcnt(0) lgkmcnt(0)
	v_add_u32_e32 v108, -1, v108
	v_cmp_ne_u32_e32 vcc, 0, v108
	s_and_saveexec_b64 s[4:5], vcc
	s_cbranch_execz .LBB52_430
; %bb.429:
	v_mov_b32_e32 v109, 0
	v_lshl_add_u32 v108, v108, 3, v109
	buffer_load_dword v109, v108, s[0:3], 0 offen offset:4
	buffer_load_dword v110, v108, s[0:3], 0 offen
	s_waitcnt vmcnt(1)
	buffer_store_dword v109, off, s[0:3], 0 offset:4
	s_waitcnt vmcnt(1)
	buffer_store_dword v110, off, s[0:3], 0
	buffer_store_dword v1, v108, s[0:3], 0 offen offset:4
	buffer_store_dword v0, v108, s[0:3], 0 offen
	buffer_load_dword v0, off, s[0:3], 0
	s_nop 0
	buffer_load_dword v1, off, s[0:3], 0 offset:4
.LBB52_430:
	s_or_b64 exec, exec, s[4:5]
.LBB52_431:
	s_waitcnt vmcnt(0)
	global_store_dwordx2 v[106:107], v[0:1], off
	buffer_load_dword v0, off, s[0:3], 0 offset:8
	s_nop 0
	buffer_load_dword v1, off, s[0:3], 0 offset:12
	buffer_load_dword v106, off, s[0:3], 0 offset:16
	;; [unrolled: 1-line block ×15, first 2 shown]
	s_waitcnt vmcnt(14)
	global_store_dwordx2 v[104:105], v[0:1], off
	s_waitcnt vmcnt(13)
	global_store_dwordx2 v[2:3], v[106:107], off
	;; [unrolled: 2-line block ×8, first 2 shown]
	buffer_load_dword v0, off, s[0:3], 0 offset:72
	buffer_load_dword v1, off, s[0:3], 0 offset:76
	s_waitcnt vmcnt(0)
	global_store_dwordx2 v[14:15], v[0:1], off
	buffer_load_dword v0, off, s[0:3], 0 offset:80
	s_nop 0
	buffer_load_dword v1, off, s[0:3], 0 offset:84
	s_waitcnt vmcnt(0)
	global_store_dwordx2 v[16:17], v[0:1], off
	buffer_load_dword v0, off, s[0:3], 0 offset:88
	s_nop 0
	;; [unrolled: 5-line block ×43, first 2 shown]
	buffer_load_dword v1, off, s[0:3], 0 offset:420
	s_waitcnt vmcnt(0)
	global_store_dwordx2 v[90:91], v[0:1], off
	s_endpgm
	.section	.rodata,"a",@progbits
	.p2align	6, 0x0
	.amdhsa_kernel _ZN9rocsolver6v33100L18getri_kernel_smallILi53EdPdEEvT1_iilPiilS4_bb
		.amdhsa_group_segment_fixed_size 856
		.amdhsa_private_segment_fixed_size 432
		.amdhsa_kernarg_size 60
		.amdhsa_user_sgpr_count 8
		.amdhsa_user_sgpr_private_segment_buffer 1
		.amdhsa_user_sgpr_dispatch_ptr 0
		.amdhsa_user_sgpr_queue_ptr 0
		.amdhsa_user_sgpr_kernarg_segment_ptr 1
		.amdhsa_user_sgpr_dispatch_id 0
		.amdhsa_user_sgpr_flat_scratch_init 1
		.amdhsa_user_sgpr_kernarg_preload_length 0
		.amdhsa_user_sgpr_kernarg_preload_offset 0
		.amdhsa_user_sgpr_private_segment_size 0
		.amdhsa_uses_dynamic_stack 0
		.amdhsa_system_sgpr_private_segment_wavefront_offset 1
		.amdhsa_system_sgpr_workgroup_id_x 1
		.amdhsa_system_sgpr_workgroup_id_y 0
		.amdhsa_system_sgpr_workgroup_id_z 0
		.amdhsa_system_sgpr_workgroup_info 0
		.amdhsa_system_vgpr_workitem_id 0
		.amdhsa_next_free_vgpr 168
		.amdhsa_next_free_sgpr 23
		.amdhsa_accum_offset 168
		.amdhsa_reserve_vcc 1
		.amdhsa_reserve_flat_scratch 1
		.amdhsa_float_round_mode_32 0
		.amdhsa_float_round_mode_16_64 0
		.amdhsa_float_denorm_mode_32 3
		.amdhsa_float_denorm_mode_16_64 3
		.amdhsa_dx10_clamp 1
		.amdhsa_ieee_mode 1
		.amdhsa_fp16_overflow 0
		.amdhsa_tg_split 0
		.amdhsa_exception_fp_ieee_invalid_op 0
		.amdhsa_exception_fp_denorm_src 0
		.amdhsa_exception_fp_ieee_div_zero 0
		.amdhsa_exception_fp_ieee_overflow 0
		.amdhsa_exception_fp_ieee_underflow 0
		.amdhsa_exception_fp_ieee_inexact 0
		.amdhsa_exception_int_div_zero 0
	.end_amdhsa_kernel
	.section	.text._ZN9rocsolver6v33100L18getri_kernel_smallILi53EdPdEEvT1_iilPiilS4_bb,"axG",@progbits,_ZN9rocsolver6v33100L18getri_kernel_smallILi53EdPdEEvT1_iilPiilS4_bb,comdat
.Lfunc_end52:
	.size	_ZN9rocsolver6v33100L18getri_kernel_smallILi53EdPdEEvT1_iilPiilS4_bb, .Lfunc_end52-_ZN9rocsolver6v33100L18getri_kernel_smallILi53EdPdEEvT1_iilPiilS4_bb
                                        ; -- End function
	.section	.AMDGPU.csdata,"",@progbits
; Kernel info:
; codeLenInByte = 66428
; NumSgprs: 29
; NumVgprs: 168
; NumAgprs: 0
; TotalNumVgprs: 168
; ScratchSize: 432
; MemoryBound: 1
; FloatMode: 240
; IeeeMode: 1
; LDSByteSize: 856 bytes/workgroup (compile time only)
; SGPRBlocks: 3
; VGPRBlocks: 20
; NumSGPRsForWavesPerEU: 29
; NumVGPRsForWavesPerEU: 168
; AccumOffset: 168
; Occupancy: 3
; WaveLimiterHint : 1
; COMPUTE_PGM_RSRC2:SCRATCH_EN: 1
; COMPUTE_PGM_RSRC2:USER_SGPR: 8
; COMPUTE_PGM_RSRC2:TRAP_HANDLER: 0
; COMPUTE_PGM_RSRC2:TGID_X_EN: 1
; COMPUTE_PGM_RSRC2:TGID_Y_EN: 0
; COMPUTE_PGM_RSRC2:TGID_Z_EN: 0
; COMPUTE_PGM_RSRC2:TIDIG_COMP_CNT: 0
; COMPUTE_PGM_RSRC3_GFX90A:ACCUM_OFFSET: 41
; COMPUTE_PGM_RSRC3_GFX90A:TG_SPLIT: 0
	.section	.text._ZN9rocsolver6v33100L18getri_kernel_smallILi54EdPdEEvT1_iilPiilS4_bb,"axG",@progbits,_ZN9rocsolver6v33100L18getri_kernel_smallILi54EdPdEEvT1_iilPiilS4_bb,comdat
	.globl	_ZN9rocsolver6v33100L18getri_kernel_smallILi54EdPdEEvT1_iilPiilS4_bb ; -- Begin function _ZN9rocsolver6v33100L18getri_kernel_smallILi54EdPdEEvT1_iilPiilS4_bb
	.p2align	8
	.type	_ZN9rocsolver6v33100L18getri_kernel_smallILi54EdPdEEvT1_iilPiilS4_bb,@function
_ZN9rocsolver6v33100L18getri_kernel_smallILi54EdPdEEvT1_iilPiilS4_bb: ; @_ZN9rocsolver6v33100L18getri_kernel_smallILi54EdPdEEvT1_iilPiilS4_bb
; %bb.0:
	s_add_u32 flat_scratch_lo, s6, s9
	s_addc_u32 flat_scratch_hi, s7, 0
	s_add_u32 s0, s0, s9
	s_addc_u32 s1, s1, 0
	v_cmp_gt_u32_e32 vcc, 54, v0
	s_and_saveexec_b64 s[6:7], vcc
	s_cbranch_execz .LBB53_224
; %bb.1:
	s_load_dword s22, s[4:5], 0x38
	s_load_dwordx4 s[16:19], s[4:5], 0x10
	s_load_dwordx4 s[12:15], s[4:5], 0x28
                                        ; implicit-def: $sgpr10_sgpr11
	s_waitcnt lgkmcnt(0)
	s_bitcmp1_b32 s22, 8
	s_cselect_b64 s[20:21], -1, 0
	s_ashr_i32 s9, s8, 31
	s_bfe_u32 s6, s22, 0x10008
	s_cmp_eq_u32 s6, 0
	s_cbranch_scc1 .LBB53_3
; %bb.2:
	s_load_dword s6, s[4:5], 0x20
	s_mul_i32 s7, s8, s13
	s_mul_hi_u32 s10, s8, s12
	s_mul_i32 s11, s9, s12
	s_add_i32 s10, s10, s7
	s_add_i32 s11, s10, s11
	s_mul_i32 s10, s8, s12
	s_waitcnt lgkmcnt(0)
	s_ashr_i32 s7, s6, 31
	s_lshl_b64 s[10:11], s[10:11], 2
	s_add_u32 s10, s18, s10
	s_addc_u32 s11, s19, s11
	s_lshl_b64 s[6:7], s[6:7], 2
	s_add_u32 s10, s10, s6
	s_addc_u32 s11, s11, s7
.LBB53_3:
	s_load_dwordx4 s[4:7], s[4:5], 0x0
	s_mul_i32 s12, s8, s17
	s_mul_hi_u32 s13, s8, s16
	s_add_i32 s17, s13, s12
	s_waitcnt lgkmcnt(0)
	s_ashr_i32 s13, s6, 31
	s_mov_b32 s12, s6
	s_mul_i32 s6, s9, s16
	s_add_i32 s17, s17, s6
	s_mul_i32 s16, s8, s16
	s_lshl_b64 s[16:17], s[16:17], 3
	s_add_u32 s6, s4, s16
	s_addc_u32 s16, s5, s17
	s_lshl_b64 s[4:5], s[12:13], 3
	s_add_u32 s4, s6, s4
	s_addc_u32 s5, s16, s5
	s_add_i32 s6, s7, s7
	v_add_u32_e32 v4, s6, v0
	v_ashrrev_i32_e32 v5, 31, v4
	v_lshlrev_b64 v[2:3], 3, v[4:5]
	v_add_u32_e32 v6, s7, v4
	v_mov_b32_e32 v1, s5
	v_add_co_u32_e32 v2, vcc, s4, v2
	v_ashrrev_i32_e32 v7, 31, v6
	v_addc_co_u32_e32 v3, vcc, v1, v3, vcc
	v_lshlrev_b64 v[4:5], 3, v[6:7]
	v_add_u32_e32 v8, s7, v6
	v_add_co_u32_e32 v4, vcc, s4, v4
	v_ashrrev_i32_e32 v9, 31, v8
	v_addc_co_u32_e32 v5, vcc, v1, v5, vcc
	v_lshlrev_b64 v[6:7], 3, v[8:9]
	v_add_u32_e32 v10, s7, v8
	;; [unrolled: 5-line block ×5, first 2 shown]
	v_add_co_u32_e32 v12, vcc, s4, v12
	v_ashrrev_i32_e32 v15, 31, v14
	v_addc_co_u32_e32 v13, vcc, v1, v13, vcc
	v_lshlrev_b64 v[16:17], 3, v[14:15]
	v_add_co_u32_e32 v18, vcc, s4, v16
	v_add_u32_e32 v16, s7, v14
	v_addc_co_u32_e32 v19, vcc, v1, v17, vcc
	v_ashrrev_i32_e32 v17, 31, v16
	v_lshlrev_b64 v[14:15], 3, v[16:17]
	v_add_u32_e32 v20, s7, v16
	v_add_co_u32_e32 v14, vcc, s4, v14
	v_ashrrev_i32_e32 v21, 31, v20
	v_addc_co_u32_e32 v15, vcc, v1, v15, vcc
	v_lshlrev_b64 v[16:17], 3, v[20:21]
	v_add_u32_e32 v22, s7, v20
	v_add_co_u32_e32 v16, vcc, s4, v16
	v_ashrrev_i32_e32 v23, 31, v22
	v_addc_co_u32_e32 v17, vcc, v1, v17, vcc
	;; [unrolled: 5-line block ×38, first 2 shown]
	v_lshlrev_b64 v[92:93], 3, v[94:95]
	v_add_co_u32_e32 v92, vcc, s4, v92
	v_addc_co_u32_e32 v93, vcc, v1, v93, vcc
	v_lshlrev_b32_e32 v1, 3, v0
	global_load_dwordx2 v[110:111], v1, s[4:5]
	global_load_dwordx2 v[114:115], v[2:3], off
	v_mov_b32_e32 v96, s5
	v_add_co_u32_e32 v108, vcc, s4, v1
	s_ashr_i32 s13, s7, 31
	s_mov_b32 s12, s7
	v_addc_co_u32_e32 v109, vcc, 0, v96, vcc
	s_lshl_b64 s[12:13], s[12:13], 3
	v_mov_b32_e32 v96, s13
	v_add_co_u32_e32 v106, vcc, s12, v108
	v_addc_co_u32_e32 v107, vcc, v109, v96, vcc
	global_load_dwordx2 v[112:113], v[106:107], off
	global_load_dwordx2 v[116:117], v[4:5], off
	;; [unrolled: 1-line block ×17, first 2 shown]
	v_add_u32_e32 v94, s7, v94
	v_ashrrev_i32_e32 v95, 31, v94
	v_lshlrev_b64 v[96:97], 3, v[94:95]
	v_add_u32_e32 v94, s7, v94
	v_mov_b32_e32 v98, s5
	v_add_co_u32_e32 v96, vcc, s4, v96
	v_ashrrev_i32_e32 v95, 31, v94
	v_addc_co_u32_e32 v97, vcc, v98, v97, vcc
	v_lshlrev_b64 v[98:99], 3, v[94:95]
	v_add_u32_e32 v94, s7, v94
	global_load_dwordx2 v[148:149], v[36:37], off
	global_load_dwordx2 v[150:151], v[38:39], off
	v_mov_b32_e32 v100, s5
	v_add_co_u32_e32 v98, vcc, s4, v98
	v_ashrrev_i32_e32 v95, 31, v94
	v_addc_co_u32_e32 v99, vcc, v100, v99, vcc
	v_lshlrev_b64 v[100:101], 3, v[94:95]
	v_add_u32_e32 v94, s7, v94
	v_mov_b32_e32 v102, s5
	v_add_co_u32_e32 v100, vcc, s4, v100
	v_ashrrev_i32_e32 v95, 31, v94
	v_addc_co_u32_e32 v101, vcc, v102, v101, vcc
	v_lshlrev_b64 v[102:103], 3, v[94:95]
	v_add_u32_e32 v94, s7, v94
	v_mov_b32_e32 v104, s5
	v_add_co_u32_e32 v102, vcc, s4, v102
	v_ashrrev_i32_e32 v95, 31, v94
	global_load_dwordx2 v[152:153], v[40:41], off
	global_load_dwordx2 v[154:155], v[42:43], off
	v_addc_co_u32_e32 v103, vcc, v104, v103, vcc
	v_lshlrev_b64 v[104:105], 3, v[94:95]
	v_mov_b32_e32 v156, s5
	v_add_co_u32_e32 v104, vcc, s4, v104
	v_addc_co_u32_e32 v105, vcc, v156, v105, vcc
	global_load_dwordx2 v[156:157], v[44:45], off
	global_load_dwordx2 v[158:159], v[46:47], off
	v_add_u32_e32 v94, s7, v94
	v_ashrrev_i32_e32 v95, 31, v94
	v_lshlrev_b64 v[94:95], 3, v[94:95]
	v_mov_b32_e32 v160, s5
	v_add_co_u32_e32 v94, vcc, s4, v94
	v_addc_co_u32_e32 v95, vcc, v160, v95, vcc
	global_load_dwordx2 v[160:161], v[48:49], off
	global_load_dwordx2 v[162:163], v[94:95], off
	s_waitcnt vmcnt(26)
	buffer_store_dword v111, off, s[0:3], 0 offset:4
	buffer_store_dword v110, off, s[0:3], 0
	global_load_dwordx2 v[110:111], v[50:51], off
	s_waitcnt vmcnt(27)
	buffer_store_dword v113, off, s[0:3], 0 offset:12
	buffer_store_dword v112, off, s[0:3], 0 offset:8
	;; [unrolled: 1-line block ×4, first 2 shown]
	s_waitcnt vmcnt(30)
	buffer_store_dword v117, off, s[0:3], 0 offset:28
	buffer_store_dword v116, off, s[0:3], 0 offset:24
	s_waitcnt vmcnt(31)
	buffer_store_dword v119, off, s[0:3], 0 offset:36
	buffer_store_dword v118, off, s[0:3], 0 offset:32
	;; [unrolled: 3-line block ×6, first 2 shown]
	buffer_store_dword v128, off, s[0:3], 0 offset:72
	buffer_store_dword v129, off, s[0:3], 0 offset:76
	;; [unrolled: 1-line block ×4, first 2 shown]
	s_waitcnt vmcnt(38)
	buffer_store_dword v132, off, s[0:3], 0 offset:88
	buffer_store_dword v133, off, s[0:3], 0 offset:92
	s_waitcnt vmcnt(39)
	buffer_store_dword v134, off, s[0:3], 0 offset:96
	buffer_store_dword v135, off, s[0:3], 0 offset:100
	;; [unrolled: 3-line block ×3, first 2 shown]
	s_waitcnt vmcnt(41)
	buffer_store_dword v139, off, s[0:3], 0 offset:116
	global_load_dwordx2 v[112:113], v[52:53], off
	global_load_dwordx2 v[114:115], v[54:55], off
	global_load_dwordx2 v[116:117], v[56:57], off
	global_load_dwordx2 v[118:119], v[58:59], off
	global_load_dwordx2 v[120:121], v[60:61], off
	global_load_dwordx2 v[122:123], v[62:63], off
	global_load_dwordx2 v[124:125], v[64:65], off
	global_load_dwordx2 v[126:127], v[66:67], off
	global_load_dwordx2 v[128:129], v[68:69], off
	global_load_dwordx2 v[130:131], v[70:71], off
	global_load_dwordx2 v[132:133], v[72:73], off
	global_load_dwordx2 v[134:135], v[74:75], off
	global_load_dwordx2 v[136:137], v[76:77], off
	s_bitcmp0_b32 s22, 0
	buffer_store_dword v138, off, s[0:3], 0 offset:112
	global_load_dwordx2 v[138:139], v[78:79], off
	s_mov_b64 s[6:7], -1
	s_waitcnt vmcnt(56)
	buffer_store_dword v140, off, s[0:3], 0 offset:120
	buffer_store_dword v141, off, s[0:3], 0 offset:124
	global_load_dwordx2 v[140:141], v[80:81], off
	s_waitcnt vmcnt(58)
	buffer_store_dword v142, off, s[0:3], 0 offset:128
	buffer_store_dword v143, off, s[0:3], 0 offset:132
	global_load_dwordx2 v[142:143], v[82:83], off
	;; [unrolled: 4-line block ×5, first 2 shown]
	s_nop 0
	buffer_store_dword v151, off, s[0:3], 0 offset:164
	buffer_store_dword v150, off, s[0:3], 0 offset:160
	global_load_dwordx2 v[150:151], v[90:91], off
	s_nop 0
	buffer_store_dword v152, off, s[0:3], 0 offset:168
	buffer_store_dword v153, off, s[0:3], 0 offset:172
	global_load_dwordx2 v[152:153], v[92:93], off
	s_waitcnt vmcnt(62)
	buffer_store_dword v154, off, s[0:3], 0 offset:176
	buffer_store_dword v155, off, s[0:3], 0 offset:180
	global_load_dwordx2 v[154:155], v[96:97], off
	s_nop 0
	buffer_store_dword v156, off, s[0:3], 0 offset:184
	buffer_store_dword v157, off, s[0:3], 0 offset:188
	global_load_dwordx2 v[156:157], v[98:99], off
	s_nop 0
	;; [unrolled: 4-line block ×4, first 2 shown]
	buffer_store_dword v111, off, s[0:3], 0 offset:212
	buffer_store_dword v110, off, s[0:3], 0 offset:208
	global_load_dwordx2 v[110:111], v[104:105], off
	s_waitcnt vmcnt(50)
	buffer_store_dword v112, off, s[0:3], 0 offset:216
	buffer_store_dword v113, off, s[0:3], 0 offset:220
	s_waitcnt vmcnt(51)
	buffer_store_dword v114, off, s[0:3], 0 offset:224
	buffer_store_dword v115, off, s[0:3], 0 offset:228
	s_waitcnt vmcnt(52)
	buffer_store_dword v116, off, s[0:3], 0 offset:232
	buffer_store_dword v117, off, s[0:3], 0 offset:236
	s_waitcnt vmcnt(53)
	buffer_store_dword v118, off, s[0:3], 0 offset:240
	buffer_store_dword v119, off, s[0:3], 0 offset:244
	s_waitcnt vmcnt(54)
	buffer_store_dword v121, off, s[0:3], 0 offset:252
	buffer_store_dword v120, off, s[0:3], 0 offset:248
	s_waitcnt vmcnt(55)
	buffer_store_dword v123, off, s[0:3], 0 offset:260
	buffer_store_dword v122, off, s[0:3], 0 offset:256
	s_waitcnt vmcnt(56)
	buffer_store_dword v124, off, s[0:3], 0 offset:264
	buffer_store_dword v125, off, s[0:3], 0 offset:268
	s_waitcnt vmcnt(57)
	buffer_store_dword v126, off, s[0:3], 0 offset:272
	buffer_store_dword v127, off, s[0:3], 0 offset:276
	s_waitcnt vmcnt(58)
	buffer_store_dword v128, off, s[0:3], 0 offset:280
	buffer_store_dword v129, off, s[0:3], 0 offset:284
	s_waitcnt vmcnt(59)
	buffer_store_dword v130, off, s[0:3], 0 offset:288
	buffer_store_dword v131, off, s[0:3], 0 offset:292
	s_waitcnt vmcnt(60)
	buffer_store_dword v133, off, s[0:3], 0 offset:300
	buffer_store_dword v132, off, s[0:3], 0 offset:296
	s_waitcnt vmcnt(61)
	buffer_store_dword v135, off, s[0:3], 0 offset:308
	buffer_store_dword v134, off, s[0:3], 0 offset:304
	s_waitcnt vmcnt(62)
	buffer_store_dword v136, off, s[0:3], 0 offset:312
	buffer_store_dword v137, off, s[0:3], 0 offset:316
	s_waitcnt vmcnt(62)
	buffer_store_dword v138, off, s[0:3], 0 offset:320
	buffer_store_dword v139, off, s[0:3], 0 offset:324
	s_waitcnt vmcnt(61)
	buffer_store_dword v140, off, s[0:3], 0 offset:328
	buffer_store_dword v141, off, s[0:3], 0 offset:332
	s_waitcnt vmcnt(60)
	buffer_store_dword v142, off, s[0:3], 0 offset:336
	buffer_store_dword v143, off, s[0:3], 0 offset:340
	s_waitcnt vmcnt(59)
	buffer_store_dword v145, off, s[0:3], 0 offset:348
	buffer_store_dword v144, off, s[0:3], 0 offset:344
	s_waitcnt vmcnt(58)
	buffer_store_dword v147, off, s[0:3], 0 offset:356
	buffer_store_dword v146, off, s[0:3], 0 offset:352
	s_waitcnt vmcnt(57)
	buffer_store_dword v148, off, s[0:3], 0 offset:360
	buffer_store_dword v149, off, s[0:3], 0 offset:364
	s_waitcnt vmcnt(56)
	buffer_store_dword v150, off, s[0:3], 0 offset:368
	buffer_store_dword v151, off, s[0:3], 0 offset:372
	s_waitcnt vmcnt(55)
	buffer_store_dword v152, off, s[0:3], 0 offset:376
	buffer_store_dword v153, off, s[0:3], 0 offset:380
	s_waitcnt vmcnt(54)
	buffer_store_dword v154, off, s[0:3], 0 offset:384
	buffer_store_dword v155, off, s[0:3], 0 offset:388
	s_waitcnt vmcnt(53)
	buffer_store_dword v157, off, s[0:3], 0 offset:396
	buffer_store_dword v156, off, s[0:3], 0 offset:392
	s_waitcnt vmcnt(52)
	buffer_store_dword v159, off, s[0:3], 0 offset:404
	buffer_store_dword v158, off, s[0:3], 0 offset:400
	s_waitcnt vmcnt(51)
	buffer_store_dword v160, off, s[0:3], 0 offset:408
	buffer_store_dword v161, off, s[0:3], 0 offset:412
	s_waitcnt vmcnt(50)
	buffer_store_dword v110, off, s[0:3], 0 offset:416
	buffer_store_dword v111, off, s[0:3], 0 offset:420
	buffer_store_dword v162, off, s[0:3], 0 offset:424
	buffer_store_dword v163, off, s[0:3], 0 offset:428
	s_cbranch_scc1 .LBB53_222
; %bb.4:
	v_cmp_eq_u32_e64 s[4:5], 0, v0
	s_and_saveexec_b64 s[6:7], s[4:5]
	s_cbranch_execz .LBB53_6
; %bb.5:
	v_mov_b32_e32 v110, 0
	ds_write_b32 v110, v110 offset:864
.LBB53_6:
	s_or_b64 exec, exec, s[6:7]
	v_mov_b32_e32 v110, 0
	v_lshl_add_u32 v110, v0, 3, v110
	s_waitcnt lgkmcnt(0)
	; wave barrier
	s_waitcnt lgkmcnt(0)
	buffer_load_dword v112, v110, s[0:3], 0 offen
	buffer_load_dword v113, v110, s[0:3], 0 offen offset:4
	s_waitcnt vmcnt(0)
	v_cmp_eq_f64_e32 vcc, 0, v[112:113]
	s_and_saveexec_b64 s[12:13], vcc
	s_cbranch_execz .LBB53_10
; %bb.7:
	v_mov_b32_e32 v111, 0
	ds_read_b32 v113, v111 offset:864
	v_add_u32_e32 v112, 1, v0
	s_waitcnt lgkmcnt(0)
	v_readfirstlane_b32 s6, v113
	s_cmp_eq_u32 s6, 0
	s_cselect_b64 s[16:17], -1, 0
	v_cmp_gt_i32_e32 vcc, s6, v112
	s_or_b64 s[16:17], s[16:17], vcc
	s_and_b64 exec, exec, s[16:17]
	s_cbranch_execz .LBB53_10
; %bb.8:
	s_mov_b64 s[16:17], 0
	v_mov_b32_e32 v113, s6
.LBB53_9:                               ; =>This Inner Loop Header: Depth=1
	ds_cmpst_rtn_b32 v113, v111, v113, v112 offset:864
	s_waitcnt lgkmcnt(0)
	v_cmp_ne_u32_e32 vcc, 0, v113
	v_cmp_le_i32_e64 s[6:7], v113, v112
	s_and_b64 s[6:7], vcc, s[6:7]
	s_and_b64 s[6:7], exec, s[6:7]
	s_or_b64 s[16:17], s[6:7], s[16:17]
	s_andn2_b64 exec, exec, s[16:17]
	s_cbranch_execnz .LBB53_9
.LBB53_10:
	s_or_b64 exec, exec, s[12:13]
	v_mov_b32_e32 v112, 0
	s_waitcnt lgkmcnt(0)
	; wave barrier
	ds_read_b32 v111, v112 offset:864
	s_and_saveexec_b64 s[6:7], s[4:5]
	s_cbranch_execz .LBB53_12
; %bb.11:
	s_lshl_b64 s[12:13], s[8:9], 2
	s_add_u32 s12, s14, s12
	s_addc_u32 s13, s15, s13
	s_waitcnt lgkmcnt(0)
	global_store_dword v112, v111, s[12:13]
.LBB53_12:
	s_or_b64 exec, exec, s[6:7]
	s_waitcnt lgkmcnt(0)
	v_cmp_ne_u32_e32 vcc, 0, v111
	s_mov_b64 s[6:7], 0
	s_cbranch_vccnz .LBB53_222
; %bb.13:
	buffer_load_dword v112, v110, s[0:3], 0 offen
	buffer_load_dword v113, v110, s[0:3], 0 offen offset:4
	s_waitcnt vmcnt(0)
	v_div_scale_f64 v[114:115], s[6:7], v[112:113], v[112:113], 1.0
	v_rcp_f64_e32 v[116:117], v[114:115]
	v_div_scale_f64 v[118:119], vcc, 1.0, v[112:113], 1.0
	v_fma_f64 v[120:121], -v[114:115], v[116:117], 1.0
	v_fmac_f64_e32 v[116:117], v[116:117], v[120:121]
	v_fma_f64 v[120:121], -v[114:115], v[116:117], 1.0
	v_fmac_f64_e32 v[116:117], v[116:117], v[120:121]
	v_mul_f64 v[120:121], v[118:119], v[116:117]
	v_fma_f64 v[114:115], -v[114:115], v[120:121], v[118:119]
	v_div_fmas_f64 v[114:115], v[114:115], v[116:117], v[120:121]
	v_div_fixup_f64 v[114:115], v[114:115], v[112:113], 1.0
	buffer_store_dword v115, v110, s[0:3], 0 offen offset:4
	buffer_store_dword v114, v110, s[0:3], 0 offen
	buffer_load_dword v117, off, s[0:3], 0 offset:12
	buffer_load_dword v116, off, s[0:3], 0 offset:8
	v_add_u32_e32 v112, 0x1b0, v1
	v_xor_b32_e32 v115, 0x80000000, v115
	s_waitcnt vmcnt(0)
	ds_write2_b64 v1, v[114:115], v[116:117] offset1:54
	s_waitcnt lgkmcnt(0)
	; wave barrier
	s_waitcnt lgkmcnt(0)
	s_and_saveexec_b64 s[6:7], s[4:5]
	s_cbranch_execz .LBB53_15
; %bb.14:
	buffer_load_dword v114, v110, s[0:3], 0 offen
	buffer_load_dword v115, v110, s[0:3], 0 offen offset:4
	v_mov_b32_e32 v111, 0
	ds_read_b64 v[116:117], v112
	ds_read_b64 v[118:119], v111 offset:8
	s_waitcnt vmcnt(0) lgkmcnt(1)
	v_fma_f64 v[114:115], v[114:115], v[116:117], 0
	s_waitcnt lgkmcnt(0)
	v_mul_f64 v[114:115], v[114:115], v[118:119]
	buffer_store_dword v114, off, s[0:3], 0 offset:8
	buffer_store_dword v115, off, s[0:3], 0 offset:12
.LBB53_15:
	s_or_b64 exec, exec, s[6:7]
	s_waitcnt lgkmcnt(0)
	; wave barrier
	buffer_load_dword v114, off, s[0:3], 0 offset:16
	buffer_load_dword v115, off, s[0:3], 0 offset:20
	v_cmp_gt_u32_e32 vcc, 2, v0
	s_waitcnt vmcnt(0)
	ds_write_b64 v112, v[114:115]
	s_waitcnt lgkmcnt(0)
	; wave barrier
	s_waitcnt lgkmcnt(0)
	s_and_saveexec_b64 s[6:7], vcc
	s_cbranch_execz .LBB53_17
; %bb.16:
	buffer_load_dword v111, v110, s[0:3], 0 offen offset:4
	buffer_load_dword v118, off, s[0:3], 0 offset:8
	s_nop 0
	buffer_load_dword v110, v110, s[0:3], 0 offen
	s_nop 0
	buffer_load_dword v119, off, s[0:3], 0 offset:12
	ds_read_b64 v[120:121], v112
	v_mov_b32_e32 v113, 0
	ds_read2_b64 v[114:117], v113 offset0:2 offset1:55
	s_waitcnt vmcnt(1) lgkmcnt(1)
	v_fma_f64 v[110:111], v[110:111], v[120:121], 0
	s_waitcnt vmcnt(0) lgkmcnt(0)
	v_fma_f64 v[116:117], v[118:119], v[116:117], v[110:111]
	v_cndmask_b32_e64 v111, v111, v117, s[4:5]
	v_cndmask_b32_e64 v110, v110, v116, s[4:5]
	v_mul_f64 v[110:111], v[110:111], v[114:115]
	buffer_store_dword v111, off, s[0:3], 0 offset:20
	buffer_store_dword v110, off, s[0:3], 0 offset:16
.LBB53_17:
	s_or_b64 exec, exec, s[6:7]
	s_waitcnt lgkmcnt(0)
	; wave barrier
	buffer_load_dword v110, off, s[0:3], 0 offset:24
	buffer_load_dword v111, off, s[0:3], 0 offset:28
	v_cmp_gt_u32_e32 vcc, 3, v0
	v_add_u32_e32 v113, -1, v0
	s_waitcnt vmcnt(0)
	ds_write_b64 v112, v[110:111]
	s_waitcnt lgkmcnt(0)
	; wave barrier
	s_waitcnt lgkmcnt(0)
	s_and_saveexec_b64 s[4:5], vcc
	s_cbranch_execz .LBB53_21
; %bb.18:
	v_add_u32_e32 v114, -1, v0
	v_add_u32_e32 v115, 0x1b0, v1
	v_add_u32_e32 v116, 0, v1
	s_mov_b64 s[6:7], 0
	v_pk_mov_b32 v[110:111], 0, 0
.LBB53_19:                              ; =>This Inner Loop Header: Depth=1
	buffer_load_dword v118, v116, s[0:3], 0 offen
	buffer_load_dword v119, v116, s[0:3], 0 offen offset:4
	ds_read_b64 v[120:121], v115
	v_add_u32_e32 v114, 1, v114
	v_cmp_lt_u32_e32 vcc, 1, v114
	v_add_u32_e32 v115, 8, v115
	v_add_u32_e32 v116, 8, v116
	s_or_b64 s[6:7], vcc, s[6:7]
	s_waitcnt vmcnt(0) lgkmcnt(0)
	v_fmac_f64_e32 v[110:111], v[118:119], v[120:121]
	s_andn2_b64 exec, exec, s[6:7]
	s_cbranch_execnz .LBB53_19
; %bb.20:
	s_or_b64 exec, exec, s[6:7]
	v_mov_b32_e32 v114, 0
	ds_read_b64 v[114:115], v114 offset:24
	s_waitcnt lgkmcnt(0)
	v_mul_f64 v[110:111], v[110:111], v[114:115]
	buffer_store_dword v111, off, s[0:3], 0 offset:28
	buffer_store_dword v110, off, s[0:3], 0 offset:24
.LBB53_21:
	s_or_b64 exec, exec, s[4:5]
	s_waitcnt lgkmcnt(0)
	; wave barrier
	buffer_load_dword v110, off, s[0:3], 0 offset:32
	buffer_load_dword v111, off, s[0:3], 0 offset:36
	v_cmp_gt_u32_e32 vcc, 4, v0
	s_waitcnt vmcnt(0)
	ds_write_b64 v112, v[110:111]
	s_waitcnt lgkmcnt(0)
	; wave barrier
	s_waitcnt lgkmcnt(0)
	s_and_saveexec_b64 s[4:5], vcc
	s_cbranch_execz .LBB53_25
; %bb.22:
	v_add_u32_e32 v114, -1, v0
	v_add_u32_e32 v115, 0x1b0, v1
	v_add_u32_e32 v116, 0, v1
	s_mov_b64 s[6:7], 0
	v_pk_mov_b32 v[110:111], 0, 0
.LBB53_23:                              ; =>This Inner Loop Header: Depth=1
	buffer_load_dword v118, v116, s[0:3], 0 offen
	buffer_load_dword v119, v116, s[0:3], 0 offen offset:4
	ds_read_b64 v[120:121], v115
	v_add_u32_e32 v114, 1, v114
	v_cmp_lt_u32_e32 vcc, 2, v114
	v_add_u32_e32 v115, 8, v115
	v_add_u32_e32 v116, 8, v116
	s_or_b64 s[6:7], vcc, s[6:7]
	s_waitcnt vmcnt(0) lgkmcnt(0)
	v_fmac_f64_e32 v[110:111], v[118:119], v[120:121]
	s_andn2_b64 exec, exec, s[6:7]
	s_cbranch_execnz .LBB53_23
; %bb.24:
	s_or_b64 exec, exec, s[6:7]
	v_mov_b32_e32 v114, 0
	ds_read_b64 v[114:115], v114 offset:32
	s_waitcnt lgkmcnt(0)
	v_mul_f64 v[110:111], v[110:111], v[114:115]
	buffer_store_dword v111, off, s[0:3], 0 offset:36
	buffer_store_dword v110, off, s[0:3], 0 offset:32
.LBB53_25:
	s_or_b64 exec, exec, s[4:5]
	s_waitcnt lgkmcnt(0)
	; wave barrier
	buffer_load_dword v110, off, s[0:3], 0 offset:40
	buffer_load_dword v111, off, s[0:3], 0 offset:44
	v_cmp_gt_u32_e32 vcc, 5, v0
	;; [unrolled: 41-line block ×21, first 2 shown]
	s_waitcnt vmcnt(0)
	ds_write_b64 v112, v[110:111]
	s_waitcnt lgkmcnt(0)
	; wave barrier
	s_waitcnt lgkmcnt(0)
	s_and_saveexec_b64 s[4:5], vcc
	s_cbranch_execz .LBB53_105
; %bb.102:
	v_add_u32_e32 v114, -1, v0
	v_add_u32_e32 v115, 0x1b0, v1
	v_add_u32_e32 v116, 0, v1
	s_mov_b64 s[6:7], 0
	v_pk_mov_b32 v[110:111], 0, 0
.LBB53_103:                             ; =>This Inner Loop Header: Depth=1
	buffer_load_dword v118, v116, s[0:3], 0 offen
	buffer_load_dword v119, v116, s[0:3], 0 offen offset:4
	ds_read_b64 v[120:121], v115
	v_add_u32_e32 v114, 1, v114
	v_cmp_lt_u32_e32 vcc, 22, v114
	v_add_u32_e32 v115, 8, v115
	v_add_u32_e32 v116, 8, v116
	s_or_b64 s[6:7], vcc, s[6:7]
	s_waitcnt vmcnt(0) lgkmcnt(0)
	v_fmac_f64_e32 v[110:111], v[118:119], v[120:121]
	s_andn2_b64 exec, exec, s[6:7]
	s_cbranch_execnz .LBB53_103
; %bb.104:
	s_or_b64 exec, exec, s[6:7]
	v_mov_b32_e32 v114, 0
	ds_read_b64 v[114:115], v114 offset:192
	s_waitcnt lgkmcnt(0)
	v_mul_f64 v[110:111], v[110:111], v[114:115]
	buffer_store_dword v111, off, s[0:3], 0 offset:196
	buffer_store_dword v110, off, s[0:3], 0 offset:192
.LBB53_105:
	s_or_b64 exec, exec, s[4:5]
	s_waitcnt lgkmcnt(0)
	; wave barrier
	buffer_load_dword v110, off, s[0:3], 0 offset:200
	buffer_load_dword v111, off, s[0:3], 0 offset:204
	v_cmp_gt_u32_e32 vcc, 25, v0
	s_waitcnt vmcnt(0)
	ds_write_b64 v112, v[110:111]
	s_waitcnt lgkmcnt(0)
	; wave barrier
	s_waitcnt lgkmcnt(0)
	s_and_saveexec_b64 s[4:5], vcc
	s_cbranch_execz .LBB53_109
; %bb.106:
	v_add_u32_e32 v114, -1, v0
	v_add_u32_e32 v115, 0x1b0, v1
	v_add_u32_e32 v116, 0, v1
	s_mov_b64 s[6:7], 0
	v_pk_mov_b32 v[110:111], 0, 0
.LBB53_107:                             ; =>This Inner Loop Header: Depth=1
	buffer_load_dword v118, v116, s[0:3], 0 offen
	buffer_load_dword v119, v116, s[0:3], 0 offen offset:4
	ds_read_b64 v[120:121], v115
	v_add_u32_e32 v114, 1, v114
	v_cmp_lt_u32_e32 vcc, 23, v114
	v_add_u32_e32 v115, 8, v115
	v_add_u32_e32 v116, 8, v116
	s_or_b64 s[6:7], vcc, s[6:7]
	s_waitcnt vmcnt(0) lgkmcnt(0)
	v_fmac_f64_e32 v[110:111], v[118:119], v[120:121]
	s_andn2_b64 exec, exec, s[6:7]
	s_cbranch_execnz .LBB53_107
; %bb.108:
	s_or_b64 exec, exec, s[6:7]
	v_mov_b32_e32 v114, 0
	ds_read_b64 v[114:115], v114 offset:200
	s_waitcnt lgkmcnt(0)
	v_mul_f64 v[110:111], v[110:111], v[114:115]
	buffer_store_dword v111, off, s[0:3], 0 offset:204
	buffer_store_dword v110, off, s[0:3], 0 offset:200
.LBB53_109:
	s_or_b64 exec, exec, s[4:5]
	s_waitcnt lgkmcnt(0)
	; wave barrier
	buffer_load_dword v110, off, s[0:3], 0 offset:208
	buffer_load_dword v111, off, s[0:3], 0 offset:212
	v_cmp_gt_u32_e32 vcc, 26, v0
	;; [unrolled: 41-line block ×28, first 2 shown]
	s_waitcnt vmcnt(0)
	ds_write_b64 v112, v[110:111]
	s_waitcnt lgkmcnt(0)
	; wave barrier
	s_waitcnt lgkmcnt(0)
	s_and_saveexec_b64 s[4:5], vcc
	s_cbranch_execz .LBB53_217
; %bb.214:
	v_add_u32_e32 v114, -1, v0
	v_add_u32_e32 v115, 0x1b0, v1
	v_add_u32_e32 v116, 0, v1
	s_mov_b64 s[6:7], 0
	v_pk_mov_b32 v[110:111], 0, 0
.LBB53_215:                             ; =>This Inner Loop Header: Depth=1
	buffer_load_dword v118, v116, s[0:3], 0 offen
	buffer_load_dword v119, v116, s[0:3], 0 offen offset:4
	ds_read_b64 v[120:121], v115
	v_add_u32_e32 v114, 1, v114
	v_cmp_lt_u32_e32 vcc, 50, v114
	v_add_u32_e32 v115, 8, v115
	v_add_u32_e32 v116, 8, v116
	s_or_b64 s[6:7], vcc, s[6:7]
	s_waitcnt vmcnt(0) lgkmcnt(0)
	v_fmac_f64_e32 v[110:111], v[118:119], v[120:121]
	s_andn2_b64 exec, exec, s[6:7]
	s_cbranch_execnz .LBB53_215
; %bb.216:
	s_or_b64 exec, exec, s[6:7]
	v_mov_b32_e32 v114, 0
	ds_read_b64 v[114:115], v114 offset:416
	s_waitcnt lgkmcnt(0)
	v_mul_f64 v[110:111], v[110:111], v[114:115]
	buffer_store_dword v111, off, s[0:3], 0 offset:420
	buffer_store_dword v110, off, s[0:3], 0 offset:416
.LBB53_217:
	s_or_b64 exec, exec, s[4:5]
	s_waitcnt lgkmcnt(0)
	; wave barrier
	buffer_load_dword v110, off, s[0:3], 0 offset:424
	buffer_load_dword v111, off, s[0:3], 0 offset:428
	v_cmp_ne_u32_e32 vcc, 53, v0
	s_waitcnt vmcnt(0)
	ds_write_b64 v112, v[110:111]
	s_waitcnt lgkmcnt(0)
	; wave barrier
	s_waitcnt lgkmcnt(0)
	s_and_saveexec_b64 s[4:5], vcc
	s_cbranch_execz .LBB53_221
; %bb.218:
	v_add_u32_e32 v112, 0x1b0, v1
	v_add_u32_e32 v1, 0, v1
	s_mov_b64 s[6:7], 0
	v_pk_mov_b32 v[110:111], 0, 0
.LBB53_219:                             ; =>This Inner Loop Header: Depth=1
	buffer_load_dword v114, v1, s[0:3], 0 offen
	buffer_load_dword v115, v1, s[0:3], 0 offen offset:4
	ds_read_b64 v[116:117], v112
	v_add_u32_e32 v113, 1, v113
	v_cmp_lt_u32_e32 vcc, 51, v113
	v_add_u32_e32 v112, 8, v112
	v_add_u32_e32 v1, 8, v1
	s_or_b64 s[6:7], vcc, s[6:7]
	s_waitcnt vmcnt(0) lgkmcnt(0)
	v_fmac_f64_e32 v[110:111], v[114:115], v[116:117]
	s_andn2_b64 exec, exec, s[6:7]
	s_cbranch_execnz .LBB53_219
; %bb.220:
	s_or_b64 exec, exec, s[6:7]
	v_mov_b32_e32 v1, 0
	ds_read_b64 v[112:113], v1 offset:424
	s_waitcnt lgkmcnt(0)
	v_mul_f64 v[110:111], v[110:111], v[112:113]
	buffer_store_dword v111, off, s[0:3], 0 offset:428
	buffer_store_dword v110, off, s[0:3], 0 offset:424
.LBB53_221:
	s_or_b64 exec, exec, s[4:5]
	s_mov_b64 s[6:7], -1
	s_waitcnt lgkmcnt(0)
	; wave barrier
.LBB53_222:
	s_and_b64 vcc, exec, s[6:7]
	s_cbranch_vccz .LBB53_224
; %bb.223:
	s_lshl_b64 s[4:5], s[8:9], 2
	s_add_u32 s4, s14, s4
	s_addc_u32 s5, s15, s5
	v_mov_b32_e32 v1, 0
	global_load_dword v1, v1, s[4:5]
	s_waitcnt vmcnt(0)
	v_cmp_ne_u32_e32 vcc, 0, v1
	s_cbranch_vccz .LBB53_225
.LBB53_224:
	s_endpgm
.LBB53_225:
	v_mov_b32_e32 v1, 0x1b0
	v_lshl_add_u32 v1, v0, 3, v1
	v_cmp_eq_u32_e32 vcc, 53, v0
	s_and_saveexec_b64 s[4:5], vcc
	s_cbranch_execz .LBB53_227
; %bb.226:
	buffer_load_dword v110, off, s[0:3], 0 offset:416
	buffer_load_dword v111, off, s[0:3], 0 offset:420
	v_mov_b32_e32 v112, 0
	buffer_store_dword v112, off, s[0:3], 0 offset:416
	buffer_store_dword v112, off, s[0:3], 0 offset:420
	s_waitcnt vmcnt(2)
	ds_write_b64 v1, v[110:111]
.LBB53_227:
	s_or_b64 exec, exec, s[4:5]
	s_waitcnt lgkmcnt(0)
	; wave barrier
	s_waitcnt lgkmcnt(0)
	buffer_load_dword v112, off, s[0:3], 0 offset:424
	buffer_load_dword v113, off, s[0:3], 0 offset:428
	;; [unrolled: 1-line block ×4, first 2 shown]
	v_mov_b32_e32 v110, 0
	ds_read_b64 v[116:117], v110 offset:856
	v_cmp_lt_u32_e32 vcc, 51, v0
	s_waitcnt vmcnt(2) lgkmcnt(0)
	v_fma_f64 v[112:113], v[112:113], v[116:117], 0
	s_waitcnt vmcnt(0)
	v_add_f64 v[112:113], v[114:115], -v[112:113]
	buffer_store_dword v112, off, s[0:3], 0 offset:416
	buffer_store_dword v113, off, s[0:3], 0 offset:420
	s_and_saveexec_b64 s[4:5], vcc
	s_cbranch_execz .LBB53_229
; %bb.228:
	buffer_load_dword v112, off, s[0:3], 0 offset:408
	buffer_load_dword v113, off, s[0:3], 0 offset:412
	s_waitcnt vmcnt(0)
	ds_write_b64 v1, v[112:113]
	buffer_store_dword v110, off, s[0:3], 0 offset:408
	buffer_store_dword v110, off, s[0:3], 0 offset:412
.LBB53_229:
	s_or_b64 exec, exec, s[4:5]
	s_waitcnt lgkmcnt(0)
	; wave barrier
	s_waitcnt lgkmcnt(0)
	buffer_load_dword v114, off, s[0:3], 0 offset:416
	buffer_load_dword v115, off, s[0:3], 0 offset:420
	;; [unrolled: 1-line block ×6, first 2 shown]
	ds_read_b128 v[110:113], v110 offset:848
	v_cmp_lt_u32_e32 vcc, 50, v0
	s_waitcnt vmcnt(4) lgkmcnt(0)
	v_fma_f64 v[110:111], v[114:115], v[110:111], 0
	s_waitcnt vmcnt(2)
	v_fmac_f64_e32 v[110:111], v[116:117], v[112:113]
	s_waitcnt vmcnt(0)
	v_add_f64 v[110:111], v[118:119], -v[110:111]
	buffer_store_dword v110, off, s[0:3], 0 offset:408
	buffer_store_dword v111, off, s[0:3], 0 offset:412
	s_and_saveexec_b64 s[4:5], vcc
	s_cbranch_execz .LBB53_231
; %bb.230:
	buffer_load_dword v110, off, s[0:3], 0 offset:400
	buffer_load_dword v111, off, s[0:3], 0 offset:404
	v_mov_b32_e32 v112, 0
	buffer_store_dword v112, off, s[0:3], 0 offset:400
	buffer_store_dword v112, off, s[0:3], 0 offset:404
	s_waitcnt vmcnt(2)
	ds_write_b64 v1, v[110:111]
.LBB53_231:
	s_or_b64 exec, exec, s[4:5]
	s_waitcnt lgkmcnt(0)
	; wave barrier
	s_waitcnt lgkmcnt(0)
	buffer_load_dword v116, off, s[0:3], 0 offset:408
	buffer_load_dword v117, off, s[0:3], 0 offset:412
	;; [unrolled: 1-line block ×8, first 2 shown]
	v_mov_b32_e32 v110, 0
	ds_read2_b64 v[112:115], v110 offset0:105 offset1:106
	ds_read_b64 v[124:125], v110 offset:856
	v_cmp_lt_u32_e32 vcc, 49, v0
	s_waitcnt vmcnt(6) lgkmcnt(1)
	v_fma_f64 v[112:113], v[116:117], v[112:113], 0
	s_waitcnt vmcnt(4)
	v_fmac_f64_e32 v[112:113], v[118:119], v[114:115]
	s_waitcnt vmcnt(2) lgkmcnt(0)
	v_fmac_f64_e32 v[112:113], v[120:121], v[124:125]
	s_waitcnt vmcnt(0)
	v_add_f64 v[112:113], v[122:123], -v[112:113]
	buffer_store_dword v112, off, s[0:3], 0 offset:400
	buffer_store_dword v113, off, s[0:3], 0 offset:404
	s_and_saveexec_b64 s[4:5], vcc
	s_cbranch_execz .LBB53_233
; %bb.232:
	buffer_load_dword v112, off, s[0:3], 0 offset:392
	buffer_load_dword v113, off, s[0:3], 0 offset:396
	s_waitcnt vmcnt(0)
	ds_write_b64 v1, v[112:113]
	buffer_store_dword v110, off, s[0:3], 0 offset:392
	buffer_store_dword v110, off, s[0:3], 0 offset:396
.LBB53_233:
	s_or_b64 exec, exec, s[4:5]
	s_waitcnt lgkmcnt(0)
	; wave barrier
	s_waitcnt lgkmcnt(0)
	buffer_load_dword v120, off, s[0:3], 0 offset:400
	buffer_load_dword v121, off, s[0:3], 0 offset:404
	;; [unrolled: 1-line block ×10, first 2 shown]
	ds_read_b128 v[112:115], v110 offset:832
	ds_read_b128 v[116:119], v110 offset:848
	v_cmp_lt_u32_e32 vcc, 48, v0
	s_waitcnt vmcnt(8) lgkmcnt(1)
	v_fma_f64 v[110:111], v[120:121], v[112:113], 0
	s_waitcnt vmcnt(6)
	v_fmac_f64_e32 v[110:111], v[122:123], v[114:115]
	s_waitcnt vmcnt(4) lgkmcnt(0)
	v_fmac_f64_e32 v[110:111], v[124:125], v[116:117]
	s_waitcnt vmcnt(2)
	v_fmac_f64_e32 v[110:111], v[126:127], v[118:119]
	s_waitcnt vmcnt(0)
	v_add_f64 v[110:111], v[128:129], -v[110:111]
	buffer_store_dword v110, off, s[0:3], 0 offset:392
	buffer_store_dword v111, off, s[0:3], 0 offset:396
	s_and_saveexec_b64 s[4:5], vcc
	s_cbranch_execz .LBB53_235
; %bb.234:
	buffer_load_dword v110, off, s[0:3], 0 offset:384
	buffer_load_dword v111, off, s[0:3], 0 offset:388
	v_mov_b32_e32 v112, 0
	buffer_store_dword v112, off, s[0:3], 0 offset:384
	buffer_store_dword v112, off, s[0:3], 0 offset:388
	s_waitcnt vmcnt(2)
	ds_write_b64 v1, v[110:111]
.LBB53_235:
	s_or_b64 exec, exec, s[4:5]
	s_waitcnt lgkmcnt(0)
	; wave barrier
	s_waitcnt lgkmcnt(0)
	buffer_load_dword v120, off, s[0:3], 0 offset:392
	buffer_load_dword v121, off, s[0:3], 0 offset:396
	;; [unrolled: 1-line block ×12, first 2 shown]
	v_mov_b32_e32 v110, 0
	ds_read2_b64 v[112:115], v110 offset0:103 offset1:104
	ds_read2_b64 v[116:119], v110 offset0:105 offset1:106
	ds_read_b64 v[132:133], v110 offset:856
	v_cmp_lt_u32_e32 vcc, 47, v0
	s_waitcnt vmcnt(10) lgkmcnt(2)
	v_fma_f64 v[112:113], v[120:121], v[112:113], 0
	s_waitcnt vmcnt(8)
	v_fmac_f64_e32 v[112:113], v[122:123], v[114:115]
	s_waitcnt vmcnt(6) lgkmcnt(1)
	v_fmac_f64_e32 v[112:113], v[124:125], v[116:117]
	s_waitcnt vmcnt(4)
	v_fmac_f64_e32 v[112:113], v[126:127], v[118:119]
	s_waitcnt vmcnt(2) lgkmcnt(0)
	v_fmac_f64_e32 v[112:113], v[128:129], v[132:133]
	s_waitcnt vmcnt(0)
	v_add_f64 v[112:113], v[130:131], -v[112:113]
	buffer_store_dword v112, off, s[0:3], 0 offset:384
	buffer_store_dword v113, off, s[0:3], 0 offset:388
	s_and_saveexec_b64 s[4:5], vcc
	s_cbranch_execz .LBB53_237
; %bb.236:
	buffer_load_dword v112, off, s[0:3], 0 offset:376
	buffer_load_dword v113, off, s[0:3], 0 offset:380
	s_waitcnt vmcnt(0)
	ds_write_b64 v1, v[112:113]
	buffer_store_dword v110, off, s[0:3], 0 offset:376
	buffer_store_dword v110, off, s[0:3], 0 offset:380
.LBB53_237:
	s_or_b64 exec, exec, s[4:5]
	s_waitcnt lgkmcnt(0)
	; wave barrier
	s_waitcnt lgkmcnt(0)
	buffer_load_dword v124, off, s[0:3], 0 offset:384
	buffer_load_dword v125, off, s[0:3], 0 offset:388
	buffer_load_dword v126, off, s[0:3], 0 offset:392
	buffer_load_dword v127, off, s[0:3], 0 offset:396
	buffer_load_dword v128, off, s[0:3], 0 offset:400
	buffer_load_dword v129, off, s[0:3], 0 offset:404
	buffer_load_dword v130, off, s[0:3], 0 offset:408
	buffer_load_dword v131, off, s[0:3], 0 offset:412
	buffer_load_dword v132, off, s[0:3], 0 offset:416
	buffer_load_dword v133, off, s[0:3], 0 offset:420
	buffer_load_dword v134, off, s[0:3], 0 offset:424
	buffer_load_dword v135, off, s[0:3], 0 offset:428
	buffer_load_dword v136, off, s[0:3], 0 offset:376
	buffer_load_dword v137, off, s[0:3], 0 offset:380
	ds_read_b128 v[112:115], v110 offset:816
	ds_read_b128 v[116:119], v110 offset:832
	;; [unrolled: 1-line block ×3, first 2 shown]
	v_cmp_lt_u32_e32 vcc, 46, v0
	s_waitcnt vmcnt(12) lgkmcnt(2)
	v_fma_f64 v[110:111], v[124:125], v[112:113], 0
	s_waitcnt vmcnt(10)
	v_fmac_f64_e32 v[110:111], v[126:127], v[114:115]
	s_waitcnt vmcnt(8) lgkmcnt(1)
	v_fmac_f64_e32 v[110:111], v[128:129], v[116:117]
	s_waitcnt vmcnt(6)
	v_fmac_f64_e32 v[110:111], v[130:131], v[118:119]
	s_waitcnt vmcnt(4) lgkmcnt(0)
	v_fmac_f64_e32 v[110:111], v[132:133], v[120:121]
	s_waitcnt vmcnt(2)
	v_fmac_f64_e32 v[110:111], v[134:135], v[122:123]
	s_waitcnt vmcnt(0)
	v_add_f64 v[110:111], v[136:137], -v[110:111]
	buffer_store_dword v110, off, s[0:3], 0 offset:376
	buffer_store_dword v111, off, s[0:3], 0 offset:380
	s_and_saveexec_b64 s[4:5], vcc
	s_cbranch_execz .LBB53_239
; %bb.238:
	buffer_load_dword v110, off, s[0:3], 0 offset:368
	buffer_load_dword v111, off, s[0:3], 0 offset:372
	v_mov_b32_e32 v112, 0
	buffer_store_dword v112, off, s[0:3], 0 offset:368
	buffer_store_dword v112, off, s[0:3], 0 offset:372
	s_waitcnt vmcnt(2)
	ds_write_b64 v1, v[110:111]
.LBB53_239:
	s_or_b64 exec, exec, s[4:5]
	s_waitcnt lgkmcnt(0)
	; wave barrier
	s_waitcnt lgkmcnt(0)
	buffer_load_dword v124, off, s[0:3], 0 offset:376
	buffer_load_dword v125, off, s[0:3], 0 offset:380
	;; [unrolled: 1-line block ×16, first 2 shown]
	v_mov_b32_e32 v110, 0
	ds_read2_b64 v[112:115], v110 offset0:101 offset1:102
	ds_read2_b64 v[116:119], v110 offset0:103 offset1:104
	;; [unrolled: 1-line block ×3, first 2 shown]
	ds_read_b64 v[140:141], v110 offset:856
	v_cmp_lt_u32_e32 vcc, 45, v0
	s_waitcnt vmcnt(14) lgkmcnt(3)
	v_fma_f64 v[112:113], v[124:125], v[112:113], 0
	s_waitcnt vmcnt(12)
	v_fmac_f64_e32 v[112:113], v[126:127], v[114:115]
	s_waitcnt vmcnt(10) lgkmcnt(2)
	v_fmac_f64_e32 v[112:113], v[128:129], v[116:117]
	s_waitcnt vmcnt(8)
	v_fmac_f64_e32 v[112:113], v[130:131], v[118:119]
	s_waitcnt vmcnt(6) lgkmcnt(1)
	v_fmac_f64_e32 v[112:113], v[132:133], v[120:121]
	s_waitcnt vmcnt(4)
	v_fmac_f64_e32 v[112:113], v[134:135], v[122:123]
	s_waitcnt vmcnt(2) lgkmcnt(0)
	v_fmac_f64_e32 v[112:113], v[136:137], v[140:141]
	s_waitcnt vmcnt(0)
	v_add_f64 v[112:113], v[138:139], -v[112:113]
	buffer_store_dword v112, off, s[0:3], 0 offset:368
	buffer_store_dword v113, off, s[0:3], 0 offset:372
	s_and_saveexec_b64 s[4:5], vcc
	s_cbranch_execz .LBB53_241
; %bb.240:
	buffer_load_dword v112, off, s[0:3], 0 offset:360
	buffer_load_dword v113, off, s[0:3], 0 offset:364
	s_waitcnt vmcnt(0)
	ds_write_b64 v1, v[112:113]
	buffer_store_dword v110, off, s[0:3], 0 offset:360
	buffer_store_dword v110, off, s[0:3], 0 offset:364
.LBB53_241:
	s_or_b64 exec, exec, s[4:5]
	s_waitcnt lgkmcnt(0)
	; wave barrier
	s_waitcnt lgkmcnt(0)
	buffer_load_dword v128, off, s[0:3], 0 offset:368
	buffer_load_dword v129, off, s[0:3], 0 offset:372
	;; [unrolled: 1-line block ×18, first 2 shown]
	ds_read_b128 v[112:115], v110 offset:800
	ds_read_b128 v[116:119], v110 offset:816
	;; [unrolled: 1-line block ×4, first 2 shown]
	v_cmp_lt_u32_e32 vcc, 44, v0
	s_waitcnt vmcnt(16) lgkmcnt(3)
	v_fma_f64 v[110:111], v[128:129], v[112:113], 0
	s_waitcnt vmcnt(14)
	v_fmac_f64_e32 v[110:111], v[130:131], v[114:115]
	s_waitcnt vmcnt(12) lgkmcnt(2)
	v_fmac_f64_e32 v[110:111], v[132:133], v[116:117]
	s_waitcnt vmcnt(10)
	v_fmac_f64_e32 v[110:111], v[134:135], v[118:119]
	s_waitcnt vmcnt(8) lgkmcnt(1)
	v_fmac_f64_e32 v[110:111], v[136:137], v[120:121]
	;; [unrolled: 4-line block ×3, first 2 shown]
	s_waitcnt vmcnt(2)
	v_fmac_f64_e32 v[110:111], v[142:143], v[126:127]
	s_waitcnt vmcnt(0)
	v_add_f64 v[110:111], v[144:145], -v[110:111]
	buffer_store_dword v110, off, s[0:3], 0 offset:360
	buffer_store_dword v111, off, s[0:3], 0 offset:364
	s_and_saveexec_b64 s[4:5], vcc
	s_cbranch_execz .LBB53_243
; %bb.242:
	buffer_load_dword v110, off, s[0:3], 0 offset:352
	buffer_load_dword v111, off, s[0:3], 0 offset:356
	v_mov_b32_e32 v112, 0
	buffer_store_dword v112, off, s[0:3], 0 offset:352
	buffer_store_dword v112, off, s[0:3], 0 offset:356
	s_waitcnt vmcnt(2)
	ds_write_b64 v1, v[110:111]
.LBB53_243:
	s_or_b64 exec, exec, s[4:5]
	s_waitcnt lgkmcnt(0)
	; wave barrier
	s_waitcnt lgkmcnt(0)
	buffer_load_dword v128, off, s[0:3], 0 offset:360
	buffer_load_dword v129, off, s[0:3], 0 offset:364
	;; [unrolled: 1-line block ×20, first 2 shown]
	v_mov_b32_e32 v110, 0
	ds_read2_b64 v[112:115], v110 offset0:99 offset1:100
	ds_read2_b64 v[116:119], v110 offset0:101 offset1:102
	;; [unrolled: 1-line block ×4, first 2 shown]
	ds_read_b64 v[148:149], v110 offset:856
	v_cmp_lt_u32_e32 vcc, 43, v0
	s_waitcnt vmcnt(18) lgkmcnt(4)
	v_fma_f64 v[112:113], v[128:129], v[112:113], 0
	s_waitcnt vmcnt(16)
	v_fmac_f64_e32 v[112:113], v[130:131], v[114:115]
	s_waitcnt vmcnt(14) lgkmcnt(3)
	v_fmac_f64_e32 v[112:113], v[132:133], v[116:117]
	s_waitcnt vmcnt(12)
	v_fmac_f64_e32 v[112:113], v[134:135], v[118:119]
	s_waitcnt vmcnt(10) lgkmcnt(2)
	v_fmac_f64_e32 v[112:113], v[136:137], v[120:121]
	;; [unrolled: 4-line block ×3, first 2 shown]
	s_waitcnt vmcnt(2)
	v_fmac_f64_e32 v[112:113], v[144:145], v[126:127]
	s_waitcnt lgkmcnt(0)
	v_fmac_f64_e32 v[112:113], v[142:143], v[148:149]
	s_waitcnt vmcnt(0)
	v_add_f64 v[112:113], v[146:147], -v[112:113]
	buffer_store_dword v112, off, s[0:3], 0 offset:352
	buffer_store_dword v113, off, s[0:3], 0 offset:356
	s_and_saveexec_b64 s[4:5], vcc
	s_cbranch_execz .LBB53_245
; %bb.244:
	buffer_load_dword v112, off, s[0:3], 0 offset:344
	buffer_load_dword v113, off, s[0:3], 0 offset:348
	s_waitcnt vmcnt(0)
	ds_write_b64 v1, v[112:113]
	buffer_store_dword v110, off, s[0:3], 0 offset:344
	buffer_store_dword v110, off, s[0:3], 0 offset:348
.LBB53_245:
	s_or_b64 exec, exec, s[4:5]
	s_waitcnt lgkmcnt(0)
	; wave barrier
	s_waitcnt lgkmcnt(0)
	buffer_load_dword v132, off, s[0:3], 0 offset:352
	buffer_load_dword v133, off, s[0:3], 0 offset:356
	;; [unrolled: 1-line block ×22, first 2 shown]
	ds_read_b128 v[112:115], v110 offset:784
	ds_read_b128 v[116:119], v110 offset:800
	;; [unrolled: 1-line block ×5, first 2 shown]
	v_cmp_lt_u32_e32 vcc, 42, v0
	s_waitcnt vmcnt(20) lgkmcnt(4)
	v_fma_f64 v[110:111], v[132:133], v[112:113], 0
	s_waitcnt vmcnt(18)
	v_fmac_f64_e32 v[110:111], v[134:135], v[114:115]
	s_waitcnt vmcnt(16) lgkmcnt(3)
	v_fmac_f64_e32 v[110:111], v[136:137], v[116:117]
	s_waitcnt vmcnt(14)
	v_fmac_f64_e32 v[110:111], v[138:139], v[118:119]
	s_waitcnt vmcnt(12) lgkmcnt(2)
	v_fmac_f64_e32 v[110:111], v[140:141], v[120:121]
	;; [unrolled: 4-line block ×3, first 2 shown]
	s_waitcnt vmcnt(3)
	v_fmac_f64_e32 v[110:111], v[150:151], v[126:127]
	s_waitcnt lgkmcnt(0)
	v_fmac_f64_e32 v[110:111], v[148:149], v[128:129]
	s_waitcnt vmcnt(2)
	v_fmac_f64_e32 v[110:111], v[146:147], v[130:131]
	s_waitcnt vmcnt(0)
	v_add_f64 v[110:111], v[152:153], -v[110:111]
	buffer_store_dword v110, off, s[0:3], 0 offset:344
	buffer_store_dword v111, off, s[0:3], 0 offset:348
	s_and_saveexec_b64 s[4:5], vcc
	s_cbranch_execz .LBB53_247
; %bb.246:
	buffer_load_dword v110, off, s[0:3], 0 offset:336
	buffer_load_dword v111, off, s[0:3], 0 offset:340
	v_mov_b32_e32 v112, 0
	buffer_store_dword v112, off, s[0:3], 0 offset:336
	buffer_store_dword v112, off, s[0:3], 0 offset:340
	s_waitcnt vmcnt(2)
	ds_write_b64 v1, v[110:111]
.LBB53_247:
	s_or_b64 exec, exec, s[4:5]
	s_waitcnt lgkmcnt(0)
	; wave barrier
	s_waitcnt lgkmcnt(0)
	buffer_load_dword v132, off, s[0:3], 0 offset:344
	buffer_load_dword v133, off, s[0:3], 0 offset:348
	;; [unrolled: 1-line block ×24, first 2 shown]
	v_mov_b32_e32 v110, 0
	ds_read2_b64 v[112:115], v110 offset0:97 offset1:98
	ds_read2_b64 v[116:119], v110 offset0:99 offset1:100
	;; [unrolled: 1-line block ×5, first 2 shown]
	ds_read_b64 v[156:157], v110 offset:856
	v_cmp_lt_u32_e32 vcc, 41, v0
	s_waitcnt vmcnt(22) lgkmcnt(5)
	v_fma_f64 v[112:113], v[132:133], v[112:113], 0
	s_waitcnt vmcnt(20)
	v_fmac_f64_e32 v[112:113], v[134:135], v[114:115]
	s_waitcnt vmcnt(18) lgkmcnt(4)
	v_fmac_f64_e32 v[112:113], v[136:137], v[116:117]
	s_waitcnt vmcnt(16)
	v_fmac_f64_e32 v[112:113], v[138:139], v[118:119]
	s_waitcnt vmcnt(14) lgkmcnt(3)
	v_fmac_f64_e32 v[112:113], v[140:141], v[120:121]
	;; [unrolled: 4-line block ×3, first 2 shown]
	s_waitcnt vmcnt(4)
	v_fmac_f64_e32 v[112:113], v[152:153], v[126:127]
	s_waitcnt lgkmcnt(1)
	v_fmac_f64_e32 v[112:113], v[150:151], v[128:129]
	s_waitcnt vmcnt(3)
	v_fmac_f64_e32 v[112:113], v[148:149], v[130:131]
	s_waitcnt vmcnt(2) lgkmcnt(0)
	v_fmac_f64_e32 v[112:113], v[146:147], v[156:157]
	s_waitcnt vmcnt(0)
	v_add_f64 v[112:113], v[154:155], -v[112:113]
	buffer_store_dword v113, off, s[0:3], 0 offset:340
	buffer_store_dword v112, off, s[0:3], 0 offset:336
	s_and_saveexec_b64 s[4:5], vcc
	s_cbranch_execz .LBB53_249
; %bb.248:
	buffer_load_dword v112, off, s[0:3], 0 offset:328
	buffer_load_dword v113, off, s[0:3], 0 offset:332
	s_waitcnt vmcnt(0)
	ds_write_b64 v1, v[112:113]
	buffer_store_dword v110, off, s[0:3], 0 offset:328
	buffer_store_dword v110, off, s[0:3], 0 offset:332
.LBB53_249:
	s_or_b64 exec, exec, s[4:5]
	s_waitcnt lgkmcnt(0)
	; wave barrier
	s_waitcnt lgkmcnt(0)
	buffer_load_dword v136, off, s[0:3], 0 offset:336
	buffer_load_dword v137, off, s[0:3], 0 offset:340
	;; [unrolled: 1-line block ×26, first 2 shown]
	ds_read_b128 v[112:115], v110 offset:768
	ds_read_b128 v[116:119], v110 offset:784
	;; [unrolled: 1-line block ×6, first 2 shown]
	v_cmp_lt_u32_e32 vcc, 40, v0
	s_waitcnt vmcnt(24) lgkmcnt(5)
	v_fma_f64 v[110:111], v[136:137], v[112:113], 0
	s_waitcnt vmcnt(22)
	v_fmac_f64_e32 v[110:111], v[138:139], v[114:115]
	s_waitcnt vmcnt(20) lgkmcnt(4)
	v_fmac_f64_e32 v[110:111], v[140:141], v[116:117]
	s_waitcnt vmcnt(18)
	v_fmac_f64_e32 v[110:111], v[142:143], v[118:119]
	s_waitcnt vmcnt(16) lgkmcnt(3)
	v_fmac_f64_e32 v[110:111], v[144:145], v[120:121]
	s_waitcnt vmcnt(14)
	v_fmac_f64_e32 v[110:111], v[146:147], v[122:123]
	s_waitcnt vmcnt(12) lgkmcnt(2)
	v_fmac_f64_e32 v[110:111], v[148:149], v[124:125]
	s_waitcnt vmcnt(5)
	v_fmac_f64_e32 v[110:111], v[156:157], v[126:127]
	s_waitcnt lgkmcnt(1)
	v_fmac_f64_e32 v[110:111], v[154:155], v[128:129]
	v_fmac_f64_e32 v[110:111], v[152:153], v[130:131]
	s_waitcnt vmcnt(4) lgkmcnt(0)
	v_fmac_f64_e32 v[110:111], v[150:151], v[132:133]
	s_waitcnt vmcnt(2)
	v_fmac_f64_e32 v[110:111], v[158:159], v[134:135]
	s_waitcnt vmcnt(0)
	v_add_f64 v[110:111], v[160:161], -v[110:111]
	buffer_store_dword v111, off, s[0:3], 0 offset:332
	buffer_store_dword v110, off, s[0:3], 0 offset:328
	s_and_saveexec_b64 s[4:5], vcc
	s_cbranch_execz .LBB53_251
; %bb.250:
	buffer_load_dword v110, off, s[0:3], 0 offset:320
	buffer_load_dword v111, off, s[0:3], 0 offset:324
	v_mov_b32_e32 v112, 0
	buffer_store_dword v112, off, s[0:3], 0 offset:320
	buffer_store_dword v112, off, s[0:3], 0 offset:324
	s_waitcnt vmcnt(2)
	ds_write_b64 v1, v[110:111]
.LBB53_251:
	s_or_b64 exec, exec, s[4:5]
	s_waitcnt lgkmcnt(0)
	; wave barrier
	s_waitcnt lgkmcnt(0)
	buffer_load_dword v136, off, s[0:3], 0 offset:328
	buffer_load_dword v137, off, s[0:3], 0 offset:332
	;; [unrolled: 1-line block ×28, first 2 shown]
	v_mov_b32_e32 v110, 0
	ds_read2_b64 v[112:115], v110 offset0:95 offset1:96
	ds_read2_b64 v[116:119], v110 offset0:97 offset1:98
	;; [unrolled: 1-line block ×6, first 2 shown]
	ds_read_b64 v[164:165], v110 offset:856
	v_cmp_lt_u32_e32 vcc, 39, v0
	s_waitcnt vmcnt(26) lgkmcnt(6)
	v_fma_f64 v[112:113], v[136:137], v[112:113], 0
	s_waitcnt vmcnt(24)
	v_fmac_f64_e32 v[112:113], v[138:139], v[114:115]
	s_waitcnt vmcnt(22) lgkmcnt(5)
	v_fmac_f64_e32 v[112:113], v[140:141], v[116:117]
	s_waitcnt vmcnt(20)
	v_fmac_f64_e32 v[112:113], v[142:143], v[118:119]
	s_waitcnt vmcnt(18) lgkmcnt(4)
	v_fmac_f64_e32 v[112:113], v[144:145], v[120:121]
	;; [unrolled: 4-line block ×3, first 2 shown]
	s_waitcnt vmcnt(6)
	v_fmac_f64_e32 v[112:113], v[156:157], v[126:127]
	s_waitcnt lgkmcnt(2)
	v_fmac_f64_e32 v[112:113], v[154:155], v[128:129]
	v_fmac_f64_e32 v[112:113], v[152:153], v[130:131]
	s_waitcnt lgkmcnt(1)
	v_fmac_f64_e32 v[112:113], v[150:151], v[132:133]
	s_waitcnt vmcnt(2)
	v_fmac_f64_e32 v[112:113], v[160:161], v[134:135]
	s_waitcnt lgkmcnt(0)
	v_fmac_f64_e32 v[112:113], v[158:159], v[164:165]
	s_waitcnt vmcnt(0)
	v_add_f64 v[112:113], v[162:163], -v[112:113]
	buffer_store_dword v113, off, s[0:3], 0 offset:324
	buffer_store_dword v112, off, s[0:3], 0 offset:320
	s_and_saveexec_b64 s[4:5], vcc
	s_cbranch_execz .LBB53_253
; %bb.252:
	buffer_load_dword v112, off, s[0:3], 0 offset:312
	buffer_load_dword v113, off, s[0:3], 0 offset:316
	s_waitcnt vmcnt(0)
	ds_write_b64 v1, v[112:113]
	buffer_store_dword v110, off, s[0:3], 0 offset:312
	buffer_store_dword v110, off, s[0:3], 0 offset:316
.LBB53_253:
	s_or_b64 exec, exec, s[4:5]
	s_waitcnt lgkmcnt(0)
	; wave barrier
	s_waitcnt lgkmcnt(0)
	buffer_load_dword v128, off, s[0:3], 0 offset:312
	buffer_load_dword v129, off, s[0:3], 0 offset:316
	;; [unrolled: 1-line block ×16, first 2 shown]
	ds_read_b128 v[112:115], v110 offset:752
	ds_read_b128 v[116:119], v110 offset:768
	;; [unrolled: 1-line block ×4, first 2 shown]
	v_cmp_lt_u32_e32 vcc, 38, v0
	s_waitcnt vmcnt(12) lgkmcnt(3)
	v_fma_f64 v[130:131], v[130:131], v[112:113], 0
	buffer_load_dword v113, off, s[0:3], 0 offset:380
	buffer_load_dword v112, off, s[0:3], 0 offset:376
	s_waitcnt vmcnt(12)
	v_fmac_f64_e32 v[130:131], v[132:133], v[114:115]
	s_waitcnt vmcnt(10) lgkmcnt(2)
	v_fmac_f64_e32 v[130:131], v[134:135], v[116:117]
	buffer_load_dword v117, off, s[0:3], 0 offset:388
	buffer_load_dword v116, off, s[0:3], 0 offset:384
	s_waitcnt vmcnt(10)
	v_fmac_f64_e32 v[130:131], v[136:137], v[118:119]
	s_waitcnt vmcnt(8) lgkmcnt(1)
	v_fmac_f64_e32 v[130:131], v[138:139], v[120:121]
	s_waitcnt vmcnt(6)
	v_fmac_f64_e32 v[130:131], v[140:141], v[122:123]
	s_waitcnt vmcnt(4) lgkmcnt(0)
	v_fmac_f64_e32 v[130:131], v[142:143], v[124:125]
	s_waitcnt vmcnt(2)
	v_fmac_f64_e32 v[130:131], v[112:113], v[126:127]
	ds_read_b128 v[112:115], v110 offset:816
	s_waitcnt vmcnt(0) lgkmcnt(0)
	v_fmac_f64_e32 v[130:131], v[116:117], v[112:113]
	buffer_load_dword v113, off, s[0:3], 0 offset:396
	buffer_load_dword v112, off, s[0:3], 0 offset:392
	;; [unrolled: 1-line block ×4, first 2 shown]
	s_waitcnt vmcnt(2)
	v_fmac_f64_e32 v[130:131], v[112:113], v[114:115]
	ds_read_b128 v[112:115], v110 offset:832
	s_waitcnt vmcnt(0) lgkmcnt(0)
	v_fmac_f64_e32 v[130:131], v[116:117], v[112:113]
	buffer_load_dword v113, off, s[0:3], 0 offset:412
	buffer_load_dword v112, off, s[0:3], 0 offset:408
	s_waitcnt vmcnt(0)
	v_fmac_f64_e32 v[130:131], v[112:113], v[114:115]
	buffer_load_dword v115, off, s[0:3], 0 offset:420
	buffer_load_dword v114, off, s[0:3], 0 offset:416
	ds_read_b128 v[110:113], v110 offset:848
	s_waitcnt vmcnt(0) lgkmcnt(0)
	v_fmac_f64_e32 v[130:131], v[114:115], v[110:111]
	buffer_load_dword v111, off, s[0:3], 0 offset:428
	buffer_load_dword v110, off, s[0:3], 0 offset:424
	s_waitcnt vmcnt(0)
	v_fmac_f64_e32 v[130:131], v[110:111], v[112:113]
	v_add_f64 v[110:111], v[128:129], -v[130:131]
	buffer_store_dword v111, off, s[0:3], 0 offset:316
	buffer_store_dword v110, off, s[0:3], 0 offset:312
	s_and_saveexec_b64 s[4:5], vcc
	s_cbranch_execz .LBB53_255
; %bb.254:
	buffer_load_dword v110, off, s[0:3], 0 offset:304
	buffer_load_dword v111, off, s[0:3], 0 offset:308
	v_mov_b32_e32 v112, 0
	buffer_store_dword v112, off, s[0:3], 0 offset:304
	buffer_store_dword v112, off, s[0:3], 0 offset:308
	s_waitcnt vmcnt(2)
	ds_write_b64 v1, v[110:111]
.LBB53_255:
	s_or_b64 exec, exec, s[4:5]
	s_waitcnt lgkmcnt(0)
	; wave barrier
	s_waitcnt lgkmcnt(0)
	buffer_load_dword v116, off, s[0:3], 0 offset:304
	buffer_load_dword v117, off, s[0:3], 0 offset:308
	;; [unrolled: 1-line block ×16, first 2 shown]
	v_mov_b32_e32 v110, 0
	ds_read2_b64 v[112:115], v110 offset0:93 offset1:94
	v_cmp_lt_u32_e32 vcc, 37, v0
	s_waitcnt vmcnt(12) lgkmcnt(0)
	v_fma_f64 v[118:119], v[118:119], v[112:113], 0
	s_waitcnt vmcnt(10)
	v_fmac_f64_e32 v[118:119], v[120:121], v[114:115]
	ds_read2_b64 v[112:115], v110 offset0:95 offset1:96
	s_waitcnt vmcnt(8) lgkmcnt(0)
	v_fmac_f64_e32 v[118:119], v[122:123], v[112:113]
	s_waitcnt vmcnt(6)
	v_fmac_f64_e32 v[118:119], v[124:125], v[114:115]
	ds_read2_b64 v[112:115], v110 offset0:97 offset1:98
	s_waitcnt vmcnt(4) lgkmcnt(0)
	v_fmac_f64_e32 v[118:119], v[126:127], v[112:113]
	;; [unrolled: 5-line block ×3, first 2 shown]
	buffer_load_dword v113, off, s[0:3], 0 offset:372
	buffer_load_dword v112, off, s[0:3], 0 offset:368
	buffer_load_dword v121, off, s[0:3], 0 offset:380
	buffer_load_dword v120, off, s[0:3], 0 offset:376
	s_waitcnt vmcnt(2)
	v_fmac_f64_e32 v[118:119], v[112:113], v[114:115]
	ds_read2_b64 v[112:115], v110 offset0:101 offset1:102
	s_waitcnt vmcnt(0) lgkmcnt(0)
	v_fmac_f64_e32 v[118:119], v[120:121], v[112:113]
	buffer_load_dword v113, off, s[0:3], 0 offset:388
	buffer_load_dword v112, off, s[0:3], 0 offset:384
	buffer_load_dword v121, off, s[0:3], 0 offset:396
	buffer_load_dword v120, off, s[0:3], 0 offset:392
	s_waitcnt vmcnt(2)
	v_fmac_f64_e32 v[118:119], v[112:113], v[114:115]
	ds_read2_b64 v[112:115], v110 offset0:103 offset1:104
	s_waitcnt vmcnt(0) lgkmcnt(0)
	v_fmac_f64_e32 v[118:119], v[120:121], v[112:113]
	;; [unrolled: 9-line block ×3, first 2 shown]
	buffer_load_dword v113, off, s[0:3], 0 offset:420
	buffer_load_dword v112, off, s[0:3], 0 offset:416
	s_waitcnt vmcnt(0)
	v_fmac_f64_e32 v[118:119], v[112:113], v[114:115]
	buffer_load_dword v113, off, s[0:3], 0 offset:428
	buffer_load_dword v112, off, s[0:3], 0 offset:424
	ds_read_b64 v[114:115], v110 offset:856
	s_waitcnt vmcnt(0) lgkmcnt(0)
	v_fmac_f64_e32 v[118:119], v[112:113], v[114:115]
	v_add_f64 v[112:113], v[116:117], -v[118:119]
	buffer_store_dword v113, off, s[0:3], 0 offset:308
	buffer_store_dword v112, off, s[0:3], 0 offset:304
	s_and_saveexec_b64 s[4:5], vcc
	s_cbranch_execz .LBB53_257
; %bb.256:
	buffer_load_dword v112, off, s[0:3], 0 offset:296
	buffer_load_dword v113, off, s[0:3], 0 offset:300
	s_waitcnt vmcnt(0)
	ds_write_b64 v1, v[112:113]
	buffer_store_dword v110, off, s[0:3], 0 offset:296
	buffer_store_dword v110, off, s[0:3], 0 offset:300
.LBB53_257:
	s_or_b64 exec, exec, s[4:5]
	s_waitcnt lgkmcnt(0)
	; wave barrier
	s_waitcnt lgkmcnt(0)
	buffer_load_dword v128, off, s[0:3], 0 offset:296
	buffer_load_dword v129, off, s[0:3], 0 offset:300
	;; [unrolled: 1-line block ×16, first 2 shown]
	ds_read_b128 v[112:115], v110 offset:736
	ds_read_b128 v[116:119], v110 offset:752
	;; [unrolled: 1-line block ×4, first 2 shown]
	v_cmp_lt_u32_e32 vcc, 36, v0
	s_waitcnt vmcnt(12) lgkmcnt(3)
	v_fma_f64 v[130:131], v[130:131], v[112:113], 0
	buffer_load_dword v113, off, s[0:3], 0 offset:364
	buffer_load_dword v112, off, s[0:3], 0 offset:360
	s_waitcnt vmcnt(12)
	v_fmac_f64_e32 v[130:131], v[132:133], v[114:115]
	s_waitcnt vmcnt(10) lgkmcnt(2)
	v_fmac_f64_e32 v[130:131], v[134:135], v[116:117]
	buffer_load_dword v117, off, s[0:3], 0 offset:372
	buffer_load_dword v116, off, s[0:3], 0 offset:368
	s_waitcnt vmcnt(10)
	v_fmac_f64_e32 v[130:131], v[136:137], v[118:119]
	s_waitcnt vmcnt(8) lgkmcnt(1)
	v_fmac_f64_e32 v[130:131], v[138:139], v[120:121]
	s_waitcnt vmcnt(6)
	v_fmac_f64_e32 v[130:131], v[140:141], v[122:123]
	s_waitcnt vmcnt(4) lgkmcnt(0)
	v_fmac_f64_e32 v[130:131], v[142:143], v[124:125]
	s_waitcnt vmcnt(2)
	v_fmac_f64_e32 v[130:131], v[112:113], v[126:127]
	ds_read_b128 v[112:115], v110 offset:800
	s_waitcnt vmcnt(0) lgkmcnt(0)
	v_fmac_f64_e32 v[130:131], v[116:117], v[112:113]
	buffer_load_dword v113, off, s[0:3], 0 offset:380
	buffer_load_dword v112, off, s[0:3], 0 offset:376
	;; [unrolled: 1-line block ×4, first 2 shown]
	s_waitcnt vmcnt(2)
	v_fmac_f64_e32 v[130:131], v[112:113], v[114:115]
	ds_read_b128 v[112:115], v110 offset:816
	s_waitcnt vmcnt(0) lgkmcnt(0)
	v_fmac_f64_e32 v[130:131], v[116:117], v[112:113]
	buffer_load_dword v113, off, s[0:3], 0 offset:396
	buffer_load_dword v112, off, s[0:3], 0 offset:392
	buffer_load_dword v117, off, s[0:3], 0 offset:404
	buffer_load_dword v116, off, s[0:3], 0 offset:400
	s_waitcnt vmcnt(2)
	v_fmac_f64_e32 v[130:131], v[112:113], v[114:115]
	ds_read_b128 v[112:115], v110 offset:832
	s_waitcnt vmcnt(0) lgkmcnt(0)
	v_fmac_f64_e32 v[130:131], v[116:117], v[112:113]
	buffer_load_dword v113, off, s[0:3], 0 offset:412
	buffer_load_dword v112, off, s[0:3], 0 offset:408
	s_waitcnt vmcnt(0)
	v_fmac_f64_e32 v[130:131], v[112:113], v[114:115]
	buffer_load_dword v115, off, s[0:3], 0 offset:420
	buffer_load_dword v114, off, s[0:3], 0 offset:416
	ds_read_b128 v[110:113], v110 offset:848
	s_waitcnt vmcnt(0) lgkmcnt(0)
	v_fmac_f64_e32 v[130:131], v[114:115], v[110:111]
	buffer_load_dword v111, off, s[0:3], 0 offset:428
	buffer_load_dword v110, off, s[0:3], 0 offset:424
	s_waitcnt vmcnt(0)
	v_fmac_f64_e32 v[130:131], v[110:111], v[112:113]
	v_add_f64 v[110:111], v[128:129], -v[130:131]
	buffer_store_dword v111, off, s[0:3], 0 offset:300
	buffer_store_dword v110, off, s[0:3], 0 offset:296
	s_and_saveexec_b64 s[4:5], vcc
	s_cbranch_execz .LBB53_259
; %bb.258:
	buffer_load_dword v110, off, s[0:3], 0 offset:288
	buffer_load_dword v111, off, s[0:3], 0 offset:292
	v_mov_b32_e32 v112, 0
	buffer_store_dword v112, off, s[0:3], 0 offset:288
	buffer_store_dword v112, off, s[0:3], 0 offset:292
	s_waitcnt vmcnt(2)
	ds_write_b64 v1, v[110:111]
.LBB53_259:
	s_or_b64 exec, exec, s[4:5]
	s_waitcnt lgkmcnt(0)
	; wave barrier
	s_waitcnt lgkmcnt(0)
	buffer_load_dword v110, off, s[0:3], 0 offset:288
	buffer_load_dword v111, off, s[0:3], 0 offset:292
	;; [unrolled: 1-line block ×16, first 2 shown]
	v_mov_b32_e32 v114, 0
	ds_read2_b64 v[116:119], v114 offset0:91 offset1:92
	v_cmp_lt_u32_e32 vcc, 35, v0
	s_waitcnt vmcnt(12) lgkmcnt(0)
	v_fma_f64 v[112:113], v[112:113], v[116:117], 0
	s_waitcnt vmcnt(10)
	v_fmac_f64_e32 v[112:113], v[120:121], v[118:119]
	ds_read2_b64 v[116:119], v114 offset0:93 offset1:94
	s_waitcnt vmcnt(8) lgkmcnt(0)
	v_fmac_f64_e32 v[112:113], v[122:123], v[116:117]
	s_waitcnt vmcnt(6)
	v_fmac_f64_e32 v[112:113], v[124:125], v[118:119]
	ds_read2_b64 v[116:119], v114 offset0:95 offset1:96
	s_waitcnt vmcnt(4) lgkmcnt(0)
	v_fmac_f64_e32 v[112:113], v[126:127], v[116:117]
	;; [unrolled: 5-line block ×3, first 2 shown]
	buffer_load_dword v117, off, s[0:3], 0 offset:356
	buffer_load_dword v116, off, s[0:3], 0 offset:352
	buffer_load_dword v121, off, s[0:3], 0 offset:364
	buffer_load_dword v120, off, s[0:3], 0 offset:360
	s_waitcnt vmcnt(2)
	v_fmac_f64_e32 v[112:113], v[116:117], v[118:119]
	ds_read2_b64 v[116:119], v114 offset0:99 offset1:100
	s_waitcnt vmcnt(0) lgkmcnt(0)
	v_fmac_f64_e32 v[112:113], v[120:121], v[116:117]
	buffer_load_dword v117, off, s[0:3], 0 offset:372
	buffer_load_dword v116, off, s[0:3], 0 offset:368
	buffer_load_dword v121, off, s[0:3], 0 offset:380
	buffer_load_dword v120, off, s[0:3], 0 offset:376
	s_waitcnt vmcnt(2)
	v_fmac_f64_e32 v[112:113], v[116:117], v[118:119]
	ds_read2_b64 v[116:119], v114 offset0:101 offset1:102
	s_waitcnt vmcnt(0) lgkmcnt(0)
	v_fmac_f64_e32 v[112:113], v[120:121], v[116:117]
	;; [unrolled: 9-line block ×4, first 2 shown]
	buffer_load_dword v117, off, s[0:3], 0 offset:420
	buffer_load_dword v116, off, s[0:3], 0 offset:416
	s_waitcnt vmcnt(0)
	v_fmac_f64_e32 v[112:113], v[116:117], v[118:119]
	buffer_load_dword v117, off, s[0:3], 0 offset:428
	buffer_load_dword v116, off, s[0:3], 0 offset:424
	ds_read_b64 v[118:119], v114 offset:856
	s_waitcnt vmcnt(0) lgkmcnt(0)
	v_fmac_f64_e32 v[112:113], v[116:117], v[118:119]
	v_add_f64 v[110:111], v[110:111], -v[112:113]
	buffer_store_dword v111, off, s[0:3], 0 offset:292
	buffer_store_dword v110, off, s[0:3], 0 offset:288
	s_and_saveexec_b64 s[4:5], vcc
	s_cbranch_execz .LBB53_261
; %bb.260:
	buffer_load_dword v110, off, s[0:3], 0 offset:280
	buffer_load_dword v111, off, s[0:3], 0 offset:284
	s_waitcnt vmcnt(0)
	ds_write_b64 v1, v[110:111]
	buffer_store_dword v114, off, s[0:3], 0 offset:280
	buffer_store_dword v114, off, s[0:3], 0 offset:284
.LBB53_261:
	s_or_b64 exec, exec, s[4:5]
	s_waitcnt lgkmcnt(0)
	; wave barrier
	s_waitcnt lgkmcnt(0)
	buffer_load_dword v110, off, s[0:3], 0 offset:280
	buffer_load_dword v111, off, s[0:3], 0 offset:284
	;; [unrolled: 1-line block ×16, first 2 shown]
	ds_read_b128 v[116:119], v114 offset:720
	ds_read_b128 v[120:123], v114 offset:736
	ds_read_b128 v[124:127], v114 offset:752
	ds_read_b128 v[128:131], v114 offset:768
	v_cmp_lt_u32_e32 vcc, 34, v0
	s_waitcnt vmcnt(12) lgkmcnt(3)
	v_fma_f64 v[112:113], v[112:113], v[116:117], 0
	buffer_load_dword v117, off, s[0:3], 0 offset:348
	buffer_load_dword v116, off, s[0:3], 0 offset:344
	s_waitcnt vmcnt(12)
	v_fmac_f64_e32 v[112:113], v[132:133], v[118:119]
	s_waitcnt vmcnt(10) lgkmcnt(2)
	v_fmac_f64_e32 v[112:113], v[134:135], v[120:121]
	buffer_load_dword v121, off, s[0:3], 0 offset:356
	buffer_load_dword v120, off, s[0:3], 0 offset:352
	s_waitcnt vmcnt(10)
	v_fmac_f64_e32 v[112:113], v[136:137], v[122:123]
	s_waitcnt vmcnt(8) lgkmcnt(1)
	v_fmac_f64_e32 v[112:113], v[138:139], v[124:125]
	s_waitcnt vmcnt(6)
	v_fmac_f64_e32 v[112:113], v[140:141], v[126:127]
	s_waitcnt vmcnt(4) lgkmcnt(0)
	v_fmac_f64_e32 v[112:113], v[142:143], v[128:129]
	s_waitcnt vmcnt(2)
	v_fmac_f64_e32 v[112:113], v[116:117], v[130:131]
	ds_read_b128 v[116:119], v114 offset:784
	s_waitcnt vmcnt(0) lgkmcnt(0)
	v_fmac_f64_e32 v[112:113], v[120:121], v[116:117]
	buffer_load_dword v117, off, s[0:3], 0 offset:364
	buffer_load_dword v116, off, s[0:3], 0 offset:360
	buffer_load_dword v121, off, s[0:3], 0 offset:372
	buffer_load_dword v120, off, s[0:3], 0 offset:368
	s_waitcnt vmcnt(2)
	v_fmac_f64_e32 v[112:113], v[116:117], v[118:119]
	ds_read_b128 v[116:119], v114 offset:800
	s_waitcnt vmcnt(0) lgkmcnt(0)
	v_fmac_f64_e32 v[112:113], v[120:121], v[116:117]
	buffer_load_dword v117, off, s[0:3], 0 offset:380
	buffer_load_dword v116, off, s[0:3], 0 offset:376
	buffer_load_dword v121, off, s[0:3], 0 offset:388
	buffer_load_dword v120, off, s[0:3], 0 offset:384
	;; [unrolled: 9-line block ×3, first 2 shown]
	s_waitcnt vmcnt(2)
	v_fmac_f64_e32 v[112:113], v[116:117], v[118:119]
	ds_read_b128 v[116:119], v114 offset:832
	s_waitcnt vmcnt(0) lgkmcnt(0)
	v_fmac_f64_e32 v[112:113], v[120:121], v[116:117]
	buffer_load_dword v117, off, s[0:3], 0 offset:412
	buffer_load_dword v116, off, s[0:3], 0 offset:408
	s_waitcnt vmcnt(0)
	v_fmac_f64_e32 v[112:113], v[116:117], v[118:119]
	buffer_load_dword v119, off, s[0:3], 0 offset:420
	buffer_load_dword v118, off, s[0:3], 0 offset:416
	ds_read_b128 v[114:117], v114 offset:848
	s_waitcnt vmcnt(0) lgkmcnt(0)
	v_fmac_f64_e32 v[112:113], v[118:119], v[114:115]
	buffer_load_dword v115, off, s[0:3], 0 offset:428
	buffer_load_dword v114, off, s[0:3], 0 offset:424
	s_waitcnt vmcnt(0)
	v_fmac_f64_e32 v[112:113], v[114:115], v[116:117]
	v_add_f64 v[110:111], v[110:111], -v[112:113]
	buffer_store_dword v111, off, s[0:3], 0 offset:284
	buffer_store_dword v110, off, s[0:3], 0 offset:280
	s_and_saveexec_b64 s[4:5], vcc
	s_cbranch_execz .LBB53_263
; %bb.262:
	buffer_load_dword v110, off, s[0:3], 0 offset:272
	buffer_load_dword v111, off, s[0:3], 0 offset:276
	v_mov_b32_e32 v112, 0
	buffer_store_dword v112, off, s[0:3], 0 offset:272
	buffer_store_dword v112, off, s[0:3], 0 offset:276
	s_waitcnt vmcnt(2)
	ds_write_b64 v1, v[110:111]
.LBB53_263:
	s_or_b64 exec, exec, s[4:5]
	s_waitcnt lgkmcnt(0)
	; wave barrier
	s_waitcnt lgkmcnt(0)
	buffer_load_dword v110, off, s[0:3], 0 offset:272
	buffer_load_dword v111, off, s[0:3], 0 offset:276
	buffer_load_dword v112, off, s[0:3], 0 offset:280
	buffer_load_dword v113, off, s[0:3], 0 offset:284
	buffer_load_dword v120, off, s[0:3], 0 offset:288
	buffer_load_dword v121, off, s[0:3], 0 offset:292
	buffer_load_dword v122, off, s[0:3], 0 offset:296
	buffer_load_dword v123, off, s[0:3], 0 offset:300
	buffer_load_dword v124, off, s[0:3], 0 offset:304
	buffer_load_dword v125, off, s[0:3], 0 offset:308
	buffer_load_dword v126, off, s[0:3], 0 offset:312
	buffer_load_dword v127, off, s[0:3], 0 offset:316
	buffer_load_dword v128, off, s[0:3], 0 offset:320
	buffer_load_dword v129, off, s[0:3], 0 offset:324
	buffer_load_dword v130, off, s[0:3], 0 offset:328
	buffer_load_dword v131, off, s[0:3], 0 offset:332
	v_mov_b32_e32 v114, 0
	ds_read2_b64 v[116:119], v114 offset0:89 offset1:90
	v_cmp_lt_u32_e32 vcc, 33, v0
	s_waitcnt vmcnt(12) lgkmcnt(0)
	v_fma_f64 v[112:113], v[112:113], v[116:117], 0
	s_waitcnt vmcnt(10)
	v_fmac_f64_e32 v[112:113], v[120:121], v[118:119]
	ds_read2_b64 v[116:119], v114 offset0:91 offset1:92
	s_waitcnt vmcnt(8) lgkmcnt(0)
	v_fmac_f64_e32 v[112:113], v[122:123], v[116:117]
	s_waitcnt vmcnt(6)
	v_fmac_f64_e32 v[112:113], v[124:125], v[118:119]
	ds_read2_b64 v[116:119], v114 offset0:93 offset1:94
	s_waitcnt vmcnt(4) lgkmcnt(0)
	v_fmac_f64_e32 v[112:113], v[126:127], v[116:117]
	;; [unrolled: 5-line block ×3, first 2 shown]
	buffer_load_dword v117, off, s[0:3], 0 offset:340
	buffer_load_dword v116, off, s[0:3], 0 offset:336
	buffer_load_dword v121, off, s[0:3], 0 offset:348
	buffer_load_dword v120, off, s[0:3], 0 offset:344
	s_waitcnt vmcnt(2)
	v_fmac_f64_e32 v[112:113], v[116:117], v[118:119]
	ds_read2_b64 v[116:119], v114 offset0:97 offset1:98
	s_waitcnt vmcnt(0) lgkmcnt(0)
	v_fmac_f64_e32 v[112:113], v[120:121], v[116:117]
	buffer_load_dword v117, off, s[0:3], 0 offset:356
	buffer_load_dword v116, off, s[0:3], 0 offset:352
	buffer_load_dword v121, off, s[0:3], 0 offset:364
	buffer_load_dword v120, off, s[0:3], 0 offset:360
	s_waitcnt vmcnt(2)
	v_fmac_f64_e32 v[112:113], v[116:117], v[118:119]
	ds_read2_b64 v[116:119], v114 offset0:99 offset1:100
	s_waitcnt vmcnt(0) lgkmcnt(0)
	v_fmac_f64_e32 v[112:113], v[120:121], v[116:117]
	;; [unrolled: 9-line block ×5, first 2 shown]
	buffer_load_dword v117, off, s[0:3], 0 offset:420
	buffer_load_dword v116, off, s[0:3], 0 offset:416
	s_waitcnt vmcnt(0)
	v_fmac_f64_e32 v[112:113], v[116:117], v[118:119]
	buffer_load_dword v117, off, s[0:3], 0 offset:428
	buffer_load_dword v116, off, s[0:3], 0 offset:424
	ds_read_b64 v[118:119], v114 offset:856
	s_waitcnt vmcnt(0) lgkmcnt(0)
	v_fmac_f64_e32 v[112:113], v[116:117], v[118:119]
	v_add_f64 v[110:111], v[110:111], -v[112:113]
	buffer_store_dword v111, off, s[0:3], 0 offset:276
	buffer_store_dword v110, off, s[0:3], 0 offset:272
	s_and_saveexec_b64 s[4:5], vcc
	s_cbranch_execz .LBB53_265
; %bb.264:
	buffer_load_dword v110, off, s[0:3], 0 offset:264
	buffer_load_dword v111, off, s[0:3], 0 offset:268
	s_waitcnt vmcnt(0)
	ds_write_b64 v1, v[110:111]
	buffer_store_dword v114, off, s[0:3], 0 offset:264
	buffer_store_dword v114, off, s[0:3], 0 offset:268
.LBB53_265:
	s_or_b64 exec, exec, s[4:5]
	s_waitcnt lgkmcnt(0)
	; wave barrier
	s_waitcnt lgkmcnt(0)
	buffer_load_dword v110, off, s[0:3], 0 offset:264
	buffer_load_dword v111, off, s[0:3], 0 offset:268
	;; [unrolled: 1-line block ×16, first 2 shown]
	ds_read_b128 v[116:119], v114 offset:704
	ds_read_b128 v[120:123], v114 offset:720
	;; [unrolled: 1-line block ×4, first 2 shown]
	v_cmp_lt_u32_e32 vcc, 32, v0
	s_waitcnt vmcnt(12) lgkmcnt(3)
	v_fma_f64 v[112:113], v[112:113], v[116:117], 0
	buffer_load_dword v117, off, s[0:3], 0 offset:332
	buffer_load_dword v116, off, s[0:3], 0 offset:328
	s_waitcnt vmcnt(12)
	v_fmac_f64_e32 v[112:113], v[132:133], v[118:119]
	s_waitcnt vmcnt(10) lgkmcnt(2)
	v_fmac_f64_e32 v[112:113], v[134:135], v[120:121]
	buffer_load_dword v121, off, s[0:3], 0 offset:340
	buffer_load_dword v120, off, s[0:3], 0 offset:336
	s_waitcnt vmcnt(10)
	v_fmac_f64_e32 v[112:113], v[136:137], v[122:123]
	s_waitcnt vmcnt(8) lgkmcnt(1)
	v_fmac_f64_e32 v[112:113], v[138:139], v[124:125]
	s_waitcnt vmcnt(6)
	v_fmac_f64_e32 v[112:113], v[140:141], v[126:127]
	s_waitcnt vmcnt(4) lgkmcnt(0)
	v_fmac_f64_e32 v[112:113], v[142:143], v[128:129]
	s_waitcnt vmcnt(2)
	v_fmac_f64_e32 v[112:113], v[116:117], v[130:131]
	ds_read_b128 v[116:119], v114 offset:768
	s_waitcnt vmcnt(0) lgkmcnt(0)
	v_fmac_f64_e32 v[112:113], v[120:121], v[116:117]
	buffer_load_dword v117, off, s[0:3], 0 offset:348
	buffer_load_dword v116, off, s[0:3], 0 offset:344
	buffer_load_dword v121, off, s[0:3], 0 offset:356
	buffer_load_dword v120, off, s[0:3], 0 offset:352
	s_waitcnt vmcnt(2)
	v_fmac_f64_e32 v[112:113], v[116:117], v[118:119]
	ds_read_b128 v[116:119], v114 offset:784
	s_waitcnt vmcnt(0) lgkmcnt(0)
	v_fmac_f64_e32 v[112:113], v[120:121], v[116:117]
	buffer_load_dword v117, off, s[0:3], 0 offset:364
	buffer_load_dword v116, off, s[0:3], 0 offset:360
	buffer_load_dword v121, off, s[0:3], 0 offset:372
	buffer_load_dword v120, off, s[0:3], 0 offset:368
	;; [unrolled: 9-line block ×4, first 2 shown]
	s_waitcnt vmcnt(2)
	v_fmac_f64_e32 v[112:113], v[116:117], v[118:119]
	ds_read_b128 v[116:119], v114 offset:832
	s_waitcnt vmcnt(0) lgkmcnt(0)
	v_fmac_f64_e32 v[112:113], v[120:121], v[116:117]
	buffer_load_dword v117, off, s[0:3], 0 offset:412
	buffer_load_dword v116, off, s[0:3], 0 offset:408
	s_waitcnt vmcnt(0)
	v_fmac_f64_e32 v[112:113], v[116:117], v[118:119]
	buffer_load_dword v119, off, s[0:3], 0 offset:420
	buffer_load_dword v118, off, s[0:3], 0 offset:416
	ds_read_b128 v[114:117], v114 offset:848
	s_waitcnt vmcnt(0) lgkmcnt(0)
	v_fmac_f64_e32 v[112:113], v[118:119], v[114:115]
	buffer_load_dword v115, off, s[0:3], 0 offset:428
	buffer_load_dword v114, off, s[0:3], 0 offset:424
	s_waitcnt vmcnt(0)
	v_fmac_f64_e32 v[112:113], v[114:115], v[116:117]
	v_add_f64 v[110:111], v[110:111], -v[112:113]
	buffer_store_dword v111, off, s[0:3], 0 offset:268
	buffer_store_dword v110, off, s[0:3], 0 offset:264
	s_and_saveexec_b64 s[4:5], vcc
	s_cbranch_execz .LBB53_267
; %bb.266:
	buffer_load_dword v110, off, s[0:3], 0 offset:256
	buffer_load_dword v111, off, s[0:3], 0 offset:260
	v_mov_b32_e32 v112, 0
	buffer_store_dword v112, off, s[0:3], 0 offset:256
	buffer_store_dword v112, off, s[0:3], 0 offset:260
	s_waitcnt vmcnt(2)
	ds_write_b64 v1, v[110:111]
.LBB53_267:
	s_or_b64 exec, exec, s[4:5]
	s_waitcnt lgkmcnt(0)
	; wave barrier
	s_waitcnt lgkmcnt(0)
	buffer_load_dword v110, off, s[0:3], 0 offset:256
	buffer_load_dword v111, off, s[0:3], 0 offset:260
	;; [unrolled: 1-line block ×16, first 2 shown]
	v_mov_b32_e32 v114, 0
	ds_read2_b64 v[116:119], v114 offset0:87 offset1:88
	v_cmp_lt_u32_e32 vcc, 31, v0
	s_waitcnt vmcnt(12) lgkmcnt(0)
	v_fma_f64 v[112:113], v[112:113], v[116:117], 0
	s_waitcnt vmcnt(10)
	v_fmac_f64_e32 v[112:113], v[120:121], v[118:119]
	ds_read2_b64 v[116:119], v114 offset0:89 offset1:90
	s_waitcnt vmcnt(8) lgkmcnt(0)
	v_fmac_f64_e32 v[112:113], v[122:123], v[116:117]
	s_waitcnt vmcnt(6)
	v_fmac_f64_e32 v[112:113], v[124:125], v[118:119]
	ds_read2_b64 v[116:119], v114 offset0:91 offset1:92
	s_waitcnt vmcnt(4) lgkmcnt(0)
	v_fmac_f64_e32 v[112:113], v[126:127], v[116:117]
	;; [unrolled: 5-line block ×3, first 2 shown]
	buffer_load_dword v117, off, s[0:3], 0 offset:324
	buffer_load_dword v116, off, s[0:3], 0 offset:320
	buffer_load_dword v121, off, s[0:3], 0 offset:332
	buffer_load_dword v120, off, s[0:3], 0 offset:328
	s_waitcnt vmcnt(2)
	v_fmac_f64_e32 v[112:113], v[116:117], v[118:119]
	ds_read2_b64 v[116:119], v114 offset0:95 offset1:96
	s_waitcnt vmcnt(0) lgkmcnt(0)
	v_fmac_f64_e32 v[112:113], v[120:121], v[116:117]
	buffer_load_dword v117, off, s[0:3], 0 offset:340
	buffer_load_dword v116, off, s[0:3], 0 offset:336
	buffer_load_dword v121, off, s[0:3], 0 offset:348
	buffer_load_dword v120, off, s[0:3], 0 offset:344
	s_waitcnt vmcnt(2)
	v_fmac_f64_e32 v[112:113], v[116:117], v[118:119]
	ds_read2_b64 v[116:119], v114 offset0:97 offset1:98
	s_waitcnt vmcnt(0) lgkmcnt(0)
	v_fmac_f64_e32 v[112:113], v[120:121], v[116:117]
	;; [unrolled: 9-line block ×6, first 2 shown]
	buffer_load_dword v117, off, s[0:3], 0 offset:420
	buffer_load_dword v116, off, s[0:3], 0 offset:416
	s_waitcnt vmcnt(0)
	v_fmac_f64_e32 v[112:113], v[116:117], v[118:119]
	buffer_load_dword v117, off, s[0:3], 0 offset:428
	buffer_load_dword v116, off, s[0:3], 0 offset:424
	ds_read_b64 v[118:119], v114 offset:856
	s_waitcnt vmcnt(0) lgkmcnt(0)
	v_fmac_f64_e32 v[112:113], v[116:117], v[118:119]
	v_add_f64 v[110:111], v[110:111], -v[112:113]
	buffer_store_dword v111, off, s[0:3], 0 offset:260
	buffer_store_dword v110, off, s[0:3], 0 offset:256
	s_and_saveexec_b64 s[4:5], vcc
	s_cbranch_execz .LBB53_269
; %bb.268:
	buffer_load_dword v110, off, s[0:3], 0 offset:248
	buffer_load_dword v111, off, s[0:3], 0 offset:252
	s_waitcnt vmcnt(0)
	ds_write_b64 v1, v[110:111]
	buffer_store_dword v114, off, s[0:3], 0 offset:248
	buffer_store_dword v114, off, s[0:3], 0 offset:252
.LBB53_269:
	s_or_b64 exec, exec, s[4:5]
	s_waitcnt lgkmcnt(0)
	; wave barrier
	s_waitcnt lgkmcnt(0)
	buffer_load_dword v110, off, s[0:3], 0 offset:248
	buffer_load_dword v111, off, s[0:3], 0 offset:252
	buffer_load_dword v112, off, s[0:3], 0 offset:256
	buffer_load_dword v113, off, s[0:3], 0 offset:260
	buffer_load_dword v132, off, s[0:3], 0 offset:264
	buffer_load_dword v133, off, s[0:3], 0 offset:268
	buffer_load_dword v134, off, s[0:3], 0 offset:272
	buffer_load_dword v135, off, s[0:3], 0 offset:276
	buffer_load_dword v136, off, s[0:3], 0 offset:280
	buffer_load_dword v137, off, s[0:3], 0 offset:284
	buffer_load_dword v138, off, s[0:3], 0 offset:288
	buffer_load_dword v139, off, s[0:3], 0 offset:292
	buffer_load_dword v140, off, s[0:3], 0 offset:296
	buffer_load_dword v141, off, s[0:3], 0 offset:300
	buffer_load_dword v142, off, s[0:3], 0 offset:304
	buffer_load_dword v143, off, s[0:3], 0 offset:308
	ds_read_b128 v[116:119], v114 offset:688
	ds_read_b128 v[120:123], v114 offset:704
	;; [unrolled: 1-line block ×4, first 2 shown]
	v_cmp_lt_u32_e32 vcc, 30, v0
	s_waitcnt vmcnt(12) lgkmcnt(3)
	v_fma_f64 v[112:113], v[112:113], v[116:117], 0
	buffer_load_dword v117, off, s[0:3], 0 offset:316
	buffer_load_dword v116, off, s[0:3], 0 offset:312
	s_waitcnt vmcnt(12)
	v_fmac_f64_e32 v[112:113], v[132:133], v[118:119]
	s_waitcnt vmcnt(10) lgkmcnt(2)
	v_fmac_f64_e32 v[112:113], v[134:135], v[120:121]
	buffer_load_dword v121, off, s[0:3], 0 offset:324
	buffer_load_dword v120, off, s[0:3], 0 offset:320
	s_waitcnt vmcnt(10)
	v_fmac_f64_e32 v[112:113], v[136:137], v[122:123]
	s_waitcnt vmcnt(8) lgkmcnt(1)
	v_fmac_f64_e32 v[112:113], v[138:139], v[124:125]
	s_waitcnt vmcnt(6)
	v_fmac_f64_e32 v[112:113], v[140:141], v[126:127]
	s_waitcnt vmcnt(4) lgkmcnt(0)
	v_fmac_f64_e32 v[112:113], v[142:143], v[128:129]
	s_waitcnt vmcnt(2)
	v_fmac_f64_e32 v[112:113], v[116:117], v[130:131]
	ds_read_b128 v[116:119], v114 offset:752
	s_waitcnt vmcnt(0) lgkmcnt(0)
	v_fmac_f64_e32 v[112:113], v[120:121], v[116:117]
	buffer_load_dword v117, off, s[0:3], 0 offset:332
	buffer_load_dword v116, off, s[0:3], 0 offset:328
	buffer_load_dword v121, off, s[0:3], 0 offset:340
	buffer_load_dword v120, off, s[0:3], 0 offset:336
	s_waitcnt vmcnt(2)
	v_fmac_f64_e32 v[112:113], v[116:117], v[118:119]
	ds_read_b128 v[116:119], v114 offset:768
	s_waitcnt vmcnt(0) lgkmcnt(0)
	v_fmac_f64_e32 v[112:113], v[120:121], v[116:117]
	buffer_load_dword v117, off, s[0:3], 0 offset:348
	buffer_load_dword v116, off, s[0:3], 0 offset:344
	buffer_load_dword v121, off, s[0:3], 0 offset:356
	buffer_load_dword v120, off, s[0:3], 0 offset:352
	s_waitcnt vmcnt(2)
	v_fmac_f64_e32 v[112:113], v[116:117], v[118:119]
	ds_read_b128 v[116:119], v114 offset:784
	s_waitcnt vmcnt(0) lgkmcnt(0)
	v_fmac_f64_e32 v[112:113], v[120:121], v[116:117]
	buffer_load_dword v117, off, s[0:3], 0 offset:364
	buffer_load_dword v116, off, s[0:3], 0 offset:360
	buffer_load_dword v121, off, s[0:3], 0 offset:372
	buffer_load_dword v120, off, s[0:3], 0 offset:368
	s_waitcnt vmcnt(2)
	v_fmac_f64_e32 v[112:113], v[116:117], v[118:119]
	ds_read_b128 v[116:119], v114 offset:800
	s_waitcnt vmcnt(0) lgkmcnt(0)
	v_fmac_f64_e32 v[112:113], v[120:121], v[116:117]
	buffer_load_dword v117, off, s[0:3], 0 offset:380
	buffer_load_dword v116, off, s[0:3], 0 offset:376
	buffer_load_dword v121, off, s[0:3], 0 offset:388
	buffer_load_dword v120, off, s[0:3], 0 offset:384
	s_waitcnt vmcnt(2)
	v_fmac_f64_e32 v[112:113], v[116:117], v[118:119]
	ds_read_b128 v[116:119], v114 offset:816
	s_waitcnt vmcnt(0) lgkmcnt(0)
	v_fmac_f64_e32 v[112:113], v[120:121], v[116:117]
	buffer_load_dword v117, off, s[0:3], 0 offset:396
	buffer_load_dword v116, off, s[0:3], 0 offset:392
	buffer_load_dword v121, off, s[0:3], 0 offset:404
	buffer_load_dword v120, off, s[0:3], 0 offset:400
	s_waitcnt vmcnt(2)
	v_fmac_f64_e32 v[112:113], v[116:117], v[118:119]
	ds_read_b128 v[116:119], v114 offset:832
	s_waitcnt vmcnt(0) lgkmcnt(0)
	v_fmac_f64_e32 v[112:113], v[120:121], v[116:117]
	buffer_load_dword v117, off, s[0:3], 0 offset:412
	buffer_load_dword v116, off, s[0:3], 0 offset:408
	s_waitcnt vmcnt(0)
	v_fmac_f64_e32 v[112:113], v[116:117], v[118:119]
	buffer_load_dword v119, off, s[0:3], 0 offset:420
	buffer_load_dword v118, off, s[0:3], 0 offset:416
	ds_read_b128 v[114:117], v114 offset:848
	s_waitcnt vmcnt(0) lgkmcnt(0)
	v_fmac_f64_e32 v[112:113], v[118:119], v[114:115]
	buffer_load_dword v115, off, s[0:3], 0 offset:428
	buffer_load_dword v114, off, s[0:3], 0 offset:424
	s_waitcnt vmcnt(0)
	v_fmac_f64_e32 v[112:113], v[114:115], v[116:117]
	v_add_f64 v[110:111], v[110:111], -v[112:113]
	buffer_store_dword v111, off, s[0:3], 0 offset:252
	buffer_store_dword v110, off, s[0:3], 0 offset:248
	s_and_saveexec_b64 s[4:5], vcc
	s_cbranch_execz .LBB53_271
; %bb.270:
	buffer_load_dword v110, off, s[0:3], 0 offset:240
	buffer_load_dword v111, off, s[0:3], 0 offset:244
	v_mov_b32_e32 v112, 0
	buffer_store_dword v112, off, s[0:3], 0 offset:240
	buffer_store_dword v112, off, s[0:3], 0 offset:244
	s_waitcnt vmcnt(2)
	ds_write_b64 v1, v[110:111]
.LBB53_271:
	s_or_b64 exec, exec, s[4:5]
	s_waitcnt lgkmcnt(0)
	; wave barrier
	s_waitcnt lgkmcnt(0)
	buffer_load_dword v110, off, s[0:3], 0 offset:240
	buffer_load_dword v111, off, s[0:3], 0 offset:244
	;; [unrolled: 1-line block ×16, first 2 shown]
	v_mov_b32_e32 v114, 0
	ds_read2_b64 v[116:119], v114 offset0:85 offset1:86
	v_cmp_lt_u32_e32 vcc, 29, v0
	s_waitcnt vmcnt(12) lgkmcnt(0)
	v_fma_f64 v[112:113], v[112:113], v[116:117], 0
	s_waitcnt vmcnt(10)
	v_fmac_f64_e32 v[112:113], v[120:121], v[118:119]
	ds_read2_b64 v[116:119], v114 offset0:87 offset1:88
	s_waitcnt vmcnt(8) lgkmcnt(0)
	v_fmac_f64_e32 v[112:113], v[122:123], v[116:117]
	s_waitcnt vmcnt(6)
	v_fmac_f64_e32 v[112:113], v[124:125], v[118:119]
	ds_read2_b64 v[116:119], v114 offset0:89 offset1:90
	s_waitcnt vmcnt(4) lgkmcnt(0)
	v_fmac_f64_e32 v[112:113], v[126:127], v[116:117]
	;; [unrolled: 5-line block ×3, first 2 shown]
	buffer_load_dword v117, off, s[0:3], 0 offset:308
	buffer_load_dword v116, off, s[0:3], 0 offset:304
	buffer_load_dword v121, off, s[0:3], 0 offset:316
	buffer_load_dword v120, off, s[0:3], 0 offset:312
	s_waitcnt vmcnt(2)
	v_fmac_f64_e32 v[112:113], v[116:117], v[118:119]
	ds_read2_b64 v[116:119], v114 offset0:93 offset1:94
	s_waitcnt vmcnt(0) lgkmcnt(0)
	v_fmac_f64_e32 v[112:113], v[120:121], v[116:117]
	buffer_load_dword v117, off, s[0:3], 0 offset:324
	buffer_load_dword v116, off, s[0:3], 0 offset:320
	buffer_load_dword v121, off, s[0:3], 0 offset:332
	buffer_load_dword v120, off, s[0:3], 0 offset:328
	s_waitcnt vmcnt(2)
	v_fmac_f64_e32 v[112:113], v[116:117], v[118:119]
	ds_read2_b64 v[116:119], v114 offset0:95 offset1:96
	s_waitcnt vmcnt(0) lgkmcnt(0)
	v_fmac_f64_e32 v[112:113], v[120:121], v[116:117]
	;; [unrolled: 9-line block ×7, first 2 shown]
	buffer_load_dword v117, off, s[0:3], 0 offset:420
	buffer_load_dword v116, off, s[0:3], 0 offset:416
	s_waitcnt vmcnt(0)
	v_fmac_f64_e32 v[112:113], v[116:117], v[118:119]
	buffer_load_dword v117, off, s[0:3], 0 offset:428
	buffer_load_dword v116, off, s[0:3], 0 offset:424
	ds_read_b64 v[118:119], v114 offset:856
	s_waitcnt vmcnt(0) lgkmcnt(0)
	v_fmac_f64_e32 v[112:113], v[116:117], v[118:119]
	v_add_f64 v[110:111], v[110:111], -v[112:113]
	buffer_store_dword v111, off, s[0:3], 0 offset:244
	buffer_store_dword v110, off, s[0:3], 0 offset:240
	s_and_saveexec_b64 s[4:5], vcc
	s_cbranch_execz .LBB53_273
; %bb.272:
	buffer_load_dword v110, off, s[0:3], 0 offset:232
	buffer_load_dword v111, off, s[0:3], 0 offset:236
	s_waitcnt vmcnt(0)
	ds_write_b64 v1, v[110:111]
	buffer_store_dword v114, off, s[0:3], 0 offset:232
	buffer_store_dword v114, off, s[0:3], 0 offset:236
.LBB53_273:
	s_or_b64 exec, exec, s[4:5]
	s_waitcnt lgkmcnt(0)
	; wave barrier
	s_waitcnt lgkmcnt(0)
	buffer_load_dword v110, off, s[0:3], 0 offset:232
	buffer_load_dword v111, off, s[0:3], 0 offset:236
	;; [unrolled: 1-line block ×16, first 2 shown]
	ds_read_b128 v[116:119], v114 offset:672
	ds_read_b128 v[120:123], v114 offset:688
	;; [unrolled: 1-line block ×4, first 2 shown]
	v_cmp_lt_u32_e32 vcc, 28, v0
	s_waitcnt vmcnt(12) lgkmcnt(3)
	v_fma_f64 v[112:113], v[112:113], v[116:117], 0
	buffer_load_dword v117, off, s[0:3], 0 offset:300
	buffer_load_dword v116, off, s[0:3], 0 offset:296
	s_waitcnt vmcnt(12)
	v_fmac_f64_e32 v[112:113], v[132:133], v[118:119]
	s_waitcnt vmcnt(10) lgkmcnt(2)
	v_fmac_f64_e32 v[112:113], v[134:135], v[120:121]
	buffer_load_dword v121, off, s[0:3], 0 offset:308
	buffer_load_dword v120, off, s[0:3], 0 offset:304
	s_waitcnt vmcnt(10)
	v_fmac_f64_e32 v[112:113], v[136:137], v[122:123]
	s_waitcnt vmcnt(8) lgkmcnt(1)
	v_fmac_f64_e32 v[112:113], v[138:139], v[124:125]
	s_waitcnt vmcnt(6)
	v_fmac_f64_e32 v[112:113], v[140:141], v[126:127]
	s_waitcnt vmcnt(4) lgkmcnt(0)
	v_fmac_f64_e32 v[112:113], v[142:143], v[128:129]
	s_waitcnt vmcnt(2)
	v_fmac_f64_e32 v[112:113], v[116:117], v[130:131]
	ds_read_b128 v[116:119], v114 offset:736
	s_waitcnt vmcnt(0) lgkmcnt(0)
	v_fmac_f64_e32 v[112:113], v[120:121], v[116:117]
	buffer_load_dword v117, off, s[0:3], 0 offset:316
	buffer_load_dword v116, off, s[0:3], 0 offset:312
	buffer_load_dword v121, off, s[0:3], 0 offset:324
	buffer_load_dword v120, off, s[0:3], 0 offset:320
	s_waitcnt vmcnt(2)
	v_fmac_f64_e32 v[112:113], v[116:117], v[118:119]
	ds_read_b128 v[116:119], v114 offset:752
	s_waitcnt vmcnt(0) lgkmcnt(0)
	v_fmac_f64_e32 v[112:113], v[120:121], v[116:117]
	buffer_load_dword v117, off, s[0:3], 0 offset:332
	buffer_load_dword v116, off, s[0:3], 0 offset:328
	buffer_load_dword v121, off, s[0:3], 0 offset:340
	buffer_load_dword v120, off, s[0:3], 0 offset:336
	;; [unrolled: 9-line block ×6, first 2 shown]
	s_waitcnt vmcnt(2)
	v_fmac_f64_e32 v[112:113], v[116:117], v[118:119]
	ds_read_b128 v[116:119], v114 offset:832
	s_waitcnt vmcnt(0) lgkmcnt(0)
	v_fmac_f64_e32 v[112:113], v[120:121], v[116:117]
	buffer_load_dword v117, off, s[0:3], 0 offset:412
	buffer_load_dword v116, off, s[0:3], 0 offset:408
	s_waitcnt vmcnt(0)
	v_fmac_f64_e32 v[112:113], v[116:117], v[118:119]
	buffer_load_dword v119, off, s[0:3], 0 offset:420
	buffer_load_dword v118, off, s[0:3], 0 offset:416
	ds_read_b128 v[114:117], v114 offset:848
	s_waitcnt vmcnt(0) lgkmcnt(0)
	v_fmac_f64_e32 v[112:113], v[118:119], v[114:115]
	buffer_load_dword v115, off, s[0:3], 0 offset:428
	buffer_load_dword v114, off, s[0:3], 0 offset:424
	s_waitcnt vmcnt(0)
	v_fmac_f64_e32 v[112:113], v[114:115], v[116:117]
	v_add_f64 v[110:111], v[110:111], -v[112:113]
	buffer_store_dword v111, off, s[0:3], 0 offset:236
	buffer_store_dword v110, off, s[0:3], 0 offset:232
	s_and_saveexec_b64 s[4:5], vcc
	s_cbranch_execz .LBB53_275
; %bb.274:
	buffer_load_dword v110, off, s[0:3], 0 offset:224
	buffer_load_dword v111, off, s[0:3], 0 offset:228
	v_mov_b32_e32 v112, 0
	buffer_store_dword v112, off, s[0:3], 0 offset:224
	buffer_store_dword v112, off, s[0:3], 0 offset:228
	s_waitcnt vmcnt(2)
	ds_write_b64 v1, v[110:111]
.LBB53_275:
	s_or_b64 exec, exec, s[4:5]
	s_waitcnt lgkmcnt(0)
	; wave barrier
	s_waitcnt lgkmcnt(0)
	buffer_load_dword v110, off, s[0:3], 0 offset:224
	buffer_load_dword v111, off, s[0:3], 0 offset:228
	;; [unrolled: 1-line block ×16, first 2 shown]
	v_mov_b32_e32 v114, 0
	ds_read2_b64 v[116:119], v114 offset0:83 offset1:84
	v_cmp_lt_u32_e32 vcc, 27, v0
	s_waitcnt vmcnt(12) lgkmcnt(0)
	v_fma_f64 v[112:113], v[112:113], v[116:117], 0
	s_waitcnt vmcnt(10)
	v_fmac_f64_e32 v[112:113], v[120:121], v[118:119]
	ds_read2_b64 v[116:119], v114 offset0:85 offset1:86
	s_waitcnt vmcnt(8) lgkmcnt(0)
	v_fmac_f64_e32 v[112:113], v[122:123], v[116:117]
	s_waitcnt vmcnt(6)
	v_fmac_f64_e32 v[112:113], v[124:125], v[118:119]
	ds_read2_b64 v[116:119], v114 offset0:87 offset1:88
	s_waitcnt vmcnt(4) lgkmcnt(0)
	v_fmac_f64_e32 v[112:113], v[126:127], v[116:117]
	;; [unrolled: 5-line block ×3, first 2 shown]
	buffer_load_dword v117, off, s[0:3], 0 offset:292
	buffer_load_dword v116, off, s[0:3], 0 offset:288
	buffer_load_dword v121, off, s[0:3], 0 offset:300
	buffer_load_dword v120, off, s[0:3], 0 offset:296
	s_waitcnt vmcnt(2)
	v_fmac_f64_e32 v[112:113], v[116:117], v[118:119]
	ds_read2_b64 v[116:119], v114 offset0:91 offset1:92
	s_waitcnt vmcnt(0) lgkmcnt(0)
	v_fmac_f64_e32 v[112:113], v[120:121], v[116:117]
	buffer_load_dword v117, off, s[0:3], 0 offset:308
	buffer_load_dword v116, off, s[0:3], 0 offset:304
	buffer_load_dword v121, off, s[0:3], 0 offset:316
	buffer_load_dword v120, off, s[0:3], 0 offset:312
	s_waitcnt vmcnt(2)
	v_fmac_f64_e32 v[112:113], v[116:117], v[118:119]
	ds_read2_b64 v[116:119], v114 offset0:93 offset1:94
	s_waitcnt vmcnt(0) lgkmcnt(0)
	v_fmac_f64_e32 v[112:113], v[120:121], v[116:117]
	;; [unrolled: 9-line block ×8, first 2 shown]
	buffer_load_dword v117, off, s[0:3], 0 offset:420
	buffer_load_dword v116, off, s[0:3], 0 offset:416
	s_waitcnt vmcnt(0)
	v_fmac_f64_e32 v[112:113], v[116:117], v[118:119]
	buffer_load_dword v117, off, s[0:3], 0 offset:428
	buffer_load_dword v116, off, s[0:3], 0 offset:424
	ds_read_b64 v[118:119], v114 offset:856
	s_waitcnt vmcnt(0) lgkmcnt(0)
	v_fmac_f64_e32 v[112:113], v[116:117], v[118:119]
	v_add_f64 v[110:111], v[110:111], -v[112:113]
	buffer_store_dword v111, off, s[0:3], 0 offset:228
	buffer_store_dword v110, off, s[0:3], 0 offset:224
	s_and_saveexec_b64 s[4:5], vcc
	s_cbranch_execz .LBB53_277
; %bb.276:
	buffer_load_dword v110, off, s[0:3], 0 offset:216
	buffer_load_dword v111, off, s[0:3], 0 offset:220
	s_waitcnt vmcnt(0)
	ds_write_b64 v1, v[110:111]
	buffer_store_dword v114, off, s[0:3], 0 offset:216
	buffer_store_dword v114, off, s[0:3], 0 offset:220
.LBB53_277:
	s_or_b64 exec, exec, s[4:5]
	s_waitcnt lgkmcnt(0)
	; wave barrier
	s_waitcnt lgkmcnt(0)
	buffer_load_dword v110, off, s[0:3], 0 offset:216
	buffer_load_dword v111, off, s[0:3], 0 offset:220
	;; [unrolled: 1-line block ×16, first 2 shown]
	ds_read_b128 v[116:119], v114 offset:656
	ds_read_b128 v[120:123], v114 offset:672
	;; [unrolled: 1-line block ×4, first 2 shown]
	v_cmp_lt_u32_e32 vcc, 26, v0
	s_waitcnt vmcnt(12) lgkmcnt(3)
	v_fma_f64 v[112:113], v[112:113], v[116:117], 0
	buffer_load_dword v117, off, s[0:3], 0 offset:284
	buffer_load_dword v116, off, s[0:3], 0 offset:280
	s_waitcnt vmcnt(12)
	v_fmac_f64_e32 v[112:113], v[132:133], v[118:119]
	s_waitcnt vmcnt(10) lgkmcnt(2)
	v_fmac_f64_e32 v[112:113], v[134:135], v[120:121]
	buffer_load_dword v121, off, s[0:3], 0 offset:292
	buffer_load_dword v120, off, s[0:3], 0 offset:288
	s_waitcnt vmcnt(10)
	v_fmac_f64_e32 v[112:113], v[136:137], v[122:123]
	s_waitcnt vmcnt(8) lgkmcnt(1)
	v_fmac_f64_e32 v[112:113], v[138:139], v[124:125]
	s_waitcnt vmcnt(6)
	v_fmac_f64_e32 v[112:113], v[140:141], v[126:127]
	s_waitcnt vmcnt(4) lgkmcnt(0)
	v_fmac_f64_e32 v[112:113], v[142:143], v[128:129]
	s_waitcnt vmcnt(2)
	v_fmac_f64_e32 v[112:113], v[116:117], v[130:131]
	ds_read_b128 v[116:119], v114 offset:720
	s_waitcnt vmcnt(0) lgkmcnt(0)
	v_fmac_f64_e32 v[112:113], v[120:121], v[116:117]
	buffer_load_dword v117, off, s[0:3], 0 offset:300
	buffer_load_dword v116, off, s[0:3], 0 offset:296
	buffer_load_dword v121, off, s[0:3], 0 offset:308
	buffer_load_dword v120, off, s[0:3], 0 offset:304
	s_waitcnt vmcnt(2)
	v_fmac_f64_e32 v[112:113], v[116:117], v[118:119]
	ds_read_b128 v[116:119], v114 offset:736
	s_waitcnt vmcnt(0) lgkmcnt(0)
	v_fmac_f64_e32 v[112:113], v[120:121], v[116:117]
	buffer_load_dword v117, off, s[0:3], 0 offset:316
	buffer_load_dword v116, off, s[0:3], 0 offset:312
	buffer_load_dword v121, off, s[0:3], 0 offset:324
	buffer_load_dword v120, off, s[0:3], 0 offset:320
	;; [unrolled: 9-line block ×7, first 2 shown]
	s_waitcnt vmcnt(2)
	v_fmac_f64_e32 v[112:113], v[116:117], v[118:119]
	ds_read_b128 v[116:119], v114 offset:832
	s_waitcnt vmcnt(0) lgkmcnt(0)
	v_fmac_f64_e32 v[112:113], v[120:121], v[116:117]
	buffer_load_dword v117, off, s[0:3], 0 offset:412
	buffer_load_dword v116, off, s[0:3], 0 offset:408
	s_waitcnt vmcnt(0)
	v_fmac_f64_e32 v[112:113], v[116:117], v[118:119]
	buffer_load_dword v119, off, s[0:3], 0 offset:420
	buffer_load_dword v118, off, s[0:3], 0 offset:416
	ds_read_b128 v[114:117], v114 offset:848
	s_waitcnt vmcnt(0) lgkmcnt(0)
	v_fmac_f64_e32 v[112:113], v[118:119], v[114:115]
	buffer_load_dword v115, off, s[0:3], 0 offset:428
	buffer_load_dword v114, off, s[0:3], 0 offset:424
	s_waitcnt vmcnt(0)
	v_fmac_f64_e32 v[112:113], v[114:115], v[116:117]
	v_add_f64 v[110:111], v[110:111], -v[112:113]
	buffer_store_dword v111, off, s[0:3], 0 offset:220
	buffer_store_dword v110, off, s[0:3], 0 offset:216
	s_and_saveexec_b64 s[4:5], vcc
	s_cbranch_execz .LBB53_279
; %bb.278:
	buffer_load_dword v110, off, s[0:3], 0 offset:208
	buffer_load_dword v111, off, s[0:3], 0 offset:212
	v_mov_b32_e32 v112, 0
	buffer_store_dword v112, off, s[0:3], 0 offset:208
	buffer_store_dword v112, off, s[0:3], 0 offset:212
	s_waitcnt vmcnt(2)
	ds_write_b64 v1, v[110:111]
.LBB53_279:
	s_or_b64 exec, exec, s[4:5]
	s_waitcnt lgkmcnt(0)
	; wave barrier
	s_waitcnt lgkmcnt(0)
	buffer_load_dword v110, off, s[0:3], 0 offset:208
	buffer_load_dword v111, off, s[0:3], 0 offset:212
	;; [unrolled: 1-line block ×16, first 2 shown]
	v_mov_b32_e32 v114, 0
	ds_read2_b64 v[116:119], v114 offset0:81 offset1:82
	v_cmp_lt_u32_e32 vcc, 25, v0
	s_waitcnt vmcnt(12) lgkmcnt(0)
	v_fma_f64 v[112:113], v[112:113], v[116:117], 0
	s_waitcnt vmcnt(10)
	v_fmac_f64_e32 v[112:113], v[120:121], v[118:119]
	ds_read2_b64 v[116:119], v114 offset0:83 offset1:84
	s_waitcnt vmcnt(8) lgkmcnt(0)
	v_fmac_f64_e32 v[112:113], v[122:123], v[116:117]
	s_waitcnt vmcnt(6)
	v_fmac_f64_e32 v[112:113], v[124:125], v[118:119]
	ds_read2_b64 v[116:119], v114 offset0:85 offset1:86
	s_waitcnt vmcnt(4) lgkmcnt(0)
	v_fmac_f64_e32 v[112:113], v[126:127], v[116:117]
	;; [unrolled: 5-line block ×3, first 2 shown]
	buffer_load_dword v117, off, s[0:3], 0 offset:276
	buffer_load_dword v116, off, s[0:3], 0 offset:272
	buffer_load_dword v121, off, s[0:3], 0 offset:284
	buffer_load_dword v120, off, s[0:3], 0 offset:280
	s_waitcnt vmcnt(2)
	v_fmac_f64_e32 v[112:113], v[116:117], v[118:119]
	ds_read2_b64 v[116:119], v114 offset0:89 offset1:90
	s_waitcnt vmcnt(0) lgkmcnt(0)
	v_fmac_f64_e32 v[112:113], v[120:121], v[116:117]
	buffer_load_dword v117, off, s[0:3], 0 offset:292
	buffer_load_dword v116, off, s[0:3], 0 offset:288
	buffer_load_dword v121, off, s[0:3], 0 offset:300
	buffer_load_dword v120, off, s[0:3], 0 offset:296
	s_waitcnt vmcnt(2)
	v_fmac_f64_e32 v[112:113], v[116:117], v[118:119]
	ds_read2_b64 v[116:119], v114 offset0:91 offset1:92
	s_waitcnt vmcnt(0) lgkmcnt(0)
	v_fmac_f64_e32 v[112:113], v[120:121], v[116:117]
	;; [unrolled: 9-line block ×9, first 2 shown]
	buffer_load_dword v117, off, s[0:3], 0 offset:420
	buffer_load_dword v116, off, s[0:3], 0 offset:416
	s_waitcnt vmcnt(0)
	v_fmac_f64_e32 v[112:113], v[116:117], v[118:119]
	buffer_load_dword v117, off, s[0:3], 0 offset:428
	buffer_load_dword v116, off, s[0:3], 0 offset:424
	ds_read_b64 v[118:119], v114 offset:856
	s_waitcnt vmcnt(0) lgkmcnt(0)
	v_fmac_f64_e32 v[112:113], v[116:117], v[118:119]
	v_add_f64 v[110:111], v[110:111], -v[112:113]
	buffer_store_dword v111, off, s[0:3], 0 offset:212
	buffer_store_dword v110, off, s[0:3], 0 offset:208
	s_and_saveexec_b64 s[4:5], vcc
	s_cbranch_execz .LBB53_281
; %bb.280:
	buffer_load_dword v110, off, s[0:3], 0 offset:200
	buffer_load_dword v111, off, s[0:3], 0 offset:204
	s_waitcnt vmcnt(0)
	ds_write_b64 v1, v[110:111]
	buffer_store_dword v114, off, s[0:3], 0 offset:200
	buffer_store_dword v114, off, s[0:3], 0 offset:204
.LBB53_281:
	s_or_b64 exec, exec, s[4:5]
	s_waitcnt lgkmcnt(0)
	; wave barrier
	s_waitcnt lgkmcnt(0)
	buffer_load_dword v110, off, s[0:3], 0 offset:200
	buffer_load_dword v111, off, s[0:3], 0 offset:204
	;; [unrolled: 1-line block ×16, first 2 shown]
	ds_read_b128 v[116:119], v114 offset:640
	ds_read_b128 v[120:123], v114 offset:656
	;; [unrolled: 1-line block ×4, first 2 shown]
	v_cmp_lt_u32_e32 vcc, 24, v0
	s_waitcnt vmcnt(12) lgkmcnt(3)
	v_fma_f64 v[112:113], v[112:113], v[116:117], 0
	buffer_load_dword v117, off, s[0:3], 0 offset:268
	buffer_load_dword v116, off, s[0:3], 0 offset:264
	s_waitcnt vmcnt(12)
	v_fmac_f64_e32 v[112:113], v[132:133], v[118:119]
	s_waitcnt vmcnt(10) lgkmcnt(2)
	v_fmac_f64_e32 v[112:113], v[134:135], v[120:121]
	buffer_load_dword v121, off, s[0:3], 0 offset:276
	buffer_load_dword v120, off, s[0:3], 0 offset:272
	s_waitcnt vmcnt(10)
	v_fmac_f64_e32 v[112:113], v[136:137], v[122:123]
	s_waitcnt vmcnt(8) lgkmcnt(1)
	v_fmac_f64_e32 v[112:113], v[138:139], v[124:125]
	s_waitcnt vmcnt(6)
	v_fmac_f64_e32 v[112:113], v[140:141], v[126:127]
	s_waitcnt vmcnt(4) lgkmcnt(0)
	v_fmac_f64_e32 v[112:113], v[142:143], v[128:129]
	s_waitcnt vmcnt(2)
	v_fmac_f64_e32 v[112:113], v[116:117], v[130:131]
	ds_read_b128 v[116:119], v114 offset:704
	s_waitcnt vmcnt(0) lgkmcnt(0)
	v_fmac_f64_e32 v[112:113], v[120:121], v[116:117]
	buffer_load_dword v117, off, s[0:3], 0 offset:284
	buffer_load_dword v116, off, s[0:3], 0 offset:280
	buffer_load_dword v121, off, s[0:3], 0 offset:292
	buffer_load_dword v120, off, s[0:3], 0 offset:288
	s_waitcnt vmcnt(2)
	v_fmac_f64_e32 v[112:113], v[116:117], v[118:119]
	ds_read_b128 v[116:119], v114 offset:720
	s_waitcnt vmcnt(0) lgkmcnt(0)
	v_fmac_f64_e32 v[112:113], v[120:121], v[116:117]
	buffer_load_dword v117, off, s[0:3], 0 offset:300
	buffer_load_dword v116, off, s[0:3], 0 offset:296
	buffer_load_dword v121, off, s[0:3], 0 offset:308
	buffer_load_dword v120, off, s[0:3], 0 offset:304
	;; [unrolled: 9-line block ×8, first 2 shown]
	s_waitcnt vmcnt(2)
	v_fmac_f64_e32 v[112:113], v[116:117], v[118:119]
	ds_read_b128 v[116:119], v114 offset:832
	s_waitcnt vmcnt(0) lgkmcnt(0)
	v_fmac_f64_e32 v[112:113], v[120:121], v[116:117]
	buffer_load_dword v117, off, s[0:3], 0 offset:412
	buffer_load_dword v116, off, s[0:3], 0 offset:408
	s_waitcnt vmcnt(0)
	v_fmac_f64_e32 v[112:113], v[116:117], v[118:119]
	buffer_load_dword v119, off, s[0:3], 0 offset:420
	buffer_load_dword v118, off, s[0:3], 0 offset:416
	ds_read_b128 v[114:117], v114 offset:848
	s_waitcnt vmcnt(0) lgkmcnt(0)
	v_fmac_f64_e32 v[112:113], v[118:119], v[114:115]
	buffer_load_dword v115, off, s[0:3], 0 offset:428
	buffer_load_dword v114, off, s[0:3], 0 offset:424
	s_waitcnt vmcnt(0)
	v_fmac_f64_e32 v[112:113], v[114:115], v[116:117]
	v_add_f64 v[110:111], v[110:111], -v[112:113]
	buffer_store_dword v111, off, s[0:3], 0 offset:204
	buffer_store_dword v110, off, s[0:3], 0 offset:200
	s_and_saveexec_b64 s[4:5], vcc
	s_cbranch_execz .LBB53_283
; %bb.282:
	buffer_load_dword v110, off, s[0:3], 0 offset:192
	buffer_load_dword v111, off, s[0:3], 0 offset:196
	v_mov_b32_e32 v112, 0
	buffer_store_dword v112, off, s[0:3], 0 offset:192
	buffer_store_dword v112, off, s[0:3], 0 offset:196
	s_waitcnt vmcnt(2)
	ds_write_b64 v1, v[110:111]
.LBB53_283:
	s_or_b64 exec, exec, s[4:5]
	s_waitcnt lgkmcnt(0)
	; wave barrier
	s_waitcnt lgkmcnt(0)
	buffer_load_dword v110, off, s[0:3], 0 offset:192
	buffer_load_dword v111, off, s[0:3], 0 offset:196
	;; [unrolled: 1-line block ×16, first 2 shown]
	v_mov_b32_e32 v114, 0
	ds_read2_b64 v[116:119], v114 offset0:79 offset1:80
	v_cmp_lt_u32_e32 vcc, 23, v0
	s_waitcnt vmcnt(12) lgkmcnt(0)
	v_fma_f64 v[112:113], v[112:113], v[116:117], 0
	s_waitcnt vmcnt(10)
	v_fmac_f64_e32 v[112:113], v[120:121], v[118:119]
	ds_read2_b64 v[116:119], v114 offset0:81 offset1:82
	s_waitcnt vmcnt(8) lgkmcnt(0)
	v_fmac_f64_e32 v[112:113], v[122:123], v[116:117]
	s_waitcnt vmcnt(6)
	v_fmac_f64_e32 v[112:113], v[124:125], v[118:119]
	ds_read2_b64 v[116:119], v114 offset0:83 offset1:84
	s_waitcnt vmcnt(4) lgkmcnt(0)
	v_fmac_f64_e32 v[112:113], v[126:127], v[116:117]
	;; [unrolled: 5-line block ×3, first 2 shown]
	buffer_load_dword v117, off, s[0:3], 0 offset:260
	buffer_load_dword v116, off, s[0:3], 0 offset:256
	buffer_load_dword v121, off, s[0:3], 0 offset:268
	buffer_load_dword v120, off, s[0:3], 0 offset:264
	s_waitcnt vmcnt(2)
	v_fmac_f64_e32 v[112:113], v[116:117], v[118:119]
	ds_read2_b64 v[116:119], v114 offset0:87 offset1:88
	s_waitcnt vmcnt(0) lgkmcnt(0)
	v_fmac_f64_e32 v[112:113], v[120:121], v[116:117]
	buffer_load_dword v117, off, s[0:3], 0 offset:276
	buffer_load_dword v116, off, s[0:3], 0 offset:272
	buffer_load_dword v121, off, s[0:3], 0 offset:284
	buffer_load_dword v120, off, s[0:3], 0 offset:280
	s_waitcnt vmcnt(2)
	v_fmac_f64_e32 v[112:113], v[116:117], v[118:119]
	ds_read2_b64 v[116:119], v114 offset0:89 offset1:90
	s_waitcnt vmcnt(0) lgkmcnt(0)
	v_fmac_f64_e32 v[112:113], v[120:121], v[116:117]
	;; [unrolled: 9-line block ×10, first 2 shown]
	buffer_load_dword v117, off, s[0:3], 0 offset:420
	buffer_load_dword v116, off, s[0:3], 0 offset:416
	s_waitcnt vmcnt(0)
	v_fmac_f64_e32 v[112:113], v[116:117], v[118:119]
	buffer_load_dword v117, off, s[0:3], 0 offset:428
	buffer_load_dword v116, off, s[0:3], 0 offset:424
	ds_read_b64 v[118:119], v114 offset:856
	s_waitcnt vmcnt(0) lgkmcnt(0)
	v_fmac_f64_e32 v[112:113], v[116:117], v[118:119]
	v_add_f64 v[110:111], v[110:111], -v[112:113]
	buffer_store_dword v111, off, s[0:3], 0 offset:196
	buffer_store_dword v110, off, s[0:3], 0 offset:192
	s_and_saveexec_b64 s[4:5], vcc
	s_cbranch_execz .LBB53_285
; %bb.284:
	buffer_load_dword v110, off, s[0:3], 0 offset:184
	buffer_load_dword v111, off, s[0:3], 0 offset:188
	s_waitcnt vmcnt(0)
	ds_write_b64 v1, v[110:111]
	buffer_store_dword v114, off, s[0:3], 0 offset:184
	buffer_store_dword v114, off, s[0:3], 0 offset:188
.LBB53_285:
	s_or_b64 exec, exec, s[4:5]
	s_waitcnt lgkmcnt(0)
	; wave barrier
	s_waitcnt lgkmcnt(0)
	buffer_load_dword v110, off, s[0:3], 0 offset:184
	buffer_load_dword v111, off, s[0:3], 0 offset:188
	buffer_load_dword v112, off, s[0:3], 0 offset:192
	buffer_load_dword v113, off, s[0:3], 0 offset:196
	buffer_load_dword v132, off, s[0:3], 0 offset:200
	buffer_load_dword v133, off, s[0:3], 0 offset:204
	buffer_load_dword v134, off, s[0:3], 0 offset:208
	buffer_load_dword v135, off, s[0:3], 0 offset:212
	buffer_load_dword v136, off, s[0:3], 0 offset:216
	buffer_load_dword v137, off, s[0:3], 0 offset:220
	buffer_load_dword v138, off, s[0:3], 0 offset:224
	buffer_load_dword v139, off, s[0:3], 0 offset:228
	buffer_load_dword v140, off, s[0:3], 0 offset:232
	buffer_load_dword v141, off, s[0:3], 0 offset:236
	buffer_load_dword v142, off, s[0:3], 0 offset:240
	buffer_load_dword v143, off, s[0:3], 0 offset:244
	ds_read_b128 v[116:119], v114 offset:624
	ds_read_b128 v[120:123], v114 offset:640
	;; [unrolled: 1-line block ×4, first 2 shown]
	v_cmp_lt_u32_e32 vcc, 22, v0
	s_waitcnt vmcnt(12) lgkmcnt(3)
	v_fma_f64 v[112:113], v[112:113], v[116:117], 0
	buffer_load_dword v117, off, s[0:3], 0 offset:252
	buffer_load_dword v116, off, s[0:3], 0 offset:248
	s_waitcnt vmcnt(12)
	v_fmac_f64_e32 v[112:113], v[132:133], v[118:119]
	s_waitcnt vmcnt(10) lgkmcnt(2)
	v_fmac_f64_e32 v[112:113], v[134:135], v[120:121]
	buffer_load_dword v121, off, s[0:3], 0 offset:260
	buffer_load_dword v120, off, s[0:3], 0 offset:256
	s_waitcnt vmcnt(10)
	v_fmac_f64_e32 v[112:113], v[136:137], v[122:123]
	s_waitcnt vmcnt(8) lgkmcnt(1)
	v_fmac_f64_e32 v[112:113], v[138:139], v[124:125]
	s_waitcnt vmcnt(6)
	v_fmac_f64_e32 v[112:113], v[140:141], v[126:127]
	s_waitcnt vmcnt(4) lgkmcnt(0)
	v_fmac_f64_e32 v[112:113], v[142:143], v[128:129]
	s_waitcnt vmcnt(2)
	v_fmac_f64_e32 v[112:113], v[116:117], v[130:131]
	ds_read_b128 v[116:119], v114 offset:688
	s_waitcnt vmcnt(0) lgkmcnt(0)
	v_fmac_f64_e32 v[112:113], v[120:121], v[116:117]
	buffer_load_dword v117, off, s[0:3], 0 offset:268
	buffer_load_dword v116, off, s[0:3], 0 offset:264
	buffer_load_dword v121, off, s[0:3], 0 offset:276
	buffer_load_dword v120, off, s[0:3], 0 offset:272
	s_waitcnt vmcnt(2)
	v_fmac_f64_e32 v[112:113], v[116:117], v[118:119]
	ds_read_b128 v[116:119], v114 offset:704
	s_waitcnt vmcnt(0) lgkmcnt(0)
	v_fmac_f64_e32 v[112:113], v[120:121], v[116:117]
	buffer_load_dword v117, off, s[0:3], 0 offset:284
	buffer_load_dword v116, off, s[0:3], 0 offset:280
	buffer_load_dword v121, off, s[0:3], 0 offset:292
	buffer_load_dword v120, off, s[0:3], 0 offset:288
	;; [unrolled: 9-line block ×9, first 2 shown]
	s_waitcnt vmcnt(2)
	v_fmac_f64_e32 v[112:113], v[116:117], v[118:119]
	ds_read_b128 v[116:119], v114 offset:832
	s_waitcnt vmcnt(0) lgkmcnt(0)
	v_fmac_f64_e32 v[112:113], v[120:121], v[116:117]
	buffer_load_dword v117, off, s[0:3], 0 offset:412
	buffer_load_dword v116, off, s[0:3], 0 offset:408
	s_waitcnt vmcnt(0)
	v_fmac_f64_e32 v[112:113], v[116:117], v[118:119]
	buffer_load_dword v119, off, s[0:3], 0 offset:420
	buffer_load_dword v118, off, s[0:3], 0 offset:416
	ds_read_b128 v[114:117], v114 offset:848
	s_waitcnt vmcnt(0) lgkmcnt(0)
	v_fmac_f64_e32 v[112:113], v[118:119], v[114:115]
	buffer_load_dword v115, off, s[0:3], 0 offset:428
	buffer_load_dword v114, off, s[0:3], 0 offset:424
	s_waitcnt vmcnt(0)
	v_fmac_f64_e32 v[112:113], v[114:115], v[116:117]
	v_add_f64 v[110:111], v[110:111], -v[112:113]
	buffer_store_dword v111, off, s[0:3], 0 offset:188
	buffer_store_dword v110, off, s[0:3], 0 offset:184
	s_and_saveexec_b64 s[4:5], vcc
	s_cbranch_execz .LBB53_287
; %bb.286:
	buffer_load_dword v110, off, s[0:3], 0 offset:176
	buffer_load_dword v111, off, s[0:3], 0 offset:180
	v_mov_b32_e32 v112, 0
	buffer_store_dword v112, off, s[0:3], 0 offset:176
	buffer_store_dword v112, off, s[0:3], 0 offset:180
	s_waitcnt vmcnt(2)
	ds_write_b64 v1, v[110:111]
.LBB53_287:
	s_or_b64 exec, exec, s[4:5]
	s_waitcnt lgkmcnt(0)
	; wave barrier
	s_waitcnt lgkmcnt(0)
	buffer_load_dword v110, off, s[0:3], 0 offset:176
	buffer_load_dword v111, off, s[0:3], 0 offset:180
	;; [unrolled: 1-line block ×16, first 2 shown]
	v_mov_b32_e32 v114, 0
	ds_read2_b64 v[116:119], v114 offset0:77 offset1:78
	v_cmp_lt_u32_e32 vcc, 21, v0
	s_waitcnt vmcnt(12) lgkmcnt(0)
	v_fma_f64 v[112:113], v[112:113], v[116:117], 0
	s_waitcnt vmcnt(10)
	v_fmac_f64_e32 v[112:113], v[120:121], v[118:119]
	ds_read2_b64 v[116:119], v114 offset0:79 offset1:80
	s_waitcnt vmcnt(8) lgkmcnt(0)
	v_fmac_f64_e32 v[112:113], v[122:123], v[116:117]
	s_waitcnt vmcnt(6)
	v_fmac_f64_e32 v[112:113], v[124:125], v[118:119]
	ds_read2_b64 v[116:119], v114 offset0:81 offset1:82
	s_waitcnt vmcnt(4) lgkmcnt(0)
	v_fmac_f64_e32 v[112:113], v[126:127], v[116:117]
	;; [unrolled: 5-line block ×3, first 2 shown]
	buffer_load_dword v117, off, s[0:3], 0 offset:244
	buffer_load_dword v116, off, s[0:3], 0 offset:240
	buffer_load_dword v121, off, s[0:3], 0 offset:252
	buffer_load_dword v120, off, s[0:3], 0 offset:248
	s_waitcnt vmcnt(2)
	v_fmac_f64_e32 v[112:113], v[116:117], v[118:119]
	ds_read2_b64 v[116:119], v114 offset0:85 offset1:86
	s_waitcnt vmcnt(0) lgkmcnt(0)
	v_fmac_f64_e32 v[112:113], v[120:121], v[116:117]
	buffer_load_dword v117, off, s[0:3], 0 offset:260
	buffer_load_dword v116, off, s[0:3], 0 offset:256
	buffer_load_dword v121, off, s[0:3], 0 offset:268
	buffer_load_dword v120, off, s[0:3], 0 offset:264
	s_waitcnt vmcnt(2)
	v_fmac_f64_e32 v[112:113], v[116:117], v[118:119]
	ds_read2_b64 v[116:119], v114 offset0:87 offset1:88
	s_waitcnt vmcnt(0) lgkmcnt(0)
	v_fmac_f64_e32 v[112:113], v[120:121], v[116:117]
	;; [unrolled: 9-line block ×11, first 2 shown]
	buffer_load_dword v117, off, s[0:3], 0 offset:420
	buffer_load_dword v116, off, s[0:3], 0 offset:416
	s_waitcnt vmcnt(0)
	v_fmac_f64_e32 v[112:113], v[116:117], v[118:119]
	buffer_load_dword v117, off, s[0:3], 0 offset:428
	buffer_load_dword v116, off, s[0:3], 0 offset:424
	ds_read_b64 v[118:119], v114 offset:856
	s_waitcnt vmcnt(0) lgkmcnt(0)
	v_fmac_f64_e32 v[112:113], v[116:117], v[118:119]
	v_add_f64 v[110:111], v[110:111], -v[112:113]
	buffer_store_dword v111, off, s[0:3], 0 offset:180
	buffer_store_dword v110, off, s[0:3], 0 offset:176
	s_and_saveexec_b64 s[4:5], vcc
	s_cbranch_execz .LBB53_289
; %bb.288:
	buffer_load_dword v110, off, s[0:3], 0 offset:168
	buffer_load_dword v111, off, s[0:3], 0 offset:172
	s_waitcnt vmcnt(0)
	ds_write_b64 v1, v[110:111]
	buffer_store_dword v114, off, s[0:3], 0 offset:168
	buffer_store_dword v114, off, s[0:3], 0 offset:172
.LBB53_289:
	s_or_b64 exec, exec, s[4:5]
	s_waitcnt lgkmcnt(0)
	; wave barrier
	s_waitcnt lgkmcnt(0)
	buffer_load_dword v110, off, s[0:3], 0 offset:168
	buffer_load_dword v111, off, s[0:3], 0 offset:172
	;; [unrolled: 1-line block ×16, first 2 shown]
	ds_read_b128 v[116:119], v114 offset:608
	ds_read_b128 v[120:123], v114 offset:624
	ds_read_b128 v[124:127], v114 offset:640
	ds_read_b128 v[128:131], v114 offset:656
	v_cmp_lt_u32_e32 vcc, 20, v0
	s_waitcnt vmcnt(12) lgkmcnt(3)
	v_fma_f64 v[112:113], v[112:113], v[116:117], 0
	buffer_load_dword v117, off, s[0:3], 0 offset:236
	buffer_load_dword v116, off, s[0:3], 0 offset:232
	s_waitcnt vmcnt(12)
	v_fmac_f64_e32 v[112:113], v[132:133], v[118:119]
	s_waitcnt vmcnt(10) lgkmcnt(2)
	v_fmac_f64_e32 v[112:113], v[134:135], v[120:121]
	buffer_load_dword v121, off, s[0:3], 0 offset:244
	buffer_load_dword v120, off, s[0:3], 0 offset:240
	s_waitcnt vmcnt(10)
	v_fmac_f64_e32 v[112:113], v[136:137], v[122:123]
	s_waitcnt vmcnt(8) lgkmcnt(1)
	v_fmac_f64_e32 v[112:113], v[138:139], v[124:125]
	s_waitcnt vmcnt(6)
	v_fmac_f64_e32 v[112:113], v[140:141], v[126:127]
	s_waitcnt vmcnt(4) lgkmcnt(0)
	v_fmac_f64_e32 v[112:113], v[142:143], v[128:129]
	s_waitcnt vmcnt(2)
	v_fmac_f64_e32 v[112:113], v[116:117], v[130:131]
	ds_read_b128 v[116:119], v114 offset:672
	s_waitcnt vmcnt(0) lgkmcnt(0)
	v_fmac_f64_e32 v[112:113], v[120:121], v[116:117]
	buffer_load_dword v117, off, s[0:3], 0 offset:252
	buffer_load_dword v116, off, s[0:3], 0 offset:248
	buffer_load_dword v121, off, s[0:3], 0 offset:260
	buffer_load_dword v120, off, s[0:3], 0 offset:256
	s_waitcnt vmcnt(2)
	v_fmac_f64_e32 v[112:113], v[116:117], v[118:119]
	ds_read_b128 v[116:119], v114 offset:688
	s_waitcnt vmcnt(0) lgkmcnt(0)
	v_fmac_f64_e32 v[112:113], v[120:121], v[116:117]
	buffer_load_dword v117, off, s[0:3], 0 offset:268
	buffer_load_dword v116, off, s[0:3], 0 offset:264
	buffer_load_dword v121, off, s[0:3], 0 offset:276
	buffer_load_dword v120, off, s[0:3], 0 offset:272
	;; [unrolled: 9-line block ×10, first 2 shown]
	s_waitcnt vmcnt(2)
	v_fmac_f64_e32 v[112:113], v[116:117], v[118:119]
	ds_read_b128 v[116:119], v114 offset:832
	s_waitcnt vmcnt(0) lgkmcnt(0)
	v_fmac_f64_e32 v[112:113], v[120:121], v[116:117]
	buffer_load_dword v117, off, s[0:3], 0 offset:412
	buffer_load_dword v116, off, s[0:3], 0 offset:408
	s_waitcnt vmcnt(0)
	v_fmac_f64_e32 v[112:113], v[116:117], v[118:119]
	buffer_load_dword v119, off, s[0:3], 0 offset:420
	buffer_load_dword v118, off, s[0:3], 0 offset:416
	ds_read_b128 v[114:117], v114 offset:848
	s_waitcnt vmcnt(0) lgkmcnt(0)
	v_fmac_f64_e32 v[112:113], v[118:119], v[114:115]
	buffer_load_dword v115, off, s[0:3], 0 offset:428
	buffer_load_dword v114, off, s[0:3], 0 offset:424
	s_waitcnt vmcnt(0)
	v_fmac_f64_e32 v[112:113], v[114:115], v[116:117]
	v_add_f64 v[110:111], v[110:111], -v[112:113]
	buffer_store_dword v111, off, s[0:3], 0 offset:172
	buffer_store_dword v110, off, s[0:3], 0 offset:168
	s_and_saveexec_b64 s[4:5], vcc
	s_cbranch_execz .LBB53_291
; %bb.290:
	buffer_load_dword v110, off, s[0:3], 0 offset:160
	buffer_load_dword v111, off, s[0:3], 0 offset:164
	v_mov_b32_e32 v112, 0
	buffer_store_dword v112, off, s[0:3], 0 offset:160
	buffer_store_dword v112, off, s[0:3], 0 offset:164
	s_waitcnt vmcnt(2)
	ds_write_b64 v1, v[110:111]
.LBB53_291:
	s_or_b64 exec, exec, s[4:5]
	s_waitcnt lgkmcnt(0)
	; wave barrier
	s_waitcnt lgkmcnt(0)
	buffer_load_dword v110, off, s[0:3], 0 offset:160
	buffer_load_dword v111, off, s[0:3], 0 offset:164
	;; [unrolled: 1-line block ×16, first 2 shown]
	v_mov_b32_e32 v114, 0
	ds_read2_b64 v[116:119], v114 offset0:75 offset1:76
	v_cmp_lt_u32_e32 vcc, 19, v0
	s_waitcnt vmcnt(12) lgkmcnt(0)
	v_fma_f64 v[112:113], v[112:113], v[116:117], 0
	s_waitcnt vmcnt(10)
	v_fmac_f64_e32 v[112:113], v[120:121], v[118:119]
	ds_read2_b64 v[116:119], v114 offset0:77 offset1:78
	s_waitcnt vmcnt(8) lgkmcnt(0)
	v_fmac_f64_e32 v[112:113], v[122:123], v[116:117]
	s_waitcnt vmcnt(6)
	v_fmac_f64_e32 v[112:113], v[124:125], v[118:119]
	ds_read2_b64 v[116:119], v114 offset0:79 offset1:80
	s_waitcnt vmcnt(4) lgkmcnt(0)
	v_fmac_f64_e32 v[112:113], v[126:127], v[116:117]
	;; [unrolled: 5-line block ×3, first 2 shown]
	buffer_load_dword v117, off, s[0:3], 0 offset:228
	buffer_load_dword v116, off, s[0:3], 0 offset:224
	buffer_load_dword v121, off, s[0:3], 0 offset:236
	buffer_load_dword v120, off, s[0:3], 0 offset:232
	s_waitcnt vmcnt(2)
	v_fmac_f64_e32 v[112:113], v[116:117], v[118:119]
	ds_read2_b64 v[116:119], v114 offset0:83 offset1:84
	s_waitcnt vmcnt(0) lgkmcnt(0)
	v_fmac_f64_e32 v[112:113], v[120:121], v[116:117]
	buffer_load_dword v117, off, s[0:3], 0 offset:244
	buffer_load_dword v116, off, s[0:3], 0 offset:240
	buffer_load_dword v121, off, s[0:3], 0 offset:252
	buffer_load_dword v120, off, s[0:3], 0 offset:248
	s_waitcnt vmcnt(2)
	v_fmac_f64_e32 v[112:113], v[116:117], v[118:119]
	ds_read2_b64 v[116:119], v114 offset0:85 offset1:86
	s_waitcnt vmcnt(0) lgkmcnt(0)
	v_fmac_f64_e32 v[112:113], v[120:121], v[116:117]
	;; [unrolled: 9-line block ×12, first 2 shown]
	buffer_load_dword v117, off, s[0:3], 0 offset:420
	buffer_load_dword v116, off, s[0:3], 0 offset:416
	s_waitcnt vmcnt(0)
	v_fmac_f64_e32 v[112:113], v[116:117], v[118:119]
	buffer_load_dword v117, off, s[0:3], 0 offset:428
	buffer_load_dword v116, off, s[0:3], 0 offset:424
	ds_read_b64 v[118:119], v114 offset:856
	s_waitcnt vmcnt(0) lgkmcnt(0)
	v_fmac_f64_e32 v[112:113], v[116:117], v[118:119]
	v_add_f64 v[110:111], v[110:111], -v[112:113]
	buffer_store_dword v111, off, s[0:3], 0 offset:164
	buffer_store_dword v110, off, s[0:3], 0 offset:160
	s_and_saveexec_b64 s[4:5], vcc
	s_cbranch_execz .LBB53_293
; %bb.292:
	buffer_load_dword v110, off, s[0:3], 0 offset:152
	buffer_load_dword v111, off, s[0:3], 0 offset:156
	s_waitcnt vmcnt(0)
	ds_write_b64 v1, v[110:111]
	buffer_store_dword v114, off, s[0:3], 0 offset:152
	buffer_store_dword v114, off, s[0:3], 0 offset:156
.LBB53_293:
	s_or_b64 exec, exec, s[4:5]
	s_waitcnt lgkmcnt(0)
	; wave barrier
	s_waitcnt lgkmcnt(0)
	buffer_load_dword v110, off, s[0:3], 0 offset:152
	buffer_load_dword v111, off, s[0:3], 0 offset:156
	;; [unrolled: 1-line block ×16, first 2 shown]
	ds_read_b128 v[116:119], v114 offset:592
	ds_read_b128 v[120:123], v114 offset:608
	ds_read_b128 v[124:127], v114 offset:624
	ds_read_b128 v[128:131], v114 offset:640
	v_cmp_lt_u32_e32 vcc, 18, v0
	s_waitcnt vmcnt(12) lgkmcnt(3)
	v_fma_f64 v[112:113], v[112:113], v[116:117], 0
	buffer_load_dword v117, off, s[0:3], 0 offset:220
	buffer_load_dword v116, off, s[0:3], 0 offset:216
	s_waitcnt vmcnt(12)
	v_fmac_f64_e32 v[112:113], v[132:133], v[118:119]
	s_waitcnt vmcnt(10) lgkmcnt(2)
	v_fmac_f64_e32 v[112:113], v[134:135], v[120:121]
	buffer_load_dword v121, off, s[0:3], 0 offset:228
	buffer_load_dword v120, off, s[0:3], 0 offset:224
	s_waitcnt vmcnt(10)
	v_fmac_f64_e32 v[112:113], v[136:137], v[122:123]
	s_waitcnt vmcnt(8) lgkmcnt(1)
	v_fmac_f64_e32 v[112:113], v[138:139], v[124:125]
	s_waitcnt vmcnt(6)
	v_fmac_f64_e32 v[112:113], v[140:141], v[126:127]
	s_waitcnt vmcnt(4) lgkmcnt(0)
	v_fmac_f64_e32 v[112:113], v[142:143], v[128:129]
	s_waitcnt vmcnt(2)
	v_fmac_f64_e32 v[112:113], v[116:117], v[130:131]
	ds_read_b128 v[116:119], v114 offset:656
	s_waitcnt vmcnt(0) lgkmcnt(0)
	v_fmac_f64_e32 v[112:113], v[120:121], v[116:117]
	buffer_load_dword v117, off, s[0:3], 0 offset:236
	buffer_load_dword v116, off, s[0:3], 0 offset:232
	buffer_load_dword v121, off, s[0:3], 0 offset:244
	buffer_load_dword v120, off, s[0:3], 0 offset:240
	s_waitcnt vmcnt(2)
	v_fmac_f64_e32 v[112:113], v[116:117], v[118:119]
	ds_read_b128 v[116:119], v114 offset:672
	s_waitcnt vmcnt(0) lgkmcnt(0)
	v_fmac_f64_e32 v[112:113], v[120:121], v[116:117]
	buffer_load_dword v117, off, s[0:3], 0 offset:252
	buffer_load_dword v116, off, s[0:3], 0 offset:248
	buffer_load_dword v121, off, s[0:3], 0 offset:260
	buffer_load_dword v120, off, s[0:3], 0 offset:256
	;; [unrolled: 9-line block ×11, first 2 shown]
	s_waitcnt vmcnt(2)
	v_fmac_f64_e32 v[112:113], v[116:117], v[118:119]
	ds_read_b128 v[116:119], v114 offset:832
	s_waitcnt vmcnt(0) lgkmcnt(0)
	v_fmac_f64_e32 v[112:113], v[120:121], v[116:117]
	buffer_load_dword v117, off, s[0:3], 0 offset:412
	buffer_load_dword v116, off, s[0:3], 0 offset:408
	s_waitcnt vmcnt(0)
	v_fmac_f64_e32 v[112:113], v[116:117], v[118:119]
	buffer_load_dword v119, off, s[0:3], 0 offset:420
	buffer_load_dword v118, off, s[0:3], 0 offset:416
	ds_read_b128 v[114:117], v114 offset:848
	s_waitcnt vmcnt(0) lgkmcnt(0)
	v_fmac_f64_e32 v[112:113], v[118:119], v[114:115]
	buffer_load_dword v115, off, s[0:3], 0 offset:428
	buffer_load_dword v114, off, s[0:3], 0 offset:424
	s_waitcnt vmcnt(0)
	v_fmac_f64_e32 v[112:113], v[114:115], v[116:117]
	v_add_f64 v[110:111], v[110:111], -v[112:113]
	buffer_store_dword v111, off, s[0:3], 0 offset:156
	buffer_store_dword v110, off, s[0:3], 0 offset:152
	s_and_saveexec_b64 s[4:5], vcc
	s_cbranch_execz .LBB53_295
; %bb.294:
	buffer_load_dword v110, off, s[0:3], 0 offset:144
	buffer_load_dword v111, off, s[0:3], 0 offset:148
	v_mov_b32_e32 v112, 0
	buffer_store_dword v112, off, s[0:3], 0 offset:144
	buffer_store_dword v112, off, s[0:3], 0 offset:148
	s_waitcnt vmcnt(2)
	ds_write_b64 v1, v[110:111]
.LBB53_295:
	s_or_b64 exec, exec, s[4:5]
	s_waitcnt lgkmcnt(0)
	; wave barrier
	s_waitcnt lgkmcnt(0)
	buffer_load_dword v110, off, s[0:3], 0 offset:144
	buffer_load_dword v111, off, s[0:3], 0 offset:148
	;; [unrolled: 1-line block ×16, first 2 shown]
	v_mov_b32_e32 v114, 0
	ds_read2_b64 v[116:119], v114 offset0:73 offset1:74
	v_cmp_lt_u32_e32 vcc, 17, v0
	s_waitcnt vmcnt(12) lgkmcnt(0)
	v_fma_f64 v[112:113], v[112:113], v[116:117], 0
	s_waitcnt vmcnt(10)
	v_fmac_f64_e32 v[112:113], v[120:121], v[118:119]
	ds_read2_b64 v[116:119], v114 offset0:75 offset1:76
	s_waitcnt vmcnt(8) lgkmcnt(0)
	v_fmac_f64_e32 v[112:113], v[122:123], v[116:117]
	s_waitcnt vmcnt(6)
	v_fmac_f64_e32 v[112:113], v[124:125], v[118:119]
	ds_read2_b64 v[116:119], v114 offset0:77 offset1:78
	s_waitcnt vmcnt(4) lgkmcnt(0)
	v_fmac_f64_e32 v[112:113], v[126:127], v[116:117]
	;; [unrolled: 5-line block ×3, first 2 shown]
	buffer_load_dword v117, off, s[0:3], 0 offset:212
	buffer_load_dword v116, off, s[0:3], 0 offset:208
	buffer_load_dword v121, off, s[0:3], 0 offset:220
	buffer_load_dword v120, off, s[0:3], 0 offset:216
	s_waitcnt vmcnt(2)
	v_fmac_f64_e32 v[112:113], v[116:117], v[118:119]
	ds_read2_b64 v[116:119], v114 offset0:81 offset1:82
	s_waitcnt vmcnt(0) lgkmcnt(0)
	v_fmac_f64_e32 v[112:113], v[120:121], v[116:117]
	buffer_load_dword v117, off, s[0:3], 0 offset:228
	buffer_load_dword v116, off, s[0:3], 0 offset:224
	buffer_load_dword v121, off, s[0:3], 0 offset:236
	buffer_load_dword v120, off, s[0:3], 0 offset:232
	s_waitcnt vmcnt(2)
	v_fmac_f64_e32 v[112:113], v[116:117], v[118:119]
	ds_read2_b64 v[116:119], v114 offset0:83 offset1:84
	s_waitcnt vmcnt(0) lgkmcnt(0)
	v_fmac_f64_e32 v[112:113], v[120:121], v[116:117]
	buffer_load_dword v117, off, s[0:3], 0 offset:244
	buffer_load_dword v116, off, s[0:3], 0 offset:240
	buffer_load_dword v121, off, s[0:3], 0 offset:252
	buffer_load_dword v120, off, s[0:3], 0 offset:248
	s_waitcnt vmcnt(2)
	v_fmac_f64_e32 v[112:113], v[116:117], v[118:119]
	ds_read2_b64 v[116:119], v114 offset0:85 offset1:86
	s_waitcnt vmcnt(0) lgkmcnt(0)
	v_fmac_f64_e32 v[112:113], v[120:121], v[116:117]
	buffer_load_dword v117, off, s[0:3], 0 offset:260
	buffer_load_dword v116, off, s[0:3], 0 offset:256
	buffer_load_dword v121, off, s[0:3], 0 offset:268
	buffer_load_dword v120, off, s[0:3], 0 offset:264
	s_waitcnt vmcnt(2)
	v_fmac_f64_e32 v[112:113], v[116:117], v[118:119]
	ds_read2_b64 v[116:119], v114 offset0:87 offset1:88
	s_waitcnt vmcnt(0) lgkmcnt(0)
	v_fmac_f64_e32 v[112:113], v[120:121], v[116:117]
	buffer_load_dword v117, off, s[0:3], 0 offset:276
	buffer_load_dword v116, off, s[0:3], 0 offset:272
	buffer_load_dword v121, off, s[0:3], 0 offset:284
	buffer_load_dword v120, off, s[0:3], 0 offset:280
	s_waitcnt vmcnt(2)
	v_fmac_f64_e32 v[112:113], v[116:117], v[118:119]
	ds_read2_b64 v[116:119], v114 offset0:89 offset1:90
	s_waitcnt vmcnt(0) lgkmcnt(0)
	v_fmac_f64_e32 v[112:113], v[120:121], v[116:117]
	buffer_load_dword v117, off, s[0:3], 0 offset:292
	buffer_load_dword v116, off, s[0:3], 0 offset:288
	buffer_load_dword v121, off, s[0:3], 0 offset:300
	buffer_load_dword v120, off, s[0:3], 0 offset:296
	s_waitcnt vmcnt(2)
	v_fmac_f64_e32 v[112:113], v[116:117], v[118:119]
	ds_read2_b64 v[116:119], v114 offset0:91 offset1:92
	s_waitcnt vmcnt(0) lgkmcnt(0)
	v_fmac_f64_e32 v[112:113], v[120:121], v[116:117]
	buffer_load_dword v117, off, s[0:3], 0 offset:308
	buffer_load_dword v116, off, s[0:3], 0 offset:304
	buffer_load_dword v121, off, s[0:3], 0 offset:316
	buffer_load_dword v120, off, s[0:3], 0 offset:312
	s_waitcnt vmcnt(2)
	v_fmac_f64_e32 v[112:113], v[116:117], v[118:119]
	ds_read2_b64 v[116:119], v114 offset0:93 offset1:94
	s_waitcnt vmcnt(0) lgkmcnt(0)
	v_fmac_f64_e32 v[112:113], v[120:121], v[116:117]
	buffer_load_dword v117, off, s[0:3], 0 offset:324
	buffer_load_dword v116, off, s[0:3], 0 offset:320
	buffer_load_dword v121, off, s[0:3], 0 offset:332
	buffer_load_dword v120, off, s[0:3], 0 offset:328
	s_waitcnt vmcnt(2)
	v_fmac_f64_e32 v[112:113], v[116:117], v[118:119]
	ds_read2_b64 v[116:119], v114 offset0:95 offset1:96
	s_waitcnt vmcnt(0) lgkmcnt(0)
	v_fmac_f64_e32 v[112:113], v[120:121], v[116:117]
	buffer_load_dword v117, off, s[0:3], 0 offset:340
	buffer_load_dword v116, off, s[0:3], 0 offset:336
	buffer_load_dword v121, off, s[0:3], 0 offset:348
	buffer_load_dword v120, off, s[0:3], 0 offset:344
	s_waitcnt vmcnt(2)
	v_fmac_f64_e32 v[112:113], v[116:117], v[118:119]
	ds_read2_b64 v[116:119], v114 offset0:97 offset1:98
	s_waitcnt vmcnt(0) lgkmcnt(0)
	v_fmac_f64_e32 v[112:113], v[120:121], v[116:117]
	buffer_load_dword v117, off, s[0:3], 0 offset:356
	buffer_load_dword v116, off, s[0:3], 0 offset:352
	buffer_load_dword v121, off, s[0:3], 0 offset:364
	buffer_load_dword v120, off, s[0:3], 0 offset:360
	s_waitcnt vmcnt(2)
	v_fmac_f64_e32 v[112:113], v[116:117], v[118:119]
	ds_read2_b64 v[116:119], v114 offset0:99 offset1:100
	s_waitcnt vmcnt(0) lgkmcnt(0)
	v_fmac_f64_e32 v[112:113], v[120:121], v[116:117]
	buffer_load_dword v117, off, s[0:3], 0 offset:372
	buffer_load_dword v116, off, s[0:3], 0 offset:368
	buffer_load_dword v121, off, s[0:3], 0 offset:380
	buffer_load_dword v120, off, s[0:3], 0 offset:376
	s_waitcnt vmcnt(2)
	v_fmac_f64_e32 v[112:113], v[116:117], v[118:119]
	ds_read2_b64 v[116:119], v114 offset0:101 offset1:102
	s_waitcnt vmcnt(0) lgkmcnt(0)
	v_fmac_f64_e32 v[112:113], v[120:121], v[116:117]
	buffer_load_dword v117, off, s[0:3], 0 offset:388
	buffer_load_dword v116, off, s[0:3], 0 offset:384
	buffer_load_dword v121, off, s[0:3], 0 offset:396
	buffer_load_dword v120, off, s[0:3], 0 offset:392
	s_waitcnt vmcnt(2)
	v_fmac_f64_e32 v[112:113], v[116:117], v[118:119]
	ds_read2_b64 v[116:119], v114 offset0:103 offset1:104
	s_waitcnt vmcnt(0) lgkmcnt(0)
	v_fmac_f64_e32 v[112:113], v[120:121], v[116:117]
	buffer_load_dword v117, off, s[0:3], 0 offset:404
	buffer_load_dword v116, off, s[0:3], 0 offset:400
	buffer_load_dword v121, off, s[0:3], 0 offset:412
	buffer_load_dword v120, off, s[0:3], 0 offset:408
	s_waitcnt vmcnt(2)
	v_fmac_f64_e32 v[112:113], v[116:117], v[118:119]
	ds_read2_b64 v[116:119], v114 offset0:105 offset1:106
	s_waitcnt vmcnt(0) lgkmcnt(0)
	v_fmac_f64_e32 v[112:113], v[120:121], v[116:117]
	buffer_load_dword v117, off, s[0:3], 0 offset:420
	buffer_load_dword v116, off, s[0:3], 0 offset:416
	s_waitcnt vmcnt(0)
	v_fmac_f64_e32 v[112:113], v[116:117], v[118:119]
	buffer_load_dword v117, off, s[0:3], 0 offset:428
	buffer_load_dword v116, off, s[0:3], 0 offset:424
	ds_read_b64 v[118:119], v114 offset:856
	s_waitcnt vmcnt(0) lgkmcnt(0)
	v_fmac_f64_e32 v[112:113], v[116:117], v[118:119]
	v_add_f64 v[110:111], v[110:111], -v[112:113]
	buffer_store_dword v111, off, s[0:3], 0 offset:148
	buffer_store_dword v110, off, s[0:3], 0 offset:144
	s_and_saveexec_b64 s[4:5], vcc
	s_cbranch_execz .LBB53_297
; %bb.296:
	buffer_load_dword v110, off, s[0:3], 0 offset:136
	buffer_load_dword v111, off, s[0:3], 0 offset:140
	s_waitcnt vmcnt(0)
	ds_write_b64 v1, v[110:111]
	buffer_store_dword v114, off, s[0:3], 0 offset:136
	buffer_store_dword v114, off, s[0:3], 0 offset:140
.LBB53_297:
	s_or_b64 exec, exec, s[4:5]
	s_waitcnt lgkmcnt(0)
	; wave barrier
	s_waitcnt lgkmcnt(0)
	buffer_load_dword v110, off, s[0:3], 0 offset:136
	buffer_load_dword v111, off, s[0:3], 0 offset:140
	;; [unrolled: 1-line block ×16, first 2 shown]
	ds_read_b128 v[116:119], v114 offset:576
	ds_read_b128 v[120:123], v114 offset:592
	;; [unrolled: 1-line block ×4, first 2 shown]
	v_cmp_lt_u32_e32 vcc, 16, v0
	s_waitcnt vmcnt(12) lgkmcnt(3)
	v_fma_f64 v[112:113], v[112:113], v[116:117], 0
	buffer_load_dword v117, off, s[0:3], 0 offset:204
	buffer_load_dword v116, off, s[0:3], 0 offset:200
	s_waitcnt vmcnt(12)
	v_fmac_f64_e32 v[112:113], v[132:133], v[118:119]
	s_waitcnt vmcnt(10) lgkmcnt(2)
	v_fmac_f64_e32 v[112:113], v[134:135], v[120:121]
	buffer_load_dword v121, off, s[0:3], 0 offset:212
	buffer_load_dword v120, off, s[0:3], 0 offset:208
	s_waitcnt vmcnt(10)
	v_fmac_f64_e32 v[112:113], v[136:137], v[122:123]
	s_waitcnt vmcnt(8) lgkmcnt(1)
	v_fmac_f64_e32 v[112:113], v[138:139], v[124:125]
	s_waitcnt vmcnt(6)
	v_fmac_f64_e32 v[112:113], v[140:141], v[126:127]
	s_waitcnt vmcnt(4) lgkmcnt(0)
	v_fmac_f64_e32 v[112:113], v[142:143], v[128:129]
	s_waitcnt vmcnt(2)
	v_fmac_f64_e32 v[112:113], v[116:117], v[130:131]
	ds_read_b128 v[116:119], v114 offset:640
	s_waitcnt vmcnt(0) lgkmcnt(0)
	v_fmac_f64_e32 v[112:113], v[120:121], v[116:117]
	buffer_load_dword v117, off, s[0:3], 0 offset:220
	buffer_load_dword v116, off, s[0:3], 0 offset:216
	buffer_load_dword v121, off, s[0:3], 0 offset:228
	buffer_load_dword v120, off, s[0:3], 0 offset:224
	s_waitcnt vmcnt(2)
	v_fmac_f64_e32 v[112:113], v[116:117], v[118:119]
	ds_read_b128 v[116:119], v114 offset:656
	s_waitcnt vmcnt(0) lgkmcnt(0)
	v_fmac_f64_e32 v[112:113], v[120:121], v[116:117]
	buffer_load_dword v117, off, s[0:3], 0 offset:236
	buffer_load_dword v116, off, s[0:3], 0 offset:232
	buffer_load_dword v121, off, s[0:3], 0 offset:244
	buffer_load_dword v120, off, s[0:3], 0 offset:240
	;; [unrolled: 9-line block ×12, first 2 shown]
	s_waitcnt vmcnt(2)
	v_fmac_f64_e32 v[112:113], v[116:117], v[118:119]
	ds_read_b128 v[116:119], v114 offset:832
	s_waitcnt vmcnt(0) lgkmcnt(0)
	v_fmac_f64_e32 v[112:113], v[120:121], v[116:117]
	buffer_load_dword v117, off, s[0:3], 0 offset:412
	buffer_load_dword v116, off, s[0:3], 0 offset:408
	s_waitcnt vmcnt(0)
	v_fmac_f64_e32 v[112:113], v[116:117], v[118:119]
	buffer_load_dword v119, off, s[0:3], 0 offset:420
	buffer_load_dword v118, off, s[0:3], 0 offset:416
	ds_read_b128 v[114:117], v114 offset:848
	s_waitcnt vmcnt(0) lgkmcnt(0)
	v_fmac_f64_e32 v[112:113], v[118:119], v[114:115]
	buffer_load_dword v115, off, s[0:3], 0 offset:428
	buffer_load_dword v114, off, s[0:3], 0 offset:424
	s_waitcnt vmcnt(0)
	v_fmac_f64_e32 v[112:113], v[114:115], v[116:117]
	v_add_f64 v[110:111], v[110:111], -v[112:113]
	buffer_store_dword v111, off, s[0:3], 0 offset:140
	buffer_store_dword v110, off, s[0:3], 0 offset:136
	s_and_saveexec_b64 s[4:5], vcc
	s_cbranch_execz .LBB53_299
; %bb.298:
	buffer_load_dword v110, off, s[0:3], 0 offset:128
	buffer_load_dword v111, off, s[0:3], 0 offset:132
	v_mov_b32_e32 v112, 0
	buffer_store_dword v112, off, s[0:3], 0 offset:128
	buffer_store_dword v112, off, s[0:3], 0 offset:132
	s_waitcnt vmcnt(2)
	ds_write_b64 v1, v[110:111]
.LBB53_299:
	s_or_b64 exec, exec, s[4:5]
	s_waitcnt lgkmcnt(0)
	; wave barrier
	s_waitcnt lgkmcnt(0)
	buffer_load_dword v110, off, s[0:3], 0 offset:128
	buffer_load_dword v111, off, s[0:3], 0 offset:132
	;; [unrolled: 1-line block ×16, first 2 shown]
	v_mov_b32_e32 v114, 0
	ds_read2_b64 v[116:119], v114 offset0:71 offset1:72
	v_cmp_lt_u32_e32 vcc, 15, v0
	s_waitcnt vmcnt(12) lgkmcnt(0)
	v_fma_f64 v[112:113], v[112:113], v[116:117], 0
	s_waitcnt vmcnt(10)
	v_fmac_f64_e32 v[112:113], v[120:121], v[118:119]
	ds_read2_b64 v[116:119], v114 offset0:73 offset1:74
	s_waitcnt vmcnt(8) lgkmcnt(0)
	v_fmac_f64_e32 v[112:113], v[122:123], v[116:117]
	s_waitcnt vmcnt(6)
	v_fmac_f64_e32 v[112:113], v[124:125], v[118:119]
	ds_read2_b64 v[116:119], v114 offset0:75 offset1:76
	s_waitcnt vmcnt(4) lgkmcnt(0)
	v_fmac_f64_e32 v[112:113], v[126:127], v[116:117]
	s_waitcnt vmcnt(2)
	v_fmac_f64_e32 v[112:113], v[128:129], v[118:119]
	ds_read2_b64 v[116:119], v114 offset0:77 offset1:78
	s_waitcnt vmcnt(0) lgkmcnt(0)
	v_fmac_f64_e32 v[112:113], v[130:131], v[116:117]
	buffer_load_dword v117, off, s[0:3], 0 offset:196
	buffer_load_dword v116, off, s[0:3], 0 offset:192
	buffer_load_dword v121, off, s[0:3], 0 offset:204
	buffer_load_dword v120, off, s[0:3], 0 offset:200
	s_waitcnt vmcnt(2)
	v_fmac_f64_e32 v[112:113], v[116:117], v[118:119]
	ds_read2_b64 v[116:119], v114 offset0:79 offset1:80
	s_waitcnt vmcnt(0) lgkmcnt(0)
	v_fmac_f64_e32 v[112:113], v[120:121], v[116:117]
	buffer_load_dword v117, off, s[0:3], 0 offset:212
	buffer_load_dword v116, off, s[0:3], 0 offset:208
	buffer_load_dword v121, off, s[0:3], 0 offset:220
	buffer_load_dword v120, off, s[0:3], 0 offset:216
	s_waitcnt vmcnt(2)
	v_fmac_f64_e32 v[112:113], v[116:117], v[118:119]
	ds_read2_b64 v[116:119], v114 offset0:81 offset1:82
	s_waitcnt vmcnt(0) lgkmcnt(0)
	v_fmac_f64_e32 v[112:113], v[120:121], v[116:117]
	;; [unrolled: 9-line block ×14, first 2 shown]
	buffer_load_dword v117, off, s[0:3], 0 offset:420
	buffer_load_dword v116, off, s[0:3], 0 offset:416
	s_waitcnt vmcnt(0)
	v_fmac_f64_e32 v[112:113], v[116:117], v[118:119]
	buffer_load_dword v117, off, s[0:3], 0 offset:428
	buffer_load_dword v116, off, s[0:3], 0 offset:424
	ds_read_b64 v[118:119], v114 offset:856
	s_waitcnt vmcnt(0) lgkmcnt(0)
	v_fmac_f64_e32 v[112:113], v[116:117], v[118:119]
	v_add_f64 v[110:111], v[110:111], -v[112:113]
	buffer_store_dword v111, off, s[0:3], 0 offset:132
	buffer_store_dword v110, off, s[0:3], 0 offset:128
	s_and_saveexec_b64 s[4:5], vcc
	s_cbranch_execz .LBB53_301
; %bb.300:
	buffer_load_dword v110, off, s[0:3], 0 offset:120
	buffer_load_dword v111, off, s[0:3], 0 offset:124
	s_waitcnt vmcnt(0)
	ds_write_b64 v1, v[110:111]
	buffer_store_dword v114, off, s[0:3], 0 offset:120
	buffer_store_dword v114, off, s[0:3], 0 offset:124
.LBB53_301:
	s_or_b64 exec, exec, s[4:5]
	s_waitcnt lgkmcnt(0)
	; wave barrier
	s_waitcnt lgkmcnt(0)
	buffer_load_dword v110, off, s[0:3], 0 offset:120
	buffer_load_dword v111, off, s[0:3], 0 offset:124
	buffer_load_dword v112, off, s[0:3], 0 offset:128
	buffer_load_dword v113, off, s[0:3], 0 offset:132
	buffer_load_dword v132, off, s[0:3], 0 offset:136
	buffer_load_dword v133, off, s[0:3], 0 offset:140
	buffer_load_dword v134, off, s[0:3], 0 offset:144
	buffer_load_dword v135, off, s[0:3], 0 offset:148
	buffer_load_dword v136, off, s[0:3], 0 offset:152
	buffer_load_dword v137, off, s[0:3], 0 offset:156
	buffer_load_dword v138, off, s[0:3], 0 offset:160
	buffer_load_dword v139, off, s[0:3], 0 offset:164
	buffer_load_dword v140, off, s[0:3], 0 offset:168
	buffer_load_dword v141, off, s[0:3], 0 offset:172
	buffer_load_dword v142, off, s[0:3], 0 offset:176
	buffer_load_dword v143, off, s[0:3], 0 offset:180
	ds_read_b128 v[116:119], v114 offset:560
	ds_read_b128 v[120:123], v114 offset:576
	;; [unrolled: 1-line block ×4, first 2 shown]
	v_cmp_lt_u32_e32 vcc, 14, v0
	s_waitcnt vmcnt(12) lgkmcnt(3)
	v_fma_f64 v[112:113], v[112:113], v[116:117], 0
	buffer_load_dword v117, off, s[0:3], 0 offset:188
	buffer_load_dword v116, off, s[0:3], 0 offset:184
	s_waitcnt vmcnt(12)
	v_fmac_f64_e32 v[112:113], v[132:133], v[118:119]
	s_waitcnt vmcnt(10) lgkmcnt(2)
	v_fmac_f64_e32 v[112:113], v[134:135], v[120:121]
	buffer_load_dword v121, off, s[0:3], 0 offset:196
	buffer_load_dword v120, off, s[0:3], 0 offset:192
	s_waitcnt vmcnt(10)
	v_fmac_f64_e32 v[112:113], v[136:137], v[122:123]
	s_waitcnt vmcnt(8) lgkmcnt(1)
	v_fmac_f64_e32 v[112:113], v[138:139], v[124:125]
	s_waitcnt vmcnt(6)
	v_fmac_f64_e32 v[112:113], v[140:141], v[126:127]
	s_waitcnt vmcnt(4) lgkmcnt(0)
	v_fmac_f64_e32 v[112:113], v[142:143], v[128:129]
	s_waitcnt vmcnt(2)
	v_fmac_f64_e32 v[112:113], v[116:117], v[130:131]
	ds_read_b128 v[116:119], v114 offset:624
	s_waitcnt vmcnt(0) lgkmcnt(0)
	v_fmac_f64_e32 v[112:113], v[120:121], v[116:117]
	buffer_load_dword v117, off, s[0:3], 0 offset:204
	buffer_load_dword v116, off, s[0:3], 0 offset:200
	buffer_load_dword v121, off, s[0:3], 0 offset:212
	buffer_load_dword v120, off, s[0:3], 0 offset:208
	s_waitcnt vmcnt(2)
	v_fmac_f64_e32 v[112:113], v[116:117], v[118:119]
	ds_read_b128 v[116:119], v114 offset:640
	s_waitcnt vmcnt(0) lgkmcnt(0)
	v_fmac_f64_e32 v[112:113], v[120:121], v[116:117]
	buffer_load_dword v117, off, s[0:3], 0 offset:220
	buffer_load_dword v116, off, s[0:3], 0 offset:216
	buffer_load_dword v121, off, s[0:3], 0 offset:228
	buffer_load_dword v120, off, s[0:3], 0 offset:224
	;; [unrolled: 9-line block ×13, first 2 shown]
	s_waitcnt vmcnt(2)
	v_fmac_f64_e32 v[112:113], v[116:117], v[118:119]
	ds_read_b128 v[116:119], v114 offset:832
	s_waitcnt vmcnt(0) lgkmcnt(0)
	v_fmac_f64_e32 v[112:113], v[120:121], v[116:117]
	buffer_load_dword v117, off, s[0:3], 0 offset:412
	buffer_load_dword v116, off, s[0:3], 0 offset:408
	s_waitcnt vmcnt(0)
	v_fmac_f64_e32 v[112:113], v[116:117], v[118:119]
	buffer_load_dword v119, off, s[0:3], 0 offset:420
	buffer_load_dword v118, off, s[0:3], 0 offset:416
	ds_read_b128 v[114:117], v114 offset:848
	s_waitcnt vmcnt(0) lgkmcnt(0)
	v_fmac_f64_e32 v[112:113], v[118:119], v[114:115]
	buffer_load_dword v115, off, s[0:3], 0 offset:428
	buffer_load_dword v114, off, s[0:3], 0 offset:424
	s_waitcnt vmcnt(0)
	v_fmac_f64_e32 v[112:113], v[114:115], v[116:117]
	v_add_f64 v[110:111], v[110:111], -v[112:113]
	buffer_store_dword v111, off, s[0:3], 0 offset:124
	buffer_store_dword v110, off, s[0:3], 0 offset:120
	s_and_saveexec_b64 s[4:5], vcc
	s_cbranch_execz .LBB53_303
; %bb.302:
	buffer_load_dword v110, off, s[0:3], 0 offset:112
	buffer_load_dword v111, off, s[0:3], 0 offset:116
	v_mov_b32_e32 v112, 0
	buffer_store_dword v112, off, s[0:3], 0 offset:112
	buffer_store_dword v112, off, s[0:3], 0 offset:116
	s_waitcnt vmcnt(2)
	ds_write_b64 v1, v[110:111]
.LBB53_303:
	s_or_b64 exec, exec, s[4:5]
	s_waitcnt lgkmcnt(0)
	; wave barrier
	s_waitcnt lgkmcnt(0)
	buffer_load_dword v110, off, s[0:3], 0 offset:112
	buffer_load_dword v111, off, s[0:3], 0 offset:116
	;; [unrolled: 1-line block ×16, first 2 shown]
	v_mov_b32_e32 v114, 0
	ds_read2_b64 v[116:119], v114 offset0:69 offset1:70
	v_cmp_lt_u32_e32 vcc, 13, v0
	s_waitcnt vmcnt(12) lgkmcnt(0)
	v_fma_f64 v[112:113], v[112:113], v[116:117], 0
	s_waitcnt vmcnt(10)
	v_fmac_f64_e32 v[112:113], v[120:121], v[118:119]
	ds_read2_b64 v[116:119], v114 offset0:71 offset1:72
	s_waitcnt vmcnt(8) lgkmcnt(0)
	v_fmac_f64_e32 v[112:113], v[122:123], v[116:117]
	s_waitcnt vmcnt(6)
	v_fmac_f64_e32 v[112:113], v[124:125], v[118:119]
	ds_read2_b64 v[116:119], v114 offset0:73 offset1:74
	s_waitcnt vmcnt(4) lgkmcnt(0)
	v_fmac_f64_e32 v[112:113], v[126:127], v[116:117]
	;; [unrolled: 5-line block ×3, first 2 shown]
	buffer_load_dword v117, off, s[0:3], 0 offset:180
	buffer_load_dword v116, off, s[0:3], 0 offset:176
	buffer_load_dword v121, off, s[0:3], 0 offset:188
	buffer_load_dword v120, off, s[0:3], 0 offset:184
	s_waitcnt vmcnt(2)
	v_fmac_f64_e32 v[112:113], v[116:117], v[118:119]
	ds_read2_b64 v[116:119], v114 offset0:77 offset1:78
	s_waitcnt vmcnt(0) lgkmcnt(0)
	v_fmac_f64_e32 v[112:113], v[120:121], v[116:117]
	buffer_load_dword v117, off, s[0:3], 0 offset:196
	buffer_load_dword v116, off, s[0:3], 0 offset:192
	buffer_load_dword v121, off, s[0:3], 0 offset:204
	buffer_load_dword v120, off, s[0:3], 0 offset:200
	s_waitcnt vmcnt(2)
	v_fmac_f64_e32 v[112:113], v[116:117], v[118:119]
	ds_read2_b64 v[116:119], v114 offset0:79 offset1:80
	s_waitcnt vmcnt(0) lgkmcnt(0)
	v_fmac_f64_e32 v[112:113], v[120:121], v[116:117]
	;; [unrolled: 9-line block ×15, first 2 shown]
	buffer_load_dword v117, off, s[0:3], 0 offset:420
	buffer_load_dword v116, off, s[0:3], 0 offset:416
	s_waitcnt vmcnt(0)
	v_fmac_f64_e32 v[112:113], v[116:117], v[118:119]
	buffer_load_dword v117, off, s[0:3], 0 offset:428
	buffer_load_dword v116, off, s[0:3], 0 offset:424
	ds_read_b64 v[118:119], v114 offset:856
	s_waitcnt vmcnt(0) lgkmcnt(0)
	v_fmac_f64_e32 v[112:113], v[116:117], v[118:119]
	v_add_f64 v[110:111], v[110:111], -v[112:113]
	buffer_store_dword v111, off, s[0:3], 0 offset:116
	buffer_store_dword v110, off, s[0:3], 0 offset:112
	s_and_saveexec_b64 s[4:5], vcc
	s_cbranch_execz .LBB53_305
; %bb.304:
	buffer_load_dword v110, off, s[0:3], 0 offset:104
	buffer_load_dword v111, off, s[0:3], 0 offset:108
	s_waitcnt vmcnt(0)
	ds_write_b64 v1, v[110:111]
	buffer_store_dword v114, off, s[0:3], 0 offset:104
	buffer_store_dword v114, off, s[0:3], 0 offset:108
.LBB53_305:
	s_or_b64 exec, exec, s[4:5]
	s_waitcnt lgkmcnt(0)
	; wave barrier
	s_waitcnt lgkmcnt(0)
	buffer_load_dword v110, off, s[0:3], 0 offset:104
	buffer_load_dword v111, off, s[0:3], 0 offset:108
	;; [unrolled: 1-line block ×16, first 2 shown]
	ds_read_b128 v[116:119], v114 offset:544
	ds_read_b128 v[120:123], v114 offset:560
	;; [unrolled: 1-line block ×4, first 2 shown]
	v_cmp_lt_u32_e32 vcc, 12, v0
	s_waitcnt vmcnt(12) lgkmcnt(3)
	v_fma_f64 v[112:113], v[112:113], v[116:117], 0
	buffer_load_dword v117, off, s[0:3], 0 offset:172
	buffer_load_dword v116, off, s[0:3], 0 offset:168
	s_waitcnt vmcnt(12)
	v_fmac_f64_e32 v[112:113], v[132:133], v[118:119]
	s_waitcnt vmcnt(10) lgkmcnt(2)
	v_fmac_f64_e32 v[112:113], v[134:135], v[120:121]
	buffer_load_dword v121, off, s[0:3], 0 offset:180
	buffer_load_dword v120, off, s[0:3], 0 offset:176
	s_waitcnt vmcnt(10)
	v_fmac_f64_e32 v[112:113], v[136:137], v[122:123]
	s_waitcnt vmcnt(8) lgkmcnt(1)
	v_fmac_f64_e32 v[112:113], v[138:139], v[124:125]
	s_waitcnt vmcnt(6)
	v_fmac_f64_e32 v[112:113], v[140:141], v[126:127]
	s_waitcnt vmcnt(4) lgkmcnt(0)
	v_fmac_f64_e32 v[112:113], v[142:143], v[128:129]
	s_waitcnt vmcnt(2)
	v_fmac_f64_e32 v[112:113], v[116:117], v[130:131]
	ds_read_b128 v[116:119], v114 offset:608
	s_waitcnt vmcnt(0) lgkmcnt(0)
	v_fmac_f64_e32 v[112:113], v[120:121], v[116:117]
	buffer_load_dword v117, off, s[0:3], 0 offset:188
	buffer_load_dword v116, off, s[0:3], 0 offset:184
	buffer_load_dword v121, off, s[0:3], 0 offset:196
	buffer_load_dword v120, off, s[0:3], 0 offset:192
	s_waitcnt vmcnt(2)
	v_fmac_f64_e32 v[112:113], v[116:117], v[118:119]
	ds_read_b128 v[116:119], v114 offset:624
	s_waitcnt vmcnt(0) lgkmcnt(0)
	v_fmac_f64_e32 v[112:113], v[120:121], v[116:117]
	buffer_load_dword v117, off, s[0:3], 0 offset:204
	buffer_load_dword v116, off, s[0:3], 0 offset:200
	buffer_load_dword v121, off, s[0:3], 0 offset:212
	buffer_load_dword v120, off, s[0:3], 0 offset:208
	s_waitcnt vmcnt(2)
	v_fmac_f64_e32 v[112:113], v[116:117], v[118:119]
	ds_read_b128 v[116:119], v114 offset:640
	s_waitcnt vmcnt(0) lgkmcnt(0)
	v_fmac_f64_e32 v[112:113], v[120:121], v[116:117]
	buffer_load_dword v117, off, s[0:3], 0 offset:220
	buffer_load_dword v116, off, s[0:3], 0 offset:216
	buffer_load_dword v121, off, s[0:3], 0 offset:228
	buffer_load_dword v120, off, s[0:3], 0 offset:224
	s_waitcnt vmcnt(2)
	v_fmac_f64_e32 v[112:113], v[116:117], v[118:119]
	ds_read_b128 v[116:119], v114 offset:656
	s_waitcnt vmcnt(0) lgkmcnt(0)
	v_fmac_f64_e32 v[112:113], v[120:121], v[116:117]
	buffer_load_dword v117, off, s[0:3], 0 offset:236
	buffer_load_dword v116, off, s[0:3], 0 offset:232
	buffer_load_dword v121, off, s[0:3], 0 offset:244
	buffer_load_dword v120, off, s[0:3], 0 offset:240
	s_waitcnt vmcnt(2)
	v_fmac_f64_e32 v[112:113], v[116:117], v[118:119]
	ds_read_b128 v[116:119], v114 offset:672
	s_waitcnt vmcnt(0) lgkmcnt(0)
	v_fmac_f64_e32 v[112:113], v[120:121], v[116:117]
	buffer_load_dword v117, off, s[0:3], 0 offset:252
	buffer_load_dword v116, off, s[0:3], 0 offset:248
	buffer_load_dword v121, off, s[0:3], 0 offset:260
	buffer_load_dword v120, off, s[0:3], 0 offset:256
	s_waitcnt vmcnt(2)
	v_fmac_f64_e32 v[112:113], v[116:117], v[118:119]
	ds_read_b128 v[116:119], v114 offset:688
	s_waitcnt vmcnt(0) lgkmcnt(0)
	v_fmac_f64_e32 v[112:113], v[120:121], v[116:117]
	buffer_load_dword v117, off, s[0:3], 0 offset:268
	buffer_load_dword v116, off, s[0:3], 0 offset:264
	buffer_load_dword v121, off, s[0:3], 0 offset:276
	buffer_load_dword v120, off, s[0:3], 0 offset:272
	s_waitcnt vmcnt(2)
	v_fmac_f64_e32 v[112:113], v[116:117], v[118:119]
	ds_read_b128 v[116:119], v114 offset:704
	s_waitcnt vmcnt(0) lgkmcnt(0)
	v_fmac_f64_e32 v[112:113], v[120:121], v[116:117]
	buffer_load_dword v117, off, s[0:3], 0 offset:284
	buffer_load_dword v116, off, s[0:3], 0 offset:280
	buffer_load_dword v121, off, s[0:3], 0 offset:292
	buffer_load_dword v120, off, s[0:3], 0 offset:288
	s_waitcnt vmcnt(2)
	v_fmac_f64_e32 v[112:113], v[116:117], v[118:119]
	ds_read_b128 v[116:119], v114 offset:720
	s_waitcnt vmcnt(0) lgkmcnt(0)
	v_fmac_f64_e32 v[112:113], v[120:121], v[116:117]
	buffer_load_dword v117, off, s[0:3], 0 offset:300
	buffer_load_dword v116, off, s[0:3], 0 offset:296
	buffer_load_dword v121, off, s[0:3], 0 offset:308
	buffer_load_dword v120, off, s[0:3], 0 offset:304
	s_waitcnt vmcnt(2)
	v_fmac_f64_e32 v[112:113], v[116:117], v[118:119]
	ds_read_b128 v[116:119], v114 offset:736
	s_waitcnt vmcnt(0) lgkmcnt(0)
	v_fmac_f64_e32 v[112:113], v[120:121], v[116:117]
	buffer_load_dword v117, off, s[0:3], 0 offset:316
	buffer_load_dword v116, off, s[0:3], 0 offset:312
	buffer_load_dword v121, off, s[0:3], 0 offset:324
	buffer_load_dword v120, off, s[0:3], 0 offset:320
	s_waitcnt vmcnt(2)
	v_fmac_f64_e32 v[112:113], v[116:117], v[118:119]
	ds_read_b128 v[116:119], v114 offset:752
	s_waitcnt vmcnt(0) lgkmcnt(0)
	v_fmac_f64_e32 v[112:113], v[120:121], v[116:117]
	buffer_load_dword v117, off, s[0:3], 0 offset:332
	buffer_load_dword v116, off, s[0:3], 0 offset:328
	buffer_load_dword v121, off, s[0:3], 0 offset:340
	buffer_load_dword v120, off, s[0:3], 0 offset:336
	s_waitcnt vmcnt(2)
	v_fmac_f64_e32 v[112:113], v[116:117], v[118:119]
	ds_read_b128 v[116:119], v114 offset:768
	s_waitcnt vmcnt(0) lgkmcnt(0)
	v_fmac_f64_e32 v[112:113], v[120:121], v[116:117]
	buffer_load_dword v117, off, s[0:3], 0 offset:348
	buffer_load_dword v116, off, s[0:3], 0 offset:344
	buffer_load_dword v121, off, s[0:3], 0 offset:356
	buffer_load_dword v120, off, s[0:3], 0 offset:352
	s_waitcnt vmcnt(2)
	v_fmac_f64_e32 v[112:113], v[116:117], v[118:119]
	ds_read_b128 v[116:119], v114 offset:784
	s_waitcnt vmcnt(0) lgkmcnt(0)
	v_fmac_f64_e32 v[112:113], v[120:121], v[116:117]
	buffer_load_dword v117, off, s[0:3], 0 offset:364
	buffer_load_dword v116, off, s[0:3], 0 offset:360
	buffer_load_dword v121, off, s[0:3], 0 offset:372
	buffer_load_dword v120, off, s[0:3], 0 offset:368
	s_waitcnt vmcnt(2)
	v_fmac_f64_e32 v[112:113], v[116:117], v[118:119]
	ds_read_b128 v[116:119], v114 offset:800
	s_waitcnt vmcnt(0) lgkmcnt(0)
	v_fmac_f64_e32 v[112:113], v[120:121], v[116:117]
	buffer_load_dword v117, off, s[0:3], 0 offset:380
	buffer_load_dword v116, off, s[0:3], 0 offset:376
	buffer_load_dword v121, off, s[0:3], 0 offset:388
	buffer_load_dword v120, off, s[0:3], 0 offset:384
	s_waitcnt vmcnt(2)
	v_fmac_f64_e32 v[112:113], v[116:117], v[118:119]
	ds_read_b128 v[116:119], v114 offset:816
	s_waitcnt vmcnt(0) lgkmcnt(0)
	v_fmac_f64_e32 v[112:113], v[120:121], v[116:117]
	buffer_load_dword v117, off, s[0:3], 0 offset:396
	buffer_load_dword v116, off, s[0:3], 0 offset:392
	buffer_load_dword v121, off, s[0:3], 0 offset:404
	buffer_load_dword v120, off, s[0:3], 0 offset:400
	s_waitcnt vmcnt(2)
	v_fmac_f64_e32 v[112:113], v[116:117], v[118:119]
	ds_read_b128 v[116:119], v114 offset:832
	s_waitcnt vmcnt(0) lgkmcnt(0)
	v_fmac_f64_e32 v[112:113], v[120:121], v[116:117]
	buffer_load_dword v117, off, s[0:3], 0 offset:412
	buffer_load_dword v116, off, s[0:3], 0 offset:408
	s_waitcnt vmcnt(0)
	v_fmac_f64_e32 v[112:113], v[116:117], v[118:119]
	buffer_load_dword v119, off, s[0:3], 0 offset:420
	buffer_load_dword v118, off, s[0:3], 0 offset:416
	ds_read_b128 v[114:117], v114 offset:848
	s_waitcnt vmcnt(0) lgkmcnt(0)
	v_fmac_f64_e32 v[112:113], v[118:119], v[114:115]
	buffer_load_dword v115, off, s[0:3], 0 offset:428
	buffer_load_dword v114, off, s[0:3], 0 offset:424
	s_waitcnt vmcnt(0)
	v_fmac_f64_e32 v[112:113], v[114:115], v[116:117]
	v_add_f64 v[110:111], v[110:111], -v[112:113]
	buffer_store_dword v111, off, s[0:3], 0 offset:108
	buffer_store_dword v110, off, s[0:3], 0 offset:104
	s_and_saveexec_b64 s[4:5], vcc
	s_cbranch_execz .LBB53_307
; %bb.306:
	buffer_load_dword v110, off, s[0:3], 0 offset:96
	buffer_load_dword v111, off, s[0:3], 0 offset:100
	v_mov_b32_e32 v112, 0
	buffer_store_dword v112, off, s[0:3], 0 offset:96
	buffer_store_dword v112, off, s[0:3], 0 offset:100
	s_waitcnt vmcnt(2)
	ds_write_b64 v1, v[110:111]
.LBB53_307:
	s_or_b64 exec, exec, s[4:5]
	s_waitcnt lgkmcnt(0)
	; wave barrier
	s_waitcnt lgkmcnt(0)
	buffer_load_dword v110, off, s[0:3], 0 offset:96
	buffer_load_dword v111, off, s[0:3], 0 offset:100
	;; [unrolled: 1-line block ×16, first 2 shown]
	v_mov_b32_e32 v114, 0
	ds_read2_b64 v[116:119], v114 offset0:67 offset1:68
	v_cmp_lt_u32_e32 vcc, 11, v0
	s_waitcnt vmcnt(12) lgkmcnt(0)
	v_fma_f64 v[112:113], v[112:113], v[116:117], 0
	s_waitcnt vmcnt(10)
	v_fmac_f64_e32 v[112:113], v[120:121], v[118:119]
	ds_read2_b64 v[116:119], v114 offset0:69 offset1:70
	s_waitcnt vmcnt(8) lgkmcnt(0)
	v_fmac_f64_e32 v[112:113], v[122:123], v[116:117]
	s_waitcnt vmcnt(6)
	v_fmac_f64_e32 v[112:113], v[124:125], v[118:119]
	ds_read2_b64 v[116:119], v114 offset0:71 offset1:72
	s_waitcnt vmcnt(4) lgkmcnt(0)
	v_fmac_f64_e32 v[112:113], v[126:127], v[116:117]
	;; [unrolled: 5-line block ×3, first 2 shown]
	buffer_load_dword v117, off, s[0:3], 0 offset:164
	buffer_load_dword v116, off, s[0:3], 0 offset:160
	buffer_load_dword v121, off, s[0:3], 0 offset:172
	buffer_load_dword v120, off, s[0:3], 0 offset:168
	s_waitcnt vmcnt(2)
	v_fmac_f64_e32 v[112:113], v[116:117], v[118:119]
	ds_read2_b64 v[116:119], v114 offset0:75 offset1:76
	s_waitcnt vmcnt(0) lgkmcnt(0)
	v_fmac_f64_e32 v[112:113], v[120:121], v[116:117]
	buffer_load_dword v117, off, s[0:3], 0 offset:180
	buffer_load_dword v116, off, s[0:3], 0 offset:176
	buffer_load_dword v121, off, s[0:3], 0 offset:188
	buffer_load_dword v120, off, s[0:3], 0 offset:184
	s_waitcnt vmcnt(2)
	v_fmac_f64_e32 v[112:113], v[116:117], v[118:119]
	ds_read2_b64 v[116:119], v114 offset0:77 offset1:78
	s_waitcnt vmcnt(0) lgkmcnt(0)
	v_fmac_f64_e32 v[112:113], v[120:121], v[116:117]
	;; [unrolled: 9-line block ×16, first 2 shown]
	buffer_load_dword v117, off, s[0:3], 0 offset:420
	buffer_load_dword v116, off, s[0:3], 0 offset:416
	s_waitcnt vmcnt(0)
	v_fmac_f64_e32 v[112:113], v[116:117], v[118:119]
	buffer_load_dword v117, off, s[0:3], 0 offset:428
	buffer_load_dword v116, off, s[0:3], 0 offset:424
	ds_read_b64 v[118:119], v114 offset:856
	s_waitcnt vmcnt(0) lgkmcnt(0)
	v_fmac_f64_e32 v[112:113], v[116:117], v[118:119]
	v_add_f64 v[110:111], v[110:111], -v[112:113]
	buffer_store_dword v111, off, s[0:3], 0 offset:100
	buffer_store_dword v110, off, s[0:3], 0 offset:96
	s_and_saveexec_b64 s[4:5], vcc
	s_cbranch_execz .LBB53_309
; %bb.308:
	buffer_load_dword v110, off, s[0:3], 0 offset:88
	buffer_load_dword v111, off, s[0:3], 0 offset:92
	s_waitcnt vmcnt(0)
	ds_write_b64 v1, v[110:111]
	buffer_store_dword v114, off, s[0:3], 0 offset:88
	buffer_store_dword v114, off, s[0:3], 0 offset:92
.LBB53_309:
	s_or_b64 exec, exec, s[4:5]
	s_waitcnt lgkmcnt(0)
	; wave barrier
	s_waitcnt lgkmcnt(0)
	buffer_load_dword v110, off, s[0:3], 0 offset:88
	buffer_load_dword v111, off, s[0:3], 0 offset:92
	buffer_load_dword v112, off, s[0:3], 0 offset:96
	buffer_load_dword v113, off, s[0:3], 0 offset:100
	buffer_load_dword v132, off, s[0:3], 0 offset:104
	buffer_load_dword v133, off, s[0:3], 0 offset:108
	buffer_load_dword v134, off, s[0:3], 0 offset:112
	buffer_load_dword v135, off, s[0:3], 0 offset:116
	buffer_load_dword v136, off, s[0:3], 0 offset:120
	buffer_load_dword v137, off, s[0:3], 0 offset:124
	buffer_load_dword v138, off, s[0:3], 0 offset:128
	buffer_load_dword v139, off, s[0:3], 0 offset:132
	buffer_load_dword v140, off, s[0:3], 0 offset:136
	buffer_load_dword v141, off, s[0:3], 0 offset:140
	buffer_load_dword v142, off, s[0:3], 0 offset:144
	buffer_load_dword v143, off, s[0:3], 0 offset:148
	ds_read_b128 v[116:119], v114 offset:528
	ds_read_b128 v[120:123], v114 offset:544
	ds_read_b128 v[124:127], v114 offset:560
	ds_read_b128 v[128:131], v114 offset:576
	v_cmp_lt_u32_e32 vcc, 10, v0
	s_waitcnt vmcnt(12) lgkmcnt(3)
	v_fma_f64 v[112:113], v[112:113], v[116:117], 0
	buffer_load_dword v117, off, s[0:3], 0 offset:156
	buffer_load_dword v116, off, s[0:3], 0 offset:152
	s_waitcnt vmcnt(12)
	v_fmac_f64_e32 v[112:113], v[132:133], v[118:119]
	s_waitcnt vmcnt(10) lgkmcnt(2)
	v_fmac_f64_e32 v[112:113], v[134:135], v[120:121]
	buffer_load_dword v121, off, s[0:3], 0 offset:164
	buffer_load_dword v120, off, s[0:3], 0 offset:160
	s_waitcnt vmcnt(10)
	v_fmac_f64_e32 v[112:113], v[136:137], v[122:123]
	s_waitcnt vmcnt(8) lgkmcnt(1)
	v_fmac_f64_e32 v[112:113], v[138:139], v[124:125]
	s_waitcnt vmcnt(6)
	v_fmac_f64_e32 v[112:113], v[140:141], v[126:127]
	s_waitcnt vmcnt(4) lgkmcnt(0)
	v_fmac_f64_e32 v[112:113], v[142:143], v[128:129]
	s_waitcnt vmcnt(2)
	v_fmac_f64_e32 v[112:113], v[116:117], v[130:131]
	ds_read_b128 v[116:119], v114 offset:592
	s_waitcnt vmcnt(0) lgkmcnt(0)
	v_fmac_f64_e32 v[112:113], v[120:121], v[116:117]
	buffer_load_dword v117, off, s[0:3], 0 offset:172
	buffer_load_dword v116, off, s[0:3], 0 offset:168
	buffer_load_dword v121, off, s[0:3], 0 offset:180
	buffer_load_dword v120, off, s[0:3], 0 offset:176
	s_waitcnt vmcnt(2)
	v_fmac_f64_e32 v[112:113], v[116:117], v[118:119]
	ds_read_b128 v[116:119], v114 offset:608
	s_waitcnt vmcnt(0) lgkmcnt(0)
	v_fmac_f64_e32 v[112:113], v[120:121], v[116:117]
	buffer_load_dword v117, off, s[0:3], 0 offset:188
	buffer_load_dword v116, off, s[0:3], 0 offset:184
	buffer_load_dword v121, off, s[0:3], 0 offset:196
	buffer_load_dword v120, off, s[0:3], 0 offset:192
	;; [unrolled: 9-line block ×15, first 2 shown]
	s_waitcnt vmcnt(2)
	v_fmac_f64_e32 v[112:113], v[116:117], v[118:119]
	ds_read_b128 v[116:119], v114 offset:832
	s_waitcnt vmcnt(0) lgkmcnt(0)
	v_fmac_f64_e32 v[112:113], v[120:121], v[116:117]
	buffer_load_dword v117, off, s[0:3], 0 offset:412
	buffer_load_dword v116, off, s[0:3], 0 offset:408
	s_waitcnt vmcnt(0)
	v_fmac_f64_e32 v[112:113], v[116:117], v[118:119]
	buffer_load_dword v119, off, s[0:3], 0 offset:420
	buffer_load_dword v118, off, s[0:3], 0 offset:416
	ds_read_b128 v[114:117], v114 offset:848
	s_waitcnt vmcnt(0) lgkmcnt(0)
	v_fmac_f64_e32 v[112:113], v[118:119], v[114:115]
	buffer_load_dword v115, off, s[0:3], 0 offset:428
	buffer_load_dword v114, off, s[0:3], 0 offset:424
	s_waitcnt vmcnt(0)
	v_fmac_f64_e32 v[112:113], v[114:115], v[116:117]
	v_add_f64 v[110:111], v[110:111], -v[112:113]
	buffer_store_dword v111, off, s[0:3], 0 offset:92
	buffer_store_dword v110, off, s[0:3], 0 offset:88
	s_and_saveexec_b64 s[4:5], vcc
	s_cbranch_execz .LBB53_311
; %bb.310:
	buffer_load_dword v110, off, s[0:3], 0 offset:80
	buffer_load_dword v111, off, s[0:3], 0 offset:84
	v_mov_b32_e32 v112, 0
	buffer_store_dword v112, off, s[0:3], 0 offset:80
	buffer_store_dword v112, off, s[0:3], 0 offset:84
	s_waitcnt vmcnt(2)
	ds_write_b64 v1, v[110:111]
.LBB53_311:
	s_or_b64 exec, exec, s[4:5]
	s_waitcnt lgkmcnt(0)
	; wave barrier
	s_waitcnt lgkmcnt(0)
	buffer_load_dword v110, off, s[0:3], 0 offset:80
	buffer_load_dword v111, off, s[0:3], 0 offset:84
	;; [unrolled: 1-line block ×16, first 2 shown]
	v_mov_b32_e32 v114, 0
	ds_read2_b64 v[116:119], v114 offset0:65 offset1:66
	v_cmp_lt_u32_e32 vcc, 9, v0
	s_waitcnt vmcnt(12) lgkmcnt(0)
	v_fma_f64 v[112:113], v[112:113], v[116:117], 0
	s_waitcnt vmcnt(10)
	v_fmac_f64_e32 v[112:113], v[120:121], v[118:119]
	ds_read2_b64 v[116:119], v114 offset0:67 offset1:68
	s_waitcnt vmcnt(8) lgkmcnt(0)
	v_fmac_f64_e32 v[112:113], v[122:123], v[116:117]
	s_waitcnt vmcnt(6)
	v_fmac_f64_e32 v[112:113], v[124:125], v[118:119]
	ds_read2_b64 v[116:119], v114 offset0:69 offset1:70
	s_waitcnt vmcnt(4) lgkmcnt(0)
	v_fmac_f64_e32 v[112:113], v[126:127], v[116:117]
	;; [unrolled: 5-line block ×3, first 2 shown]
	buffer_load_dword v117, off, s[0:3], 0 offset:148
	buffer_load_dword v116, off, s[0:3], 0 offset:144
	buffer_load_dword v121, off, s[0:3], 0 offset:156
	buffer_load_dword v120, off, s[0:3], 0 offset:152
	s_waitcnt vmcnt(2)
	v_fmac_f64_e32 v[112:113], v[116:117], v[118:119]
	ds_read2_b64 v[116:119], v114 offset0:73 offset1:74
	s_waitcnt vmcnt(0) lgkmcnt(0)
	v_fmac_f64_e32 v[112:113], v[120:121], v[116:117]
	buffer_load_dword v117, off, s[0:3], 0 offset:164
	buffer_load_dword v116, off, s[0:3], 0 offset:160
	buffer_load_dword v121, off, s[0:3], 0 offset:172
	buffer_load_dword v120, off, s[0:3], 0 offset:168
	s_waitcnt vmcnt(2)
	v_fmac_f64_e32 v[112:113], v[116:117], v[118:119]
	ds_read2_b64 v[116:119], v114 offset0:75 offset1:76
	s_waitcnt vmcnt(0) lgkmcnt(0)
	v_fmac_f64_e32 v[112:113], v[120:121], v[116:117]
	buffer_load_dword v117, off, s[0:3], 0 offset:180
	buffer_load_dword v116, off, s[0:3], 0 offset:176
	buffer_load_dword v121, off, s[0:3], 0 offset:188
	buffer_load_dword v120, off, s[0:3], 0 offset:184
	s_waitcnt vmcnt(2)
	v_fmac_f64_e32 v[112:113], v[116:117], v[118:119]
	ds_read2_b64 v[116:119], v114 offset0:77 offset1:78
	s_waitcnt vmcnt(0) lgkmcnt(0)
	v_fmac_f64_e32 v[112:113], v[120:121], v[116:117]
	buffer_load_dword v117, off, s[0:3], 0 offset:196
	buffer_load_dword v116, off, s[0:3], 0 offset:192
	buffer_load_dword v121, off, s[0:3], 0 offset:204
	buffer_load_dword v120, off, s[0:3], 0 offset:200
	s_waitcnt vmcnt(2)
	v_fmac_f64_e32 v[112:113], v[116:117], v[118:119]
	ds_read2_b64 v[116:119], v114 offset0:79 offset1:80
	s_waitcnt vmcnt(0) lgkmcnt(0)
	v_fmac_f64_e32 v[112:113], v[120:121], v[116:117]
	buffer_load_dword v117, off, s[0:3], 0 offset:212
	buffer_load_dword v116, off, s[0:3], 0 offset:208
	buffer_load_dword v121, off, s[0:3], 0 offset:220
	buffer_load_dword v120, off, s[0:3], 0 offset:216
	s_waitcnt vmcnt(2)
	v_fmac_f64_e32 v[112:113], v[116:117], v[118:119]
	ds_read2_b64 v[116:119], v114 offset0:81 offset1:82
	s_waitcnt vmcnt(0) lgkmcnt(0)
	v_fmac_f64_e32 v[112:113], v[120:121], v[116:117]
	buffer_load_dword v117, off, s[0:3], 0 offset:228
	buffer_load_dword v116, off, s[0:3], 0 offset:224
	buffer_load_dword v121, off, s[0:3], 0 offset:236
	buffer_load_dword v120, off, s[0:3], 0 offset:232
	s_waitcnt vmcnt(2)
	v_fmac_f64_e32 v[112:113], v[116:117], v[118:119]
	ds_read2_b64 v[116:119], v114 offset0:83 offset1:84
	s_waitcnt vmcnt(0) lgkmcnt(0)
	v_fmac_f64_e32 v[112:113], v[120:121], v[116:117]
	buffer_load_dword v117, off, s[0:3], 0 offset:244
	buffer_load_dword v116, off, s[0:3], 0 offset:240
	buffer_load_dword v121, off, s[0:3], 0 offset:252
	buffer_load_dword v120, off, s[0:3], 0 offset:248
	s_waitcnt vmcnt(2)
	v_fmac_f64_e32 v[112:113], v[116:117], v[118:119]
	ds_read2_b64 v[116:119], v114 offset0:85 offset1:86
	s_waitcnt vmcnt(0) lgkmcnt(0)
	v_fmac_f64_e32 v[112:113], v[120:121], v[116:117]
	buffer_load_dword v117, off, s[0:3], 0 offset:260
	buffer_load_dword v116, off, s[0:3], 0 offset:256
	buffer_load_dword v121, off, s[0:3], 0 offset:268
	buffer_load_dword v120, off, s[0:3], 0 offset:264
	s_waitcnt vmcnt(2)
	v_fmac_f64_e32 v[112:113], v[116:117], v[118:119]
	ds_read2_b64 v[116:119], v114 offset0:87 offset1:88
	s_waitcnt vmcnt(0) lgkmcnt(0)
	v_fmac_f64_e32 v[112:113], v[120:121], v[116:117]
	buffer_load_dword v117, off, s[0:3], 0 offset:276
	buffer_load_dword v116, off, s[0:3], 0 offset:272
	buffer_load_dword v121, off, s[0:3], 0 offset:284
	buffer_load_dword v120, off, s[0:3], 0 offset:280
	s_waitcnt vmcnt(2)
	v_fmac_f64_e32 v[112:113], v[116:117], v[118:119]
	ds_read2_b64 v[116:119], v114 offset0:89 offset1:90
	s_waitcnt vmcnt(0) lgkmcnt(0)
	v_fmac_f64_e32 v[112:113], v[120:121], v[116:117]
	buffer_load_dword v117, off, s[0:3], 0 offset:292
	buffer_load_dword v116, off, s[0:3], 0 offset:288
	buffer_load_dword v121, off, s[0:3], 0 offset:300
	buffer_load_dword v120, off, s[0:3], 0 offset:296
	s_waitcnt vmcnt(2)
	v_fmac_f64_e32 v[112:113], v[116:117], v[118:119]
	ds_read2_b64 v[116:119], v114 offset0:91 offset1:92
	s_waitcnt vmcnt(0) lgkmcnt(0)
	v_fmac_f64_e32 v[112:113], v[120:121], v[116:117]
	buffer_load_dword v117, off, s[0:3], 0 offset:308
	buffer_load_dword v116, off, s[0:3], 0 offset:304
	buffer_load_dword v121, off, s[0:3], 0 offset:316
	buffer_load_dword v120, off, s[0:3], 0 offset:312
	s_waitcnt vmcnt(2)
	v_fmac_f64_e32 v[112:113], v[116:117], v[118:119]
	ds_read2_b64 v[116:119], v114 offset0:93 offset1:94
	s_waitcnt vmcnt(0) lgkmcnt(0)
	v_fmac_f64_e32 v[112:113], v[120:121], v[116:117]
	buffer_load_dword v117, off, s[0:3], 0 offset:324
	buffer_load_dword v116, off, s[0:3], 0 offset:320
	buffer_load_dword v121, off, s[0:3], 0 offset:332
	buffer_load_dword v120, off, s[0:3], 0 offset:328
	s_waitcnt vmcnt(2)
	v_fmac_f64_e32 v[112:113], v[116:117], v[118:119]
	ds_read2_b64 v[116:119], v114 offset0:95 offset1:96
	s_waitcnt vmcnt(0) lgkmcnt(0)
	v_fmac_f64_e32 v[112:113], v[120:121], v[116:117]
	buffer_load_dword v117, off, s[0:3], 0 offset:340
	buffer_load_dword v116, off, s[0:3], 0 offset:336
	buffer_load_dword v121, off, s[0:3], 0 offset:348
	buffer_load_dword v120, off, s[0:3], 0 offset:344
	s_waitcnt vmcnt(2)
	v_fmac_f64_e32 v[112:113], v[116:117], v[118:119]
	ds_read2_b64 v[116:119], v114 offset0:97 offset1:98
	s_waitcnt vmcnt(0) lgkmcnt(0)
	v_fmac_f64_e32 v[112:113], v[120:121], v[116:117]
	buffer_load_dword v117, off, s[0:3], 0 offset:356
	buffer_load_dword v116, off, s[0:3], 0 offset:352
	buffer_load_dword v121, off, s[0:3], 0 offset:364
	buffer_load_dword v120, off, s[0:3], 0 offset:360
	s_waitcnt vmcnt(2)
	v_fmac_f64_e32 v[112:113], v[116:117], v[118:119]
	ds_read2_b64 v[116:119], v114 offset0:99 offset1:100
	s_waitcnt vmcnt(0) lgkmcnt(0)
	v_fmac_f64_e32 v[112:113], v[120:121], v[116:117]
	buffer_load_dword v117, off, s[0:3], 0 offset:372
	buffer_load_dword v116, off, s[0:3], 0 offset:368
	buffer_load_dword v121, off, s[0:3], 0 offset:380
	buffer_load_dword v120, off, s[0:3], 0 offset:376
	s_waitcnt vmcnt(2)
	v_fmac_f64_e32 v[112:113], v[116:117], v[118:119]
	ds_read2_b64 v[116:119], v114 offset0:101 offset1:102
	s_waitcnt vmcnt(0) lgkmcnt(0)
	v_fmac_f64_e32 v[112:113], v[120:121], v[116:117]
	buffer_load_dword v117, off, s[0:3], 0 offset:388
	buffer_load_dword v116, off, s[0:3], 0 offset:384
	buffer_load_dword v121, off, s[0:3], 0 offset:396
	buffer_load_dword v120, off, s[0:3], 0 offset:392
	s_waitcnt vmcnt(2)
	v_fmac_f64_e32 v[112:113], v[116:117], v[118:119]
	ds_read2_b64 v[116:119], v114 offset0:103 offset1:104
	s_waitcnt vmcnt(0) lgkmcnt(0)
	v_fmac_f64_e32 v[112:113], v[120:121], v[116:117]
	buffer_load_dword v117, off, s[0:3], 0 offset:404
	buffer_load_dword v116, off, s[0:3], 0 offset:400
	buffer_load_dword v121, off, s[0:3], 0 offset:412
	buffer_load_dword v120, off, s[0:3], 0 offset:408
	s_waitcnt vmcnt(2)
	v_fmac_f64_e32 v[112:113], v[116:117], v[118:119]
	ds_read2_b64 v[116:119], v114 offset0:105 offset1:106
	s_waitcnt vmcnt(0) lgkmcnt(0)
	v_fmac_f64_e32 v[112:113], v[120:121], v[116:117]
	buffer_load_dword v117, off, s[0:3], 0 offset:420
	buffer_load_dword v116, off, s[0:3], 0 offset:416
	s_waitcnt vmcnt(0)
	v_fmac_f64_e32 v[112:113], v[116:117], v[118:119]
	buffer_load_dword v117, off, s[0:3], 0 offset:428
	buffer_load_dword v116, off, s[0:3], 0 offset:424
	ds_read_b64 v[118:119], v114 offset:856
	s_waitcnt vmcnt(0) lgkmcnt(0)
	v_fmac_f64_e32 v[112:113], v[116:117], v[118:119]
	v_add_f64 v[110:111], v[110:111], -v[112:113]
	buffer_store_dword v111, off, s[0:3], 0 offset:84
	buffer_store_dword v110, off, s[0:3], 0 offset:80
	s_and_saveexec_b64 s[4:5], vcc
	s_cbranch_execz .LBB53_313
; %bb.312:
	buffer_load_dword v110, off, s[0:3], 0 offset:72
	buffer_load_dword v111, off, s[0:3], 0 offset:76
	s_waitcnt vmcnt(0)
	ds_write_b64 v1, v[110:111]
	buffer_store_dword v114, off, s[0:3], 0 offset:72
	buffer_store_dword v114, off, s[0:3], 0 offset:76
.LBB53_313:
	s_or_b64 exec, exec, s[4:5]
	s_waitcnt lgkmcnt(0)
	; wave barrier
	s_waitcnt lgkmcnt(0)
	buffer_load_dword v110, off, s[0:3], 0 offset:72
	buffer_load_dword v111, off, s[0:3], 0 offset:76
	;; [unrolled: 1-line block ×16, first 2 shown]
	ds_read_b128 v[116:119], v114 offset:512
	ds_read_b128 v[120:123], v114 offset:528
	;; [unrolled: 1-line block ×4, first 2 shown]
	v_cmp_lt_u32_e32 vcc, 8, v0
	s_waitcnt vmcnt(12) lgkmcnt(3)
	v_fma_f64 v[112:113], v[112:113], v[116:117], 0
	buffer_load_dword v117, off, s[0:3], 0 offset:140
	buffer_load_dword v116, off, s[0:3], 0 offset:136
	s_waitcnt vmcnt(12)
	v_fmac_f64_e32 v[112:113], v[132:133], v[118:119]
	s_waitcnt vmcnt(10) lgkmcnt(2)
	v_fmac_f64_e32 v[112:113], v[134:135], v[120:121]
	buffer_load_dword v121, off, s[0:3], 0 offset:148
	buffer_load_dword v120, off, s[0:3], 0 offset:144
	s_waitcnt vmcnt(10)
	v_fmac_f64_e32 v[112:113], v[136:137], v[122:123]
	s_waitcnt vmcnt(8) lgkmcnt(1)
	v_fmac_f64_e32 v[112:113], v[138:139], v[124:125]
	s_waitcnt vmcnt(6)
	v_fmac_f64_e32 v[112:113], v[140:141], v[126:127]
	s_waitcnt vmcnt(4) lgkmcnt(0)
	v_fmac_f64_e32 v[112:113], v[142:143], v[128:129]
	s_waitcnt vmcnt(2)
	v_fmac_f64_e32 v[112:113], v[116:117], v[130:131]
	ds_read_b128 v[116:119], v114 offset:576
	s_waitcnt vmcnt(0) lgkmcnt(0)
	v_fmac_f64_e32 v[112:113], v[120:121], v[116:117]
	buffer_load_dword v117, off, s[0:3], 0 offset:156
	buffer_load_dword v116, off, s[0:3], 0 offset:152
	buffer_load_dword v121, off, s[0:3], 0 offset:164
	buffer_load_dword v120, off, s[0:3], 0 offset:160
	s_waitcnt vmcnt(2)
	v_fmac_f64_e32 v[112:113], v[116:117], v[118:119]
	ds_read_b128 v[116:119], v114 offset:592
	s_waitcnt vmcnt(0) lgkmcnt(0)
	v_fmac_f64_e32 v[112:113], v[120:121], v[116:117]
	buffer_load_dword v117, off, s[0:3], 0 offset:172
	buffer_load_dword v116, off, s[0:3], 0 offset:168
	buffer_load_dword v121, off, s[0:3], 0 offset:180
	buffer_load_dword v120, off, s[0:3], 0 offset:176
	;; [unrolled: 9-line block ×16, first 2 shown]
	s_waitcnt vmcnt(2)
	v_fmac_f64_e32 v[112:113], v[116:117], v[118:119]
	ds_read_b128 v[116:119], v114 offset:832
	s_waitcnt vmcnt(0) lgkmcnt(0)
	v_fmac_f64_e32 v[112:113], v[120:121], v[116:117]
	buffer_load_dword v117, off, s[0:3], 0 offset:412
	buffer_load_dword v116, off, s[0:3], 0 offset:408
	s_waitcnt vmcnt(0)
	v_fmac_f64_e32 v[112:113], v[116:117], v[118:119]
	buffer_load_dword v119, off, s[0:3], 0 offset:420
	buffer_load_dword v118, off, s[0:3], 0 offset:416
	ds_read_b128 v[114:117], v114 offset:848
	s_waitcnt vmcnt(0) lgkmcnt(0)
	v_fmac_f64_e32 v[112:113], v[118:119], v[114:115]
	buffer_load_dword v115, off, s[0:3], 0 offset:428
	buffer_load_dword v114, off, s[0:3], 0 offset:424
	s_waitcnt vmcnt(0)
	v_fmac_f64_e32 v[112:113], v[114:115], v[116:117]
	v_add_f64 v[110:111], v[110:111], -v[112:113]
	buffer_store_dword v111, off, s[0:3], 0 offset:76
	buffer_store_dword v110, off, s[0:3], 0 offset:72
	s_and_saveexec_b64 s[4:5], vcc
	s_cbranch_execz .LBB53_315
; %bb.314:
	buffer_load_dword v110, off, s[0:3], 0 offset:64
	buffer_load_dword v111, off, s[0:3], 0 offset:68
	v_mov_b32_e32 v112, 0
	buffer_store_dword v112, off, s[0:3], 0 offset:64
	buffer_store_dword v112, off, s[0:3], 0 offset:68
	s_waitcnt vmcnt(2)
	ds_write_b64 v1, v[110:111]
.LBB53_315:
	s_or_b64 exec, exec, s[4:5]
	s_waitcnt lgkmcnt(0)
	; wave barrier
	s_waitcnt lgkmcnt(0)
	buffer_load_dword v110, off, s[0:3], 0 offset:64
	buffer_load_dword v111, off, s[0:3], 0 offset:68
	;; [unrolled: 1-line block ×16, first 2 shown]
	v_mov_b32_e32 v114, 0
	ds_read2_b64 v[116:119], v114 offset0:63 offset1:64
	v_cmp_lt_u32_e32 vcc, 7, v0
	s_waitcnt vmcnt(12) lgkmcnt(0)
	v_fma_f64 v[112:113], v[112:113], v[116:117], 0
	s_waitcnt vmcnt(10)
	v_fmac_f64_e32 v[112:113], v[120:121], v[118:119]
	ds_read2_b64 v[116:119], v114 offset0:65 offset1:66
	s_waitcnt vmcnt(8) lgkmcnt(0)
	v_fmac_f64_e32 v[112:113], v[122:123], v[116:117]
	s_waitcnt vmcnt(6)
	v_fmac_f64_e32 v[112:113], v[124:125], v[118:119]
	ds_read2_b64 v[116:119], v114 offset0:67 offset1:68
	s_waitcnt vmcnt(4) lgkmcnt(0)
	v_fmac_f64_e32 v[112:113], v[126:127], v[116:117]
	;; [unrolled: 5-line block ×3, first 2 shown]
	buffer_load_dword v117, off, s[0:3], 0 offset:132
	buffer_load_dword v116, off, s[0:3], 0 offset:128
	buffer_load_dword v121, off, s[0:3], 0 offset:140
	buffer_load_dword v120, off, s[0:3], 0 offset:136
	s_waitcnt vmcnt(2)
	v_fmac_f64_e32 v[112:113], v[116:117], v[118:119]
	ds_read2_b64 v[116:119], v114 offset0:71 offset1:72
	s_waitcnt vmcnt(0) lgkmcnt(0)
	v_fmac_f64_e32 v[112:113], v[120:121], v[116:117]
	buffer_load_dword v117, off, s[0:3], 0 offset:148
	buffer_load_dword v116, off, s[0:3], 0 offset:144
	buffer_load_dword v121, off, s[0:3], 0 offset:156
	buffer_load_dword v120, off, s[0:3], 0 offset:152
	s_waitcnt vmcnt(2)
	v_fmac_f64_e32 v[112:113], v[116:117], v[118:119]
	ds_read2_b64 v[116:119], v114 offset0:73 offset1:74
	s_waitcnt vmcnt(0) lgkmcnt(0)
	v_fmac_f64_e32 v[112:113], v[120:121], v[116:117]
	;; [unrolled: 9-line block ×18, first 2 shown]
	buffer_load_dword v117, off, s[0:3], 0 offset:420
	buffer_load_dword v116, off, s[0:3], 0 offset:416
	s_waitcnt vmcnt(0)
	v_fmac_f64_e32 v[112:113], v[116:117], v[118:119]
	buffer_load_dword v117, off, s[0:3], 0 offset:428
	buffer_load_dword v116, off, s[0:3], 0 offset:424
	ds_read_b64 v[118:119], v114 offset:856
	s_waitcnt vmcnt(0) lgkmcnt(0)
	v_fmac_f64_e32 v[112:113], v[116:117], v[118:119]
	v_add_f64 v[110:111], v[110:111], -v[112:113]
	buffer_store_dword v111, off, s[0:3], 0 offset:68
	buffer_store_dword v110, off, s[0:3], 0 offset:64
	s_and_saveexec_b64 s[4:5], vcc
	s_cbranch_execz .LBB53_317
; %bb.316:
	buffer_load_dword v110, off, s[0:3], 0 offset:56
	buffer_load_dword v111, off, s[0:3], 0 offset:60
	s_waitcnt vmcnt(0)
	ds_write_b64 v1, v[110:111]
	buffer_store_dword v114, off, s[0:3], 0 offset:56
	buffer_store_dword v114, off, s[0:3], 0 offset:60
.LBB53_317:
	s_or_b64 exec, exec, s[4:5]
	s_waitcnt lgkmcnt(0)
	; wave barrier
	s_waitcnt lgkmcnt(0)
	buffer_load_dword v110, off, s[0:3], 0 offset:56
	buffer_load_dword v111, off, s[0:3], 0 offset:60
	;; [unrolled: 1-line block ×16, first 2 shown]
	ds_read_b128 v[116:119], v114 offset:496
	ds_read_b128 v[120:123], v114 offset:512
	;; [unrolled: 1-line block ×4, first 2 shown]
	v_cmp_lt_u32_e32 vcc, 6, v0
	s_waitcnt vmcnt(12) lgkmcnt(3)
	v_fma_f64 v[112:113], v[112:113], v[116:117], 0
	buffer_load_dword v117, off, s[0:3], 0 offset:124
	buffer_load_dword v116, off, s[0:3], 0 offset:120
	s_waitcnt vmcnt(12)
	v_fmac_f64_e32 v[112:113], v[132:133], v[118:119]
	s_waitcnt vmcnt(10) lgkmcnt(2)
	v_fmac_f64_e32 v[112:113], v[134:135], v[120:121]
	buffer_load_dword v121, off, s[0:3], 0 offset:132
	buffer_load_dword v120, off, s[0:3], 0 offset:128
	s_waitcnt vmcnt(10)
	v_fmac_f64_e32 v[112:113], v[136:137], v[122:123]
	s_waitcnt vmcnt(8) lgkmcnt(1)
	v_fmac_f64_e32 v[112:113], v[138:139], v[124:125]
	s_waitcnt vmcnt(6)
	v_fmac_f64_e32 v[112:113], v[140:141], v[126:127]
	s_waitcnt vmcnt(4) lgkmcnt(0)
	v_fmac_f64_e32 v[112:113], v[142:143], v[128:129]
	s_waitcnt vmcnt(2)
	v_fmac_f64_e32 v[112:113], v[116:117], v[130:131]
	ds_read_b128 v[116:119], v114 offset:560
	s_waitcnt vmcnt(0) lgkmcnt(0)
	v_fmac_f64_e32 v[112:113], v[120:121], v[116:117]
	buffer_load_dword v117, off, s[0:3], 0 offset:140
	buffer_load_dword v116, off, s[0:3], 0 offset:136
	buffer_load_dword v121, off, s[0:3], 0 offset:148
	buffer_load_dword v120, off, s[0:3], 0 offset:144
	s_waitcnt vmcnt(2)
	v_fmac_f64_e32 v[112:113], v[116:117], v[118:119]
	ds_read_b128 v[116:119], v114 offset:576
	s_waitcnt vmcnt(0) lgkmcnt(0)
	v_fmac_f64_e32 v[112:113], v[120:121], v[116:117]
	buffer_load_dword v117, off, s[0:3], 0 offset:156
	buffer_load_dword v116, off, s[0:3], 0 offset:152
	buffer_load_dword v121, off, s[0:3], 0 offset:164
	buffer_load_dword v120, off, s[0:3], 0 offset:160
	;; [unrolled: 9-line block ×17, first 2 shown]
	s_waitcnt vmcnt(2)
	v_fmac_f64_e32 v[112:113], v[116:117], v[118:119]
	ds_read_b128 v[116:119], v114 offset:832
	s_waitcnt vmcnt(0) lgkmcnt(0)
	v_fmac_f64_e32 v[112:113], v[120:121], v[116:117]
	buffer_load_dword v117, off, s[0:3], 0 offset:412
	buffer_load_dword v116, off, s[0:3], 0 offset:408
	s_waitcnt vmcnt(0)
	v_fmac_f64_e32 v[112:113], v[116:117], v[118:119]
	buffer_load_dword v119, off, s[0:3], 0 offset:420
	buffer_load_dword v118, off, s[0:3], 0 offset:416
	ds_read_b128 v[114:117], v114 offset:848
	s_waitcnt vmcnt(0) lgkmcnt(0)
	v_fmac_f64_e32 v[112:113], v[118:119], v[114:115]
	buffer_load_dword v115, off, s[0:3], 0 offset:428
	buffer_load_dword v114, off, s[0:3], 0 offset:424
	s_waitcnt vmcnt(0)
	v_fmac_f64_e32 v[112:113], v[114:115], v[116:117]
	v_add_f64 v[110:111], v[110:111], -v[112:113]
	buffer_store_dword v111, off, s[0:3], 0 offset:60
	buffer_store_dword v110, off, s[0:3], 0 offset:56
	s_and_saveexec_b64 s[4:5], vcc
	s_cbranch_execz .LBB53_319
; %bb.318:
	buffer_load_dword v110, off, s[0:3], 0 offset:48
	buffer_load_dword v111, off, s[0:3], 0 offset:52
	v_mov_b32_e32 v112, 0
	buffer_store_dword v112, off, s[0:3], 0 offset:48
	buffer_store_dword v112, off, s[0:3], 0 offset:52
	s_waitcnt vmcnt(2)
	ds_write_b64 v1, v[110:111]
.LBB53_319:
	s_or_b64 exec, exec, s[4:5]
	s_waitcnt lgkmcnt(0)
	; wave barrier
	s_waitcnt lgkmcnt(0)
	buffer_load_dword v110, off, s[0:3], 0 offset:48
	buffer_load_dword v111, off, s[0:3], 0 offset:52
	;; [unrolled: 1-line block ×16, first 2 shown]
	v_mov_b32_e32 v114, 0
	ds_read2_b64 v[116:119], v114 offset0:61 offset1:62
	v_cmp_lt_u32_e32 vcc, 5, v0
	s_waitcnt vmcnt(12) lgkmcnt(0)
	v_fma_f64 v[112:113], v[112:113], v[116:117], 0
	s_waitcnt vmcnt(10)
	v_fmac_f64_e32 v[112:113], v[120:121], v[118:119]
	ds_read2_b64 v[116:119], v114 offset0:63 offset1:64
	s_waitcnt vmcnt(8) lgkmcnt(0)
	v_fmac_f64_e32 v[112:113], v[122:123], v[116:117]
	s_waitcnt vmcnt(6)
	v_fmac_f64_e32 v[112:113], v[124:125], v[118:119]
	ds_read2_b64 v[116:119], v114 offset0:65 offset1:66
	s_waitcnt vmcnt(4) lgkmcnt(0)
	v_fmac_f64_e32 v[112:113], v[126:127], v[116:117]
	;; [unrolled: 5-line block ×3, first 2 shown]
	buffer_load_dword v117, off, s[0:3], 0 offset:116
	buffer_load_dword v116, off, s[0:3], 0 offset:112
	buffer_load_dword v121, off, s[0:3], 0 offset:124
	buffer_load_dword v120, off, s[0:3], 0 offset:120
	s_waitcnt vmcnt(2)
	v_fmac_f64_e32 v[112:113], v[116:117], v[118:119]
	ds_read2_b64 v[116:119], v114 offset0:69 offset1:70
	s_waitcnt vmcnt(0) lgkmcnt(0)
	v_fmac_f64_e32 v[112:113], v[120:121], v[116:117]
	buffer_load_dword v117, off, s[0:3], 0 offset:132
	buffer_load_dword v116, off, s[0:3], 0 offset:128
	buffer_load_dword v121, off, s[0:3], 0 offset:140
	buffer_load_dword v120, off, s[0:3], 0 offset:136
	s_waitcnt vmcnt(2)
	v_fmac_f64_e32 v[112:113], v[116:117], v[118:119]
	ds_read2_b64 v[116:119], v114 offset0:71 offset1:72
	s_waitcnt vmcnt(0) lgkmcnt(0)
	v_fmac_f64_e32 v[112:113], v[120:121], v[116:117]
	;; [unrolled: 9-line block ×19, first 2 shown]
	buffer_load_dword v117, off, s[0:3], 0 offset:420
	buffer_load_dword v116, off, s[0:3], 0 offset:416
	s_waitcnt vmcnt(0)
	v_fmac_f64_e32 v[112:113], v[116:117], v[118:119]
	buffer_load_dword v117, off, s[0:3], 0 offset:428
	buffer_load_dword v116, off, s[0:3], 0 offset:424
	ds_read_b64 v[118:119], v114 offset:856
	s_waitcnt vmcnt(0) lgkmcnt(0)
	v_fmac_f64_e32 v[112:113], v[116:117], v[118:119]
	v_add_f64 v[110:111], v[110:111], -v[112:113]
	buffer_store_dword v111, off, s[0:3], 0 offset:52
	buffer_store_dword v110, off, s[0:3], 0 offset:48
	s_and_saveexec_b64 s[4:5], vcc
	s_cbranch_execz .LBB53_321
; %bb.320:
	buffer_load_dword v110, off, s[0:3], 0 offset:40
	buffer_load_dword v111, off, s[0:3], 0 offset:44
	s_waitcnt vmcnt(0)
	ds_write_b64 v1, v[110:111]
	buffer_store_dword v114, off, s[0:3], 0 offset:40
	buffer_store_dword v114, off, s[0:3], 0 offset:44
.LBB53_321:
	s_or_b64 exec, exec, s[4:5]
	s_waitcnt lgkmcnt(0)
	; wave barrier
	s_waitcnt lgkmcnt(0)
	buffer_load_dword v110, off, s[0:3], 0 offset:40
	buffer_load_dword v111, off, s[0:3], 0 offset:44
	;; [unrolled: 1-line block ×16, first 2 shown]
	ds_read_b128 v[116:119], v114 offset:480
	ds_read_b128 v[120:123], v114 offset:496
	;; [unrolled: 1-line block ×4, first 2 shown]
	v_cmp_lt_u32_e32 vcc, 4, v0
	s_waitcnt vmcnt(12) lgkmcnt(3)
	v_fma_f64 v[112:113], v[112:113], v[116:117], 0
	buffer_load_dword v117, off, s[0:3], 0 offset:108
	buffer_load_dword v116, off, s[0:3], 0 offset:104
	s_waitcnt vmcnt(12)
	v_fmac_f64_e32 v[112:113], v[132:133], v[118:119]
	s_waitcnt vmcnt(10) lgkmcnt(2)
	v_fmac_f64_e32 v[112:113], v[134:135], v[120:121]
	buffer_load_dword v121, off, s[0:3], 0 offset:116
	buffer_load_dword v120, off, s[0:3], 0 offset:112
	s_waitcnt vmcnt(10)
	v_fmac_f64_e32 v[112:113], v[136:137], v[122:123]
	s_waitcnt vmcnt(8) lgkmcnt(1)
	v_fmac_f64_e32 v[112:113], v[138:139], v[124:125]
	s_waitcnt vmcnt(6)
	v_fmac_f64_e32 v[112:113], v[140:141], v[126:127]
	s_waitcnt vmcnt(4) lgkmcnt(0)
	v_fmac_f64_e32 v[112:113], v[142:143], v[128:129]
	s_waitcnt vmcnt(2)
	v_fmac_f64_e32 v[112:113], v[116:117], v[130:131]
	ds_read_b128 v[116:119], v114 offset:544
	s_waitcnt vmcnt(0) lgkmcnt(0)
	v_fmac_f64_e32 v[112:113], v[120:121], v[116:117]
	buffer_load_dword v117, off, s[0:3], 0 offset:124
	buffer_load_dword v116, off, s[0:3], 0 offset:120
	buffer_load_dword v121, off, s[0:3], 0 offset:132
	buffer_load_dword v120, off, s[0:3], 0 offset:128
	s_waitcnt vmcnt(2)
	v_fmac_f64_e32 v[112:113], v[116:117], v[118:119]
	ds_read_b128 v[116:119], v114 offset:560
	s_waitcnt vmcnt(0) lgkmcnt(0)
	v_fmac_f64_e32 v[112:113], v[120:121], v[116:117]
	buffer_load_dword v117, off, s[0:3], 0 offset:140
	buffer_load_dword v116, off, s[0:3], 0 offset:136
	buffer_load_dword v121, off, s[0:3], 0 offset:148
	buffer_load_dword v120, off, s[0:3], 0 offset:144
	;; [unrolled: 9-line block ×18, first 2 shown]
	s_waitcnt vmcnt(2)
	v_fmac_f64_e32 v[112:113], v[116:117], v[118:119]
	ds_read_b128 v[116:119], v114 offset:832
	s_waitcnt vmcnt(0) lgkmcnt(0)
	v_fmac_f64_e32 v[112:113], v[120:121], v[116:117]
	buffer_load_dword v117, off, s[0:3], 0 offset:412
	buffer_load_dword v116, off, s[0:3], 0 offset:408
	s_waitcnt vmcnt(0)
	v_fmac_f64_e32 v[112:113], v[116:117], v[118:119]
	buffer_load_dword v119, off, s[0:3], 0 offset:420
	buffer_load_dword v118, off, s[0:3], 0 offset:416
	ds_read_b128 v[114:117], v114 offset:848
	s_waitcnt vmcnt(0) lgkmcnt(0)
	v_fmac_f64_e32 v[112:113], v[118:119], v[114:115]
	buffer_load_dword v115, off, s[0:3], 0 offset:428
	buffer_load_dword v114, off, s[0:3], 0 offset:424
	s_waitcnt vmcnt(0)
	v_fmac_f64_e32 v[112:113], v[114:115], v[116:117]
	v_add_f64 v[110:111], v[110:111], -v[112:113]
	buffer_store_dword v111, off, s[0:3], 0 offset:44
	buffer_store_dword v110, off, s[0:3], 0 offset:40
	s_and_saveexec_b64 s[4:5], vcc
	s_cbranch_execz .LBB53_323
; %bb.322:
	buffer_load_dword v110, off, s[0:3], 0 offset:32
	buffer_load_dword v111, off, s[0:3], 0 offset:36
	v_mov_b32_e32 v112, 0
	buffer_store_dword v112, off, s[0:3], 0 offset:32
	buffer_store_dword v112, off, s[0:3], 0 offset:36
	s_waitcnt vmcnt(2)
	ds_write_b64 v1, v[110:111]
.LBB53_323:
	s_or_b64 exec, exec, s[4:5]
	s_waitcnt lgkmcnt(0)
	; wave barrier
	s_waitcnt lgkmcnt(0)
	buffer_load_dword v110, off, s[0:3], 0 offset:32
	buffer_load_dword v111, off, s[0:3], 0 offset:36
	;; [unrolled: 1-line block ×16, first 2 shown]
	v_mov_b32_e32 v114, 0
	ds_read2_b64 v[116:119], v114 offset0:59 offset1:60
	v_cmp_lt_u32_e32 vcc, 3, v0
	s_waitcnt vmcnt(12) lgkmcnt(0)
	v_fma_f64 v[112:113], v[112:113], v[116:117], 0
	s_waitcnt vmcnt(10)
	v_fmac_f64_e32 v[112:113], v[120:121], v[118:119]
	ds_read2_b64 v[116:119], v114 offset0:61 offset1:62
	s_waitcnt vmcnt(8) lgkmcnt(0)
	v_fmac_f64_e32 v[112:113], v[122:123], v[116:117]
	s_waitcnt vmcnt(6)
	v_fmac_f64_e32 v[112:113], v[124:125], v[118:119]
	ds_read2_b64 v[116:119], v114 offset0:63 offset1:64
	s_waitcnt vmcnt(4) lgkmcnt(0)
	v_fmac_f64_e32 v[112:113], v[126:127], v[116:117]
	;; [unrolled: 5-line block ×3, first 2 shown]
	buffer_load_dword v117, off, s[0:3], 0 offset:100
	buffer_load_dword v116, off, s[0:3], 0 offset:96
	buffer_load_dword v121, off, s[0:3], 0 offset:108
	buffer_load_dword v120, off, s[0:3], 0 offset:104
	s_waitcnt vmcnt(2)
	v_fmac_f64_e32 v[112:113], v[116:117], v[118:119]
	ds_read2_b64 v[116:119], v114 offset0:67 offset1:68
	s_waitcnt vmcnt(0) lgkmcnt(0)
	v_fmac_f64_e32 v[112:113], v[120:121], v[116:117]
	buffer_load_dword v117, off, s[0:3], 0 offset:116
	buffer_load_dword v116, off, s[0:3], 0 offset:112
	buffer_load_dword v121, off, s[0:3], 0 offset:124
	buffer_load_dword v120, off, s[0:3], 0 offset:120
	s_waitcnt vmcnt(2)
	v_fmac_f64_e32 v[112:113], v[116:117], v[118:119]
	ds_read2_b64 v[116:119], v114 offset0:69 offset1:70
	s_waitcnt vmcnt(0) lgkmcnt(0)
	v_fmac_f64_e32 v[112:113], v[120:121], v[116:117]
	;; [unrolled: 9-line block ×20, first 2 shown]
	buffer_load_dword v117, off, s[0:3], 0 offset:420
	buffer_load_dword v116, off, s[0:3], 0 offset:416
	s_waitcnt vmcnt(0)
	v_fmac_f64_e32 v[112:113], v[116:117], v[118:119]
	buffer_load_dword v117, off, s[0:3], 0 offset:428
	buffer_load_dword v116, off, s[0:3], 0 offset:424
	ds_read_b64 v[118:119], v114 offset:856
	s_waitcnt vmcnt(0) lgkmcnt(0)
	v_fmac_f64_e32 v[112:113], v[116:117], v[118:119]
	v_add_f64 v[110:111], v[110:111], -v[112:113]
	buffer_store_dword v111, off, s[0:3], 0 offset:36
	buffer_store_dword v110, off, s[0:3], 0 offset:32
	s_and_saveexec_b64 s[4:5], vcc
	s_cbranch_execz .LBB53_325
; %bb.324:
	buffer_load_dword v110, off, s[0:3], 0 offset:24
	buffer_load_dword v111, off, s[0:3], 0 offset:28
	s_waitcnt vmcnt(0)
	ds_write_b64 v1, v[110:111]
	buffer_store_dword v114, off, s[0:3], 0 offset:24
	buffer_store_dword v114, off, s[0:3], 0 offset:28
.LBB53_325:
	s_or_b64 exec, exec, s[4:5]
	s_waitcnt lgkmcnt(0)
	; wave barrier
	s_waitcnt lgkmcnt(0)
	buffer_load_dword v110, off, s[0:3], 0 offset:24
	buffer_load_dword v111, off, s[0:3], 0 offset:28
	;; [unrolled: 1-line block ×16, first 2 shown]
	ds_read_b128 v[116:119], v114 offset:464
	v_cmp_lt_u32_e32 vcc, 2, v0
	s_waitcnt vmcnt(12) lgkmcnt(0)
	v_fma_f64 v[112:113], v[112:113], v[116:117], 0
	s_waitcnt vmcnt(10)
	v_fmac_f64_e32 v[112:113], v[120:121], v[118:119]
	ds_read_b128 v[116:119], v114 offset:480
	s_waitcnt vmcnt(8) lgkmcnt(0)
	v_fmac_f64_e32 v[112:113], v[122:123], v[116:117]
	s_waitcnt vmcnt(6)
	v_fmac_f64_e32 v[112:113], v[124:125], v[118:119]
	ds_read_b128 v[116:119], v114 offset:496
	s_waitcnt vmcnt(4) lgkmcnt(0)
	v_fmac_f64_e32 v[112:113], v[126:127], v[116:117]
	;; [unrolled: 5-line block ×3, first 2 shown]
	buffer_load_dword v117, off, s[0:3], 0 offset:92
	buffer_load_dword v116, off, s[0:3], 0 offset:88
	buffer_load_dword v121, off, s[0:3], 0 offset:100
	buffer_load_dword v120, off, s[0:3], 0 offset:96
	s_waitcnt vmcnt(2)
	v_fmac_f64_e32 v[112:113], v[116:117], v[118:119]
	ds_read_b128 v[116:119], v114 offset:528
	s_waitcnt vmcnt(0) lgkmcnt(0)
	v_fmac_f64_e32 v[112:113], v[120:121], v[116:117]
	buffer_load_dword v117, off, s[0:3], 0 offset:108
	buffer_load_dword v116, off, s[0:3], 0 offset:104
	buffer_load_dword v121, off, s[0:3], 0 offset:116
	buffer_load_dword v120, off, s[0:3], 0 offset:112
	s_waitcnt vmcnt(2)
	v_fmac_f64_e32 v[112:113], v[116:117], v[118:119]
	ds_read_b128 v[116:119], v114 offset:544
	s_waitcnt vmcnt(0) lgkmcnt(0)
	v_fmac_f64_e32 v[112:113], v[120:121], v[116:117]
	;; [unrolled: 9-line block ×20, first 2 shown]
	buffer_load_dword v117, off, s[0:3], 0 offset:412
	buffer_load_dword v116, off, s[0:3], 0 offset:408
	s_waitcnt vmcnt(0)
	v_fmac_f64_e32 v[112:113], v[116:117], v[118:119]
	buffer_load_dword v119, off, s[0:3], 0 offset:420
	buffer_load_dword v118, off, s[0:3], 0 offset:416
	ds_read_b128 v[114:117], v114 offset:848
	s_waitcnt vmcnt(0) lgkmcnt(0)
	v_fmac_f64_e32 v[112:113], v[118:119], v[114:115]
	buffer_load_dword v115, off, s[0:3], 0 offset:428
	buffer_load_dword v114, off, s[0:3], 0 offset:424
	s_waitcnt vmcnt(0)
	v_fmac_f64_e32 v[112:113], v[114:115], v[116:117]
	v_add_f64 v[110:111], v[110:111], -v[112:113]
	buffer_store_dword v111, off, s[0:3], 0 offset:28
	buffer_store_dword v110, off, s[0:3], 0 offset:24
	s_and_saveexec_b64 s[4:5], vcc
	s_cbranch_execz .LBB53_327
; %bb.326:
	buffer_load_dword v110, off, s[0:3], 0 offset:16
	buffer_load_dword v111, off, s[0:3], 0 offset:20
	v_mov_b32_e32 v112, 0
	buffer_store_dword v112, off, s[0:3], 0 offset:16
	buffer_store_dword v112, off, s[0:3], 0 offset:20
	s_waitcnt vmcnt(2)
	ds_write_b64 v1, v[110:111]
.LBB53_327:
	s_or_b64 exec, exec, s[4:5]
	s_waitcnt lgkmcnt(0)
	; wave barrier
	s_waitcnt lgkmcnt(0)
	buffer_load_dword v110, off, s[0:3], 0 offset:16
	buffer_load_dword v111, off, s[0:3], 0 offset:20
	;; [unrolled: 1-line block ×16, first 2 shown]
	v_mov_b32_e32 v114, 0
	ds_read2_b64 v[116:119], v114 offset0:57 offset1:58
	v_cmp_lt_u32_e32 vcc, 1, v0
	s_waitcnt vmcnt(12) lgkmcnt(0)
	v_fma_f64 v[112:113], v[112:113], v[116:117], 0
	s_waitcnt vmcnt(10)
	v_fmac_f64_e32 v[112:113], v[120:121], v[118:119]
	ds_read2_b64 v[116:119], v114 offset0:59 offset1:60
	s_waitcnt vmcnt(8) lgkmcnt(0)
	v_fmac_f64_e32 v[112:113], v[122:123], v[116:117]
	s_waitcnt vmcnt(6)
	v_fmac_f64_e32 v[112:113], v[124:125], v[118:119]
	ds_read2_b64 v[116:119], v114 offset0:61 offset1:62
	s_waitcnt vmcnt(4) lgkmcnt(0)
	v_fmac_f64_e32 v[112:113], v[126:127], v[116:117]
	;; [unrolled: 5-line block ×3, first 2 shown]
	buffer_load_dword v117, off, s[0:3], 0 offset:84
	buffer_load_dword v116, off, s[0:3], 0 offset:80
	buffer_load_dword v121, off, s[0:3], 0 offset:92
	buffer_load_dword v120, off, s[0:3], 0 offset:88
	s_waitcnt vmcnt(2)
	v_fmac_f64_e32 v[112:113], v[116:117], v[118:119]
	ds_read2_b64 v[116:119], v114 offset0:65 offset1:66
	s_waitcnt vmcnt(0) lgkmcnt(0)
	v_fmac_f64_e32 v[112:113], v[120:121], v[116:117]
	buffer_load_dword v117, off, s[0:3], 0 offset:100
	buffer_load_dword v116, off, s[0:3], 0 offset:96
	buffer_load_dword v121, off, s[0:3], 0 offset:108
	buffer_load_dword v120, off, s[0:3], 0 offset:104
	s_waitcnt vmcnt(2)
	v_fmac_f64_e32 v[112:113], v[116:117], v[118:119]
	ds_read2_b64 v[116:119], v114 offset0:67 offset1:68
	s_waitcnt vmcnt(0) lgkmcnt(0)
	v_fmac_f64_e32 v[112:113], v[120:121], v[116:117]
	;; [unrolled: 9-line block ×21, first 2 shown]
	buffer_load_dword v117, off, s[0:3], 0 offset:420
	buffer_load_dword v116, off, s[0:3], 0 offset:416
	s_waitcnt vmcnt(0)
	v_fmac_f64_e32 v[112:113], v[116:117], v[118:119]
	buffer_load_dword v117, off, s[0:3], 0 offset:428
	buffer_load_dword v116, off, s[0:3], 0 offset:424
	ds_read_b64 v[118:119], v114 offset:856
	s_waitcnt vmcnt(0) lgkmcnt(0)
	v_fmac_f64_e32 v[112:113], v[116:117], v[118:119]
	v_add_f64 v[110:111], v[110:111], -v[112:113]
	buffer_store_dword v111, off, s[0:3], 0 offset:20
	buffer_store_dword v110, off, s[0:3], 0 offset:16
	s_and_saveexec_b64 s[4:5], vcc
	s_cbranch_execz .LBB53_329
; %bb.328:
	buffer_load_dword v110, off, s[0:3], 0 offset:8
	buffer_load_dword v111, off, s[0:3], 0 offset:12
	s_waitcnt vmcnt(0)
	ds_write_b64 v1, v[110:111]
	buffer_store_dword v114, off, s[0:3], 0 offset:8
	buffer_store_dword v114, off, s[0:3], 0 offset:12
.LBB53_329:
	s_or_b64 exec, exec, s[4:5]
	s_waitcnt lgkmcnt(0)
	; wave barrier
	s_waitcnt lgkmcnt(0)
	buffer_load_dword v110, off, s[0:3], 0 offset:8
	buffer_load_dword v111, off, s[0:3], 0 offset:12
	;; [unrolled: 1-line block ×16, first 2 shown]
	ds_read_b128 v[116:119], v114 offset:448
	v_cmp_ne_u32_e32 vcc, 0, v0
	s_waitcnt vmcnt(12) lgkmcnt(0)
	v_fma_f64 v[112:113], v[112:113], v[116:117], 0
	s_waitcnt vmcnt(10)
	v_fmac_f64_e32 v[112:113], v[120:121], v[118:119]
	ds_read_b128 v[116:119], v114 offset:464
	s_waitcnt vmcnt(8) lgkmcnt(0)
	v_fmac_f64_e32 v[112:113], v[122:123], v[116:117]
	s_waitcnt vmcnt(6)
	v_fmac_f64_e32 v[112:113], v[124:125], v[118:119]
	ds_read_b128 v[116:119], v114 offset:480
	s_waitcnt vmcnt(4) lgkmcnt(0)
	v_fmac_f64_e32 v[112:113], v[126:127], v[116:117]
	;; [unrolled: 5-line block ×3, first 2 shown]
	buffer_load_dword v117, off, s[0:3], 0 offset:76
	buffer_load_dword v116, off, s[0:3], 0 offset:72
	buffer_load_dword v121, off, s[0:3], 0 offset:84
	buffer_load_dword v120, off, s[0:3], 0 offset:80
	s_waitcnt vmcnt(2)
	v_fmac_f64_e32 v[112:113], v[116:117], v[118:119]
	ds_read_b128 v[116:119], v114 offset:512
	s_waitcnt vmcnt(0) lgkmcnt(0)
	v_fmac_f64_e32 v[112:113], v[120:121], v[116:117]
	buffer_load_dword v117, off, s[0:3], 0 offset:92
	buffer_load_dword v116, off, s[0:3], 0 offset:88
	buffer_load_dword v121, off, s[0:3], 0 offset:100
	buffer_load_dword v120, off, s[0:3], 0 offset:96
	s_waitcnt vmcnt(2)
	v_fmac_f64_e32 v[112:113], v[116:117], v[118:119]
	ds_read_b128 v[116:119], v114 offset:528
	s_waitcnt vmcnt(0) lgkmcnt(0)
	v_fmac_f64_e32 v[112:113], v[120:121], v[116:117]
	buffer_load_dword v117, off, s[0:3], 0 offset:108
	buffer_load_dword v116, off, s[0:3], 0 offset:104
	buffer_load_dword v121, off, s[0:3], 0 offset:116
	buffer_load_dword v120, off, s[0:3], 0 offset:112
	s_waitcnt vmcnt(2)
	v_fmac_f64_e32 v[112:113], v[116:117], v[118:119]
	ds_read_b128 v[116:119], v114 offset:544
	s_waitcnt vmcnt(0) lgkmcnt(0)
	v_fmac_f64_e32 v[112:113], v[120:121], v[116:117]
	buffer_load_dword v117, off, s[0:3], 0 offset:124
	buffer_load_dword v116, off, s[0:3], 0 offset:120
	buffer_load_dword v121, off, s[0:3], 0 offset:132
	buffer_load_dword v120, off, s[0:3], 0 offset:128
	s_waitcnt vmcnt(2)
	v_fmac_f64_e32 v[112:113], v[116:117], v[118:119]
	ds_read_b128 v[116:119], v114 offset:560
	s_waitcnt vmcnt(0) lgkmcnt(0)
	v_fmac_f64_e32 v[112:113], v[120:121], v[116:117]
	buffer_load_dword v117, off, s[0:3], 0 offset:140
	buffer_load_dword v116, off, s[0:3], 0 offset:136
	buffer_load_dword v121, off, s[0:3], 0 offset:148
	buffer_load_dword v120, off, s[0:3], 0 offset:144
	s_waitcnt vmcnt(2)
	v_fmac_f64_e32 v[112:113], v[116:117], v[118:119]
	ds_read_b128 v[116:119], v114 offset:576
	s_waitcnt vmcnt(0) lgkmcnt(0)
	v_fmac_f64_e32 v[112:113], v[120:121], v[116:117]
	buffer_load_dword v117, off, s[0:3], 0 offset:156
	buffer_load_dword v116, off, s[0:3], 0 offset:152
	buffer_load_dword v121, off, s[0:3], 0 offset:164
	buffer_load_dword v120, off, s[0:3], 0 offset:160
	s_waitcnt vmcnt(2)
	v_fmac_f64_e32 v[112:113], v[116:117], v[118:119]
	ds_read_b128 v[116:119], v114 offset:592
	s_waitcnt vmcnt(0) lgkmcnt(0)
	v_fmac_f64_e32 v[112:113], v[120:121], v[116:117]
	buffer_load_dword v117, off, s[0:3], 0 offset:172
	buffer_load_dword v116, off, s[0:3], 0 offset:168
	buffer_load_dword v121, off, s[0:3], 0 offset:180
	buffer_load_dword v120, off, s[0:3], 0 offset:176
	s_waitcnt vmcnt(2)
	v_fmac_f64_e32 v[112:113], v[116:117], v[118:119]
	ds_read_b128 v[116:119], v114 offset:608
	s_waitcnt vmcnt(0) lgkmcnt(0)
	v_fmac_f64_e32 v[112:113], v[120:121], v[116:117]
	buffer_load_dword v117, off, s[0:3], 0 offset:188
	buffer_load_dword v116, off, s[0:3], 0 offset:184
	buffer_load_dword v121, off, s[0:3], 0 offset:196
	buffer_load_dword v120, off, s[0:3], 0 offset:192
	s_waitcnt vmcnt(2)
	v_fmac_f64_e32 v[112:113], v[116:117], v[118:119]
	ds_read_b128 v[116:119], v114 offset:624
	s_waitcnt vmcnt(0) lgkmcnt(0)
	v_fmac_f64_e32 v[112:113], v[120:121], v[116:117]
	buffer_load_dword v117, off, s[0:3], 0 offset:204
	buffer_load_dword v116, off, s[0:3], 0 offset:200
	buffer_load_dword v121, off, s[0:3], 0 offset:212
	buffer_load_dword v120, off, s[0:3], 0 offset:208
	s_waitcnt vmcnt(2)
	v_fmac_f64_e32 v[112:113], v[116:117], v[118:119]
	ds_read_b128 v[116:119], v114 offset:640
	s_waitcnt vmcnt(0) lgkmcnt(0)
	v_fmac_f64_e32 v[112:113], v[120:121], v[116:117]
	buffer_load_dword v117, off, s[0:3], 0 offset:220
	buffer_load_dword v116, off, s[0:3], 0 offset:216
	buffer_load_dword v121, off, s[0:3], 0 offset:228
	buffer_load_dword v120, off, s[0:3], 0 offset:224
	s_waitcnt vmcnt(2)
	v_fmac_f64_e32 v[112:113], v[116:117], v[118:119]
	ds_read_b128 v[116:119], v114 offset:656
	s_waitcnt vmcnt(0) lgkmcnt(0)
	v_fmac_f64_e32 v[112:113], v[120:121], v[116:117]
	buffer_load_dword v117, off, s[0:3], 0 offset:236
	buffer_load_dword v116, off, s[0:3], 0 offset:232
	buffer_load_dword v121, off, s[0:3], 0 offset:244
	buffer_load_dword v120, off, s[0:3], 0 offset:240
	s_waitcnt vmcnt(2)
	v_fmac_f64_e32 v[112:113], v[116:117], v[118:119]
	ds_read_b128 v[116:119], v114 offset:672
	s_waitcnt vmcnt(0) lgkmcnt(0)
	v_fmac_f64_e32 v[112:113], v[120:121], v[116:117]
	buffer_load_dword v117, off, s[0:3], 0 offset:252
	buffer_load_dword v116, off, s[0:3], 0 offset:248
	buffer_load_dword v121, off, s[0:3], 0 offset:260
	buffer_load_dword v120, off, s[0:3], 0 offset:256
	s_waitcnt vmcnt(2)
	v_fmac_f64_e32 v[112:113], v[116:117], v[118:119]
	ds_read_b128 v[116:119], v114 offset:688
	s_waitcnt vmcnt(0) lgkmcnt(0)
	v_fmac_f64_e32 v[112:113], v[120:121], v[116:117]
	buffer_load_dword v117, off, s[0:3], 0 offset:268
	buffer_load_dword v116, off, s[0:3], 0 offset:264
	buffer_load_dword v121, off, s[0:3], 0 offset:276
	buffer_load_dword v120, off, s[0:3], 0 offset:272
	s_waitcnt vmcnt(2)
	v_fmac_f64_e32 v[112:113], v[116:117], v[118:119]
	ds_read_b128 v[116:119], v114 offset:704
	s_waitcnt vmcnt(0) lgkmcnt(0)
	v_fmac_f64_e32 v[112:113], v[120:121], v[116:117]
	buffer_load_dword v117, off, s[0:3], 0 offset:284
	buffer_load_dword v116, off, s[0:3], 0 offset:280
	buffer_load_dword v121, off, s[0:3], 0 offset:292
	buffer_load_dword v120, off, s[0:3], 0 offset:288
	s_waitcnt vmcnt(2)
	v_fmac_f64_e32 v[112:113], v[116:117], v[118:119]
	ds_read_b128 v[116:119], v114 offset:720
	s_waitcnt vmcnt(0) lgkmcnt(0)
	v_fmac_f64_e32 v[112:113], v[120:121], v[116:117]
	buffer_load_dword v117, off, s[0:3], 0 offset:300
	buffer_load_dword v116, off, s[0:3], 0 offset:296
	buffer_load_dword v121, off, s[0:3], 0 offset:308
	buffer_load_dword v120, off, s[0:3], 0 offset:304
	s_waitcnt vmcnt(2)
	v_fmac_f64_e32 v[112:113], v[116:117], v[118:119]
	ds_read_b128 v[116:119], v114 offset:736
	s_waitcnt vmcnt(0) lgkmcnt(0)
	v_fmac_f64_e32 v[112:113], v[120:121], v[116:117]
	buffer_load_dword v117, off, s[0:3], 0 offset:316
	buffer_load_dword v116, off, s[0:3], 0 offset:312
	buffer_load_dword v121, off, s[0:3], 0 offset:324
	buffer_load_dword v120, off, s[0:3], 0 offset:320
	s_waitcnt vmcnt(2)
	v_fmac_f64_e32 v[112:113], v[116:117], v[118:119]
	ds_read_b128 v[116:119], v114 offset:752
	s_waitcnt vmcnt(0) lgkmcnt(0)
	v_fmac_f64_e32 v[112:113], v[120:121], v[116:117]
	buffer_load_dword v117, off, s[0:3], 0 offset:332
	buffer_load_dword v116, off, s[0:3], 0 offset:328
	buffer_load_dword v121, off, s[0:3], 0 offset:340
	buffer_load_dword v120, off, s[0:3], 0 offset:336
	s_waitcnt vmcnt(2)
	v_fmac_f64_e32 v[112:113], v[116:117], v[118:119]
	ds_read_b128 v[116:119], v114 offset:768
	s_waitcnt vmcnt(0) lgkmcnt(0)
	v_fmac_f64_e32 v[112:113], v[120:121], v[116:117]
	buffer_load_dword v117, off, s[0:3], 0 offset:348
	buffer_load_dword v116, off, s[0:3], 0 offset:344
	buffer_load_dword v121, off, s[0:3], 0 offset:356
	buffer_load_dword v120, off, s[0:3], 0 offset:352
	s_waitcnt vmcnt(2)
	v_fmac_f64_e32 v[112:113], v[116:117], v[118:119]
	ds_read_b128 v[116:119], v114 offset:784
	s_waitcnt vmcnt(0) lgkmcnt(0)
	v_fmac_f64_e32 v[112:113], v[120:121], v[116:117]
	buffer_load_dword v117, off, s[0:3], 0 offset:364
	buffer_load_dword v116, off, s[0:3], 0 offset:360
	buffer_load_dword v121, off, s[0:3], 0 offset:372
	buffer_load_dword v120, off, s[0:3], 0 offset:368
	s_waitcnt vmcnt(2)
	v_fmac_f64_e32 v[112:113], v[116:117], v[118:119]
	ds_read_b128 v[116:119], v114 offset:800
	s_waitcnt vmcnt(0) lgkmcnt(0)
	v_fmac_f64_e32 v[112:113], v[120:121], v[116:117]
	buffer_load_dword v117, off, s[0:3], 0 offset:380
	buffer_load_dword v116, off, s[0:3], 0 offset:376
	buffer_load_dword v121, off, s[0:3], 0 offset:388
	buffer_load_dword v120, off, s[0:3], 0 offset:384
	s_waitcnt vmcnt(2)
	v_fmac_f64_e32 v[112:113], v[116:117], v[118:119]
	ds_read_b128 v[116:119], v114 offset:816
	s_waitcnt vmcnt(0) lgkmcnt(0)
	v_fmac_f64_e32 v[112:113], v[120:121], v[116:117]
	buffer_load_dword v117, off, s[0:3], 0 offset:396
	buffer_load_dword v116, off, s[0:3], 0 offset:392
	buffer_load_dword v121, off, s[0:3], 0 offset:404
	buffer_load_dword v120, off, s[0:3], 0 offset:400
	s_waitcnt vmcnt(2)
	v_fmac_f64_e32 v[112:113], v[116:117], v[118:119]
	ds_read_b128 v[116:119], v114 offset:832
	s_waitcnt vmcnt(0) lgkmcnt(0)
	v_fmac_f64_e32 v[112:113], v[120:121], v[116:117]
	buffer_load_dword v117, off, s[0:3], 0 offset:412
	buffer_load_dword v116, off, s[0:3], 0 offset:408
	s_waitcnt vmcnt(0)
	v_fmac_f64_e32 v[112:113], v[116:117], v[118:119]
	buffer_load_dword v119, off, s[0:3], 0 offset:420
	buffer_load_dword v118, off, s[0:3], 0 offset:416
	ds_read_b128 v[114:117], v114 offset:848
	s_waitcnt vmcnt(0) lgkmcnt(0)
	v_fmac_f64_e32 v[112:113], v[118:119], v[114:115]
	buffer_load_dword v115, off, s[0:3], 0 offset:428
	buffer_load_dword v114, off, s[0:3], 0 offset:424
	s_waitcnt vmcnt(0)
	v_fmac_f64_e32 v[112:113], v[114:115], v[116:117]
	v_add_f64 v[110:111], v[110:111], -v[112:113]
	buffer_store_dword v111, off, s[0:3], 0 offset:12
	buffer_store_dword v110, off, s[0:3], 0 offset:8
	s_and_saveexec_b64 s[4:5], vcc
	s_cbranch_execz .LBB53_331
; %bb.330:
	buffer_load_dword v110, off, s[0:3], 0
	buffer_load_dword v111, off, s[0:3], 0 offset:4
	v_mov_b32_e32 v0, 0
	buffer_store_dword v0, off, s[0:3], 0
	buffer_store_dword v0, off, s[0:3], 0 offset:4
	s_waitcnt vmcnt(2)
	ds_write_b64 v1, v[110:111]
.LBB53_331:
	s_or_b64 exec, exec, s[4:5]
	s_waitcnt lgkmcnt(0)
	; wave barrier
	s_waitcnt lgkmcnt(0)
	buffer_load_dword v0, off, s[0:3], 0
	buffer_load_dword v1, off, s[0:3], 0 offset:4
	buffer_load_dword v116, off, s[0:3], 0 offset:8
	buffer_load_dword v117, off, s[0:3], 0 offset:12
	buffer_load_dword v118, off, s[0:3], 0 offset:16
	buffer_load_dword v119, off, s[0:3], 0 offset:20
	buffer_load_dword v120, off, s[0:3], 0 offset:24
	buffer_load_dword v121, off, s[0:3], 0 offset:28
	buffer_load_dword v122, off, s[0:3], 0 offset:32
	buffer_load_dword v123, off, s[0:3], 0 offset:36
	buffer_load_dword v124, off, s[0:3], 0 offset:40
	buffer_load_dword v125, off, s[0:3], 0 offset:44
	buffer_load_dword v126, off, s[0:3], 0 offset:48
	buffer_load_dword v127, off, s[0:3], 0 offset:52
	buffer_load_dword v128, off, s[0:3], 0 offset:56
	buffer_load_dword v129, off, s[0:3], 0 offset:60
	v_mov_b32_e32 v114, 0
	ds_read2_b64 v[110:113], v114 offset0:55 offset1:56
	s_and_b64 vcc, exec, s[20:21]
	s_waitcnt vmcnt(12) lgkmcnt(0)
	v_fma_f64 v[110:111], v[116:117], v[110:111], 0
	s_waitcnt vmcnt(10)
	v_fmac_f64_e32 v[110:111], v[118:119], v[112:113]
	ds_read2_b64 v[116:119], v114 offset0:57 offset1:58
	s_waitcnt vmcnt(8) lgkmcnt(0)
	v_fmac_f64_e32 v[110:111], v[120:121], v[116:117]
	s_waitcnt vmcnt(6)
	v_fmac_f64_e32 v[110:111], v[122:123], v[118:119]
	ds_read2_b64 v[116:119], v114 offset0:59 offset1:60
	s_waitcnt vmcnt(4) lgkmcnt(0)
	v_fmac_f64_e32 v[110:111], v[124:125], v[116:117]
	s_waitcnt vmcnt(2)
	v_fmac_f64_e32 v[110:111], v[126:127], v[118:119]
	ds_read2_b64 v[116:119], v114 offset0:61 offset1:62
	buffer_load_dword v113, off, s[0:3], 0 offset:68
	buffer_load_dword v112, off, s[0:3], 0 offset:64
	s_waitcnt vmcnt(2) lgkmcnt(0)
	v_fmac_f64_e32 v[110:111], v[128:129], v[116:117]
	s_waitcnt vmcnt(0)
	v_fmac_f64_e32 v[110:111], v[112:113], v[118:119]
	buffer_load_dword v113, off, s[0:3], 0 offset:76
	buffer_load_dword v112, off, s[0:3], 0 offset:72
	ds_read2_b64 v[116:119], v114 offset0:63 offset1:64
	s_waitcnt vmcnt(0) lgkmcnt(0)
	v_fmac_f64_e32 v[110:111], v[112:113], v[116:117]
	buffer_load_dword v113, off, s[0:3], 0 offset:84
	buffer_load_dword v112, off, s[0:3], 0 offset:80
	s_waitcnt vmcnt(0)
	v_fmac_f64_e32 v[110:111], v[112:113], v[118:119]
	buffer_load_dword v113, off, s[0:3], 0 offset:92
	buffer_load_dword v112, off, s[0:3], 0 offset:88
	ds_read2_b64 v[116:119], v114 offset0:65 offset1:66
	s_waitcnt vmcnt(0) lgkmcnt(0)
	v_fmac_f64_e32 v[110:111], v[112:113], v[116:117]
	buffer_load_dword v113, off, s[0:3], 0 offset:100
	buffer_load_dword v112, off, s[0:3], 0 offset:96
	;; [unrolled: 9-line block ×22, first 2 shown]
	buffer_load_dword v117, off, s[0:3], 0 offset:428
	buffer_load_dword v116, off, s[0:3], 0 offset:424
	ds_read_b64 v[114:115], v114 offset:856
	s_waitcnt vmcnt(2)
	v_fmac_f64_e32 v[110:111], v[112:113], v[118:119]
	s_waitcnt vmcnt(0) lgkmcnt(0)
	v_fmac_f64_e32 v[110:111], v[116:117], v[114:115]
	v_add_f64 v[0:1], v[0:1], -v[110:111]
	buffer_store_dword v1, off, s[0:3], 0 offset:4
	buffer_store_dword v0, off, s[0:3], 0
	s_cbranch_vccz .LBB53_439
; %bb.332:
	v_pk_mov_b32 v[0:1], s[10:11], s[10:11] op_sel:[0,1]
	flat_load_dword v0, v[0:1] offset:208
	s_waitcnt vmcnt(0) lgkmcnt(0)
	v_add_u32_e32 v0, -1, v0
	v_cmp_ne_u32_e32 vcc, 52, v0
	s_and_saveexec_b64 s[4:5], vcc
	s_cbranch_execz .LBB53_334
; %bb.333:
	v_mov_b32_e32 v1, 0
	v_lshl_add_u32 v0, v0, 3, v1
	buffer_load_dword v1, v0, s[0:3], 0 offen offset:4
	buffer_load_dword v110, v0, s[0:3], 0 offen
	s_waitcnt vmcnt(1)
	buffer_store_dword v1, off, s[0:3], 0 offset:420
	s_waitcnt vmcnt(1)
	buffer_store_dword v110, off, s[0:3], 0 offset:416
	buffer_store_dword v113, v0, s[0:3], 0 offen offset:4
	buffer_store_dword v112, v0, s[0:3], 0 offen
.LBB53_334:
	s_or_b64 exec, exec, s[4:5]
	v_pk_mov_b32 v[0:1], s[10:11], s[10:11] op_sel:[0,1]
	flat_load_dword v0, v[0:1] offset:204
	s_waitcnt vmcnt(0) lgkmcnt(0)
	v_add_u32_e32 v0, -1, v0
	v_cmp_ne_u32_e32 vcc, 51, v0
	s_and_saveexec_b64 s[4:5], vcc
	s_cbranch_execz .LBB53_336
; %bb.335:
	v_mov_b32_e32 v1, 0
	v_lshl_add_u32 v0, v0, 3, v1
	buffer_load_dword v1, v0, s[0:3], 0 offen
	buffer_load_dword v110, v0, s[0:3], 0 offen offset:4
	buffer_load_dword v111, off, s[0:3], 0 offset:408
	buffer_load_dword v112, off, s[0:3], 0 offset:412
	s_waitcnt vmcnt(3)
	buffer_store_dword v1, off, s[0:3], 0 offset:408
	s_waitcnt vmcnt(3)
	buffer_store_dword v110, off, s[0:3], 0 offset:412
	s_waitcnt vmcnt(3)
	buffer_store_dword v111, v0, s[0:3], 0 offen
	s_waitcnt vmcnt(3)
	buffer_store_dword v112, v0, s[0:3], 0 offen offset:4
.LBB53_336:
	s_or_b64 exec, exec, s[4:5]
	v_pk_mov_b32 v[0:1], s[10:11], s[10:11] op_sel:[0,1]
	flat_load_dword v0, v[0:1] offset:200
	s_waitcnt vmcnt(0) lgkmcnt(0)
	v_add_u32_e32 v0, -1, v0
	v_cmp_ne_u32_e32 vcc, 50, v0
	s_and_saveexec_b64 s[4:5], vcc
	s_cbranch_execz .LBB53_338
; %bb.337:
	v_mov_b32_e32 v1, 0
	v_lshl_add_u32 v0, v0, 3, v1
	buffer_load_dword v1, v0, s[0:3], 0 offen
	buffer_load_dword v110, v0, s[0:3], 0 offen offset:4
	buffer_load_dword v111, off, s[0:3], 0 offset:404
	buffer_load_dword v112, off, s[0:3], 0 offset:400
	s_waitcnt vmcnt(3)
	buffer_store_dword v1, off, s[0:3], 0 offset:400
	s_waitcnt vmcnt(3)
	buffer_store_dword v110, off, s[0:3], 0 offset:404
	s_waitcnt vmcnt(3)
	buffer_store_dword v111, v0, s[0:3], 0 offen offset:4
	s_waitcnt vmcnt(3)
	buffer_store_dword v112, v0, s[0:3], 0 offen
.LBB53_338:
	s_or_b64 exec, exec, s[4:5]
	v_pk_mov_b32 v[0:1], s[10:11], s[10:11] op_sel:[0,1]
	flat_load_dword v0, v[0:1] offset:196
	s_waitcnt vmcnt(0) lgkmcnt(0)
	v_add_u32_e32 v0, -1, v0
	v_cmp_ne_u32_e32 vcc, 49, v0
	s_and_saveexec_b64 s[4:5], vcc
	s_cbranch_execz .LBB53_340
; %bb.339:
	v_mov_b32_e32 v1, 0
	v_lshl_add_u32 v0, v0, 3, v1
	buffer_load_dword v1, v0, s[0:3], 0 offen
	buffer_load_dword v110, v0, s[0:3], 0 offen offset:4
	buffer_load_dword v111, off, s[0:3], 0 offset:392
	buffer_load_dword v112, off, s[0:3], 0 offset:396
	s_waitcnt vmcnt(3)
	buffer_store_dword v1, off, s[0:3], 0 offset:392
	s_waitcnt vmcnt(3)
	buffer_store_dword v110, off, s[0:3], 0 offset:396
	s_waitcnt vmcnt(3)
	buffer_store_dword v111, v0, s[0:3], 0 offen
	s_waitcnt vmcnt(3)
	buffer_store_dword v112, v0, s[0:3], 0 offen offset:4
.LBB53_340:
	s_or_b64 exec, exec, s[4:5]
	v_pk_mov_b32 v[0:1], s[10:11], s[10:11] op_sel:[0,1]
	flat_load_dword v0, v[0:1] offset:192
	s_waitcnt vmcnt(0) lgkmcnt(0)
	v_add_u32_e32 v0, -1, v0
	v_cmp_ne_u32_e32 vcc, 48, v0
	s_and_saveexec_b64 s[4:5], vcc
	s_cbranch_execz .LBB53_342
; %bb.341:
	v_mov_b32_e32 v1, 0
	v_lshl_add_u32 v0, v0, 3, v1
	buffer_load_dword v1, v0, s[0:3], 0 offen
	buffer_load_dword v110, v0, s[0:3], 0 offen offset:4
	buffer_load_dword v111, off, s[0:3], 0 offset:388
	buffer_load_dword v112, off, s[0:3], 0 offset:384
	s_waitcnt vmcnt(3)
	buffer_store_dword v1, off, s[0:3], 0 offset:384
	s_waitcnt vmcnt(3)
	buffer_store_dword v110, off, s[0:3], 0 offset:388
	s_waitcnt vmcnt(3)
	buffer_store_dword v111, v0, s[0:3], 0 offen offset:4
	s_waitcnt vmcnt(3)
	buffer_store_dword v112, v0, s[0:3], 0 offen
.LBB53_342:
	s_or_b64 exec, exec, s[4:5]
	v_pk_mov_b32 v[0:1], s[10:11], s[10:11] op_sel:[0,1]
	flat_load_dword v0, v[0:1] offset:188
	s_waitcnt vmcnt(0) lgkmcnt(0)
	v_add_u32_e32 v0, -1, v0
	v_cmp_ne_u32_e32 vcc, 47, v0
	s_and_saveexec_b64 s[4:5], vcc
	s_cbranch_execz .LBB53_344
; %bb.343:
	v_mov_b32_e32 v1, 0
	v_lshl_add_u32 v0, v0, 3, v1
	buffer_load_dword v1, v0, s[0:3], 0 offen
	buffer_load_dword v110, v0, s[0:3], 0 offen offset:4
	buffer_load_dword v111, off, s[0:3], 0 offset:376
	buffer_load_dword v112, off, s[0:3], 0 offset:380
	s_waitcnt vmcnt(3)
	buffer_store_dword v1, off, s[0:3], 0 offset:376
	s_waitcnt vmcnt(3)
	buffer_store_dword v110, off, s[0:3], 0 offset:380
	s_waitcnt vmcnt(3)
	buffer_store_dword v111, v0, s[0:3], 0 offen
	s_waitcnt vmcnt(3)
	buffer_store_dword v112, v0, s[0:3], 0 offen offset:4
.LBB53_344:
	s_or_b64 exec, exec, s[4:5]
	v_pk_mov_b32 v[0:1], s[10:11], s[10:11] op_sel:[0,1]
	flat_load_dword v0, v[0:1] offset:184
	s_waitcnt vmcnt(0) lgkmcnt(0)
	v_add_u32_e32 v0, -1, v0
	v_cmp_ne_u32_e32 vcc, 46, v0
	s_and_saveexec_b64 s[4:5], vcc
	s_cbranch_execz .LBB53_346
; %bb.345:
	v_mov_b32_e32 v1, 0
	v_lshl_add_u32 v0, v0, 3, v1
	buffer_load_dword v1, v0, s[0:3], 0 offen
	buffer_load_dword v110, v0, s[0:3], 0 offen offset:4
	buffer_load_dword v111, off, s[0:3], 0 offset:372
	buffer_load_dword v112, off, s[0:3], 0 offset:368
	s_waitcnt vmcnt(3)
	buffer_store_dword v1, off, s[0:3], 0 offset:368
	s_waitcnt vmcnt(3)
	buffer_store_dword v110, off, s[0:3], 0 offset:372
	s_waitcnt vmcnt(3)
	buffer_store_dword v111, v0, s[0:3], 0 offen offset:4
	s_waitcnt vmcnt(3)
	buffer_store_dword v112, v0, s[0:3], 0 offen
.LBB53_346:
	s_or_b64 exec, exec, s[4:5]
	v_pk_mov_b32 v[0:1], s[10:11], s[10:11] op_sel:[0,1]
	flat_load_dword v0, v[0:1] offset:180
	s_waitcnt vmcnt(0) lgkmcnt(0)
	v_add_u32_e32 v0, -1, v0
	v_cmp_ne_u32_e32 vcc, 45, v0
	s_and_saveexec_b64 s[4:5], vcc
	s_cbranch_execz .LBB53_348
; %bb.347:
	v_mov_b32_e32 v1, 0
	v_lshl_add_u32 v0, v0, 3, v1
	buffer_load_dword v1, v0, s[0:3], 0 offen
	buffer_load_dword v110, v0, s[0:3], 0 offen offset:4
	buffer_load_dword v111, off, s[0:3], 0 offset:360
	buffer_load_dword v112, off, s[0:3], 0 offset:364
	s_waitcnt vmcnt(3)
	buffer_store_dword v1, off, s[0:3], 0 offset:360
	s_waitcnt vmcnt(3)
	buffer_store_dword v110, off, s[0:3], 0 offset:364
	s_waitcnt vmcnt(3)
	buffer_store_dword v111, v0, s[0:3], 0 offen
	s_waitcnt vmcnt(3)
	buffer_store_dword v112, v0, s[0:3], 0 offen offset:4
.LBB53_348:
	s_or_b64 exec, exec, s[4:5]
	v_pk_mov_b32 v[0:1], s[10:11], s[10:11] op_sel:[0,1]
	flat_load_dword v0, v[0:1] offset:176
	s_waitcnt vmcnt(0) lgkmcnt(0)
	v_add_u32_e32 v0, -1, v0
	v_cmp_ne_u32_e32 vcc, 44, v0
	s_and_saveexec_b64 s[4:5], vcc
	s_cbranch_execz .LBB53_350
; %bb.349:
	v_mov_b32_e32 v1, 0
	v_lshl_add_u32 v0, v0, 3, v1
	buffer_load_dword v1, v0, s[0:3], 0 offen
	buffer_load_dword v110, v0, s[0:3], 0 offen offset:4
	buffer_load_dword v111, off, s[0:3], 0 offset:356
	buffer_load_dword v112, off, s[0:3], 0 offset:352
	s_waitcnt vmcnt(3)
	buffer_store_dword v1, off, s[0:3], 0 offset:352
	s_waitcnt vmcnt(3)
	buffer_store_dword v110, off, s[0:3], 0 offset:356
	s_waitcnt vmcnt(3)
	buffer_store_dword v111, v0, s[0:3], 0 offen offset:4
	s_waitcnt vmcnt(3)
	buffer_store_dword v112, v0, s[0:3], 0 offen
.LBB53_350:
	s_or_b64 exec, exec, s[4:5]
	v_pk_mov_b32 v[0:1], s[10:11], s[10:11] op_sel:[0,1]
	flat_load_dword v0, v[0:1] offset:172
	s_waitcnt vmcnt(0) lgkmcnt(0)
	v_add_u32_e32 v0, -1, v0
	v_cmp_ne_u32_e32 vcc, 43, v0
	s_and_saveexec_b64 s[4:5], vcc
	s_cbranch_execz .LBB53_352
; %bb.351:
	v_mov_b32_e32 v1, 0
	v_lshl_add_u32 v0, v0, 3, v1
	buffer_load_dword v1, v0, s[0:3], 0 offen
	buffer_load_dword v110, v0, s[0:3], 0 offen offset:4
	buffer_load_dword v111, off, s[0:3], 0 offset:344
	buffer_load_dword v112, off, s[0:3], 0 offset:348
	s_waitcnt vmcnt(3)
	buffer_store_dword v1, off, s[0:3], 0 offset:344
	s_waitcnt vmcnt(3)
	buffer_store_dword v110, off, s[0:3], 0 offset:348
	s_waitcnt vmcnt(3)
	buffer_store_dword v111, v0, s[0:3], 0 offen
	s_waitcnt vmcnt(3)
	buffer_store_dword v112, v0, s[0:3], 0 offen offset:4
.LBB53_352:
	s_or_b64 exec, exec, s[4:5]
	v_pk_mov_b32 v[0:1], s[10:11], s[10:11] op_sel:[0,1]
	flat_load_dword v0, v[0:1] offset:168
	s_waitcnt vmcnt(0) lgkmcnt(0)
	v_add_u32_e32 v0, -1, v0
	v_cmp_ne_u32_e32 vcc, 42, v0
	s_and_saveexec_b64 s[4:5], vcc
	s_cbranch_execz .LBB53_354
; %bb.353:
	v_mov_b32_e32 v1, 0
	v_lshl_add_u32 v0, v0, 3, v1
	buffer_load_dword v1, v0, s[0:3], 0 offen
	buffer_load_dword v110, v0, s[0:3], 0 offen offset:4
	buffer_load_dword v111, off, s[0:3], 0 offset:340
	buffer_load_dword v112, off, s[0:3], 0 offset:336
	s_waitcnt vmcnt(3)
	buffer_store_dword v1, off, s[0:3], 0 offset:336
	s_waitcnt vmcnt(3)
	buffer_store_dword v110, off, s[0:3], 0 offset:340
	s_waitcnt vmcnt(3)
	buffer_store_dword v111, v0, s[0:3], 0 offen offset:4
	s_waitcnt vmcnt(3)
	buffer_store_dword v112, v0, s[0:3], 0 offen
.LBB53_354:
	s_or_b64 exec, exec, s[4:5]
	v_pk_mov_b32 v[0:1], s[10:11], s[10:11] op_sel:[0,1]
	flat_load_dword v0, v[0:1] offset:164
	s_waitcnt vmcnt(0) lgkmcnt(0)
	v_add_u32_e32 v0, -1, v0
	v_cmp_ne_u32_e32 vcc, 41, v0
	s_and_saveexec_b64 s[4:5], vcc
	s_cbranch_execz .LBB53_356
; %bb.355:
	v_mov_b32_e32 v1, 0
	v_lshl_add_u32 v0, v0, 3, v1
	buffer_load_dword v1, v0, s[0:3], 0 offen
	buffer_load_dword v110, v0, s[0:3], 0 offen offset:4
	buffer_load_dword v111, off, s[0:3], 0 offset:328
	buffer_load_dword v112, off, s[0:3], 0 offset:332
	s_waitcnt vmcnt(3)
	buffer_store_dword v1, off, s[0:3], 0 offset:328
	s_waitcnt vmcnt(3)
	buffer_store_dword v110, off, s[0:3], 0 offset:332
	s_waitcnt vmcnt(3)
	buffer_store_dword v111, v0, s[0:3], 0 offen
	s_waitcnt vmcnt(3)
	buffer_store_dword v112, v0, s[0:3], 0 offen offset:4
.LBB53_356:
	s_or_b64 exec, exec, s[4:5]
	v_pk_mov_b32 v[0:1], s[10:11], s[10:11] op_sel:[0,1]
	flat_load_dword v0, v[0:1] offset:160
	s_waitcnt vmcnt(0) lgkmcnt(0)
	v_add_u32_e32 v0, -1, v0
	v_cmp_ne_u32_e32 vcc, 40, v0
	s_and_saveexec_b64 s[4:5], vcc
	s_cbranch_execz .LBB53_358
; %bb.357:
	v_mov_b32_e32 v1, 0
	v_lshl_add_u32 v0, v0, 3, v1
	buffer_load_dword v1, v0, s[0:3], 0 offen
	buffer_load_dword v110, v0, s[0:3], 0 offen offset:4
	buffer_load_dword v111, off, s[0:3], 0 offset:324
	buffer_load_dword v112, off, s[0:3], 0 offset:320
	s_waitcnt vmcnt(3)
	buffer_store_dword v1, off, s[0:3], 0 offset:320
	s_waitcnt vmcnt(3)
	buffer_store_dword v110, off, s[0:3], 0 offset:324
	s_waitcnt vmcnt(3)
	buffer_store_dword v111, v0, s[0:3], 0 offen offset:4
	s_waitcnt vmcnt(3)
	buffer_store_dword v112, v0, s[0:3], 0 offen
.LBB53_358:
	s_or_b64 exec, exec, s[4:5]
	v_pk_mov_b32 v[0:1], s[10:11], s[10:11] op_sel:[0,1]
	flat_load_dword v0, v[0:1] offset:156
	s_waitcnt vmcnt(0) lgkmcnt(0)
	v_add_u32_e32 v0, -1, v0
	v_cmp_ne_u32_e32 vcc, 39, v0
	s_and_saveexec_b64 s[4:5], vcc
	s_cbranch_execz .LBB53_360
; %bb.359:
	v_mov_b32_e32 v1, 0
	v_lshl_add_u32 v0, v0, 3, v1
	buffer_load_dword v1, v0, s[0:3], 0 offen
	buffer_load_dword v110, v0, s[0:3], 0 offen offset:4
	buffer_load_dword v111, off, s[0:3], 0 offset:312
	buffer_load_dword v112, off, s[0:3], 0 offset:316
	s_waitcnt vmcnt(3)
	buffer_store_dword v1, off, s[0:3], 0 offset:312
	s_waitcnt vmcnt(3)
	buffer_store_dword v110, off, s[0:3], 0 offset:316
	s_waitcnt vmcnt(3)
	buffer_store_dword v111, v0, s[0:3], 0 offen
	s_waitcnt vmcnt(3)
	buffer_store_dword v112, v0, s[0:3], 0 offen offset:4
.LBB53_360:
	s_or_b64 exec, exec, s[4:5]
	v_pk_mov_b32 v[0:1], s[10:11], s[10:11] op_sel:[0,1]
	flat_load_dword v0, v[0:1] offset:152
	s_waitcnt vmcnt(0) lgkmcnt(0)
	v_add_u32_e32 v0, -1, v0
	v_cmp_ne_u32_e32 vcc, 38, v0
	s_and_saveexec_b64 s[4:5], vcc
	s_cbranch_execz .LBB53_362
; %bb.361:
	v_mov_b32_e32 v1, 0
	v_lshl_add_u32 v0, v0, 3, v1
	buffer_load_dword v1, v0, s[0:3], 0 offen
	buffer_load_dword v110, v0, s[0:3], 0 offen offset:4
	buffer_load_dword v111, off, s[0:3], 0 offset:308
	buffer_load_dword v112, off, s[0:3], 0 offset:304
	s_waitcnt vmcnt(3)
	buffer_store_dword v1, off, s[0:3], 0 offset:304
	s_waitcnt vmcnt(3)
	buffer_store_dword v110, off, s[0:3], 0 offset:308
	s_waitcnt vmcnt(3)
	buffer_store_dword v111, v0, s[0:3], 0 offen offset:4
	s_waitcnt vmcnt(3)
	buffer_store_dword v112, v0, s[0:3], 0 offen
.LBB53_362:
	s_or_b64 exec, exec, s[4:5]
	v_pk_mov_b32 v[0:1], s[10:11], s[10:11] op_sel:[0,1]
	flat_load_dword v0, v[0:1] offset:148
	s_waitcnt vmcnt(0) lgkmcnt(0)
	v_add_u32_e32 v0, -1, v0
	v_cmp_ne_u32_e32 vcc, 37, v0
	s_and_saveexec_b64 s[4:5], vcc
	s_cbranch_execz .LBB53_364
; %bb.363:
	v_mov_b32_e32 v1, 0
	v_lshl_add_u32 v0, v0, 3, v1
	buffer_load_dword v1, v0, s[0:3], 0 offen
	buffer_load_dword v110, v0, s[0:3], 0 offen offset:4
	buffer_load_dword v111, off, s[0:3], 0 offset:296
	buffer_load_dword v112, off, s[0:3], 0 offset:300
	s_waitcnt vmcnt(3)
	buffer_store_dword v1, off, s[0:3], 0 offset:296
	s_waitcnt vmcnt(3)
	buffer_store_dword v110, off, s[0:3], 0 offset:300
	s_waitcnt vmcnt(3)
	buffer_store_dword v111, v0, s[0:3], 0 offen
	s_waitcnt vmcnt(3)
	buffer_store_dword v112, v0, s[0:3], 0 offen offset:4
.LBB53_364:
	s_or_b64 exec, exec, s[4:5]
	v_pk_mov_b32 v[0:1], s[10:11], s[10:11] op_sel:[0,1]
	flat_load_dword v0, v[0:1] offset:144
	s_waitcnt vmcnt(0) lgkmcnt(0)
	v_add_u32_e32 v0, -1, v0
	v_cmp_ne_u32_e32 vcc, 36, v0
	s_and_saveexec_b64 s[4:5], vcc
	s_cbranch_execz .LBB53_366
; %bb.365:
	v_mov_b32_e32 v1, 0
	v_lshl_add_u32 v0, v0, 3, v1
	buffer_load_dword v1, v0, s[0:3], 0 offen
	buffer_load_dword v110, v0, s[0:3], 0 offen offset:4
	buffer_load_dword v111, off, s[0:3], 0 offset:292
	buffer_load_dword v112, off, s[0:3], 0 offset:288
	s_waitcnt vmcnt(3)
	buffer_store_dword v1, off, s[0:3], 0 offset:288
	s_waitcnt vmcnt(3)
	buffer_store_dword v110, off, s[0:3], 0 offset:292
	s_waitcnt vmcnt(3)
	buffer_store_dword v111, v0, s[0:3], 0 offen offset:4
	s_waitcnt vmcnt(3)
	buffer_store_dword v112, v0, s[0:3], 0 offen
.LBB53_366:
	s_or_b64 exec, exec, s[4:5]
	v_pk_mov_b32 v[0:1], s[10:11], s[10:11] op_sel:[0,1]
	flat_load_dword v0, v[0:1] offset:140
	s_waitcnt vmcnt(0) lgkmcnt(0)
	v_add_u32_e32 v0, -1, v0
	v_cmp_ne_u32_e32 vcc, 35, v0
	s_and_saveexec_b64 s[4:5], vcc
	s_cbranch_execz .LBB53_368
; %bb.367:
	v_mov_b32_e32 v1, 0
	v_lshl_add_u32 v0, v0, 3, v1
	buffer_load_dword v1, v0, s[0:3], 0 offen
	buffer_load_dword v110, v0, s[0:3], 0 offen offset:4
	buffer_load_dword v111, off, s[0:3], 0 offset:280
	buffer_load_dword v112, off, s[0:3], 0 offset:284
	s_waitcnt vmcnt(3)
	buffer_store_dword v1, off, s[0:3], 0 offset:280
	s_waitcnt vmcnt(3)
	buffer_store_dword v110, off, s[0:3], 0 offset:284
	s_waitcnt vmcnt(3)
	buffer_store_dword v111, v0, s[0:3], 0 offen
	s_waitcnt vmcnt(3)
	buffer_store_dword v112, v0, s[0:3], 0 offen offset:4
.LBB53_368:
	s_or_b64 exec, exec, s[4:5]
	v_pk_mov_b32 v[0:1], s[10:11], s[10:11] op_sel:[0,1]
	flat_load_dword v0, v[0:1] offset:136
	s_waitcnt vmcnt(0) lgkmcnt(0)
	v_add_u32_e32 v0, -1, v0
	v_cmp_ne_u32_e32 vcc, 34, v0
	s_and_saveexec_b64 s[4:5], vcc
	s_cbranch_execz .LBB53_370
; %bb.369:
	v_mov_b32_e32 v1, 0
	v_lshl_add_u32 v0, v0, 3, v1
	buffer_load_dword v1, v0, s[0:3], 0 offen
	buffer_load_dword v110, v0, s[0:3], 0 offen offset:4
	buffer_load_dword v111, off, s[0:3], 0 offset:276
	buffer_load_dword v112, off, s[0:3], 0 offset:272
	s_waitcnt vmcnt(3)
	buffer_store_dword v1, off, s[0:3], 0 offset:272
	s_waitcnt vmcnt(3)
	buffer_store_dword v110, off, s[0:3], 0 offset:276
	s_waitcnt vmcnt(3)
	buffer_store_dword v111, v0, s[0:3], 0 offen offset:4
	s_waitcnt vmcnt(3)
	buffer_store_dword v112, v0, s[0:3], 0 offen
.LBB53_370:
	s_or_b64 exec, exec, s[4:5]
	v_pk_mov_b32 v[0:1], s[10:11], s[10:11] op_sel:[0,1]
	flat_load_dword v0, v[0:1] offset:132
	s_waitcnt vmcnt(0) lgkmcnt(0)
	v_add_u32_e32 v0, -1, v0
	v_cmp_ne_u32_e32 vcc, 33, v0
	s_and_saveexec_b64 s[4:5], vcc
	s_cbranch_execz .LBB53_372
; %bb.371:
	v_mov_b32_e32 v1, 0
	v_lshl_add_u32 v0, v0, 3, v1
	buffer_load_dword v1, v0, s[0:3], 0 offen
	buffer_load_dword v110, v0, s[0:3], 0 offen offset:4
	buffer_load_dword v111, off, s[0:3], 0 offset:264
	buffer_load_dword v112, off, s[0:3], 0 offset:268
	s_waitcnt vmcnt(3)
	buffer_store_dword v1, off, s[0:3], 0 offset:264
	s_waitcnt vmcnt(3)
	buffer_store_dword v110, off, s[0:3], 0 offset:268
	s_waitcnt vmcnt(3)
	buffer_store_dword v111, v0, s[0:3], 0 offen
	s_waitcnt vmcnt(3)
	buffer_store_dword v112, v0, s[0:3], 0 offen offset:4
.LBB53_372:
	s_or_b64 exec, exec, s[4:5]
	v_pk_mov_b32 v[0:1], s[10:11], s[10:11] op_sel:[0,1]
	flat_load_dword v0, v[0:1] offset:128
	s_waitcnt vmcnt(0) lgkmcnt(0)
	v_add_u32_e32 v0, -1, v0
	v_cmp_ne_u32_e32 vcc, 32, v0
	s_and_saveexec_b64 s[4:5], vcc
	s_cbranch_execz .LBB53_374
; %bb.373:
	v_mov_b32_e32 v1, 0
	v_lshl_add_u32 v0, v0, 3, v1
	buffer_load_dword v1, v0, s[0:3], 0 offen
	buffer_load_dword v110, v0, s[0:3], 0 offen offset:4
	buffer_load_dword v111, off, s[0:3], 0 offset:260
	buffer_load_dword v112, off, s[0:3], 0 offset:256
	s_waitcnt vmcnt(3)
	buffer_store_dword v1, off, s[0:3], 0 offset:256
	s_waitcnt vmcnt(3)
	buffer_store_dword v110, off, s[0:3], 0 offset:260
	s_waitcnt vmcnt(3)
	buffer_store_dword v111, v0, s[0:3], 0 offen offset:4
	s_waitcnt vmcnt(3)
	buffer_store_dword v112, v0, s[0:3], 0 offen
.LBB53_374:
	s_or_b64 exec, exec, s[4:5]
	v_pk_mov_b32 v[0:1], s[10:11], s[10:11] op_sel:[0,1]
	flat_load_dword v0, v[0:1] offset:124
	s_waitcnt vmcnt(0) lgkmcnt(0)
	v_add_u32_e32 v0, -1, v0
	v_cmp_ne_u32_e32 vcc, 31, v0
	s_and_saveexec_b64 s[4:5], vcc
	s_cbranch_execz .LBB53_376
; %bb.375:
	v_mov_b32_e32 v1, 0
	v_lshl_add_u32 v0, v0, 3, v1
	buffer_load_dword v1, v0, s[0:3], 0 offen
	buffer_load_dword v110, v0, s[0:3], 0 offen offset:4
	buffer_load_dword v111, off, s[0:3], 0 offset:248
	buffer_load_dword v112, off, s[0:3], 0 offset:252
	s_waitcnt vmcnt(3)
	buffer_store_dword v1, off, s[0:3], 0 offset:248
	s_waitcnt vmcnt(3)
	buffer_store_dword v110, off, s[0:3], 0 offset:252
	s_waitcnt vmcnt(3)
	buffer_store_dword v111, v0, s[0:3], 0 offen
	s_waitcnt vmcnt(3)
	buffer_store_dword v112, v0, s[0:3], 0 offen offset:4
.LBB53_376:
	s_or_b64 exec, exec, s[4:5]
	v_pk_mov_b32 v[0:1], s[10:11], s[10:11] op_sel:[0,1]
	flat_load_dword v0, v[0:1] offset:120
	s_waitcnt vmcnt(0) lgkmcnt(0)
	v_add_u32_e32 v0, -1, v0
	v_cmp_ne_u32_e32 vcc, 30, v0
	s_and_saveexec_b64 s[4:5], vcc
	s_cbranch_execz .LBB53_378
; %bb.377:
	v_mov_b32_e32 v1, 0
	v_lshl_add_u32 v0, v0, 3, v1
	buffer_load_dword v1, v0, s[0:3], 0 offen
	buffer_load_dword v110, v0, s[0:3], 0 offen offset:4
	buffer_load_dword v111, off, s[0:3], 0 offset:244
	buffer_load_dword v112, off, s[0:3], 0 offset:240
	s_waitcnt vmcnt(3)
	buffer_store_dword v1, off, s[0:3], 0 offset:240
	s_waitcnt vmcnt(3)
	buffer_store_dword v110, off, s[0:3], 0 offset:244
	s_waitcnt vmcnt(3)
	buffer_store_dword v111, v0, s[0:3], 0 offen offset:4
	s_waitcnt vmcnt(3)
	buffer_store_dword v112, v0, s[0:3], 0 offen
.LBB53_378:
	s_or_b64 exec, exec, s[4:5]
	v_pk_mov_b32 v[0:1], s[10:11], s[10:11] op_sel:[0,1]
	flat_load_dword v0, v[0:1] offset:116
	s_waitcnt vmcnt(0) lgkmcnt(0)
	v_add_u32_e32 v0, -1, v0
	v_cmp_ne_u32_e32 vcc, 29, v0
	s_and_saveexec_b64 s[4:5], vcc
	s_cbranch_execz .LBB53_380
; %bb.379:
	v_mov_b32_e32 v1, 0
	v_lshl_add_u32 v0, v0, 3, v1
	buffer_load_dword v1, v0, s[0:3], 0 offen
	buffer_load_dword v110, v0, s[0:3], 0 offen offset:4
	buffer_load_dword v111, off, s[0:3], 0 offset:232
	buffer_load_dword v112, off, s[0:3], 0 offset:236
	s_waitcnt vmcnt(3)
	buffer_store_dword v1, off, s[0:3], 0 offset:232
	s_waitcnt vmcnt(3)
	buffer_store_dword v110, off, s[0:3], 0 offset:236
	s_waitcnt vmcnt(3)
	buffer_store_dword v111, v0, s[0:3], 0 offen
	s_waitcnt vmcnt(3)
	buffer_store_dword v112, v0, s[0:3], 0 offen offset:4
.LBB53_380:
	s_or_b64 exec, exec, s[4:5]
	v_pk_mov_b32 v[0:1], s[10:11], s[10:11] op_sel:[0,1]
	flat_load_dword v0, v[0:1] offset:112
	s_waitcnt vmcnt(0) lgkmcnt(0)
	v_add_u32_e32 v0, -1, v0
	v_cmp_ne_u32_e32 vcc, 28, v0
	s_and_saveexec_b64 s[4:5], vcc
	s_cbranch_execz .LBB53_382
; %bb.381:
	v_mov_b32_e32 v1, 0
	v_lshl_add_u32 v0, v0, 3, v1
	buffer_load_dword v1, v0, s[0:3], 0 offen
	buffer_load_dword v110, v0, s[0:3], 0 offen offset:4
	buffer_load_dword v111, off, s[0:3], 0 offset:228
	buffer_load_dword v112, off, s[0:3], 0 offset:224
	s_waitcnt vmcnt(3)
	buffer_store_dword v1, off, s[0:3], 0 offset:224
	s_waitcnt vmcnt(3)
	buffer_store_dword v110, off, s[0:3], 0 offset:228
	s_waitcnt vmcnt(3)
	buffer_store_dword v111, v0, s[0:3], 0 offen offset:4
	s_waitcnt vmcnt(3)
	buffer_store_dword v112, v0, s[0:3], 0 offen
.LBB53_382:
	s_or_b64 exec, exec, s[4:5]
	v_pk_mov_b32 v[0:1], s[10:11], s[10:11] op_sel:[0,1]
	flat_load_dword v0, v[0:1] offset:108
	s_waitcnt vmcnt(0) lgkmcnt(0)
	v_add_u32_e32 v0, -1, v0
	v_cmp_ne_u32_e32 vcc, 27, v0
	s_and_saveexec_b64 s[4:5], vcc
	s_cbranch_execz .LBB53_384
; %bb.383:
	v_mov_b32_e32 v1, 0
	v_lshl_add_u32 v0, v0, 3, v1
	buffer_load_dword v1, v0, s[0:3], 0 offen
	buffer_load_dword v110, v0, s[0:3], 0 offen offset:4
	buffer_load_dword v111, off, s[0:3], 0 offset:216
	buffer_load_dword v112, off, s[0:3], 0 offset:220
	s_waitcnt vmcnt(3)
	buffer_store_dword v1, off, s[0:3], 0 offset:216
	s_waitcnt vmcnt(3)
	buffer_store_dword v110, off, s[0:3], 0 offset:220
	s_waitcnt vmcnt(3)
	buffer_store_dword v111, v0, s[0:3], 0 offen
	s_waitcnt vmcnt(3)
	buffer_store_dword v112, v0, s[0:3], 0 offen offset:4
.LBB53_384:
	s_or_b64 exec, exec, s[4:5]
	v_pk_mov_b32 v[0:1], s[10:11], s[10:11] op_sel:[0,1]
	flat_load_dword v0, v[0:1] offset:104
	s_waitcnt vmcnt(0) lgkmcnt(0)
	v_add_u32_e32 v0, -1, v0
	v_cmp_ne_u32_e32 vcc, 26, v0
	s_and_saveexec_b64 s[4:5], vcc
	s_cbranch_execz .LBB53_386
; %bb.385:
	v_mov_b32_e32 v1, 0
	v_lshl_add_u32 v0, v0, 3, v1
	buffer_load_dword v1, v0, s[0:3], 0 offen
	buffer_load_dword v110, v0, s[0:3], 0 offen offset:4
	buffer_load_dword v111, off, s[0:3], 0 offset:212
	buffer_load_dword v112, off, s[0:3], 0 offset:208
	s_waitcnt vmcnt(3)
	buffer_store_dword v1, off, s[0:3], 0 offset:208
	s_waitcnt vmcnt(3)
	buffer_store_dword v110, off, s[0:3], 0 offset:212
	s_waitcnt vmcnt(3)
	buffer_store_dword v111, v0, s[0:3], 0 offen offset:4
	s_waitcnt vmcnt(3)
	buffer_store_dword v112, v0, s[0:3], 0 offen
.LBB53_386:
	s_or_b64 exec, exec, s[4:5]
	v_pk_mov_b32 v[0:1], s[10:11], s[10:11] op_sel:[0,1]
	flat_load_dword v0, v[0:1] offset:100
	s_waitcnt vmcnt(0) lgkmcnt(0)
	v_add_u32_e32 v0, -1, v0
	v_cmp_ne_u32_e32 vcc, 25, v0
	s_and_saveexec_b64 s[4:5], vcc
	s_cbranch_execz .LBB53_388
; %bb.387:
	v_mov_b32_e32 v1, 0
	v_lshl_add_u32 v0, v0, 3, v1
	buffer_load_dword v1, v0, s[0:3], 0 offen
	buffer_load_dword v110, v0, s[0:3], 0 offen offset:4
	buffer_load_dword v111, off, s[0:3], 0 offset:200
	buffer_load_dword v112, off, s[0:3], 0 offset:204
	s_waitcnt vmcnt(3)
	buffer_store_dword v1, off, s[0:3], 0 offset:200
	s_waitcnt vmcnt(3)
	buffer_store_dword v110, off, s[0:3], 0 offset:204
	s_waitcnt vmcnt(3)
	buffer_store_dword v111, v0, s[0:3], 0 offen
	s_waitcnt vmcnt(3)
	buffer_store_dword v112, v0, s[0:3], 0 offen offset:4
.LBB53_388:
	s_or_b64 exec, exec, s[4:5]
	v_pk_mov_b32 v[0:1], s[10:11], s[10:11] op_sel:[0,1]
	flat_load_dword v0, v[0:1] offset:96
	s_waitcnt vmcnt(0) lgkmcnt(0)
	v_add_u32_e32 v0, -1, v0
	v_cmp_ne_u32_e32 vcc, 24, v0
	s_and_saveexec_b64 s[4:5], vcc
	s_cbranch_execz .LBB53_390
; %bb.389:
	v_mov_b32_e32 v1, 0
	v_lshl_add_u32 v0, v0, 3, v1
	buffer_load_dword v1, v0, s[0:3], 0 offen
	buffer_load_dword v110, v0, s[0:3], 0 offen offset:4
	buffer_load_dword v111, off, s[0:3], 0 offset:196
	buffer_load_dword v112, off, s[0:3], 0 offset:192
	s_waitcnt vmcnt(3)
	buffer_store_dword v1, off, s[0:3], 0 offset:192
	s_waitcnt vmcnt(3)
	buffer_store_dword v110, off, s[0:3], 0 offset:196
	s_waitcnt vmcnt(3)
	buffer_store_dword v111, v0, s[0:3], 0 offen offset:4
	s_waitcnt vmcnt(3)
	buffer_store_dword v112, v0, s[0:3], 0 offen
.LBB53_390:
	s_or_b64 exec, exec, s[4:5]
	v_pk_mov_b32 v[0:1], s[10:11], s[10:11] op_sel:[0,1]
	flat_load_dword v0, v[0:1] offset:92
	s_waitcnt vmcnt(0) lgkmcnt(0)
	v_add_u32_e32 v0, -1, v0
	v_cmp_ne_u32_e32 vcc, 23, v0
	s_and_saveexec_b64 s[4:5], vcc
	s_cbranch_execz .LBB53_392
; %bb.391:
	v_mov_b32_e32 v1, 0
	v_lshl_add_u32 v0, v0, 3, v1
	buffer_load_dword v1, v0, s[0:3], 0 offen
	buffer_load_dword v110, v0, s[0:3], 0 offen offset:4
	buffer_load_dword v111, off, s[0:3], 0 offset:184
	buffer_load_dword v112, off, s[0:3], 0 offset:188
	s_waitcnt vmcnt(3)
	buffer_store_dword v1, off, s[0:3], 0 offset:184
	s_waitcnt vmcnt(3)
	buffer_store_dword v110, off, s[0:3], 0 offset:188
	s_waitcnt vmcnt(3)
	buffer_store_dword v111, v0, s[0:3], 0 offen
	s_waitcnt vmcnt(3)
	buffer_store_dword v112, v0, s[0:3], 0 offen offset:4
.LBB53_392:
	s_or_b64 exec, exec, s[4:5]
	v_pk_mov_b32 v[0:1], s[10:11], s[10:11] op_sel:[0,1]
	flat_load_dword v0, v[0:1] offset:88
	s_waitcnt vmcnt(0) lgkmcnt(0)
	v_add_u32_e32 v0, -1, v0
	v_cmp_ne_u32_e32 vcc, 22, v0
	s_and_saveexec_b64 s[4:5], vcc
	s_cbranch_execz .LBB53_394
; %bb.393:
	v_mov_b32_e32 v1, 0
	v_lshl_add_u32 v0, v0, 3, v1
	buffer_load_dword v1, v0, s[0:3], 0 offen
	buffer_load_dword v110, v0, s[0:3], 0 offen offset:4
	buffer_load_dword v111, off, s[0:3], 0 offset:180
	buffer_load_dword v112, off, s[0:3], 0 offset:176
	s_waitcnt vmcnt(3)
	buffer_store_dword v1, off, s[0:3], 0 offset:176
	s_waitcnt vmcnt(3)
	buffer_store_dword v110, off, s[0:3], 0 offset:180
	s_waitcnt vmcnt(3)
	buffer_store_dword v111, v0, s[0:3], 0 offen offset:4
	s_waitcnt vmcnt(3)
	buffer_store_dword v112, v0, s[0:3], 0 offen
.LBB53_394:
	s_or_b64 exec, exec, s[4:5]
	v_pk_mov_b32 v[0:1], s[10:11], s[10:11] op_sel:[0,1]
	flat_load_dword v0, v[0:1] offset:84
	s_waitcnt vmcnt(0) lgkmcnt(0)
	v_add_u32_e32 v0, -1, v0
	v_cmp_ne_u32_e32 vcc, 21, v0
	s_and_saveexec_b64 s[4:5], vcc
	s_cbranch_execz .LBB53_396
; %bb.395:
	v_mov_b32_e32 v1, 0
	v_lshl_add_u32 v0, v0, 3, v1
	buffer_load_dword v1, v0, s[0:3], 0 offen
	buffer_load_dword v110, v0, s[0:3], 0 offen offset:4
	buffer_load_dword v111, off, s[0:3], 0 offset:168
	buffer_load_dword v112, off, s[0:3], 0 offset:172
	s_waitcnt vmcnt(3)
	buffer_store_dword v1, off, s[0:3], 0 offset:168
	s_waitcnt vmcnt(3)
	buffer_store_dword v110, off, s[0:3], 0 offset:172
	s_waitcnt vmcnt(3)
	buffer_store_dword v111, v0, s[0:3], 0 offen
	s_waitcnt vmcnt(3)
	buffer_store_dword v112, v0, s[0:3], 0 offen offset:4
.LBB53_396:
	s_or_b64 exec, exec, s[4:5]
	v_pk_mov_b32 v[0:1], s[10:11], s[10:11] op_sel:[0,1]
	flat_load_dword v0, v[0:1] offset:80
	s_waitcnt vmcnt(0) lgkmcnt(0)
	v_add_u32_e32 v0, -1, v0
	v_cmp_ne_u32_e32 vcc, 20, v0
	s_and_saveexec_b64 s[4:5], vcc
	s_cbranch_execz .LBB53_398
; %bb.397:
	v_mov_b32_e32 v1, 0
	v_lshl_add_u32 v0, v0, 3, v1
	buffer_load_dword v1, v0, s[0:3], 0 offen
	buffer_load_dword v110, v0, s[0:3], 0 offen offset:4
	buffer_load_dword v111, off, s[0:3], 0 offset:164
	buffer_load_dword v112, off, s[0:3], 0 offset:160
	s_waitcnt vmcnt(3)
	buffer_store_dword v1, off, s[0:3], 0 offset:160
	s_waitcnt vmcnt(3)
	buffer_store_dword v110, off, s[0:3], 0 offset:164
	s_waitcnt vmcnt(3)
	buffer_store_dword v111, v0, s[0:3], 0 offen offset:4
	s_waitcnt vmcnt(3)
	buffer_store_dword v112, v0, s[0:3], 0 offen
.LBB53_398:
	s_or_b64 exec, exec, s[4:5]
	v_pk_mov_b32 v[0:1], s[10:11], s[10:11] op_sel:[0,1]
	flat_load_dword v0, v[0:1] offset:76
	s_waitcnt vmcnt(0) lgkmcnt(0)
	v_add_u32_e32 v0, -1, v0
	v_cmp_ne_u32_e32 vcc, 19, v0
	s_and_saveexec_b64 s[4:5], vcc
	s_cbranch_execz .LBB53_400
; %bb.399:
	v_mov_b32_e32 v1, 0
	v_lshl_add_u32 v0, v0, 3, v1
	buffer_load_dword v1, v0, s[0:3], 0 offen
	buffer_load_dword v110, v0, s[0:3], 0 offen offset:4
	buffer_load_dword v111, off, s[0:3], 0 offset:152
	buffer_load_dword v112, off, s[0:3], 0 offset:156
	s_waitcnt vmcnt(3)
	buffer_store_dword v1, off, s[0:3], 0 offset:152
	s_waitcnt vmcnt(3)
	buffer_store_dword v110, off, s[0:3], 0 offset:156
	s_waitcnt vmcnt(3)
	buffer_store_dword v111, v0, s[0:3], 0 offen
	s_waitcnt vmcnt(3)
	buffer_store_dword v112, v0, s[0:3], 0 offen offset:4
.LBB53_400:
	s_or_b64 exec, exec, s[4:5]
	v_pk_mov_b32 v[0:1], s[10:11], s[10:11] op_sel:[0,1]
	flat_load_dword v0, v[0:1] offset:72
	s_waitcnt vmcnt(0) lgkmcnt(0)
	v_add_u32_e32 v0, -1, v0
	v_cmp_ne_u32_e32 vcc, 18, v0
	s_and_saveexec_b64 s[4:5], vcc
	s_cbranch_execz .LBB53_402
; %bb.401:
	v_mov_b32_e32 v1, 0
	v_lshl_add_u32 v0, v0, 3, v1
	buffer_load_dword v1, v0, s[0:3], 0 offen
	buffer_load_dword v110, v0, s[0:3], 0 offen offset:4
	buffer_load_dword v111, off, s[0:3], 0 offset:148
	buffer_load_dword v112, off, s[0:3], 0 offset:144
	s_waitcnt vmcnt(3)
	buffer_store_dword v1, off, s[0:3], 0 offset:144
	s_waitcnt vmcnt(3)
	buffer_store_dword v110, off, s[0:3], 0 offset:148
	s_waitcnt vmcnt(3)
	buffer_store_dword v111, v0, s[0:3], 0 offen offset:4
	s_waitcnt vmcnt(3)
	buffer_store_dword v112, v0, s[0:3], 0 offen
.LBB53_402:
	s_or_b64 exec, exec, s[4:5]
	v_pk_mov_b32 v[0:1], s[10:11], s[10:11] op_sel:[0,1]
	flat_load_dword v0, v[0:1] offset:68
	s_waitcnt vmcnt(0) lgkmcnt(0)
	v_add_u32_e32 v0, -1, v0
	v_cmp_ne_u32_e32 vcc, 17, v0
	s_and_saveexec_b64 s[4:5], vcc
	s_cbranch_execz .LBB53_404
; %bb.403:
	v_mov_b32_e32 v1, 0
	v_lshl_add_u32 v0, v0, 3, v1
	buffer_load_dword v1, v0, s[0:3], 0 offen
	buffer_load_dword v110, v0, s[0:3], 0 offen offset:4
	buffer_load_dword v111, off, s[0:3], 0 offset:136
	buffer_load_dword v112, off, s[0:3], 0 offset:140
	s_waitcnt vmcnt(3)
	buffer_store_dword v1, off, s[0:3], 0 offset:136
	s_waitcnt vmcnt(3)
	buffer_store_dword v110, off, s[0:3], 0 offset:140
	s_waitcnt vmcnt(3)
	buffer_store_dword v111, v0, s[0:3], 0 offen
	s_waitcnt vmcnt(3)
	buffer_store_dword v112, v0, s[0:3], 0 offen offset:4
.LBB53_404:
	s_or_b64 exec, exec, s[4:5]
	v_pk_mov_b32 v[0:1], s[10:11], s[10:11] op_sel:[0,1]
	flat_load_dword v0, v[0:1] offset:64
	s_waitcnt vmcnt(0) lgkmcnt(0)
	v_add_u32_e32 v0, -1, v0
	v_cmp_ne_u32_e32 vcc, 16, v0
	s_and_saveexec_b64 s[4:5], vcc
	s_cbranch_execz .LBB53_406
; %bb.405:
	v_mov_b32_e32 v1, 0
	v_lshl_add_u32 v0, v0, 3, v1
	buffer_load_dword v1, v0, s[0:3], 0 offen
	buffer_load_dword v110, v0, s[0:3], 0 offen offset:4
	buffer_load_dword v111, off, s[0:3], 0 offset:132
	buffer_load_dword v112, off, s[0:3], 0 offset:128
	s_waitcnt vmcnt(3)
	buffer_store_dword v1, off, s[0:3], 0 offset:128
	s_waitcnt vmcnt(3)
	buffer_store_dword v110, off, s[0:3], 0 offset:132
	s_waitcnt vmcnt(3)
	buffer_store_dword v111, v0, s[0:3], 0 offen offset:4
	s_waitcnt vmcnt(3)
	buffer_store_dword v112, v0, s[0:3], 0 offen
.LBB53_406:
	s_or_b64 exec, exec, s[4:5]
	v_pk_mov_b32 v[0:1], s[10:11], s[10:11] op_sel:[0,1]
	flat_load_dword v0, v[0:1] offset:60
	s_waitcnt vmcnt(0) lgkmcnt(0)
	v_add_u32_e32 v0, -1, v0
	v_cmp_ne_u32_e32 vcc, 15, v0
	s_and_saveexec_b64 s[4:5], vcc
	s_cbranch_execz .LBB53_408
; %bb.407:
	v_mov_b32_e32 v1, 0
	v_lshl_add_u32 v0, v0, 3, v1
	buffer_load_dword v1, v0, s[0:3], 0 offen
	buffer_load_dword v110, v0, s[0:3], 0 offen offset:4
	buffer_load_dword v111, off, s[0:3], 0 offset:120
	buffer_load_dword v112, off, s[0:3], 0 offset:124
	s_waitcnt vmcnt(3)
	buffer_store_dword v1, off, s[0:3], 0 offset:120
	s_waitcnt vmcnt(3)
	buffer_store_dword v110, off, s[0:3], 0 offset:124
	s_waitcnt vmcnt(3)
	buffer_store_dword v111, v0, s[0:3], 0 offen
	s_waitcnt vmcnt(3)
	buffer_store_dword v112, v0, s[0:3], 0 offen offset:4
.LBB53_408:
	s_or_b64 exec, exec, s[4:5]
	v_pk_mov_b32 v[0:1], s[10:11], s[10:11] op_sel:[0,1]
	flat_load_dword v0, v[0:1] offset:56
	s_waitcnt vmcnt(0) lgkmcnt(0)
	v_add_u32_e32 v0, -1, v0
	v_cmp_ne_u32_e32 vcc, 14, v0
	s_and_saveexec_b64 s[4:5], vcc
	s_cbranch_execz .LBB53_410
; %bb.409:
	v_mov_b32_e32 v1, 0
	v_lshl_add_u32 v0, v0, 3, v1
	buffer_load_dword v1, v0, s[0:3], 0 offen
	buffer_load_dword v110, v0, s[0:3], 0 offen offset:4
	buffer_load_dword v111, off, s[0:3], 0 offset:116
	buffer_load_dword v112, off, s[0:3], 0 offset:112
	s_waitcnt vmcnt(3)
	buffer_store_dword v1, off, s[0:3], 0 offset:112
	s_waitcnt vmcnt(3)
	buffer_store_dword v110, off, s[0:3], 0 offset:116
	s_waitcnt vmcnt(3)
	buffer_store_dword v111, v0, s[0:3], 0 offen offset:4
	s_waitcnt vmcnt(3)
	buffer_store_dword v112, v0, s[0:3], 0 offen
.LBB53_410:
	s_or_b64 exec, exec, s[4:5]
	v_pk_mov_b32 v[0:1], s[10:11], s[10:11] op_sel:[0,1]
	flat_load_dword v0, v[0:1] offset:52
	s_waitcnt vmcnt(0) lgkmcnt(0)
	v_add_u32_e32 v0, -1, v0
	v_cmp_ne_u32_e32 vcc, 13, v0
	s_and_saveexec_b64 s[4:5], vcc
	s_cbranch_execz .LBB53_412
; %bb.411:
	v_mov_b32_e32 v1, 0
	v_lshl_add_u32 v0, v0, 3, v1
	buffer_load_dword v1, v0, s[0:3], 0 offen
	buffer_load_dword v110, v0, s[0:3], 0 offen offset:4
	buffer_load_dword v111, off, s[0:3], 0 offset:104
	buffer_load_dword v112, off, s[0:3], 0 offset:108
	s_waitcnt vmcnt(3)
	buffer_store_dword v1, off, s[0:3], 0 offset:104
	s_waitcnt vmcnt(3)
	buffer_store_dword v110, off, s[0:3], 0 offset:108
	s_waitcnt vmcnt(3)
	buffer_store_dword v111, v0, s[0:3], 0 offen
	s_waitcnt vmcnt(3)
	buffer_store_dword v112, v0, s[0:3], 0 offen offset:4
.LBB53_412:
	s_or_b64 exec, exec, s[4:5]
	v_pk_mov_b32 v[0:1], s[10:11], s[10:11] op_sel:[0,1]
	flat_load_dword v0, v[0:1] offset:48
	s_waitcnt vmcnt(0) lgkmcnt(0)
	v_add_u32_e32 v0, -1, v0
	v_cmp_ne_u32_e32 vcc, 12, v0
	s_and_saveexec_b64 s[4:5], vcc
	s_cbranch_execz .LBB53_414
; %bb.413:
	v_mov_b32_e32 v1, 0
	v_lshl_add_u32 v0, v0, 3, v1
	buffer_load_dword v1, v0, s[0:3], 0 offen
	buffer_load_dword v110, v0, s[0:3], 0 offen offset:4
	buffer_load_dword v111, off, s[0:3], 0 offset:100
	buffer_load_dword v112, off, s[0:3], 0 offset:96
	s_waitcnt vmcnt(3)
	buffer_store_dword v1, off, s[0:3], 0 offset:96
	s_waitcnt vmcnt(3)
	buffer_store_dword v110, off, s[0:3], 0 offset:100
	s_waitcnt vmcnt(3)
	buffer_store_dword v111, v0, s[0:3], 0 offen offset:4
	s_waitcnt vmcnt(3)
	buffer_store_dword v112, v0, s[0:3], 0 offen
.LBB53_414:
	s_or_b64 exec, exec, s[4:5]
	v_pk_mov_b32 v[0:1], s[10:11], s[10:11] op_sel:[0,1]
	flat_load_dword v0, v[0:1] offset:44
	s_waitcnt vmcnt(0) lgkmcnt(0)
	v_add_u32_e32 v0, -1, v0
	v_cmp_ne_u32_e32 vcc, 11, v0
	s_and_saveexec_b64 s[4:5], vcc
	s_cbranch_execz .LBB53_416
; %bb.415:
	v_mov_b32_e32 v1, 0
	v_lshl_add_u32 v0, v0, 3, v1
	buffer_load_dword v1, v0, s[0:3], 0 offen
	buffer_load_dword v110, v0, s[0:3], 0 offen offset:4
	buffer_load_dword v111, off, s[0:3], 0 offset:88
	buffer_load_dword v112, off, s[0:3], 0 offset:92
	s_waitcnt vmcnt(3)
	buffer_store_dword v1, off, s[0:3], 0 offset:88
	s_waitcnt vmcnt(3)
	buffer_store_dword v110, off, s[0:3], 0 offset:92
	s_waitcnt vmcnt(3)
	buffer_store_dword v111, v0, s[0:3], 0 offen
	s_waitcnt vmcnt(3)
	buffer_store_dword v112, v0, s[0:3], 0 offen offset:4
.LBB53_416:
	s_or_b64 exec, exec, s[4:5]
	v_pk_mov_b32 v[0:1], s[10:11], s[10:11] op_sel:[0,1]
	flat_load_dword v0, v[0:1] offset:40
	s_waitcnt vmcnt(0) lgkmcnt(0)
	v_add_u32_e32 v0, -1, v0
	v_cmp_ne_u32_e32 vcc, 10, v0
	s_and_saveexec_b64 s[4:5], vcc
	s_cbranch_execz .LBB53_418
; %bb.417:
	v_mov_b32_e32 v1, 0
	v_lshl_add_u32 v0, v0, 3, v1
	buffer_load_dword v1, v0, s[0:3], 0 offen
	buffer_load_dword v110, v0, s[0:3], 0 offen offset:4
	buffer_load_dword v111, off, s[0:3], 0 offset:84
	buffer_load_dword v112, off, s[0:3], 0 offset:80
	s_waitcnt vmcnt(3)
	buffer_store_dword v1, off, s[0:3], 0 offset:80
	s_waitcnt vmcnt(3)
	buffer_store_dword v110, off, s[0:3], 0 offset:84
	s_waitcnt vmcnt(3)
	buffer_store_dword v111, v0, s[0:3], 0 offen offset:4
	s_waitcnt vmcnt(3)
	buffer_store_dword v112, v0, s[0:3], 0 offen
.LBB53_418:
	s_or_b64 exec, exec, s[4:5]
	v_pk_mov_b32 v[0:1], s[10:11], s[10:11] op_sel:[0,1]
	flat_load_dword v0, v[0:1] offset:36
	s_waitcnt vmcnt(0) lgkmcnt(0)
	v_add_u32_e32 v0, -1, v0
	v_cmp_ne_u32_e32 vcc, 9, v0
	s_and_saveexec_b64 s[4:5], vcc
	s_cbranch_execz .LBB53_420
; %bb.419:
	v_mov_b32_e32 v1, 0
	v_lshl_add_u32 v0, v0, 3, v1
	buffer_load_dword v1, v0, s[0:3], 0 offen
	buffer_load_dword v110, v0, s[0:3], 0 offen offset:4
	buffer_load_dword v111, off, s[0:3], 0 offset:72
	buffer_load_dword v112, off, s[0:3], 0 offset:76
	s_waitcnt vmcnt(3)
	buffer_store_dword v1, off, s[0:3], 0 offset:72
	s_waitcnt vmcnt(3)
	buffer_store_dword v110, off, s[0:3], 0 offset:76
	s_waitcnt vmcnt(3)
	buffer_store_dword v111, v0, s[0:3], 0 offen
	s_waitcnt vmcnt(3)
	buffer_store_dword v112, v0, s[0:3], 0 offen offset:4
.LBB53_420:
	s_or_b64 exec, exec, s[4:5]
	v_pk_mov_b32 v[0:1], s[10:11], s[10:11] op_sel:[0,1]
	flat_load_dword v0, v[0:1] offset:32
	s_waitcnt vmcnt(0) lgkmcnt(0)
	v_add_u32_e32 v0, -1, v0
	v_cmp_ne_u32_e32 vcc, 8, v0
	s_and_saveexec_b64 s[4:5], vcc
	s_cbranch_execz .LBB53_422
; %bb.421:
	v_mov_b32_e32 v1, 0
	v_lshl_add_u32 v0, v0, 3, v1
	buffer_load_dword v1, v0, s[0:3], 0 offen
	buffer_load_dword v110, v0, s[0:3], 0 offen offset:4
	buffer_load_dword v111, off, s[0:3], 0 offset:68
	buffer_load_dword v112, off, s[0:3], 0 offset:64
	s_waitcnt vmcnt(3)
	buffer_store_dword v1, off, s[0:3], 0 offset:64
	s_waitcnt vmcnt(3)
	buffer_store_dword v110, off, s[0:3], 0 offset:68
	s_waitcnt vmcnt(3)
	buffer_store_dword v111, v0, s[0:3], 0 offen offset:4
	s_waitcnt vmcnt(3)
	buffer_store_dword v112, v0, s[0:3], 0 offen
.LBB53_422:
	s_or_b64 exec, exec, s[4:5]
	v_pk_mov_b32 v[0:1], s[10:11], s[10:11] op_sel:[0,1]
	flat_load_dword v0, v[0:1] offset:28
	s_waitcnt vmcnt(0) lgkmcnt(0)
	v_add_u32_e32 v0, -1, v0
	v_cmp_ne_u32_e32 vcc, 7, v0
	s_and_saveexec_b64 s[4:5], vcc
	s_cbranch_execz .LBB53_424
; %bb.423:
	v_mov_b32_e32 v1, 0
	v_lshl_add_u32 v0, v0, 3, v1
	buffer_load_dword v1, v0, s[0:3], 0 offen
	buffer_load_dword v110, v0, s[0:3], 0 offen offset:4
	buffer_load_dword v111, off, s[0:3], 0 offset:56
	buffer_load_dword v112, off, s[0:3], 0 offset:60
	s_waitcnt vmcnt(3)
	buffer_store_dword v1, off, s[0:3], 0 offset:56
	s_waitcnt vmcnt(3)
	buffer_store_dword v110, off, s[0:3], 0 offset:60
	s_waitcnt vmcnt(3)
	buffer_store_dword v111, v0, s[0:3], 0 offen
	s_waitcnt vmcnt(3)
	buffer_store_dword v112, v0, s[0:3], 0 offen offset:4
.LBB53_424:
	s_or_b64 exec, exec, s[4:5]
	v_pk_mov_b32 v[0:1], s[10:11], s[10:11] op_sel:[0,1]
	flat_load_dword v0, v[0:1] offset:24
	s_waitcnt vmcnt(0) lgkmcnt(0)
	v_add_u32_e32 v0, -1, v0
	v_cmp_ne_u32_e32 vcc, 6, v0
	s_and_saveexec_b64 s[4:5], vcc
	s_cbranch_execz .LBB53_426
; %bb.425:
	v_mov_b32_e32 v1, 0
	v_lshl_add_u32 v0, v0, 3, v1
	buffer_load_dword v1, v0, s[0:3], 0 offen
	buffer_load_dword v110, v0, s[0:3], 0 offen offset:4
	buffer_load_dword v111, off, s[0:3], 0 offset:52
	buffer_load_dword v112, off, s[0:3], 0 offset:48
	s_waitcnt vmcnt(3)
	buffer_store_dword v1, off, s[0:3], 0 offset:48
	s_waitcnt vmcnt(3)
	buffer_store_dword v110, off, s[0:3], 0 offset:52
	s_waitcnt vmcnt(3)
	buffer_store_dword v111, v0, s[0:3], 0 offen offset:4
	s_waitcnt vmcnt(3)
	buffer_store_dword v112, v0, s[0:3], 0 offen
.LBB53_426:
	s_or_b64 exec, exec, s[4:5]
	v_pk_mov_b32 v[0:1], s[10:11], s[10:11] op_sel:[0,1]
	flat_load_dword v0, v[0:1] offset:20
	s_waitcnt vmcnt(0) lgkmcnt(0)
	v_add_u32_e32 v0, -1, v0
	v_cmp_ne_u32_e32 vcc, 5, v0
	s_and_saveexec_b64 s[4:5], vcc
	s_cbranch_execz .LBB53_428
; %bb.427:
	v_mov_b32_e32 v1, 0
	v_lshl_add_u32 v0, v0, 3, v1
	buffer_load_dword v1, v0, s[0:3], 0 offen
	buffer_load_dword v110, v0, s[0:3], 0 offen offset:4
	buffer_load_dword v111, off, s[0:3], 0 offset:40
	buffer_load_dword v112, off, s[0:3], 0 offset:44
	s_waitcnt vmcnt(3)
	buffer_store_dword v1, off, s[0:3], 0 offset:40
	s_waitcnt vmcnt(3)
	buffer_store_dword v110, off, s[0:3], 0 offset:44
	s_waitcnt vmcnt(3)
	buffer_store_dword v111, v0, s[0:3], 0 offen
	s_waitcnt vmcnt(3)
	buffer_store_dword v112, v0, s[0:3], 0 offen offset:4
.LBB53_428:
	s_or_b64 exec, exec, s[4:5]
	v_pk_mov_b32 v[0:1], s[10:11], s[10:11] op_sel:[0,1]
	flat_load_dword v0, v[0:1] offset:16
	s_waitcnt vmcnt(0) lgkmcnt(0)
	v_add_u32_e32 v0, -1, v0
	v_cmp_ne_u32_e32 vcc, 4, v0
	s_and_saveexec_b64 s[4:5], vcc
	s_cbranch_execz .LBB53_430
; %bb.429:
	v_mov_b32_e32 v1, 0
	v_lshl_add_u32 v0, v0, 3, v1
	buffer_load_dword v1, v0, s[0:3], 0 offen
	buffer_load_dword v110, v0, s[0:3], 0 offen offset:4
	buffer_load_dword v111, off, s[0:3], 0 offset:36
	buffer_load_dword v112, off, s[0:3], 0 offset:32
	s_waitcnt vmcnt(3)
	buffer_store_dword v1, off, s[0:3], 0 offset:32
	s_waitcnt vmcnt(3)
	buffer_store_dword v110, off, s[0:3], 0 offset:36
	s_waitcnt vmcnt(3)
	buffer_store_dword v111, v0, s[0:3], 0 offen offset:4
	s_waitcnt vmcnt(3)
	buffer_store_dword v112, v0, s[0:3], 0 offen
.LBB53_430:
	s_or_b64 exec, exec, s[4:5]
	v_pk_mov_b32 v[0:1], s[10:11], s[10:11] op_sel:[0,1]
	flat_load_dword v0, v[0:1] offset:12
	s_waitcnt vmcnt(0) lgkmcnt(0)
	v_add_u32_e32 v0, -1, v0
	v_cmp_ne_u32_e32 vcc, 3, v0
	s_and_saveexec_b64 s[4:5], vcc
	s_cbranch_execz .LBB53_432
; %bb.431:
	v_mov_b32_e32 v1, 0
	v_lshl_add_u32 v0, v0, 3, v1
	buffer_load_dword v1, v0, s[0:3], 0 offen
	buffer_load_dword v110, v0, s[0:3], 0 offen offset:4
	buffer_load_dword v111, off, s[0:3], 0 offset:24
	buffer_load_dword v112, off, s[0:3], 0 offset:28
	s_waitcnt vmcnt(3)
	buffer_store_dword v1, off, s[0:3], 0 offset:24
	s_waitcnt vmcnt(3)
	buffer_store_dword v110, off, s[0:3], 0 offset:28
	s_waitcnt vmcnt(3)
	buffer_store_dword v111, v0, s[0:3], 0 offen
	s_waitcnt vmcnt(3)
	buffer_store_dword v112, v0, s[0:3], 0 offen offset:4
.LBB53_432:
	s_or_b64 exec, exec, s[4:5]
	v_pk_mov_b32 v[0:1], s[10:11], s[10:11] op_sel:[0,1]
	flat_load_dword v0, v[0:1] offset:8
	s_waitcnt vmcnt(0) lgkmcnt(0)
	v_add_u32_e32 v0, -1, v0
	v_cmp_ne_u32_e32 vcc, 2, v0
	s_and_saveexec_b64 s[4:5], vcc
	s_cbranch_execz .LBB53_434
; %bb.433:
	v_mov_b32_e32 v1, 0
	v_lshl_add_u32 v0, v0, 3, v1
	buffer_load_dword v1, v0, s[0:3], 0 offen
	buffer_load_dword v110, v0, s[0:3], 0 offen offset:4
	buffer_load_dword v111, off, s[0:3], 0 offset:20
	buffer_load_dword v112, off, s[0:3], 0 offset:16
	s_waitcnt vmcnt(3)
	buffer_store_dword v1, off, s[0:3], 0 offset:16
	s_waitcnt vmcnt(3)
	buffer_store_dword v110, off, s[0:3], 0 offset:20
	s_waitcnt vmcnt(3)
	buffer_store_dword v111, v0, s[0:3], 0 offen offset:4
	s_waitcnt vmcnt(3)
	buffer_store_dword v112, v0, s[0:3], 0 offen
.LBB53_434:
	s_or_b64 exec, exec, s[4:5]
	v_pk_mov_b32 v[0:1], s[10:11], s[10:11] op_sel:[0,1]
	flat_load_dword v0, v[0:1] offset:4
	s_waitcnt vmcnt(0) lgkmcnt(0)
	v_add_u32_e32 v0, -1, v0
	v_cmp_ne_u32_e32 vcc, 1, v0
	s_and_saveexec_b64 s[4:5], vcc
	s_cbranch_execz .LBB53_436
; %bb.435:
	v_mov_b32_e32 v1, 0
	v_lshl_add_u32 v0, v0, 3, v1
	buffer_load_dword v1, v0, s[0:3], 0 offen
	buffer_load_dword v110, v0, s[0:3], 0 offen offset:4
	buffer_load_dword v111, off, s[0:3], 0 offset:8
	buffer_load_dword v112, off, s[0:3], 0 offset:12
	s_waitcnt vmcnt(3)
	buffer_store_dword v1, off, s[0:3], 0 offset:8
	s_waitcnt vmcnt(3)
	buffer_store_dword v110, off, s[0:3], 0 offset:12
	s_waitcnt vmcnt(3)
	buffer_store_dword v111, v0, s[0:3], 0 offen
	s_waitcnt vmcnt(3)
	buffer_store_dword v112, v0, s[0:3], 0 offen offset:4
.LBB53_436:
	s_or_b64 exec, exec, s[4:5]
	v_pk_mov_b32 v[0:1], s[10:11], s[10:11] op_sel:[0,1]
	flat_load_dword v110, v[0:1]
	s_nop 0
	buffer_load_dword v0, off, s[0:3], 0
	buffer_load_dword v1, off, s[0:3], 0 offset:4
	s_waitcnt vmcnt(0) lgkmcnt(0)
	v_add_u32_e32 v110, -1, v110
	v_cmp_ne_u32_e32 vcc, 0, v110
	s_and_saveexec_b64 s[4:5], vcc
	s_cbranch_execz .LBB53_438
; %bb.437:
	v_mov_b32_e32 v111, 0
	v_lshl_add_u32 v110, v110, 3, v111
	buffer_load_dword v111, v110, s[0:3], 0 offen offset:4
	buffer_load_dword v112, v110, s[0:3], 0 offen
	s_waitcnt vmcnt(1)
	buffer_store_dword v111, off, s[0:3], 0 offset:4
	s_waitcnt vmcnt(1)
	buffer_store_dword v112, off, s[0:3], 0
	buffer_store_dword v1, v110, s[0:3], 0 offen offset:4
	buffer_store_dword v0, v110, s[0:3], 0 offen
	buffer_load_dword v0, off, s[0:3], 0
	s_nop 0
	buffer_load_dword v1, off, s[0:3], 0 offset:4
.LBB53_438:
	s_or_b64 exec, exec, s[4:5]
.LBB53_439:
	s_waitcnt vmcnt(0)
	global_store_dwordx2 v[108:109], v[0:1], off
	buffer_load_dword v0, off, s[0:3], 0 offset:8
	s_nop 0
	buffer_load_dword v1, off, s[0:3], 0 offset:12
	buffer_load_dword v108, off, s[0:3], 0 offset:16
	;; [unrolled: 1-line block ×15, first 2 shown]
	s_waitcnt vmcnt(14)
	global_store_dwordx2 v[106:107], v[0:1], off
	s_waitcnt vmcnt(13)
	global_store_dwordx2 v[2:3], v[108:109], off
	;; [unrolled: 2-line block ×8, first 2 shown]
	buffer_load_dword v0, off, s[0:3], 0 offset:72
	buffer_load_dword v1, off, s[0:3], 0 offset:76
	s_waitcnt vmcnt(0)
	global_store_dwordx2 v[14:15], v[0:1], off
	buffer_load_dword v0, off, s[0:3], 0 offset:80
	s_nop 0
	buffer_load_dword v1, off, s[0:3], 0 offset:84
	s_waitcnt vmcnt(0)
	global_store_dwordx2 v[16:17], v[0:1], off
	buffer_load_dword v0, off, s[0:3], 0 offset:88
	s_nop 0
	;; [unrolled: 5-line block ×44, first 2 shown]
	buffer_load_dword v1, off, s[0:3], 0 offset:428
	s_waitcnt vmcnt(0)
	global_store_dwordx2 v[94:95], v[0:1], off
	s_endpgm
	.section	.rodata,"a",@progbits
	.p2align	6, 0x0
	.amdhsa_kernel _ZN9rocsolver6v33100L18getri_kernel_smallILi54EdPdEEvT1_iilPiilS4_bb
		.amdhsa_group_segment_fixed_size 872
		.amdhsa_private_segment_fixed_size 448
		.amdhsa_kernarg_size 60
		.amdhsa_user_sgpr_count 8
		.amdhsa_user_sgpr_private_segment_buffer 1
		.amdhsa_user_sgpr_dispatch_ptr 0
		.amdhsa_user_sgpr_queue_ptr 0
		.amdhsa_user_sgpr_kernarg_segment_ptr 1
		.amdhsa_user_sgpr_dispatch_id 0
		.amdhsa_user_sgpr_flat_scratch_init 1
		.amdhsa_user_sgpr_kernarg_preload_length 0
		.amdhsa_user_sgpr_kernarg_preload_offset 0
		.amdhsa_user_sgpr_private_segment_size 0
		.amdhsa_uses_dynamic_stack 0
		.amdhsa_system_sgpr_private_segment_wavefront_offset 1
		.amdhsa_system_sgpr_workgroup_id_x 1
		.amdhsa_system_sgpr_workgroup_id_y 0
		.amdhsa_system_sgpr_workgroup_id_z 0
		.amdhsa_system_sgpr_workgroup_info 0
		.amdhsa_system_vgpr_workitem_id 0
		.amdhsa_next_free_vgpr 166
		.amdhsa_next_free_sgpr 23
		.amdhsa_accum_offset 168
		.amdhsa_reserve_vcc 1
		.amdhsa_reserve_flat_scratch 1
		.amdhsa_float_round_mode_32 0
		.amdhsa_float_round_mode_16_64 0
		.amdhsa_float_denorm_mode_32 3
		.amdhsa_float_denorm_mode_16_64 3
		.amdhsa_dx10_clamp 1
		.amdhsa_ieee_mode 1
		.amdhsa_fp16_overflow 0
		.amdhsa_tg_split 0
		.amdhsa_exception_fp_ieee_invalid_op 0
		.amdhsa_exception_fp_denorm_src 0
		.amdhsa_exception_fp_ieee_div_zero 0
		.amdhsa_exception_fp_ieee_overflow 0
		.amdhsa_exception_fp_ieee_underflow 0
		.amdhsa_exception_fp_ieee_inexact 0
		.amdhsa_exception_int_div_zero 0
	.end_amdhsa_kernel
	.section	.text._ZN9rocsolver6v33100L18getri_kernel_smallILi54EdPdEEvT1_iilPiilS4_bb,"axG",@progbits,_ZN9rocsolver6v33100L18getri_kernel_smallILi54EdPdEEvT1_iilPiilS4_bb,comdat
.Lfunc_end53:
	.size	_ZN9rocsolver6v33100L18getri_kernel_smallILi54EdPdEEvT1_iilPiilS4_bb, .Lfunc_end53-_ZN9rocsolver6v33100L18getri_kernel_smallILi54EdPdEEvT1_iilPiilS4_bb
                                        ; -- End function
	.section	.AMDGPU.csdata,"",@progbits
; Kernel info:
; codeLenInByte = 68440
; NumSgprs: 29
; NumVgprs: 166
; NumAgprs: 0
; TotalNumVgprs: 166
; ScratchSize: 448
; MemoryBound: 1
; FloatMode: 240
; IeeeMode: 1
; LDSByteSize: 872 bytes/workgroup (compile time only)
; SGPRBlocks: 3
; VGPRBlocks: 20
; NumSGPRsForWavesPerEU: 29
; NumVGPRsForWavesPerEU: 166
; AccumOffset: 168
; Occupancy: 3
; WaveLimiterHint : 1
; COMPUTE_PGM_RSRC2:SCRATCH_EN: 1
; COMPUTE_PGM_RSRC2:USER_SGPR: 8
; COMPUTE_PGM_RSRC2:TRAP_HANDLER: 0
; COMPUTE_PGM_RSRC2:TGID_X_EN: 1
; COMPUTE_PGM_RSRC2:TGID_Y_EN: 0
; COMPUTE_PGM_RSRC2:TGID_Z_EN: 0
; COMPUTE_PGM_RSRC2:TIDIG_COMP_CNT: 0
; COMPUTE_PGM_RSRC3_GFX90A:ACCUM_OFFSET: 41
; COMPUTE_PGM_RSRC3_GFX90A:TG_SPLIT: 0
	.section	.text._ZN9rocsolver6v33100L18getri_kernel_smallILi55EdPdEEvT1_iilPiilS4_bb,"axG",@progbits,_ZN9rocsolver6v33100L18getri_kernel_smallILi55EdPdEEvT1_iilPiilS4_bb,comdat
	.globl	_ZN9rocsolver6v33100L18getri_kernel_smallILi55EdPdEEvT1_iilPiilS4_bb ; -- Begin function _ZN9rocsolver6v33100L18getri_kernel_smallILi55EdPdEEvT1_iilPiilS4_bb
	.p2align	8
	.type	_ZN9rocsolver6v33100L18getri_kernel_smallILi55EdPdEEvT1_iilPiilS4_bb,@function
_ZN9rocsolver6v33100L18getri_kernel_smallILi55EdPdEEvT1_iilPiilS4_bb: ; @_ZN9rocsolver6v33100L18getri_kernel_smallILi55EdPdEEvT1_iilPiilS4_bb
; %bb.0:
	s_add_u32 flat_scratch_lo, s6, s9
	s_addc_u32 flat_scratch_hi, s7, 0
	s_add_u32 s0, s0, s9
	s_addc_u32 s1, s1, 0
	v_cmp_gt_u32_e32 vcc, 55, v0
	s_and_saveexec_b64 s[6:7], vcc
	s_cbranch_execz .LBB54_228
; %bb.1:
	s_load_dword s22, s[4:5], 0x38
	s_load_dwordx4 s[16:19], s[4:5], 0x10
	s_load_dwordx4 s[12:15], s[4:5], 0x28
                                        ; implicit-def: $sgpr10_sgpr11
	s_waitcnt lgkmcnt(0)
	s_bitcmp1_b32 s22, 8
	s_cselect_b64 s[20:21], -1, 0
	s_ashr_i32 s9, s8, 31
	s_bfe_u32 s6, s22, 0x10008
	s_cmp_eq_u32 s6, 0
	s_cbranch_scc1 .LBB54_3
; %bb.2:
	s_load_dword s6, s[4:5], 0x20
	s_mul_i32 s7, s8, s13
	s_mul_hi_u32 s10, s8, s12
	s_mul_i32 s11, s9, s12
	s_add_i32 s10, s10, s7
	s_add_i32 s11, s10, s11
	s_mul_i32 s10, s8, s12
	s_waitcnt lgkmcnt(0)
	s_ashr_i32 s7, s6, 31
	s_lshl_b64 s[10:11], s[10:11], 2
	s_add_u32 s10, s18, s10
	s_addc_u32 s11, s19, s11
	s_lshl_b64 s[6:7], s[6:7], 2
	s_add_u32 s10, s10, s6
	s_addc_u32 s11, s11, s7
.LBB54_3:
	s_load_dwordx4 s[4:7], s[4:5], 0x0
	s_mul_i32 s12, s8, s17
	s_mul_hi_u32 s13, s8, s16
	s_add_i32 s17, s13, s12
	s_waitcnt lgkmcnt(0)
	s_ashr_i32 s13, s6, 31
	s_mov_b32 s12, s6
	s_mul_i32 s6, s9, s16
	s_add_i32 s17, s17, s6
	s_mul_i32 s16, s8, s16
	s_lshl_b64 s[16:17], s[16:17], 3
	s_add_u32 s6, s4, s16
	s_addc_u32 s16, s5, s17
	s_lshl_b64 s[4:5], s[12:13], 3
	s_add_u32 s4, s6, s4
	s_addc_u32 s5, s16, s5
	s_add_i32 s6, s7, s7
	v_add_u32_e32 v4, s6, v0
	v_ashrrev_i32_e32 v5, 31, v4
	v_lshlrev_b64 v[2:3], 3, v[4:5]
	v_add_u32_e32 v6, s7, v4
	v_mov_b32_e32 v1, s5
	v_add_co_u32_e32 v2, vcc, s4, v2
	v_ashrrev_i32_e32 v7, 31, v6
	v_addc_co_u32_e32 v3, vcc, v1, v3, vcc
	v_lshlrev_b64 v[4:5], 3, v[6:7]
	v_add_u32_e32 v8, s7, v6
	v_add_co_u32_e32 v4, vcc, s4, v4
	v_ashrrev_i32_e32 v9, 31, v8
	v_addc_co_u32_e32 v5, vcc, v1, v5, vcc
	v_lshlrev_b64 v[6:7], 3, v[8:9]
	v_add_u32_e32 v10, s7, v8
	;; [unrolled: 5-line block ×5, first 2 shown]
	v_add_co_u32_e32 v12, vcc, s4, v12
	v_ashrrev_i32_e32 v15, 31, v14
	v_addc_co_u32_e32 v13, vcc, v1, v13, vcc
	v_lshlrev_b64 v[16:17], 3, v[14:15]
	v_add_co_u32_e32 v18, vcc, s4, v16
	v_add_u32_e32 v16, s7, v14
	v_addc_co_u32_e32 v19, vcc, v1, v17, vcc
	v_ashrrev_i32_e32 v17, 31, v16
	v_lshlrev_b64 v[14:15], 3, v[16:17]
	v_add_u32_e32 v20, s7, v16
	v_add_co_u32_e32 v14, vcc, s4, v14
	v_ashrrev_i32_e32 v21, 31, v20
	v_addc_co_u32_e32 v15, vcc, v1, v15, vcc
	v_lshlrev_b64 v[16:17], 3, v[20:21]
	v_add_u32_e32 v22, s7, v20
	v_add_co_u32_e32 v16, vcc, s4, v16
	v_ashrrev_i32_e32 v23, 31, v22
	v_addc_co_u32_e32 v17, vcc, v1, v17, vcc
	;; [unrolled: 5-line block ×38, first 2 shown]
	v_lshlrev_b64 v[92:93], 3, v[94:95]
	v_add_co_u32_e32 v92, vcc, s4, v92
	v_add_u32_e32 v96, s7, v94
	v_addc_co_u32_e32 v93, vcc, v1, v93, vcc
	v_ashrrev_i32_e32 v97, 31, v96
	v_lshlrev_b32_e32 v1, 3, v0
	v_lshlrev_b64 v[94:95], 3, v[96:97]
	global_load_dwordx2 v[112:113], v1, s[4:5]
	global_load_dwordx2 v[116:117], v[2:3], off
	global_load_dwordx2 v[118:119], v[4:5], off
	v_mov_b32_e32 v97, s5
	v_add_co_u32_e32 v110, vcc, s4, v1
	s_ashr_i32 s13, s7, 31
	s_mov_b32 s12, s7
	v_addc_co_u32_e32 v111, vcc, 0, v97, vcc
	s_lshl_b64 s[12:13], s[12:13], 3
	v_mov_b32_e32 v97, s13
	v_add_co_u32_e32 v108, vcc, s12, v110
	v_addc_co_u32_e32 v109, vcc, v111, v97, vcc
	global_load_dwordx2 v[114:115], v[108:109], off
	global_load_dwordx2 v[120:121], v[6:7], off
	;; [unrolled: 1-line block ×12, first 2 shown]
	v_mov_b32_e32 v98, s5
	v_add_co_u32_e32 v94, vcc, s4, v94
	v_addc_co_u32_e32 v95, vcc, v98, v95, vcc
	v_add_u32_e32 v98, s7, v96
	global_load_dwordx2 v[142:143], v[28:29], off
	global_load_dwordx2 v[144:145], v[30:31], off
	;; [unrolled: 1-line block ×4, first 2 shown]
	v_ashrrev_i32_e32 v99, 31, v98
	v_lshlrev_b64 v[96:97], 3, v[98:99]
	v_add_u32_e32 v98, s7, v98
	v_mov_b32_e32 v100, s5
	v_add_co_u32_e32 v96, vcc, s4, v96
	v_ashrrev_i32_e32 v99, 31, v98
	v_addc_co_u32_e32 v97, vcc, v100, v97, vcc
	v_lshlrev_b64 v[100:101], 3, v[98:99]
	v_add_u32_e32 v98, s7, v98
	v_mov_b32_e32 v102, s5
	v_add_co_u32_e32 v100, vcc, s4, v100
	v_ashrrev_i32_e32 v99, 31, v98
	v_addc_co_u32_e32 v101, vcc, v102, v101, vcc
	;; [unrolled: 6-line block ×3, first 2 shown]
	v_lshlrev_b64 v[104:105], 3, v[98:99]
	v_add_u32_e32 v98, s7, v98
	v_mov_b32_e32 v106, s5
	v_add_co_u32_e32 v104, vcc, s4, v104
	global_load_dwordx2 v[150:151], v[36:37], off
	v_ashrrev_i32_e32 v99, 31, v98
	v_addc_co_u32_e32 v105, vcc, v106, v105, vcc
	v_lshlrev_b64 v[106:107], 3, v[98:99]
	v_add_u32_e32 v98, s7, v98
	v_mov_b32_e32 v156, s5
	v_add_co_u32_e32 v106, vcc, s4, v106
	v_ashrrev_i32_e32 v99, 31, v98
	global_load_dwordx2 v[152:153], v[38:39], off
	global_load_dwordx2 v[154:155], v[40:41], off
	v_addc_co_u32_e32 v107, vcc, v156, v107, vcc
	v_lshlrev_b64 v[98:99], 3, v[98:99]
	v_mov_b32_e32 v160, s5
	v_add_co_u32_e32 v98, vcc, s4, v98
	global_load_dwordx2 v[156:157], v[42:43], off
	global_load_dwordx2 v[158:159], v[44:45], off
	v_addc_co_u32_e32 v99, vcc, v160, v99, vcc
	global_load_dwordx2 v[160:161], v[46:47], off
	global_load_dwordx2 v[162:163], v[98:99], off
	s_waitcnt vmcnt(25)
	buffer_store_dword v113, off, s[0:3], 0 offset:4
	buffer_store_dword v112, off, s[0:3], 0
	global_load_dwordx2 v[112:113], v[48:49], off
	s_waitcnt vmcnt(25)
	buffer_store_dword v115, off, s[0:3], 0 offset:12
	buffer_store_dword v114, off, s[0:3], 0 offset:8
	global_load_dwordx2 v[114:115], v[50:51], off
	s_nop 0
	buffer_store_dword v117, off, s[0:3], 0 offset:20
	buffer_store_dword v116, off, s[0:3], 0 offset:16
	global_load_dwordx2 v[116:117], v[52:53], off
	s_nop 0
	buffer_store_dword v119, off, s[0:3], 0 offset:28
	buffer_store_dword v118, off, s[0:3], 0 offset:24
	global_load_dwordx2 v[118:119], v[54:55], off
	s_waitcnt vmcnt(33)
	buffer_store_dword v121, off, s[0:3], 0 offset:36
	buffer_store_dword v120, off, s[0:3], 0 offset:32
	s_waitcnt vmcnt(34)
	buffer_store_dword v123, off, s[0:3], 0 offset:44
	buffer_store_dword v122, off, s[0:3], 0 offset:40
	s_waitcnt vmcnt(35)
	buffer_store_dword v125, off, s[0:3], 0 offset:52
	buffer_store_dword v124, off, s[0:3], 0 offset:48
	s_waitcnt vmcnt(36)
	buffer_store_dword v127, off, s[0:3], 0 offset:60
	buffer_store_dword v126, off, s[0:3], 0 offset:56
	s_waitcnt vmcnt(35)
	buffer_store_dword v129, off, s[0:3], 0 offset:68
	buffer_store_dword v128, off, s[0:3], 0 offset:64
	buffer_store_dword v130, off, s[0:3], 0 offset:72
	buffer_store_dword v131, off, s[0:3], 0 offset:76
	;; [unrolled: 1-line block ×4, first 2 shown]
	s_waitcnt vmcnt(40)
	buffer_store_dword v134, off, s[0:3], 0 offset:88
	buffer_store_dword v135, off, s[0:3], 0 offset:92
	s_waitcnt vmcnt(41)
	buffer_store_dword v136, off, s[0:3], 0 offset:96
	buffer_store_dword v137, off, s[0:3], 0 offset:100
	;; [unrolled: 3-line block ×6, first 2 shown]
	global_load_dwordx2 v[120:121], v[56:57], off
	global_load_dwordx2 v[122:123], v[58:59], off
	;; [unrolled: 1-line block ×13, first 2 shown]
	s_bitcmp0_b32 s22, 0
	s_waitcnt vmcnt(59)
	buffer_store_dword v146, off, s[0:3], 0 offset:136
	buffer_store_dword v147, off, s[0:3], 0 offset:140
	global_load_dwordx2 v[146:147], v[82:83], off
	s_mov_b64 s[6:7], -1
	s_waitcnt vmcnt(61)
	buffer_store_dword v148, off, s[0:3], 0 offset:144
	buffer_store_dword v149, off, s[0:3], 0 offset:148
	global_load_dwordx2 v[148:149], v[84:85], off
	s_waitcnt vmcnt(62)
	buffer_store_dword v151, off, s[0:3], 0 offset:156
	buffer_store_dword v150, off, s[0:3], 0 offset:152
	global_load_dwordx2 v[150:151], v[86:87], off
	s_nop 0
	buffer_store_dword v153, off, s[0:3], 0 offset:164
	buffer_store_dword v152, off, s[0:3], 0 offset:160
	global_load_dwordx2 v[152:153], v[88:89], off
	s_waitcnt vmcnt(62)
	buffer_store_dword v154, off, s[0:3], 0 offset:168
	buffer_store_dword v155, off, s[0:3], 0 offset:172
	global_load_dwordx2 v[154:155], v[90:91], off
	s_nop 0
	buffer_store_dword v156, off, s[0:3], 0 offset:176
	buffer_store_dword v157, off, s[0:3], 0 offset:180
	global_load_dwordx2 v[156:157], v[94:95], off
	s_nop 0
	buffer_store_dword v158, off, s[0:3], 0 offset:184
	buffer_store_dword v159, off, s[0:3], 0 offset:188
	s_waitcnt vmcnt(62)
	buffer_store_dword v113, off, s[0:3], 0 offset:204
	buffer_store_dword v112, off, s[0:3], 0 offset:200
	global_load_dwordx2 v[112:113], v[92:93], off
	s_nop 0
	global_load_dwordx2 v[158:159], v[100:101], off
	s_nop 0
	buffer_store_dword v160, off, s[0:3], 0 offset:192
	buffer_store_dword v161, off, s[0:3], 0 offset:196
	global_load_dwordx2 v[160:161], v[104:105], off
	s_nop 0
	buffer_store_dword v115, off, s[0:3], 0 offset:212
	buffer_store_dword v114, off, s[0:3], 0 offset:208
	global_load_dwordx2 v[114:115], v[96:97], off
	s_nop 0
	buffer_store_dword v116, off, s[0:3], 0 offset:216
	buffer_store_dword v117, off, s[0:3], 0 offset:220
	global_load_dwordx2 v[116:117], v[102:103], off
	s_waitcnt vmcnt(62)
	buffer_store_dword v118, off, s[0:3], 0 offset:224
	buffer_store_dword v119, off, s[0:3], 0 offset:228
	global_load_dwordx2 v[118:119], v[106:107], off
	s_waitcnt vmcnt(48)
	buffer_store_dword v120, off, s[0:3], 0 offset:232
	buffer_store_dword v121, off, s[0:3], 0 offset:236
	s_waitcnt vmcnt(49)
	buffer_store_dword v122, off, s[0:3], 0 offset:240
	buffer_store_dword v123, off, s[0:3], 0 offset:244
	;; [unrolled: 3-line block ×19, first 2 shown]
	buffer_store_dword v156, off, s[0:3], 0 offset:384
	buffer_store_dword v157, off, s[0:3], 0 offset:388
	s_waitcnt vmcnt(46)
	buffer_store_dword v115, off, s[0:3], 0 offset:396
	buffer_store_dword v114, off, s[0:3], 0 offset:392
	buffer_store_dword v159, off, s[0:3], 0 offset:404
	buffer_store_dword v158, off, s[0:3], 0 offset:400
	s_waitcnt vmcnt(47)
	buffer_store_dword v116, off, s[0:3], 0 offset:408
	buffer_store_dword v117, off, s[0:3], 0 offset:412
	;; [unrolled: 5-line block ×3, first 2 shown]
	buffer_store_dword v162, off, s[0:3], 0 offset:432
	buffer_store_dword v163, off, s[0:3], 0 offset:436
	s_cbranch_scc1 .LBB54_226
; %bb.4:
	v_cmp_eq_u32_e64 s[4:5], 0, v0
	s_and_saveexec_b64 s[6:7], s[4:5]
	s_cbranch_execz .LBB54_6
; %bb.5:
	v_mov_b32_e32 v112, 0
	ds_write_b32 v112, v112 offset:440
.LBB54_6:
	s_or_b64 exec, exec, s[6:7]
	v_mov_b32_e32 v112, 0
	v_lshl_add_u32 v112, v0, 3, v112
	s_waitcnt lgkmcnt(0)
	; wave barrier
	s_waitcnt lgkmcnt(0)
	buffer_load_dword v114, v112, s[0:3], 0 offen
	buffer_load_dword v115, v112, s[0:3], 0 offen offset:4
	s_waitcnt vmcnt(0)
	v_cmp_eq_f64_e32 vcc, 0, v[114:115]
	s_and_saveexec_b64 s[12:13], vcc
	s_cbranch_execz .LBB54_10
; %bb.7:
	v_mov_b32_e32 v113, 0
	ds_read_b32 v115, v113 offset:440
	v_add_u32_e32 v114, 1, v0
	s_waitcnt lgkmcnt(0)
	v_readfirstlane_b32 s6, v115
	s_cmp_eq_u32 s6, 0
	s_cselect_b64 s[16:17], -1, 0
	v_cmp_gt_i32_e32 vcc, s6, v114
	s_or_b64 s[16:17], s[16:17], vcc
	s_and_b64 exec, exec, s[16:17]
	s_cbranch_execz .LBB54_10
; %bb.8:
	s_mov_b64 s[16:17], 0
	v_mov_b32_e32 v115, s6
.LBB54_9:                               ; =>This Inner Loop Header: Depth=1
	ds_cmpst_rtn_b32 v115, v113, v115, v114 offset:440
	s_waitcnt lgkmcnt(0)
	v_cmp_ne_u32_e32 vcc, 0, v115
	v_cmp_le_i32_e64 s[6:7], v115, v114
	s_and_b64 s[6:7], vcc, s[6:7]
	s_and_b64 s[6:7], exec, s[6:7]
	s_or_b64 s[16:17], s[6:7], s[16:17]
	s_andn2_b64 exec, exec, s[16:17]
	s_cbranch_execnz .LBB54_9
.LBB54_10:
	s_or_b64 exec, exec, s[12:13]
	v_mov_b32_e32 v114, 0
	s_waitcnt lgkmcnt(0)
	; wave barrier
	ds_read_b32 v113, v114 offset:440
	s_and_saveexec_b64 s[6:7], s[4:5]
	s_cbranch_execz .LBB54_12
; %bb.11:
	s_lshl_b64 s[12:13], s[8:9], 2
	s_add_u32 s12, s14, s12
	s_addc_u32 s13, s15, s13
	s_waitcnt lgkmcnt(0)
	global_store_dword v114, v113, s[12:13]
.LBB54_12:
	s_or_b64 exec, exec, s[6:7]
	s_waitcnt lgkmcnt(0)
	v_cmp_ne_u32_e32 vcc, 0, v113
	s_mov_b64 s[6:7], 0
	s_cbranch_vccnz .LBB54_226
; %bb.13:
	buffer_load_dword v114, v112, s[0:3], 0 offen
	buffer_load_dword v115, v112, s[0:3], 0 offen offset:4
	s_waitcnt vmcnt(0)
	v_div_scale_f64 v[116:117], s[6:7], v[114:115], v[114:115], 1.0
	v_rcp_f64_e32 v[118:119], v[116:117]
	v_div_scale_f64 v[120:121], vcc, 1.0, v[114:115], 1.0
	v_fma_f64 v[122:123], -v[116:117], v[118:119], 1.0
	v_fmac_f64_e32 v[118:119], v[118:119], v[122:123]
	v_fma_f64 v[122:123], -v[116:117], v[118:119], 1.0
	v_fmac_f64_e32 v[118:119], v[118:119], v[122:123]
	v_mul_f64 v[122:123], v[120:121], v[118:119]
	v_fma_f64 v[116:117], -v[116:117], v[122:123], v[120:121]
	v_div_fmas_f64 v[116:117], v[116:117], v[118:119], v[122:123]
	v_div_fixup_f64 v[116:117], v[116:117], v[114:115], 1.0
	buffer_store_dword v117, v112, s[0:3], 0 offen offset:4
	buffer_store_dword v116, v112, s[0:3], 0 offen
	buffer_load_dword v119, off, s[0:3], 0 offset:12
	buffer_load_dword v118, off, s[0:3], 0 offset:8
	v_add_u32_e32 v114, 0x1c0, v1
	v_xor_b32_e32 v117, 0x80000000, v117
	s_waitcnt vmcnt(0)
	ds_write2_b64 v1, v[116:117], v[118:119] offset1:56
	s_waitcnt lgkmcnt(0)
	; wave barrier
	s_waitcnt lgkmcnt(0)
	s_and_saveexec_b64 s[6:7], s[4:5]
	s_cbranch_execz .LBB54_15
; %bb.14:
	buffer_load_dword v116, v112, s[0:3], 0 offen
	buffer_load_dword v117, v112, s[0:3], 0 offen offset:4
	v_mov_b32_e32 v113, 0
	ds_read_b64 v[118:119], v114
	ds_read_b64 v[120:121], v113 offset:8
	s_waitcnt vmcnt(0) lgkmcnt(1)
	v_fma_f64 v[116:117], v[116:117], v[118:119], 0
	s_waitcnt lgkmcnt(0)
	v_mul_f64 v[116:117], v[116:117], v[120:121]
	buffer_store_dword v116, off, s[0:3], 0 offset:8
	buffer_store_dword v117, off, s[0:3], 0 offset:12
.LBB54_15:
	s_or_b64 exec, exec, s[6:7]
	s_waitcnt lgkmcnt(0)
	; wave barrier
	buffer_load_dword v116, off, s[0:3], 0 offset:16
	buffer_load_dword v117, off, s[0:3], 0 offset:20
	v_cmp_gt_u32_e32 vcc, 2, v0
	s_waitcnt vmcnt(0)
	ds_write_b64 v114, v[116:117]
	s_waitcnt lgkmcnt(0)
	; wave barrier
	s_waitcnt lgkmcnt(0)
	s_and_saveexec_b64 s[6:7], vcc
	s_cbranch_execz .LBB54_17
; %bb.16:
	buffer_load_dword v113, v112, s[0:3], 0 offen offset:4
	buffer_load_dword v120, off, s[0:3], 0 offset:8
	s_nop 0
	buffer_load_dword v112, v112, s[0:3], 0 offen
	s_nop 0
	buffer_load_dword v121, off, s[0:3], 0 offset:12
	ds_read_b64 v[122:123], v114
	v_mov_b32_e32 v115, 0
	ds_read2_b64 v[116:119], v115 offset0:2 offset1:57
	s_waitcnt vmcnt(1) lgkmcnt(1)
	v_fma_f64 v[112:113], v[112:113], v[122:123], 0
	s_waitcnt vmcnt(0) lgkmcnt(0)
	v_fma_f64 v[118:119], v[120:121], v[118:119], v[112:113]
	v_cndmask_b32_e64 v113, v113, v119, s[4:5]
	v_cndmask_b32_e64 v112, v112, v118, s[4:5]
	v_mul_f64 v[112:113], v[112:113], v[116:117]
	buffer_store_dword v113, off, s[0:3], 0 offset:20
	buffer_store_dword v112, off, s[0:3], 0 offset:16
.LBB54_17:
	s_or_b64 exec, exec, s[6:7]
	s_waitcnt lgkmcnt(0)
	; wave barrier
	buffer_load_dword v112, off, s[0:3], 0 offset:24
	buffer_load_dword v113, off, s[0:3], 0 offset:28
	v_cmp_gt_u32_e32 vcc, 3, v0
	v_add_u32_e32 v115, -1, v0
	s_waitcnt vmcnt(0)
	ds_write_b64 v114, v[112:113]
	s_waitcnt lgkmcnt(0)
	; wave barrier
	s_waitcnt lgkmcnt(0)
	s_and_saveexec_b64 s[4:5], vcc
	s_cbranch_execz .LBB54_21
; %bb.18:
	v_add_u32_e32 v116, -1, v0
	v_add_u32_e32 v117, 0x1c0, v1
	v_add_u32_e32 v118, 0, v1
	s_mov_b64 s[6:7], 0
	v_pk_mov_b32 v[112:113], 0, 0
.LBB54_19:                              ; =>This Inner Loop Header: Depth=1
	buffer_load_dword v120, v118, s[0:3], 0 offen
	buffer_load_dword v121, v118, s[0:3], 0 offen offset:4
	ds_read_b64 v[122:123], v117
	v_add_u32_e32 v116, 1, v116
	v_cmp_lt_u32_e32 vcc, 1, v116
	v_add_u32_e32 v117, 8, v117
	v_add_u32_e32 v118, 8, v118
	s_or_b64 s[6:7], vcc, s[6:7]
	s_waitcnt vmcnt(0) lgkmcnt(0)
	v_fmac_f64_e32 v[112:113], v[120:121], v[122:123]
	s_andn2_b64 exec, exec, s[6:7]
	s_cbranch_execnz .LBB54_19
; %bb.20:
	s_or_b64 exec, exec, s[6:7]
	v_mov_b32_e32 v116, 0
	ds_read_b64 v[116:117], v116 offset:24
	s_waitcnt lgkmcnt(0)
	v_mul_f64 v[112:113], v[112:113], v[116:117]
	buffer_store_dword v113, off, s[0:3], 0 offset:28
	buffer_store_dword v112, off, s[0:3], 0 offset:24
.LBB54_21:
	s_or_b64 exec, exec, s[4:5]
	s_waitcnt lgkmcnt(0)
	; wave barrier
	buffer_load_dword v112, off, s[0:3], 0 offset:32
	buffer_load_dword v113, off, s[0:3], 0 offset:36
	v_cmp_gt_u32_e32 vcc, 4, v0
	s_waitcnt vmcnt(0)
	ds_write_b64 v114, v[112:113]
	s_waitcnt lgkmcnt(0)
	; wave barrier
	s_waitcnt lgkmcnt(0)
	s_and_saveexec_b64 s[4:5], vcc
	s_cbranch_execz .LBB54_25
; %bb.22:
	v_add_u32_e32 v116, -1, v0
	v_add_u32_e32 v117, 0x1c0, v1
	v_add_u32_e32 v118, 0, v1
	s_mov_b64 s[6:7], 0
	v_pk_mov_b32 v[112:113], 0, 0
.LBB54_23:                              ; =>This Inner Loop Header: Depth=1
	buffer_load_dword v120, v118, s[0:3], 0 offen
	buffer_load_dword v121, v118, s[0:3], 0 offen offset:4
	ds_read_b64 v[122:123], v117
	v_add_u32_e32 v116, 1, v116
	v_cmp_lt_u32_e32 vcc, 2, v116
	v_add_u32_e32 v117, 8, v117
	v_add_u32_e32 v118, 8, v118
	s_or_b64 s[6:7], vcc, s[6:7]
	s_waitcnt vmcnt(0) lgkmcnt(0)
	v_fmac_f64_e32 v[112:113], v[120:121], v[122:123]
	s_andn2_b64 exec, exec, s[6:7]
	s_cbranch_execnz .LBB54_23
; %bb.24:
	s_or_b64 exec, exec, s[6:7]
	v_mov_b32_e32 v116, 0
	ds_read_b64 v[116:117], v116 offset:32
	s_waitcnt lgkmcnt(0)
	v_mul_f64 v[112:113], v[112:113], v[116:117]
	buffer_store_dword v113, off, s[0:3], 0 offset:36
	buffer_store_dword v112, off, s[0:3], 0 offset:32
.LBB54_25:
	s_or_b64 exec, exec, s[4:5]
	s_waitcnt lgkmcnt(0)
	; wave barrier
	buffer_load_dword v112, off, s[0:3], 0 offset:40
	buffer_load_dword v113, off, s[0:3], 0 offset:44
	v_cmp_gt_u32_e32 vcc, 5, v0
	;; [unrolled: 41-line block ×21, first 2 shown]
	s_waitcnt vmcnt(0)
	ds_write_b64 v114, v[112:113]
	s_waitcnt lgkmcnt(0)
	; wave barrier
	s_waitcnt lgkmcnt(0)
	s_and_saveexec_b64 s[4:5], vcc
	s_cbranch_execz .LBB54_105
; %bb.102:
	v_add_u32_e32 v116, -1, v0
	v_add_u32_e32 v117, 0x1c0, v1
	v_add_u32_e32 v118, 0, v1
	s_mov_b64 s[6:7], 0
	v_pk_mov_b32 v[112:113], 0, 0
.LBB54_103:                             ; =>This Inner Loop Header: Depth=1
	buffer_load_dword v120, v118, s[0:3], 0 offen
	buffer_load_dword v121, v118, s[0:3], 0 offen offset:4
	ds_read_b64 v[122:123], v117
	v_add_u32_e32 v116, 1, v116
	v_cmp_lt_u32_e32 vcc, 22, v116
	v_add_u32_e32 v117, 8, v117
	v_add_u32_e32 v118, 8, v118
	s_or_b64 s[6:7], vcc, s[6:7]
	s_waitcnt vmcnt(0) lgkmcnt(0)
	v_fmac_f64_e32 v[112:113], v[120:121], v[122:123]
	s_andn2_b64 exec, exec, s[6:7]
	s_cbranch_execnz .LBB54_103
; %bb.104:
	s_or_b64 exec, exec, s[6:7]
	v_mov_b32_e32 v116, 0
	ds_read_b64 v[116:117], v116 offset:192
	s_waitcnt lgkmcnt(0)
	v_mul_f64 v[112:113], v[112:113], v[116:117]
	buffer_store_dword v113, off, s[0:3], 0 offset:196
	buffer_store_dword v112, off, s[0:3], 0 offset:192
.LBB54_105:
	s_or_b64 exec, exec, s[4:5]
	s_waitcnt lgkmcnt(0)
	; wave barrier
	buffer_load_dword v112, off, s[0:3], 0 offset:200
	buffer_load_dword v113, off, s[0:3], 0 offset:204
	v_cmp_gt_u32_e32 vcc, 25, v0
	s_waitcnt vmcnt(0)
	ds_write_b64 v114, v[112:113]
	s_waitcnt lgkmcnt(0)
	; wave barrier
	s_waitcnt lgkmcnt(0)
	s_and_saveexec_b64 s[4:5], vcc
	s_cbranch_execz .LBB54_109
; %bb.106:
	v_add_u32_e32 v116, -1, v0
	v_add_u32_e32 v117, 0x1c0, v1
	v_add_u32_e32 v118, 0, v1
	s_mov_b64 s[6:7], 0
	v_pk_mov_b32 v[112:113], 0, 0
.LBB54_107:                             ; =>This Inner Loop Header: Depth=1
	buffer_load_dword v120, v118, s[0:3], 0 offen
	buffer_load_dword v121, v118, s[0:3], 0 offen offset:4
	ds_read_b64 v[122:123], v117
	v_add_u32_e32 v116, 1, v116
	v_cmp_lt_u32_e32 vcc, 23, v116
	v_add_u32_e32 v117, 8, v117
	v_add_u32_e32 v118, 8, v118
	s_or_b64 s[6:7], vcc, s[6:7]
	s_waitcnt vmcnt(0) lgkmcnt(0)
	v_fmac_f64_e32 v[112:113], v[120:121], v[122:123]
	s_andn2_b64 exec, exec, s[6:7]
	s_cbranch_execnz .LBB54_107
; %bb.108:
	s_or_b64 exec, exec, s[6:7]
	v_mov_b32_e32 v116, 0
	ds_read_b64 v[116:117], v116 offset:200
	s_waitcnt lgkmcnt(0)
	v_mul_f64 v[112:113], v[112:113], v[116:117]
	buffer_store_dword v113, off, s[0:3], 0 offset:204
	buffer_store_dword v112, off, s[0:3], 0 offset:200
.LBB54_109:
	s_or_b64 exec, exec, s[4:5]
	s_waitcnt lgkmcnt(0)
	; wave barrier
	buffer_load_dword v112, off, s[0:3], 0 offset:208
	buffer_load_dword v113, off, s[0:3], 0 offset:212
	v_cmp_gt_u32_e32 vcc, 26, v0
	;; [unrolled: 41-line block ×29, first 2 shown]
	s_waitcnt vmcnt(0)
	ds_write_b64 v114, v[112:113]
	s_waitcnt lgkmcnt(0)
	; wave barrier
	s_waitcnt lgkmcnt(0)
	s_and_saveexec_b64 s[4:5], vcc
	s_cbranch_execz .LBB54_221
; %bb.218:
	v_add_u32_e32 v116, -1, v0
	v_add_u32_e32 v117, 0x1c0, v1
	v_add_u32_e32 v118, 0, v1
	s_mov_b64 s[6:7], 0
	v_pk_mov_b32 v[112:113], 0, 0
.LBB54_219:                             ; =>This Inner Loop Header: Depth=1
	buffer_load_dword v120, v118, s[0:3], 0 offen
	buffer_load_dword v121, v118, s[0:3], 0 offen offset:4
	ds_read_b64 v[122:123], v117
	v_add_u32_e32 v116, 1, v116
	v_cmp_lt_u32_e32 vcc, 51, v116
	v_add_u32_e32 v117, 8, v117
	v_add_u32_e32 v118, 8, v118
	s_or_b64 s[6:7], vcc, s[6:7]
	s_waitcnt vmcnt(0) lgkmcnt(0)
	v_fmac_f64_e32 v[112:113], v[120:121], v[122:123]
	s_andn2_b64 exec, exec, s[6:7]
	s_cbranch_execnz .LBB54_219
; %bb.220:
	s_or_b64 exec, exec, s[6:7]
	v_mov_b32_e32 v116, 0
	ds_read_b64 v[116:117], v116 offset:424
	s_waitcnt lgkmcnt(0)
	v_mul_f64 v[112:113], v[112:113], v[116:117]
	buffer_store_dword v113, off, s[0:3], 0 offset:428
	buffer_store_dword v112, off, s[0:3], 0 offset:424
.LBB54_221:
	s_or_b64 exec, exec, s[4:5]
	s_waitcnt lgkmcnt(0)
	; wave barrier
	buffer_load_dword v112, off, s[0:3], 0 offset:432
	buffer_load_dword v113, off, s[0:3], 0 offset:436
	v_cmp_ne_u32_e32 vcc, 54, v0
	s_waitcnt vmcnt(0)
	ds_write_b64 v114, v[112:113]
	s_waitcnt lgkmcnt(0)
	; wave barrier
	s_waitcnt lgkmcnt(0)
	s_and_saveexec_b64 s[4:5], vcc
	s_cbranch_execz .LBB54_225
; %bb.222:
	v_add_u32_e32 v114, 0x1c0, v1
	v_add_u32_e32 v1, 0, v1
	s_mov_b64 s[6:7], 0
	v_pk_mov_b32 v[112:113], 0, 0
.LBB54_223:                             ; =>This Inner Loop Header: Depth=1
	buffer_load_dword v116, v1, s[0:3], 0 offen
	buffer_load_dword v117, v1, s[0:3], 0 offen offset:4
	ds_read_b64 v[118:119], v114
	v_add_u32_e32 v115, 1, v115
	v_cmp_lt_u32_e32 vcc, 52, v115
	v_add_u32_e32 v114, 8, v114
	v_add_u32_e32 v1, 8, v1
	s_or_b64 s[6:7], vcc, s[6:7]
	s_waitcnt vmcnt(0) lgkmcnt(0)
	v_fmac_f64_e32 v[112:113], v[116:117], v[118:119]
	s_andn2_b64 exec, exec, s[6:7]
	s_cbranch_execnz .LBB54_223
; %bb.224:
	s_or_b64 exec, exec, s[6:7]
	v_mov_b32_e32 v1, 0
	ds_read_b64 v[114:115], v1 offset:432
	s_waitcnt lgkmcnt(0)
	v_mul_f64 v[112:113], v[112:113], v[114:115]
	buffer_store_dword v113, off, s[0:3], 0 offset:436
	buffer_store_dword v112, off, s[0:3], 0 offset:432
.LBB54_225:
	s_or_b64 exec, exec, s[4:5]
	s_mov_b64 s[6:7], -1
	s_waitcnt lgkmcnt(0)
	; wave barrier
.LBB54_226:
	s_and_b64 vcc, exec, s[6:7]
	s_cbranch_vccz .LBB54_228
; %bb.227:
	s_lshl_b64 s[4:5], s[8:9], 2
	s_add_u32 s4, s14, s4
	s_addc_u32 s5, s15, s5
	v_mov_b32_e32 v1, 0
	global_load_dword v1, v1, s[4:5]
	s_waitcnt vmcnt(0)
	v_cmp_ne_u32_e32 vcc, 0, v1
	s_cbranch_vccz .LBB54_229
.LBB54_228:
	s_endpgm
.LBB54_229:
	v_mov_b32_e32 v1, 0x1c0
	v_lshl_add_u32 v1, v0, 3, v1
	v_cmp_eq_u32_e32 vcc, 54, v0
	s_and_saveexec_b64 s[4:5], vcc
	s_cbranch_execz .LBB54_231
; %bb.230:
	buffer_load_dword v112, off, s[0:3], 0 offset:424
	buffer_load_dword v113, off, s[0:3], 0 offset:428
	v_mov_b32_e32 v114, 0
	buffer_store_dword v114, off, s[0:3], 0 offset:424
	buffer_store_dword v114, off, s[0:3], 0 offset:428
	s_waitcnt vmcnt(2)
	ds_write_b64 v1, v[112:113]
.LBB54_231:
	s_or_b64 exec, exec, s[4:5]
	s_waitcnt lgkmcnt(0)
	; wave barrier
	s_waitcnt lgkmcnt(0)
	buffer_load_dword v114, off, s[0:3], 0 offset:432
	buffer_load_dword v115, off, s[0:3], 0 offset:436
	;; [unrolled: 1-line block ×4, first 2 shown]
	v_mov_b32_e32 v112, 0
	ds_read_b64 v[118:119], v112 offset:880
	v_cmp_lt_u32_e32 vcc, 52, v0
	s_waitcnt vmcnt(2) lgkmcnt(0)
	v_fma_f64 v[114:115], v[114:115], v[118:119], 0
	s_waitcnt vmcnt(0)
	v_add_f64 v[114:115], v[116:117], -v[114:115]
	buffer_store_dword v114, off, s[0:3], 0 offset:424
	buffer_store_dword v115, off, s[0:3], 0 offset:428
	s_and_saveexec_b64 s[4:5], vcc
	s_cbranch_execz .LBB54_233
; %bb.232:
	buffer_load_dword v114, off, s[0:3], 0 offset:416
	buffer_load_dword v115, off, s[0:3], 0 offset:420
	s_waitcnt vmcnt(0)
	ds_write_b64 v1, v[114:115]
	buffer_store_dword v112, off, s[0:3], 0 offset:416
	buffer_store_dword v112, off, s[0:3], 0 offset:420
.LBB54_233:
	s_or_b64 exec, exec, s[4:5]
	s_waitcnt lgkmcnt(0)
	; wave barrier
	s_waitcnt lgkmcnt(0)
	buffer_load_dword v116, off, s[0:3], 0 offset:424
	buffer_load_dword v117, off, s[0:3], 0 offset:428
	;; [unrolled: 1-line block ×6, first 2 shown]
	ds_read2_b64 v[112:115], v112 offset0:109 offset1:110
	v_cmp_lt_u32_e32 vcc, 51, v0
	s_waitcnt vmcnt(4) lgkmcnt(0)
	v_fma_f64 v[112:113], v[116:117], v[112:113], 0
	s_waitcnt vmcnt(2)
	v_fmac_f64_e32 v[112:113], v[118:119], v[114:115]
	s_waitcnt vmcnt(0)
	v_add_f64 v[112:113], v[120:121], -v[112:113]
	buffer_store_dword v112, off, s[0:3], 0 offset:416
	buffer_store_dword v113, off, s[0:3], 0 offset:420
	s_and_saveexec_b64 s[4:5], vcc
	s_cbranch_execz .LBB54_235
; %bb.234:
	buffer_load_dword v112, off, s[0:3], 0 offset:408
	buffer_load_dword v113, off, s[0:3], 0 offset:412
	v_mov_b32_e32 v114, 0
	buffer_store_dword v114, off, s[0:3], 0 offset:408
	buffer_store_dword v114, off, s[0:3], 0 offset:412
	s_waitcnt vmcnt(2)
	ds_write_b64 v1, v[112:113]
.LBB54_235:
	s_or_b64 exec, exec, s[4:5]
	s_waitcnt lgkmcnt(0)
	; wave barrier
	s_waitcnt lgkmcnt(0)
	buffer_load_dword v118, off, s[0:3], 0 offset:416
	buffer_load_dword v119, off, s[0:3], 0 offset:420
	;; [unrolled: 1-line block ×8, first 2 shown]
	v_mov_b32_e32 v112, 0
	ds_read_b128 v[114:117], v112 offset:864
	ds_read_b64 v[126:127], v112 offset:880
	v_cmp_lt_u32_e32 vcc, 50, v0
	s_waitcnt vmcnt(6) lgkmcnt(1)
	v_fma_f64 v[114:115], v[118:119], v[114:115], 0
	s_waitcnt vmcnt(4)
	v_fmac_f64_e32 v[114:115], v[120:121], v[116:117]
	s_waitcnt vmcnt(2) lgkmcnt(0)
	v_fmac_f64_e32 v[114:115], v[122:123], v[126:127]
	s_waitcnt vmcnt(0)
	v_add_f64 v[114:115], v[124:125], -v[114:115]
	buffer_store_dword v114, off, s[0:3], 0 offset:408
	buffer_store_dword v115, off, s[0:3], 0 offset:412
	s_and_saveexec_b64 s[4:5], vcc
	s_cbranch_execz .LBB54_237
; %bb.236:
	buffer_load_dword v114, off, s[0:3], 0 offset:400
	buffer_load_dword v115, off, s[0:3], 0 offset:404
	s_waitcnt vmcnt(0)
	ds_write_b64 v1, v[114:115]
	buffer_store_dword v112, off, s[0:3], 0 offset:400
	buffer_store_dword v112, off, s[0:3], 0 offset:404
.LBB54_237:
	s_or_b64 exec, exec, s[4:5]
	s_waitcnt lgkmcnt(0)
	; wave barrier
	s_waitcnt lgkmcnt(0)
	buffer_load_dword v122, off, s[0:3], 0 offset:408
	buffer_load_dword v123, off, s[0:3], 0 offset:412
	;; [unrolled: 1-line block ×10, first 2 shown]
	ds_read2_b64 v[114:117], v112 offset0:107 offset1:108
	ds_read2_b64 v[118:121], v112 offset0:109 offset1:110
	v_cmp_lt_u32_e32 vcc, 49, v0
	s_waitcnt vmcnt(8) lgkmcnt(1)
	v_fma_f64 v[112:113], v[122:123], v[114:115], 0
	s_waitcnt vmcnt(6)
	v_fmac_f64_e32 v[112:113], v[124:125], v[116:117]
	s_waitcnt vmcnt(4) lgkmcnt(0)
	v_fmac_f64_e32 v[112:113], v[126:127], v[118:119]
	s_waitcnt vmcnt(2)
	v_fmac_f64_e32 v[112:113], v[128:129], v[120:121]
	s_waitcnt vmcnt(0)
	v_add_f64 v[112:113], v[130:131], -v[112:113]
	buffer_store_dword v112, off, s[0:3], 0 offset:400
	buffer_store_dword v113, off, s[0:3], 0 offset:404
	s_and_saveexec_b64 s[4:5], vcc
	s_cbranch_execz .LBB54_239
; %bb.238:
	buffer_load_dword v112, off, s[0:3], 0 offset:392
	buffer_load_dword v113, off, s[0:3], 0 offset:396
	v_mov_b32_e32 v114, 0
	buffer_store_dword v114, off, s[0:3], 0 offset:392
	buffer_store_dword v114, off, s[0:3], 0 offset:396
	s_waitcnt vmcnt(2)
	ds_write_b64 v1, v[112:113]
.LBB54_239:
	s_or_b64 exec, exec, s[4:5]
	s_waitcnt lgkmcnt(0)
	; wave barrier
	s_waitcnt lgkmcnt(0)
	buffer_load_dword v122, off, s[0:3], 0 offset:400
	buffer_load_dword v123, off, s[0:3], 0 offset:404
	buffer_load_dword v124, off, s[0:3], 0 offset:408
	buffer_load_dword v125, off, s[0:3], 0 offset:412
	buffer_load_dword v126, off, s[0:3], 0 offset:416
	buffer_load_dword v127, off, s[0:3], 0 offset:420
	buffer_load_dword v128, off, s[0:3], 0 offset:424
	buffer_load_dword v129, off, s[0:3], 0 offset:428
	buffer_load_dword v130, off, s[0:3], 0 offset:432
	buffer_load_dword v131, off, s[0:3], 0 offset:436
	buffer_load_dword v132, off, s[0:3], 0 offset:392
	buffer_load_dword v133, off, s[0:3], 0 offset:396
	v_mov_b32_e32 v112, 0
	ds_read_b128 v[114:117], v112 offset:848
	ds_read_b128 v[118:121], v112 offset:864
	ds_read_b64 v[134:135], v112 offset:880
	v_cmp_lt_u32_e32 vcc, 48, v0
	s_waitcnt vmcnt(10) lgkmcnt(2)
	v_fma_f64 v[114:115], v[122:123], v[114:115], 0
	s_waitcnt vmcnt(8)
	v_fmac_f64_e32 v[114:115], v[124:125], v[116:117]
	s_waitcnt vmcnt(6) lgkmcnt(1)
	v_fmac_f64_e32 v[114:115], v[126:127], v[118:119]
	s_waitcnt vmcnt(4)
	v_fmac_f64_e32 v[114:115], v[128:129], v[120:121]
	s_waitcnt vmcnt(2) lgkmcnt(0)
	v_fmac_f64_e32 v[114:115], v[130:131], v[134:135]
	s_waitcnt vmcnt(0)
	v_add_f64 v[114:115], v[132:133], -v[114:115]
	buffer_store_dword v114, off, s[0:3], 0 offset:392
	buffer_store_dword v115, off, s[0:3], 0 offset:396
	s_and_saveexec_b64 s[4:5], vcc
	s_cbranch_execz .LBB54_241
; %bb.240:
	buffer_load_dword v114, off, s[0:3], 0 offset:384
	buffer_load_dword v115, off, s[0:3], 0 offset:388
	s_waitcnt vmcnt(0)
	ds_write_b64 v1, v[114:115]
	buffer_store_dword v112, off, s[0:3], 0 offset:384
	buffer_store_dword v112, off, s[0:3], 0 offset:388
.LBB54_241:
	s_or_b64 exec, exec, s[4:5]
	s_waitcnt lgkmcnt(0)
	; wave barrier
	s_waitcnt lgkmcnt(0)
	buffer_load_dword v126, off, s[0:3], 0 offset:392
	buffer_load_dword v127, off, s[0:3], 0 offset:396
	;; [unrolled: 1-line block ×14, first 2 shown]
	ds_read2_b64 v[114:117], v112 offset0:105 offset1:106
	ds_read2_b64 v[118:121], v112 offset0:107 offset1:108
	ds_read2_b64 v[122:125], v112 offset0:109 offset1:110
	v_cmp_lt_u32_e32 vcc, 47, v0
	s_waitcnt vmcnt(12) lgkmcnt(2)
	v_fma_f64 v[112:113], v[126:127], v[114:115], 0
	s_waitcnt vmcnt(10)
	v_fmac_f64_e32 v[112:113], v[128:129], v[116:117]
	s_waitcnt vmcnt(8) lgkmcnt(1)
	v_fmac_f64_e32 v[112:113], v[130:131], v[118:119]
	s_waitcnt vmcnt(6)
	v_fmac_f64_e32 v[112:113], v[132:133], v[120:121]
	s_waitcnt vmcnt(4) lgkmcnt(0)
	v_fmac_f64_e32 v[112:113], v[134:135], v[122:123]
	s_waitcnt vmcnt(2)
	v_fmac_f64_e32 v[112:113], v[136:137], v[124:125]
	s_waitcnt vmcnt(0)
	v_add_f64 v[112:113], v[138:139], -v[112:113]
	buffer_store_dword v112, off, s[0:3], 0 offset:384
	buffer_store_dword v113, off, s[0:3], 0 offset:388
	s_and_saveexec_b64 s[4:5], vcc
	s_cbranch_execz .LBB54_243
; %bb.242:
	buffer_load_dword v112, off, s[0:3], 0 offset:376
	buffer_load_dword v113, off, s[0:3], 0 offset:380
	v_mov_b32_e32 v114, 0
	buffer_store_dword v114, off, s[0:3], 0 offset:376
	buffer_store_dword v114, off, s[0:3], 0 offset:380
	s_waitcnt vmcnt(2)
	ds_write_b64 v1, v[112:113]
.LBB54_243:
	s_or_b64 exec, exec, s[4:5]
	s_waitcnt lgkmcnt(0)
	; wave barrier
	s_waitcnt lgkmcnt(0)
	buffer_load_dword v126, off, s[0:3], 0 offset:384
	buffer_load_dword v127, off, s[0:3], 0 offset:388
	;; [unrolled: 1-line block ×16, first 2 shown]
	v_mov_b32_e32 v112, 0
	ds_read_b128 v[114:117], v112 offset:832
	ds_read_b128 v[118:121], v112 offset:848
	;; [unrolled: 1-line block ×3, first 2 shown]
	ds_read_b64 v[142:143], v112 offset:880
	v_cmp_lt_u32_e32 vcc, 46, v0
	s_waitcnt vmcnt(14) lgkmcnt(3)
	v_fma_f64 v[114:115], v[126:127], v[114:115], 0
	s_waitcnt vmcnt(12)
	v_fmac_f64_e32 v[114:115], v[128:129], v[116:117]
	s_waitcnt vmcnt(10) lgkmcnt(2)
	v_fmac_f64_e32 v[114:115], v[130:131], v[118:119]
	s_waitcnt vmcnt(8)
	v_fmac_f64_e32 v[114:115], v[132:133], v[120:121]
	s_waitcnt vmcnt(6) lgkmcnt(1)
	v_fmac_f64_e32 v[114:115], v[134:135], v[122:123]
	;; [unrolled: 4-line block ×3, first 2 shown]
	s_waitcnt vmcnt(0)
	v_add_f64 v[114:115], v[140:141], -v[114:115]
	buffer_store_dword v114, off, s[0:3], 0 offset:376
	buffer_store_dword v115, off, s[0:3], 0 offset:380
	s_and_saveexec_b64 s[4:5], vcc
	s_cbranch_execz .LBB54_245
; %bb.244:
	buffer_load_dword v114, off, s[0:3], 0 offset:368
	buffer_load_dword v115, off, s[0:3], 0 offset:372
	s_waitcnt vmcnt(0)
	ds_write_b64 v1, v[114:115]
	buffer_store_dword v112, off, s[0:3], 0 offset:368
	buffer_store_dword v112, off, s[0:3], 0 offset:372
.LBB54_245:
	s_or_b64 exec, exec, s[4:5]
	s_waitcnt lgkmcnt(0)
	; wave barrier
	s_waitcnt lgkmcnt(0)
	buffer_load_dword v130, off, s[0:3], 0 offset:376
	buffer_load_dword v131, off, s[0:3], 0 offset:380
	buffer_load_dword v132, off, s[0:3], 0 offset:384
	buffer_load_dword v133, off, s[0:3], 0 offset:388
	buffer_load_dword v134, off, s[0:3], 0 offset:392
	buffer_load_dword v135, off, s[0:3], 0 offset:396
	buffer_load_dword v136, off, s[0:3], 0 offset:400
	buffer_load_dword v137, off, s[0:3], 0 offset:404
	buffer_load_dword v138, off, s[0:3], 0 offset:408
	buffer_load_dword v139, off, s[0:3], 0 offset:412
	buffer_load_dword v140, off, s[0:3], 0 offset:416
	buffer_load_dword v141, off, s[0:3], 0 offset:420
	buffer_load_dword v142, off, s[0:3], 0 offset:424
	buffer_load_dword v143, off, s[0:3], 0 offset:428
	buffer_load_dword v145, off, s[0:3], 0 offset:436
	buffer_load_dword v144, off, s[0:3], 0 offset:432
	buffer_load_dword v146, off, s[0:3], 0 offset:368
	buffer_load_dword v147, off, s[0:3], 0 offset:372
	ds_read2_b64 v[114:117], v112 offset0:103 offset1:104
	ds_read2_b64 v[118:121], v112 offset0:105 offset1:106
	;; [unrolled: 1-line block ×4, first 2 shown]
	v_cmp_lt_u32_e32 vcc, 45, v0
	s_waitcnt vmcnt(16) lgkmcnt(3)
	v_fma_f64 v[112:113], v[130:131], v[114:115], 0
	s_waitcnt vmcnt(14)
	v_fmac_f64_e32 v[112:113], v[132:133], v[116:117]
	s_waitcnt vmcnt(12) lgkmcnt(2)
	v_fmac_f64_e32 v[112:113], v[134:135], v[118:119]
	s_waitcnt vmcnt(10)
	v_fmac_f64_e32 v[112:113], v[136:137], v[120:121]
	s_waitcnt vmcnt(8) lgkmcnt(1)
	v_fmac_f64_e32 v[112:113], v[138:139], v[122:123]
	;; [unrolled: 4-line block ×3, first 2 shown]
	s_waitcnt vmcnt(2)
	v_fmac_f64_e32 v[112:113], v[144:145], v[128:129]
	s_waitcnt vmcnt(0)
	v_add_f64 v[112:113], v[146:147], -v[112:113]
	buffer_store_dword v112, off, s[0:3], 0 offset:368
	buffer_store_dword v113, off, s[0:3], 0 offset:372
	s_and_saveexec_b64 s[4:5], vcc
	s_cbranch_execz .LBB54_247
; %bb.246:
	buffer_load_dword v112, off, s[0:3], 0 offset:360
	buffer_load_dword v113, off, s[0:3], 0 offset:364
	v_mov_b32_e32 v114, 0
	buffer_store_dword v114, off, s[0:3], 0 offset:360
	buffer_store_dword v114, off, s[0:3], 0 offset:364
	s_waitcnt vmcnt(2)
	ds_write_b64 v1, v[112:113]
.LBB54_247:
	s_or_b64 exec, exec, s[4:5]
	s_waitcnt lgkmcnt(0)
	; wave barrier
	s_waitcnt lgkmcnt(0)
	buffer_load_dword v130, off, s[0:3], 0 offset:368
	buffer_load_dword v131, off, s[0:3], 0 offset:372
	;; [unrolled: 1-line block ×20, first 2 shown]
	v_mov_b32_e32 v112, 0
	ds_read_b128 v[114:117], v112 offset:816
	ds_read_b128 v[118:121], v112 offset:832
	;; [unrolled: 1-line block ×4, first 2 shown]
	ds_read_b64 v[150:151], v112 offset:880
	v_cmp_lt_u32_e32 vcc, 44, v0
	s_waitcnt vmcnt(18) lgkmcnt(4)
	v_fma_f64 v[114:115], v[130:131], v[114:115], 0
	s_waitcnt vmcnt(16)
	v_fmac_f64_e32 v[114:115], v[132:133], v[116:117]
	s_waitcnt vmcnt(14) lgkmcnt(3)
	v_fmac_f64_e32 v[114:115], v[134:135], v[118:119]
	s_waitcnt vmcnt(12)
	v_fmac_f64_e32 v[114:115], v[136:137], v[120:121]
	s_waitcnt vmcnt(10) lgkmcnt(2)
	v_fmac_f64_e32 v[114:115], v[138:139], v[122:123]
	;; [unrolled: 4-line block ×3, first 2 shown]
	s_waitcnt vmcnt(2)
	v_fmac_f64_e32 v[114:115], v[146:147], v[128:129]
	s_waitcnt lgkmcnt(0)
	v_fmac_f64_e32 v[114:115], v[144:145], v[150:151]
	s_waitcnt vmcnt(0)
	v_add_f64 v[114:115], v[148:149], -v[114:115]
	buffer_store_dword v114, off, s[0:3], 0 offset:360
	buffer_store_dword v115, off, s[0:3], 0 offset:364
	s_and_saveexec_b64 s[4:5], vcc
	s_cbranch_execz .LBB54_249
; %bb.248:
	buffer_load_dword v114, off, s[0:3], 0 offset:352
	buffer_load_dword v115, off, s[0:3], 0 offset:356
	s_waitcnt vmcnt(0)
	ds_write_b64 v1, v[114:115]
	buffer_store_dword v112, off, s[0:3], 0 offset:352
	buffer_store_dword v112, off, s[0:3], 0 offset:356
.LBB54_249:
	s_or_b64 exec, exec, s[4:5]
	s_waitcnt lgkmcnt(0)
	; wave barrier
	s_waitcnt lgkmcnt(0)
	buffer_load_dword v134, off, s[0:3], 0 offset:360
	buffer_load_dword v135, off, s[0:3], 0 offset:364
	;; [unrolled: 1-line block ×22, first 2 shown]
	ds_read2_b64 v[114:117], v112 offset0:101 offset1:102
	ds_read2_b64 v[118:121], v112 offset0:103 offset1:104
	;; [unrolled: 1-line block ×5, first 2 shown]
	v_cmp_lt_u32_e32 vcc, 43, v0
	s_waitcnt vmcnt(20) lgkmcnt(4)
	v_fma_f64 v[112:113], v[134:135], v[114:115], 0
	s_waitcnt vmcnt(18)
	v_fmac_f64_e32 v[112:113], v[136:137], v[116:117]
	s_waitcnt vmcnt(16) lgkmcnt(3)
	v_fmac_f64_e32 v[112:113], v[138:139], v[118:119]
	s_waitcnt vmcnt(14)
	v_fmac_f64_e32 v[112:113], v[140:141], v[120:121]
	s_waitcnt vmcnt(12) lgkmcnt(2)
	v_fmac_f64_e32 v[112:113], v[142:143], v[122:123]
	;; [unrolled: 4-line block ×3, first 2 shown]
	s_waitcnt vmcnt(3)
	v_fmac_f64_e32 v[112:113], v[152:153], v[128:129]
	s_waitcnt lgkmcnt(0)
	v_fmac_f64_e32 v[112:113], v[150:151], v[130:131]
	s_waitcnt vmcnt(2)
	v_fmac_f64_e32 v[112:113], v[148:149], v[132:133]
	s_waitcnt vmcnt(0)
	v_add_f64 v[112:113], v[154:155], -v[112:113]
	buffer_store_dword v112, off, s[0:3], 0 offset:352
	buffer_store_dword v113, off, s[0:3], 0 offset:356
	s_and_saveexec_b64 s[4:5], vcc
	s_cbranch_execz .LBB54_251
; %bb.250:
	buffer_load_dword v112, off, s[0:3], 0 offset:344
	buffer_load_dword v113, off, s[0:3], 0 offset:348
	v_mov_b32_e32 v114, 0
	buffer_store_dword v114, off, s[0:3], 0 offset:344
	buffer_store_dword v114, off, s[0:3], 0 offset:348
	s_waitcnt vmcnt(2)
	ds_write_b64 v1, v[112:113]
.LBB54_251:
	s_or_b64 exec, exec, s[4:5]
	s_waitcnt lgkmcnt(0)
	; wave barrier
	s_waitcnt lgkmcnt(0)
	buffer_load_dword v134, off, s[0:3], 0 offset:352
	buffer_load_dword v135, off, s[0:3], 0 offset:356
	;; [unrolled: 1-line block ×24, first 2 shown]
	v_mov_b32_e32 v112, 0
	ds_read_b128 v[114:117], v112 offset:800
	ds_read_b128 v[118:121], v112 offset:816
	;; [unrolled: 1-line block ×5, first 2 shown]
	ds_read_b64 v[158:159], v112 offset:880
	v_cmp_lt_u32_e32 vcc, 42, v0
	s_waitcnt vmcnt(22) lgkmcnt(5)
	v_fma_f64 v[114:115], v[134:135], v[114:115], 0
	s_waitcnt vmcnt(20)
	v_fmac_f64_e32 v[114:115], v[136:137], v[116:117]
	s_waitcnt vmcnt(18) lgkmcnt(4)
	v_fmac_f64_e32 v[114:115], v[138:139], v[118:119]
	s_waitcnt vmcnt(16)
	v_fmac_f64_e32 v[114:115], v[140:141], v[120:121]
	s_waitcnt vmcnt(14) lgkmcnt(3)
	v_fmac_f64_e32 v[114:115], v[142:143], v[122:123]
	s_waitcnt vmcnt(12)
	v_fmac_f64_e32 v[114:115], v[144:145], v[124:125]
	s_waitcnt vmcnt(10) lgkmcnt(2)
	v_fmac_f64_e32 v[114:115], v[146:147], v[126:127]
	s_waitcnt vmcnt(4)
	v_fmac_f64_e32 v[114:115], v[154:155], v[128:129]
	s_waitcnt lgkmcnt(1)
	v_fmac_f64_e32 v[114:115], v[152:153], v[130:131]
	s_waitcnt vmcnt(3)
	v_fmac_f64_e32 v[114:115], v[150:151], v[132:133]
	s_waitcnt vmcnt(2) lgkmcnt(0)
	v_fmac_f64_e32 v[114:115], v[148:149], v[158:159]
	s_waitcnt vmcnt(0)
	v_add_f64 v[114:115], v[156:157], -v[114:115]
	buffer_store_dword v115, off, s[0:3], 0 offset:348
	buffer_store_dword v114, off, s[0:3], 0 offset:344
	s_and_saveexec_b64 s[4:5], vcc
	s_cbranch_execz .LBB54_253
; %bb.252:
	buffer_load_dword v114, off, s[0:3], 0 offset:336
	buffer_load_dword v115, off, s[0:3], 0 offset:340
	s_waitcnt vmcnt(0)
	ds_write_b64 v1, v[114:115]
	buffer_store_dword v112, off, s[0:3], 0 offset:336
	buffer_store_dword v112, off, s[0:3], 0 offset:340
.LBB54_253:
	s_or_b64 exec, exec, s[4:5]
	s_waitcnt lgkmcnt(0)
	; wave barrier
	s_waitcnt lgkmcnt(0)
	buffer_load_dword v138, off, s[0:3], 0 offset:344
	buffer_load_dword v139, off, s[0:3], 0 offset:348
	;; [unrolled: 1-line block ×26, first 2 shown]
	ds_read2_b64 v[114:117], v112 offset0:99 offset1:100
	ds_read2_b64 v[118:121], v112 offset0:101 offset1:102
	ds_read2_b64 v[122:125], v112 offset0:103 offset1:104
	ds_read2_b64 v[126:129], v112 offset0:105 offset1:106
	ds_read2_b64 v[130:133], v112 offset0:107 offset1:108
	ds_read2_b64 v[134:137], v112 offset0:109 offset1:110
	v_cmp_lt_u32_e32 vcc, 41, v0
	s_waitcnt vmcnt(24) lgkmcnt(5)
	v_fma_f64 v[112:113], v[138:139], v[114:115], 0
	s_waitcnt vmcnt(22)
	v_fmac_f64_e32 v[112:113], v[140:141], v[116:117]
	s_waitcnt vmcnt(20) lgkmcnt(4)
	v_fmac_f64_e32 v[112:113], v[142:143], v[118:119]
	s_waitcnt vmcnt(18)
	v_fmac_f64_e32 v[112:113], v[144:145], v[120:121]
	s_waitcnt vmcnt(16) lgkmcnt(3)
	v_fmac_f64_e32 v[112:113], v[146:147], v[122:123]
	;; [unrolled: 4-line block ×3, first 2 shown]
	s_waitcnt vmcnt(5)
	v_fmac_f64_e32 v[112:113], v[158:159], v[128:129]
	s_waitcnt lgkmcnt(1)
	v_fmac_f64_e32 v[112:113], v[156:157], v[130:131]
	v_fmac_f64_e32 v[112:113], v[154:155], v[132:133]
	s_waitcnt vmcnt(4) lgkmcnt(0)
	v_fmac_f64_e32 v[112:113], v[152:153], v[134:135]
	s_waitcnt vmcnt(2)
	v_fmac_f64_e32 v[112:113], v[160:161], v[136:137]
	s_waitcnt vmcnt(0)
	v_add_f64 v[112:113], v[162:163], -v[112:113]
	buffer_store_dword v113, off, s[0:3], 0 offset:340
	buffer_store_dword v112, off, s[0:3], 0 offset:336
	s_and_saveexec_b64 s[4:5], vcc
	s_cbranch_execz .LBB54_255
; %bb.254:
	buffer_load_dword v112, off, s[0:3], 0 offset:328
	buffer_load_dword v113, off, s[0:3], 0 offset:332
	v_mov_b32_e32 v114, 0
	buffer_store_dword v114, off, s[0:3], 0 offset:328
	buffer_store_dword v114, off, s[0:3], 0 offset:332
	s_waitcnt vmcnt(2)
	ds_write_b64 v1, v[112:113]
.LBB54_255:
	s_or_b64 exec, exec, s[4:5]
	s_waitcnt lgkmcnt(0)
	; wave barrier
	s_waitcnt lgkmcnt(0)
	buffer_load_dword v130, off, s[0:3], 0 offset:328
	buffer_load_dword v131, off, s[0:3], 0 offset:332
	;; [unrolled: 1-line block ×16, first 2 shown]
	v_mov_b32_e32 v112, 0
	ds_read_b128 v[114:117], v112 offset:784
	ds_read_b128 v[118:121], v112 offset:800
	;; [unrolled: 1-line block ×4, first 2 shown]
	v_cmp_lt_u32_e32 vcc, 40, v0
	s_waitcnt vmcnt(12) lgkmcnt(3)
	v_fma_f64 v[132:133], v[132:133], v[114:115], 0
	buffer_load_dword v115, off, s[0:3], 0 offset:396
	buffer_load_dword v114, off, s[0:3], 0 offset:392
	s_waitcnt vmcnt(12)
	v_fmac_f64_e32 v[132:133], v[134:135], v[116:117]
	s_waitcnt vmcnt(10) lgkmcnt(2)
	v_fmac_f64_e32 v[132:133], v[136:137], v[118:119]
	buffer_load_dword v119, off, s[0:3], 0 offset:404
	buffer_load_dword v118, off, s[0:3], 0 offset:400
	s_waitcnt vmcnt(10)
	v_fmac_f64_e32 v[132:133], v[138:139], v[120:121]
	s_waitcnt vmcnt(8) lgkmcnt(1)
	v_fmac_f64_e32 v[132:133], v[140:141], v[122:123]
	s_waitcnt vmcnt(6)
	v_fmac_f64_e32 v[132:133], v[142:143], v[124:125]
	s_waitcnt vmcnt(4) lgkmcnt(0)
	v_fmac_f64_e32 v[132:133], v[144:145], v[126:127]
	s_waitcnt vmcnt(2)
	v_fmac_f64_e32 v[132:133], v[114:115], v[128:129]
	ds_read_b128 v[114:117], v112 offset:848
	s_waitcnt vmcnt(0) lgkmcnt(0)
	v_fmac_f64_e32 v[132:133], v[118:119], v[114:115]
	buffer_load_dword v115, off, s[0:3], 0 offset:412
	buffer_load_dword v114, off, s[0:3], 0 offset:408
	;; [unrolled: 1-line block ×4, first 2 shown]
	s_waitcnt vmcnt(2)
	v_fmac_f64_e32 v[132:133], v[114:115], v[116:117]
	ds_read_b128 v[114:117], v112 offset:864
	s_waitcnt vmcnt(0) lgkmcnt(0)
	v_fmac_f64_e32 v[132:133], v[118:119], v[114:115]
	buffer_load_dword v115, off, s[0:3], 0 offset:428
	buffer_load_dword v114, off, s[0:3], 0 offset:424
	s_waitcnt vmcnt(0)
	v_fmac_f64_e32 v[132:133], v[114:115], v[116:117]
	buffer_load_dword v115, off, s[0:3], 0 offset:436
	buffer_load_dword v114, off, s[0:3], 0 offset:432
	ds_read_b64 v[116:117], v112 offset:880
	s_waitcnt vmcnt(0) lgkmcnt(0)
	v_fmac_f64_e32 v[132:133], v[114:115], v[116:117]
	v_add_f64 v[114:115], v[130:131], -v[132:133]
	buffer_store_dword v115, off, s[0:3], 0 offset:332
	buffer_store_dword v114, off, s[0:3], 0 offset:328
	s_and_saveexec_b64 s[4:5], vcc
	s_cbranch_execz .LBB54_257
; %bb.256:
	buffer_load_dword v114, off, s[0:3], 0 offset:320
	buffer_load_dword v115, off, s[0:3], 0 offset:324
	s_waitcnt vmcnt(0)
	ds_write_b64 v1, v[114:115]
	buffer_store_dword v112, off, s[0:3], 0 offset:320
	buffer_store_dword v112, off, s[0:3], 0 offset:324
.LBB54_257:
	s_or_b64 exec, exec, s[4:5]
	s_waitcnt lgkmcnt(0)
	; wave barrier
	s_waitcnt lgkmcnt(0)
	buffer_load_dword v118, off, s[0:3], 0 offset:320
	buffer_load_dword v119, off, s[0:3], 0 offset:324
	;; [unrolled: 1-line block ×16, first 2 shown]
	ds_read2_b64 v[114:117], v112 offset0:97 offset1:98
	v_cmp_lt_u32_e32 vcc, 39, v0
	s_waitcnt vmcnt(12) lgkmcnt(0)
	v_fma_f64 v[120:121], v[120:121], v[114:115], 0
	s_waitcnt vmcnt(10)
	v_fmac_f64_e32 v[120:121], v[122:123], v[116:117]
	ds_read2_b64 v[114:117], v112 offset0:99 offset1:100
	s_waitcnt vmcnt(8) lgkmcnt(0)
	v_fmac_f64_e32 v[120:121], v[124:125], v[114:115]
	s_waitcnt vmcnt(6)
	v_fmac_f64_e32 v[120:121], v[126:127], v[116:117]
	ds_read2_b64 v[114:117], v112 offset0:101 offset1:102
	s_waitcnt vmcnt(4) lgkmcnt(0)
	v_fmac_f64_e32 v[120:121], v[128:129], v[114:115]
	;; [unrolled: 5-line block ×3, first 2 shown]
	buffer_load_dword v115, off, s[0:3], 0 offset:388
	buffer_load_dword v114, off, s[0:3], 0 offset:384
	;; [unrolled: 1-line block ×4, first 2 shown]
	s_waitcnt vmcnt(2)
	v_fmac_f64_e32 v[120:121], v[114:115], v[116:117]
	ds_read2_b64 v[114:117], v112 offset0:105 offset1:106
	s_waitcnt vmcnt(0) lgkmcnt(0)
	v_fmac_f64_e32 v[120:121], v[122:123], v[114:115]
	buffer_load_dword v115, off, s[0:3], 0 offset:404
	buffer_load_dword v114, off, s[0:3], 0 offset:400
	;; [unrolled: 1-line block ×4, first 2 shown]
	s_waitcnt vmcnt(2)
	v_fmac_f64_e32 v[120:121], v[114:115], v[116:117]
	ds_read2_b64 v[114:117], v112 offset0:107 offset1:108
	s_waitcnt vmcnt(0) lgkmcnt(0)
	v_fmac_f64_e32 v[120:121], v[122:123], v[114:115]
	buffer_load_dword v115, off, s[0:3], 0 offset:420
	buffer_load_dword v114, off, s[0:3], 0 offset:416
	s_waitcnt vmcnt(0)
	v_fmac_f64_e32 v[120:121], v[114:115], v[116:117]
	buffer_load_dword v117, off, s[0:3], 0 offset:428
	buffer_load_dword v116, off, s[0:3], 0 offset:424
	ds_read2_b64 v[112:115], v112 offset0:109 offset1:110
	s_waitcnt vmcnt(0) lgkmcnt(0)
	v_fmac_f64_e32 v[120:121], v[116:117], v[112:113]
	buffer_load_dword v113, off, s[0:3], 0 offset:436
	buffer_load_dword v112, off, s[0:3], 0 offset:432
	s_waitcnt vmcnt(0)
	v_fmac_f64_e32 v[120:121], v[112:113], v[114:115]
	v_add_f64 v[112:113], v[118:119], -v[120:121]
	buffer_store_dword v113, off, s[0:3], 0 offset:324
	buffer_store_dword v112, off, s[0:3], 0 offset:320
	s_and_saveexec_b64 s[4:5], vcc
	s_cbranch_execz .LBB54_259
; %bb.258:
	buffer_load_dword v112, off, s[0:3], 0 offset:312
	buffer_load_dword v113, off, s[0:3], 0 offset:316
	v_mov_b32_e32 v114, 0
	buffer_store_dword v114, off, s[0:3], 0 offset:312
	buffer_store_dword v114, off, s[0:3], 0 offset:316
	s_waitcnt vmcnt(2)
	ds_write_b64 v1, v[112:113]
.LBB54_259:
	s_or_b64 exec, exec, s[4:5]
	s_waitcnt lgkmcnt(0)
	; wave barrier
	s_waitcnt lgkmcnt(0)
	buffer_load_dword v130, off, s[0:3], 0 offset:312
	buffer_load_dword v131, off, s[0:3], 0 offset:316
	;; [unrolled: 1-line block ×16, first 2 shown]
	v_mov_b32_e32 v112, 0
	ds_read_b128 v[114:117], v112 offset:768
	ds_read_b128 v[118:121], v112 offset:784
	;; [unrolled: 1-line block ×4, first 2 shown]
	v_cmp_lt_u32_e32 vcc, 38, v0
	s_waitcnt vmcnt(12) lgkmcnt(3)
	v_fma_f64 v[132:133], v[132:133], v[114:115], 0
	buffer_load_dword v115, off, s[0:3], 0 offset:380
	buffer_load_dword v114, off, s[0:3], 0 offset:376
	s_waitcnt vmcnt(12)
	v_fmac_f64_e32 v[132:133], v[134:135], v[116:117]
	s_waitcnt vmcnt(10) lgkmcnt(2)
	v_fmac_f64_e32 v[132:133], v[136:137], v[118:119]
	buffer_load_dword v119, off, s[0:3], 0 offset:388
	buffer_load_dword v118, off, s[0:3], 0 offset:384
	s_waitcnt vmcnt(10)
	v_fmac_f64_e32 v[132:133], v[138:139], v[120:121]
	s_waitcnt vmcnt(8) lgkmcnt(1)
	v_fmac_f64_e32 v[132:133], v[140:141], v[122:123]
	s_waitcnt vmcnt(6)
	v_fmac_f64_e32 v[132:133], v[142:143], v[124:125]
	s_waitcnt vmcnt(4) lgkmcnt(0)
	v_fmac_f64_e32 v[132:133], v[144:145], v[126:127]
	s_waitcnt vmcnt(2)
	v_fmac_f64_e32 v[132:133], v[114:115], v[128:129]
	ds_read_b128 v[114:117], v112 offset:832
	s_waitcnt vmcnt(0) lgkmcnt(0)
	v_fmac_f64_e32 v[132:133], v[118:119], v[114:115]
	buffer_load_dword v115, off, s[0:3], 0 offset:396
	buffer_load_dword v114, off, s[0:3], 0 offset:392
	;; [unrolled: 1-line block ×4, first 2 shown]
	s_waitcnt vmcnt(2)
	v_fmac_f64_e32 v[132:133], v[114:115], v[116:117]
	ds_read_b128 v[114:117], v112 offset:848
	s_waitcnt vmcnt(0) lgkmcnt(0)
	v_fmac_f64_e32 v[132:133], v[118:119], v[114:115]
	buffer_load_dword v115, off, s[0:3], 0 offset:412
	buffer_load_dword v114, off, s[0:3], 0 offset:408
	;; [unrolled: 1-line block ×4, first 2 shown]
	s_waitcnt vmcnt(2)
	v_fmac_f64_e32 v[132:133], v[114:115], v[116:117]
	ds_read_b128 v[114:117], v112 offset:864
	s_waitcnt vmcnt(0) lgkmcnt(0)
	v_fmac_f64_e32 v[132:133], v[118:119], v[114:115]
	buffer_load_dword v115, off, s[0:3], 0 offset:428
	buffer_load_dword v114, off, s[0:3], 0 offset:424
	s_waitcnt vmcnt(0)
	v_fmac_f64_e32 v[132:133], v[114:115], v[116:117]
	buffer_load_dword v115, off, s[0:3], 0 offset:436
	buffer_load_dword v114, off, s[0:3], 0 offset:432
	ds_read_b64 v[116:117], v112 offset:880
	s_waitcnt vmcnt(0) lgkmcnt(0)
	v_fmac_f64_e32 v[132:133], v[114:115], v[116:117]
	v_add_f64 v[114:115], v[130:131], -v[132:133]
	buffer_store_dword v115, off, s[0:3], 0 offset:316
	buffer_store_dword v114, off, s[0:3], 0 offset:312
	s_and_saveexec_b64 s[4:5], vcc
	s_cbranch_execz .LBB54_261
; %bb.260:
	buffer_load_dword v114, off, s[0:3], 0 offset:304
	buffer_load_dword v115, off, s[0:3], 0 offset:308
	s_waitcnt vmcnt(0)
	ds_write_b64 v1, v[114:115]
	buffer_store_dword v112, off, s[0:3], 0 offset:304
	buffer_store_dword v112, off, s[0:3], 0 offset:308
.LBB54_261:
	s_or_b64 exec, exec, s[4:5]
	s_waitcnt lgkmcnt(0)
	; wave barrier
	s_waitcnt lgkmcnt(0)
	buffer_load_dword v118, off, s[0:3], 0 offset:304
	buffer_load_dword v119, off, s[0:3], 0 offset:308
	;; [unrolled: 1-line block ×16, first 2 shown]
	ds_read2_b64 v[114:117], v112 offset0:95 offset1:96
	v_cmp_lt_u32_e32 vcc, 37, v0
	s_waitcnt vmcnt(12) lgkmcnt(0)
	v_fma_f64 v[120:121], v[120:121], v[114:115], 0
	s_waitcnt vmcnt(10)
	v_fmac_f64_e32 v[120:121], v[122:123], v[116:117]
	ds_read2_b64 v[114:117], v112 offset0:97 offset1:98
	s_waitcnt vmcnt(8) lgkmcnt(0)
	v_fmac_f64_e32 v[120:121], v[124:125], v[114:115]
	s_waitcnt vmcnt(6)
	v_fmac_f64_e32 v[120:121], v[126:127], v[116:117]
	ds_read2_b64 v[114:117], v112 offset0:99 offset1:100
	s_waitcnt vmcnt(4) lgkmcnt(0)
	v_fmac_f64_e32 v[120:121], v[128:129], v[114:115]
	;; [unrolled: 5-line block ×3, first 2 shown]
	buffer_load_dword v115, off, s[0:3], 0 offset:372
	buffer_load_dword v114, off, s[0:3], 0 offset:368
	buffer_load_dword v123, off, s[0:3], 0 offset:380
	buffer_load_dword v122, off, s[0:3], 0 offset:376
	s_waitcnt vmcnt(2)
	v_fmac_f64_e32 v[120:121], v[114:115], v[116:117]
	ds_read2_b64 v[114:117], v112 offset0:103 offset1:104
	s_waitcnt vmcnt(0) lgkmcnt(0)
	v_fmac_f64_e32 v[120:121], v[122:123], v[114:115]
	buffer_load_dword v115, off, s[0:3], 0 offset:388
	buffer_load_dword v114, off, s[0:3], 0 offset:384
	buffer_load_dword v123, off, s[0:3], 0 offset:396
	buffer_load_dword v122, off, s[0:3], 0 offset:392
	s_waitcnt vmcnt(2)
	v_fmac_f64_e32 v[120:121], v[114:115], v[116:117]
	ds_read2_b64 v[114:117], v112 offset0:105 offset1:106
	s_waitcnt vmcnt(0) lgkmcnt(0)
	v_fmac_f64_e32 v[120:121], v[122:123], v[114:115]
	;; [unrolled: 9-line block ×3, first 2 shown]
	buffer_load_dword v115, off, s[0:3], 0 offset:420
	buffer_load_dword v114, off, s[0:3], 0 offset:416
	s_waitcnt vmcnt(0)
	v_fmac_f64_e32 v[120:121], v[114:115], v[116:117]
	buffer_load_dword v117, off, s[0:3], 0 offset:428
	buffer_load_dword v116, off, s[0:3], 0 offset:424
	ds_read2_b64 v[112:115], v112 offset0:109 offset1:110
	s_waitcnt vmcnt(0) lgkmcnt(0)
	v_fmac_f64_e32 v[120:121], v[116:117], v[112:113]
	buffer_load_dword v113, off, s[0:3], 0 offset:436
	buffer_load_dword v112, off, s[0:3], 0 offset:432
	s_waitcnt vmcnt(0)
	v_fmac_f64_e32 v[120:121], v[112:113], v[114:115]
	v_add_f64 v[112:113], v[118:119], -v[120:121]
	buffer_store_dword v113, off, s[0:3], 0 offset:308
	buffer_store_dword v112, off, s[0:3], 0 offset:304
	s_and_saveexec_b64 s[4:5], vcc
	s_cbranch_execz .LBB54_263
; %bb.262:
	buffer_load_dword v112, off, s[0:3], 0 offset:296
	buffer_load_dword v113, off, s[0:3], 0 offset:300
	v_mov_b32_e32 v114, 0
	buffer_store_dword v114, off, s[0:3], 0 offset:296
	buffer_store_dword v114, off, s[0:3], 0 offset:300
	s_waitcnt vmcnt(2)
	ds_write_b64 v1, v[112:113]
.LBB54_263:
	s_or_b64 exec, exec, s[4:5]
	s_waitcnt lgkmcnt(0)
	; wave barrier
	s_waitcnt lgkmcnt(0)
	buffer_load_dword v112, off, s[0:3], 0 offset:296
	buffer_load_dword v113, off, s[0:3], 0 offset:300
	;; [unrolled: 1-line block ×16, first 2 shown]
	v_mov_b32_e32 v116, 0
	ds_read_b128 v[118:121], v116 offset:752
	ds_read_b128 v[122:125], v116 offset:768
	;; [unrolled: 1-line block ×4, first 2 shown]
	v_cmp_lt_u32_e32 vcc, 36, v0
	s_waitcnt vmcnt(12) lgkmcnt(3)
	v_fma_f64 v[114:115], v[114:115], v[118:119], 0
	buffer_load_dword v119, off, s[0:3], 0 offset:364
	buffer_load_dword v118, off, s[0:3], 0 offset:360
	s_waitcnt vmcnt(12)
	v_fmac_f64_e32 v[114:115], v[134:135], v[120:121]
	s_waitcnt vmcnt(10) lgkmcnt(2)
	v_fmac_f64_e32 v[114:115], v[136:137], v[122:123]
	buffer_load_dword v123, off, s[0:3], 0 offset:372
	buffer_load_dword v122, off, s[0:3], 0 offset:368
	s_waitcnt vmcnt(10)
	v_fmac_f64_e32 v[114:115], v[138:139], v[124:125]
	s_waitcnt vmcnt(8) lgkmcnt(1)
	v_fmac_f64_e32 v[114:115], v[140:141], v[126:127]
	s_waitcnt vmcnt(6)
	v_fmac_f64_e32 v[114:115], v[142:143], v[128:129]
	s_waitcnt vmcnt(4) lgkmcnt(0)
	v_fmac_f64_e32 v[114:115], v[144:145], v[130:131]
	s_waitcnt vmcnt(2)
	v_fmac_f64_e32 v[114:115], v[118:119], v[132:133]
	ds_read_b128 v[118:121], v116 offset:816
	s_waitcnt vmcnt(0) lgkmcnt(0)
	v_fmac_f64_e32 v[114:115], v[122:123], v[118:119]
	buffer_load_dword v119, off, s[0:3], 0 offset:380
	buffer_load_dword v118, off, s[0:3], 0 offset:376
	buffer_load_dword v123, off, s[0:3], 0 offset:388
	buffer_load_dword v122, off, s[0:3], 0 offset:384
	s_waitcnt vmcnt(2)
	v_fmac_f64_e32 v[114:115], v[118:119], v[120:121]
	ds_read_b128 v[118:121], v116 offset:832
	s_waitcnt vmcnt(0) lgkmcnt(0)
	v_fmac_f64_e32 v[114:115], v[122:123], v[118:119]
	buffer_load_dword v119, off, s[0:3], 0 offset:396
	buffer_load_dword v118, off, s[0:3], 0 offset:392
	buffer_load_dword v123, off, s[0:3], 0 offset:404
	buffer_load_dword v122, off, s[0:3], 0 offset:400
	;; [unrolled: 9-line block ×3, first 2 shown]
	s_waitcnt vmcnt(2)
	v_fmac_f64_e32 v[114:115], v[118:119], v[120:121]
	ds_read_b128 v[118:121], v116 offset:864
	s_waitcnt vmcnt(0) lgkmcnt(0)
	v_fmac_f64_e32 v[114:115], v[122:123], v[118:119]
	buffer_load_dword v119, off, s[0:3], 0 offset:428
	buffer_load_dword v118, off, s[0:3], 0 offset:424
	s_waitcnt vmcnt(0)
	v_fmac_f64_e32 v[114:115], v[118:119], v[120:121]
	buffer_load_dword v119, off, s[0:3], 0 offset:436
	buffer_load_dword v118, off, s[0:3], 0 offset:432
	ds_read_b64 v[120:121], v116 offset:880
	s_waitcnt vmcnt(0) lgkmcnt(0)
	v_fmac_f64_e32 v[114:115], v[118:119], v[120:121]
	v_add_f64 v[112:113], v[112:113], -v[114:115]
	buffer_store_dword v113, off, s[0:3], 0 offset:300
	buffer_store_dword v112, off, s[0:3], 0 offset:296
	s_and_saveexec_b64 s[4:5], vcc
	s_cbranch_execz .LBB54_265
; %bb.264:
	buffer_load_dword v112, off, s[0:3], 0 offset:288
	buffer_load_dword v113, off, s[0:3], 0 offset:292
	s_waitcnt vmcnt(0)
	ds_write_b64 v1, v[112:113]
	buffer_store_dword v116, off, s[0:3], 0 offset:288
	buffer_store_dword v116, off, s[0:3], 0 offset:292
.LBB54_265:
	s_or_b64 exec, exec, s[4:5]
	s_waitcnt lgkmcnt(0)
	; wave barrier
	s_waitcnt lgkmcnt(0)
	buffer_load_dword v112, off, s[0:3], 0 offset:288
	buffer_load_dword v113, off, s[0:3], 0 offset:292
	;; [unrolled: 1-line block ×16, first 2 shown]
	ds_read2_b64 v[118:121], v116 offset0:93 offset1:94
	v_cmp_lt_u32_e32 vcc, 35, v0
	s_waitcnt vmcnt(12) lgkmcnt(0)
	v_fma_f64 v[114:115], v[114:115], v[118:119], 0
	s_waitcnt vmcnt(10)
	v_fmac_f64_e32 v[114:115], v[122:123], v[120:121]
	ds_read2_b64 v[118:121], v116 offset0:95 offset1:96
	s_waitcnt vmcnt(8) lgkmcnt(0)
	v_fmac_f64_e32 v[114:115], v[124:125], v[118:119]
	s_waitcnt vmcnt(6)
	v_fmac_f64_e32 v[114:115], v[126:127], v[120:121]
	ds_read2_b64 v[118:121], v116 offset0:97 offset1:98
	s_waitcnt vmcnt(4) lgkmcnt(0)
	v_fmac_f64_e32 v[114:115], v[128:129], v[118:119]
	;; [unrolled: 5-line block ×3, first 2 shown]
	buffer_load_dword v119, off, s[0:3], 0 offset:356
	buffer_load_dword v118, off, s[0:3], 0 offset:352
	buffer_load_dword v123, off, s[0:3], 0 offset:364
	buffer_load_dword v122, off, s[0:3], 0 offset:360
	s_waitcnt vmcnt(2)
	v_fmac_f64_e32 v[114:115], v[118:119], v[120:121]
	ds_read2_b64 v[118:121], v116 offset0:101 offset1:102
	s_waitcnt vmcnt(0) lgkmcnt(0)
	v_fmac_f64_e32 v[114:115], v[122:123], v[118:119]
	buffer_load_dword v119, off, s[0:3], 0 offset:372
	buffer_load_dword v118, off, s[0:3], 0 offset:368
	buffer_load_dword v123, off, s[0:3], 0 offset:380
	buffer_load_dword v122, off, s[0:3], 0 offset:376
	s_waitcnt vmcnt(2)
	v_fmac_f64_e32 v[114:115], v[118:119], v[120:121]
	ds_read2_b64 v[118:121], v116 offset0:103 offset1:104
	s_waitcnt vmcnt(0) lgkmcnt(0)
	v_fmac_f64_e32 v[114:115], v[122:123], v[118:119]
	;; [unrolled: 9-line block ×4, first 2 shown]
	buffer_load_dword v119, off, s[0:3], 0 offset:420
	buffer_load_dword v118, off, s[0:3], 0 offset:416
	s_waitcnt vmcnt(0)
	v_fmac_f64_e32 v[114:115], v[118:119], v[120:121]
	buffer_load_dword v121, off, s[0:3], 0 offset:428
	buffer_load_dword v120, off, s[0:3], 0 offset:424
	ds_read2_b64 v[116:119], v116 offset0:109 offset1:110
	s_waitcnt vmcnt(0) lgkmcnt(0)
	v_fmac_f64_e32 v[114:115], v[120:121], v[116:117]
	buffer_load_dword v117, off, s[0:3], 0 offset:436
	buffer_load_dword v116, off, s[0:3], 0 offset:432
	s_waitcnt vmcnt(0)
	v_fmac_f64_e32 v[114:115], v[116:117], v[118:119]
	v_add_f64 v[112:113], v[112:113], -v[114:115]
	buffer_store_dword v113, off, s[0:3], 0 offset:292
	buffer_store_dword v112, off, s[0:3], 0 offset:288
	s_and_saveexec_b64 s[4:5], vcc
	s_cbranch_execz .LBB54_267
; %bb.266:
	buffer_load_dword v112, off, s[0:3], 0 offset:280
	buffer_load_dword v113, off, s[0:3], 0 offset:284
	v_mov_b32_e32 v114, 0
	buffer_store_dword v114, off, s[0:3], 0 offset:280
	buffer_store_dword v114, off, s[0:3], 0 offset:284
	s_waitcnt vmcnt(2)
	ds_write_b64 v1, v[112:113]
.LBB54_267:
	s_or_b64 exec, exec, s[4:5]
	s_waitcnt lgkmcnt(0)
	; wave barrier
	s_waitcnt lgkmcnt(0)
	buffer_load_dword v112, off, s[0:3], 0 offset:280
	buffer_load_dword v113, off, s[0:3], 0 offset:284
	;; [unrolled: 1-line block ×16, first 2 shown]
	v_mov_b32_e32 v116, 0
	ds_read_b128 v[118:121], v116 offset:736
	ds_read_b128 v[122:125], v116 offset:752
	;; [unrolled: 1-line block ×4, first 2 shown]
	v_cmp_lt_u32_e32 vcc, 34, v0
	s_waitcnt vmcnt(12) lgkmcnt(3)
	v_fma_f64 v[114:115], v[114:115], v[118:119], 0
	buffer_load_dword v119, off, s[0:3], 0 offset:348
	buffer_load_dword v118, off, s[0:3], 0 offset:344
	s_waitcnt vmcnt(12)
	v_fmac_f64_e32 v[114:115], v[134:135], v[120:121]
	s_waitcnt vmcnt(10) lgkmcnt(2)
	v_fmac_f64_e32 v[114:115], v[136:137], v[122:123]
	buffer_load_dword v123, off, s[0:3], 0 offset:356
	buffer_load_dword v122, off, s[0:3], 0 offset:352
	s_waitcnt vmcnt(10)
	v_fmac_f64_e32 v[114:115], v[138:139], v[124:125]
	s_waitcnt vmcnt(8) lgkmcnt(1)
	v_fmac_f64_e32 v[114:115], v[140:141], v[126:127]
	s_waitcnt vmcnt(6)
	v_fmac_f64_e32 v[114:115], v[142:143], v[128:129]
	s_waitcnt vmcnt(4) lgkmcnt(0)
	v_fmac_f64_e32 v[114:115], v[144:145], v[130:131]
	s_waitcnt vmcnt(2)
	v_fmac_f64_e32 v[114:115], v[118:119], v[132:133]
	ds_read_b128 v[118:121], v116 offset:800
	s_waitcnt vmcnt(0) lgkmcnt(0)
	v_fmac_f64_e32 v[114:115], v[122:123], v[118:119]
	buffer_load_dword v119, off, s[0:3], 0 offset:364
	buffer_load_dword v118, off, s[0:3], 0 offset:360
	buffer_load_dword v123, off, s[0:3], 0 offset:372
	buffer_load_dword v122, off, s[0:3], 0 offset:368
	s_waitcnt vmcnt(2)
	v_fmac_f64_e32 v[114:115], v[118:119], v[120:121]
	ds_read_b128 v[118:121], v116 offset:816
	s_waitcnt vmcnt(0) lgkmcnt(0)
	v_fmac_f64_e32 v[114:115], v[122:123], v[118:119]
	buffer_load_dword v119, off, s[0:3], 0 offset:380
	buffer_load_dword v118, off, s[0:3], 0 offset:376
	buffer_load_dword v123, off, s[0:3], 0 offset:388
	buffer_load_dword v122, off, s[0:3], 0 offset:384
	;; [unrolled: 9-line block ×4, first 2 shown]
	s_waitcnt vmcnt(2)
	v_fmac_f64_e32 v[114:115], v[118:119], v[120:121]
	ds_read_b128 v[118:121], v116 offset:864
	s_waitcnt vmcnt(0) lgkmcnt(0)
	v_fmac_f64_e32 v[114:115], v[122:123], v[118:119]
	buffer_load_dword v119, off, s[0:3], 0 offset:428
	buffer_load_dword v118, off, s[0:3], 0 offset:424
	s_waitcnt vmcnt(0)
	v_fmac_f64_e32 v[114:115], v[118:119], v[120:121]
	buffer_load_dword v119, off, s[0:3], 0 offset:436
	buffer_load_dword v118, off, s[0:3], 0 offset:432
	ds_read_b64 v[120:121], v116 offset:880
	s_waitcnt vmcnt(0) lgkmcnt(0)
	v_fmac_f64_e32 v[114:115], v[118:119], v[120:121]
	v_add_f64 v[112:113], v[112:113], -v[114:115]
	buffer_store_dword v113, off, s[0:3], 0 offset:284
	buffer_store_dword v112, off, s[0:3], 0 offset:280
	s_and_saveexec_b64 s[4:5], vcc
	s_cbranch_execz .LBB54_269
; %bb.268:
	buffer_load_dword v112, off, s[0:3], 0 offset:272
	buffer_load_dword v113, off, s[0:3], 0 offset:276
	s_waitcnt vmcnt(0)
	ds_write_b64 v1, v[112:113]
	buffer_store_dword v116, off, s[0:3], 0 offset:272
	buffer_store_dword v116, off, s[0:3], 0 offset:276
.LBB54_269:
	s_or_b64 exec, exec, s[4:5]
	s_waitcnt lgkmcnt(0)
	; wave barrier
	s_waitcnt lgkmcnt(0)
	buffer_load_dword v112, off, s[0:3], 0 offset:272
	buffer_load_dword v113, off, s[0:3], 0 offset:276
	;; [unrolled: 1-line block ×16, first 2 shown]
	ds_read2_b64 v[118:121], v116 offset0:91 offset1:92
	v_cmp_lt_u32_e32 vcc, 33, v0
	s_waitcnt vmcnt(12) lgkmcnt(0)
	v_fma_f64 v[114:115], v[114:115], v[118:119], 0
	s_waitcnt vmcnt(10)
	v_fmac_f64_e32 v[114:115], v[122:123], v[120:121]
	ds_read2_b64 v[118:121], v116 offset0:93 offset1:94
	s_waitcnt vmcnt(8) lgkmcnt(0)
	v_fmac_f64_e32 v[114:115], v[124:125], v[118:119]
	s_waitcnt vmcnt(6)
	v_fmac_f64_e32 v[114:115], v[126:127], v[120:121]
	ds_read2_b64 v[118:121], v116 offset0:95 offset1:96
	s_waitcnt vmcnt(4) lgkmcnt(0)
	v_fmac_f64_e32 v[114:115], v[128:129], v[118:119]
	;; [unrolled: 5-line block ×3, first 2 shown]
	buffer_load_dword v119, off, s[0:3], 0 offset:340
	buffer_load_dword v118, off, s[0:3], 0 offset:336
	buffer_load_dword v123, off, s[0:3], 0 offset:348
	buffer_load_dword v122, off, s[0:3], 0 offset:344
	s_waitcnt vmcnt(2)
	v_fmac_f64_e32 v[114:115], v[118:119], v[120:121]
	ds_read2_b64 v[118:121], v116 offset0:99 offset1:100
	s_waitcnt vmcnt(0) lgkmcnt(0)
	v_fmac_f64_e32 v[114:115], v[122:123], v[118:119]
	buffer_load_dword v119, off, s[0:3], 0 offset:356
	buffer_load_dword v118, off, s[0:3], 0 offset:352
	buffer_load_dword v123, off, s[0:3], 0 offset:364
	buffer_load_dword v122, off, s[0:3], 0 offset:360
	s_waitcnt vmcnt(2)
	v_fmac_f64_e32 v[114:115], v[118:119], v[120:121]
	ds_read2_b64 v[118:121], v116 offset0:101 offset1:102
	s_waitcnt vmcnt(0) lgkmcnt(0)
	v_fmac_f64_e32 v[114:115], v[122:123], v[118:119]
	;; [unrolled: 9-line block ×5, first 2 shown]
	buffer_load_dword v119, off, s[0:3], 0 offset:420
	buffer_load_dword v118, off, s[0:3], 0 offset:416
	s_waitcnt vmcnt(0)
	v_fmac_f64_e32 v[114:115], v[118:119], v[120:121]
	buffer_load_dword v121, off, s[0:3], 0 offset:428
	buffer_load_dword v120, off, s[0:3], 0 offset:424
	ds_read2_b64 v[116:119], v116 offset0:109 offset1:110
	s_waitcnt vmcnt(0) lgkmcnt(0)
	v_fmac_f64_e32 v[114:115], v[120:121], v[116:117]
	buffer_load_dword v117, off, s[0:3], 0 offset:436
	buffer_load_dword v116, off, s[0:3], 0 offset:432
	s_waitcnt vmcnt(0)
	v_fmac_f64_e32 v[114:115], v[116:117], v[118:119]
	v_add_f64 v[112:113], v[112:113], -v[114:115]
	buffer_store_dword v113, off, s[0:3], 0 offset:276
	buffer_store_dword v112, off, s[0:3], 0 offset:272
	s_and_saveexec_b64 s[4:5], vcc
	s_cbranch_execz .LBB54_271
; %bb.270:
	buffer_load_dword v112, off, s[0:3], 0 offset:264
	buffer_load_dword v113, off, s[0:3], 0 offset:268
	v_mov_b32_e32 v114, 0
	buffer_store_dword v114, off, s[0:3], 0 offset:264
	buffer_store_dword v114, off, s[0:3], 0 offset:268
	s_waitcnt vmcnt(2)
	ds_write_b64 v1, v[112:113]
.LBB54_271:
	s_or_b64 exec, exec, s[4:5]
	s_waitcnt lgkmcnt(0)
	; wave barrier
	s_waitcnt lgkmcnt(0)
	buffer_load_dword v112, off, s[0:3], 0 offset:264
	buffer_load_dword v113, off, s[0:3], 0 offset:268
	;; [unrolled: 1-line block ×16, first 2 shown]
	v_mov_b32_e32 v116, 0
	ds_read_b128 v[118:121], v116 offset:720
	ds_read_b128 v[122:125], v116 offset:736
	;; [unrolled: 1-line block ×4, first 2 shown]
	v_cmp_lt_u32_e32 vcc, 32, v0
	s_waitcnt vmcnt(12) lgkmcnt(3)
	v_fma_f64 v[114:115], v[114:115], v[118:119], 0
	buffer_load_dword v119, off, s[0:3], 0 offset:332
	buffer_load_dword v118, off, s[0:3], 0 offset:328
	s_waitcnt vmcnt(12)
	v_fmac_f64_e32 v[114:115], v[134:135], v[120:121]
	s_waitcnt vmcnt(10) lgkmcnt(2)
	v_fmac_f64_e32 v[114:115], v[136:137], v[122:123]
	buffer_load_dword v123, off, s[0:3], 0 offset:340
	buffer_load_dword v122, off, s[0:3], 0 offset:336
	s_waitcnt vmcnt(10)
	v_fmac_f64_e32 v[114:115], v[138:139], v[124:125]
	s_waitcnt vmcnt(8) lgkmcnt(1)
	v_fmac_f64_e32 v[114:115], v[140:141], v[126:127]
	s_waitcnt vmcnt(6)
	v_fmac_f64_e32 v[114:115], v[142:143], v[128:129]
	s_waitcnt vmcnt(4) lgkmcnt(0)
	v_fmac_f64_e32 v[114:115], v[144:145], v[130:131]
	s_waitcnt vmcnt(2)
	v_fmac_f64_e32 v[114:115], v[118:119], v[132:133]
	ds_read_b128 v[118:121], v116 offset:784
	s_waitcnt vmcnt(0) lgkmcnt(0)
	v_fmac_f64_e32 v[114:115], v[122:123], v[118:119]
	buffer_load_dword v119, off, s[0:3], 0 offset:348
	buffer_load_dword v118, off, s[0:3], 0 offset:344
	buffer_load_dword v123, off, s[0:3], 0 offset:356
	buffer_load_dword v122, off, s[0:3], 0 offset:352
	s_waitcnt vmcnt(2)
	v_fmac_f64_e32 v[114:115], v[118:119], v[120:121]
	ds_read_b128 v[118:121], v116 offset:800
	s_waitcnt vmcnt(0) lgkmcnt(0)
	v_fmac_f64_e32 v[114:115], v[122:123], v[118:119]
	buffer_load_dword v119, off, s[0:3], 0 offset:364
	buffer_load_dword v118, off, s[0:3], 0 offset:360
	buffer_load_dword v123, off, s[0:3], 0 offset:372
	buffer_load_dword v122, off, s[0:3], 0 offset:368
	;; [unrolled: 9-line block ×5, first 2 shown]
	s_waitcnt vmcnt(2)
	v_fmac_f64_e32 v[114:115], v[118:119], v[120:121]
	ds_read_b128 v[118:121], v116 offset:864
	s_waitcnt vmcnt(0) lgkmcnt(0)
	v_fmac_f64_e32 v[114:115], v[122:123], v[118:119]
	buffer_load_dword v119, off, s[0:3], 0 offset:428
	buffer_load_dword v118, off, s[0:3], 0 offset:424
	s_waitcnt vmcnt(0)
	v_fmac_f64_e32 v[114:115], v[118:119], v[120:121]
	buffer_load_dword v119, off, s[0:3], 0 offset:436
	buffer_load_dword v118, off, s[0:3], 0 offset:432
	ds_read_b64 v[120:121], v116 offset:880
	s_waitcnt vmcnt(0) lgkmcnt(0)
	v_fmac_f64_e32 v[114:115], v[118:119], v[120:121]
	v_add_f64 v[112:113], v[112:113], -v[114:115]
	buffer_store_dword v113, off, s[0:3], 0 offset:268
	buffer_store_dword v112, off, s[0:3], 0 offset:264
	s_and_saveexec_b64 s[4:5], vcc
	s_cbranch_execz .LBB54_273
; %bb.272:
	buffer_load_dword v112, off, s[0:3], 0 offset:256
	buffer_load_dword v113, off, s[0:3], 0 offset:260
	s_waitcnt vmcnt(0)
	ds_write_b64 v1, v[112:113]
	buffer_store_dword v116, off, s[0:3], 0 offset:256
	buffer_store_dword v116, off, s[0:3], 0 offset:260
.LBB54_273:
	s_or_b64 exec, exec, s[4:5]
	s_waitcnt lgkmcnt(0)
	; wave barrier
	s_waitcnt lgkmcnt(0)
	buffer_load_dword v112, off, s[0:3], 0 offset:256
	buffer_load_dword v113, off, s[0:3], 0 offset:260
	buffer_load_dword v114, off, s[0:3], 0 offset:264
	buffer_load_dword v115, off, s[0:3], 0 offset:268
	buffer_load_dword v122, off, s[0:3], 0 offset:272
	buffer_load_dword v123, off, s[0:3], 0 offset:276
	buffer_load_dword v124, off, s[0:3], 0 offset:280
	buffer_load_dword v125, off, s[0:3], 0 offset:284
	buffer_load_dword v126, off, s[0:3], 0 offset:288
	buffer_load_dword v127, off, s[0:3], 0 offset:292
	buffer_load_dword v128, off, s[0:3], 0 offset:296
	buffer_load_dword v129, off, s[0:3], 0 offset:300
	buffer_load_dword v130, off, s[0:3], 0 offset:304
	buffer_load_dword v131, off, s[0:3], 0 offset:308
	buffer_load_dword v132, off, s[0:3], 0 offset:312
	buffer_load_dword v133, off, s[0:3], 0 offset:316
	ds_read2_b64 v[118:121], v116 offset0:89 offset1:90
	v_cmp_lt_u32_e32 vcc, 31, v0
	s_waitcnt vmcnt(12) lgkmcnt(0)
	v_fma_f64 v[114:115], v[114:115], v[118:119], 0
	s_waitcnt vmcnt(10)
	v_fmac_f64_e32 v[114:115], v[122:123], v[120:121]
	ds_read2_b64 v[118:121], v116 offset0:91 offset1:92
	s_waitcnt vmcnt(8) lgkmcnt(0)
	v_fmac_f64_e32 v[114:115], v[124:125], v[118:119]
	s_waitcnt vmcnt(6)
	v_fmac_f64_e32 v[114:115], v[126:127], v[120:121]
	ds_read2_b64 v[118:121], v116 offset0:93 offset1:94
	s_waitcnt vmcnt(4) lgkmcnt(0)
	v_fmac_f64_e32 v[114:115], v[128:129], v[118:119]
	;; [unrolled: 5-line block ×3, first 2 shown]
	buffer_load_dword v119, off, s[0:3], 0 offset:324
	buffer_load_dword v118, off, s[0:3], 0 offset:320
	buffer_load_dword v123, off, s[0:3], 0 offset:332
	buffer_load_dword v122, off, s[0:3], 0 offset:328
	s_waitcnt vmcnt(2)
	v_fmac_f64_e32 v[114:115], v[118:119], v[120:121]
	ds_read2_b64 v[118:121], v116 offset0:97 offset1:98
	s_waitcnt vmcnt(0) lgkmcnt(0)
	v_fmac_f64_e32 v[114:115], v[122:123], v[118:119]
	buffer_load_dword v119, off, s[0:3], 0 offset:340
	buffer_load_dword v118, off, s[0:3], 0 offset:336
	buffer_load_dword v123, off, s[0:3], 0 offset:348
	buffer_load_dword v122, off, s[0:3], 0 offset:344
	s_waitcnt vmcnt(2)
	v_fmac_f64_e32 v[114:115], v[118:119], v[120:121]
	ds_read2_b64 v[118:121], v116 offset0:99 offset1:100
	s_waitcnt vmcnt(0) lgkmcnt(0)
	v_fmac_f64_e32 v[114:115], v[122:123], v[118:119]
	;; [unrolled: 9-line block ×6, first 2 shown]
	buffer_load_dword v119, off, s[0:3], 0 offset:420
	buffer_load_dword v118, off, s[0:3], 0 offset:416
	s_waitcnt vmcnt(0)
	v_fmac_f64_e32 v[114:115], v[118:119], v[120:121]
	buffer_load_dword v121, off, s[0:3], 0 offset:428
	buffer_load_dword v120, off, s[0:3], 0 offset:424
	ds_read2_b64 v[116:119], v116 offset0:109 offset1:110
	s_waitcnt vmcnt(0) lgkmcnt(0)
	v_fmac_f64_e32 v[114:115], v[120:121], v[116:117]
	buffer_load_dword v117, off, s[0:3], 0 offset:436
	buffer_load_dword v116, off, s[0:3], 0 offset:432
	s_waitcnt vmcnt(0)
	v_fmac_f64_e32 v[114:115], v[116:117], v[118:119]
	v_add_f64 v[112:113], v[112:113], -v[114:115]
	buffer_store_dword v113, off, s[0:3], 0 offset:260
	buffer_store_dword v112, off, s[0:3], 0 offset:256
	s_and_saveexec_b64 s[4:5], vcc
	s_cbranch_execz .LBB54_275
; %bb.274:
	buffer_load_dword v112, off, s[0:3], 0 offset:248
	buffer_load_dword v113, off, s[0:3], 0 offset:252
	v_mov_b32_e32 v114, 0
	buffer_store_dword v114, off, s[0:3], 0 offset:248
	buffer_store_dword v114, off, s[0:3], 0 offset:252
	s_waitcnt vmcnt(2)
	ds_write_b64 v1, v[112:113]
.LBB54_275:
	s_or_b64 exec, exec, s[4:5]
	s_waitcnt lgkmcnt(0)
	; wave barrier
	s_waitcnt lgkmcnt(0)
	buffer_load_dword v112, off, s[0:3], 0 offset:248
	buffer_load_dword v113, off, s[0:3], 0 offset:252
	;; [unrolled: 1-line block ×16, first 2 shown]
	v_mov_b32_e32 v116, 0
	ds_read_b128 v[118:121], v116 offset:704
	ds_read_b128 v[122:125], v116 offset:720
	;; [unrolled: 1-line block ×4, first 2 shown]
	v_cmp_lt_u32_e32 vcc, 30, v0
	s_waitcnt vmcnt(12) lgkmcnt(3)
	v_fma_f64 v[114:115], v[114:115], v[118:119], 0
	buffer_load_dword v119, off, s[0:3], 0 offset:316
	buffer_load_dword v118, off, s[0:3], 0 offset:312
	s_waitcnt vmcnt(12)
	v_fmac_f64_e32 v[114:115], v[134:135], v[120:121]
	s_waitcnt vmcnt(10) lgkmcnt(2)
	v_fmac_f64_e32 v[114:115], v[136:137], v[122:123]
	buffer_load_dword v123, off, s[0:3], 0 offset:324
	buffer_load_dword v122, off, s[0:3], 0 offset:320
	s_waitcnt vmcnt(10)
	v_fmac_f64_e32 v[114:115], v[138:139], v[124:125]
	s_waitcnt vmcnt(8) lgkmcnt(1)
	v_fmac_f64_e32 v[114:115], v[140:141], v[126:127]
	s_waitcnt vmcnt(6)
	v_fmac_f64_e32 v[114:115], v[142:143], v[128:129]
	s_waitcnt vmcnt(4) lgkmcnt(0)
	v_fmac_f64_e32 v[114:115], v[144:145], v[130:131]
	s_waitcnt vmcnt(2)
	v_fmac_f64_e32 v[114:115], v[118:119], v[132:133]
	ds_read_b128 v[118:121], v116 offset:768
	s_waitcnt vmcnt(0) lgkmcnt(0)
	v_fmac_f64_e32 v[114:115], v[122:123], v[118:119]
	buffer_load_dword v119, off, s[0:3], 0 offset:332
	buffer_load_dword v118, off, s[0:3], 0 offset:328
	buffer_load_dword v123, off, s[0:3], 0 offset:340
	buffer_load_dword v122, off, s[0:3], 0 offset:336
	s_waitcnt vmcnt(2)
	v_fmac_f64_e32 v[114:115], v[118:119], v[120:121]
	ds_read_b128 v[118:121], v116 offset:784
	s_waitcnt vmcnt(0) lgkmcnt(0)
	v_fmac_f64_e32 v[114:115], v[122:123], v[118:119]
	buffer_load_dword v119, off, s[0:3], 0 offset:348
	buffer_load_dword v118, off, s[0:3], 0 offset:344
	buffer_load_dword v123, off, s[0:3], 0 offset:356
	buffer_load_dword v122, off, s[0:3], 0 offset:352
	;; [unrolled: 9-line block ×6, first 2 shown]
	s_waitcnt vmcnt(2)
	v_fmac_f64_e32 v[114:115], v[118:119], v[120:121]
	ds_read_b128 v[118:121], v116 offset:864
	s_waitcnt vmcnt(0) lgkmcnt(0)
	v_fmac_f64_e32 v[114:115], v[122:123], v[118:119]
	buffer_load_dword v119, off, s[0:3], 0 offset:428
	buffer_load_dword v118, off, s[0:3], 0 offset:424
	s_waitcnt vmcnt(0)
	v_fmac_f64_e32 v[114:115], v[118:119], v[120:121]
	buffer_load_dword v119, off, s[0:3], 0 offset:436
	buffer_load_dword v118, off, s[0:3], 0 offset:432
	ds_read_b64 v[120:121], v116 offset:880
	s_waitcnt vmcnt(0) lgkmcnt(0)
	v_fmac_f64_e32 v[114:115], v[118:119], v[120:121]
	v_add_f64 v[112:113], v[112:113], -v[114:115]
	buffer_store_dword v113, off, s[0:3], 0 offset:252
	buffer_store_dword v112, off, s[0:3], 0 offset:248
	s_and_saveexec_b64 s[4:5], vcc
	s_cbranch_execz .LBB54_277
; %bb.276:
	buffer_load_dword v112, off, s[0:3], 0 offset:240
	buffer_load_dword v113, off, s[0:3], 0 offset:244
	s_waitcnt vmcnt(0)
	ds_write_b64 v1, v[112:113]
	buffer_store_dword v116, off, s[0:3], 0 offset:240
	buffer_store_dword v116, off, s[0:3], 0 offset:244
.LBB54_277:
	s_or_b64 exec, exec, s[4:5]
	s_waitcnt lgkmcnt(0)
	; wave barrier
	s_waitcnt lgkmcnt(0)
	buffer_load_dword v112, off, s[0:3], 0 offset:240
	buffer_load_dword v113, off, s[0:3], 0 offset:244
	;; [unrolled: 1-line block ×16, first 2 shown]
	ds_read2_b64 v[118:121], v116 offset0:87 offset1:88
	v_cmp_lt_u32_e32 vcc, 29, v0
	s_waitcnt vmcnt(12) lgkmcnt(0)
	v_fma_f64 v[114:115], v[114:115], v[118:119], 0
	s_waitcnt vmcnt(10)
	v_fmac_f64_e32 v[114:115], v[122:123], v[120:121]
	ds_read2_b64 v[118:121], v116 offset0:89 offset1:90
	s_waitcnt vmcnt(8) lgkmcnt(0)
	v_fmac_f64_e32 v[114:115], v[124:125], v[118:119]
	s_waitcnt vmcnt(6)
	v_fmac_f64_e32 v[114:115], v[126:127], v[120:121]
	ds_read2_b64 v[118:121], v116 offset0:91 offset1:92
	s_waitcnt vmcnt(4) lgkmcnt(0)
	v_fmac_f64_e32 v[114:115], v[128:129], v[118:119]
	;; [unrolled: 5-line block ×3, first 2 shown]
	buffer_load_dword v119, off, s[0:3], 0 offset:308
	buffer_load_dword v118, off, s[0:3], 0 offset:304
	buffer_load_dword v123, off, s[0:3], 0 offset:316
	buffer_load_dword v122, off, s[0:3], 0 offset:312
	s_waitcnt vmcnt(2)
	v_fmac_f64_e32 v[114:115], v[118:119], v[120:121]
	ds_read2_b64 v[118:121], v116 offset0:95 offset1:96
	s_waitcnt vmcnt(0) lgkmcnt(0)
	v_fmac_f64_e32 v[114:115], v[122:123], v[118:119]
	buffer_load_dword v119, off, s[0:3], 0 offset:324
	buffer_load_dword v118, off, s[0:3], 0 offset:320
	buffer_load_dword v123, off, s[0:3], 0 offset:332
	buffer_load_dword v122, off, s[0:3], 0 offset:328
	s_waitcnt vmcnt(2)
	v_fmac_f64_e32 v[114:115], v[118:119], v[120:121]
	ds_read2_b64 v[118:121], v116 offset0:97 offset1:98
	s_waitcnt vmcnt(0) lgkmcnt(0)
	v_fmac_f64_e32 v[114:115], v[122:123], v[118:119]
	;; [unrolled: 9-line block ×7, first 2 shown]
	buffer_load_dword v119, off, s[0:3], 0 offset:420
	buffer_load_dword v118, off, s[0:3], 0 offset:416
	s_waitcnt vmcnt(0)
	v_fmac_f64_e32 v[114:115], v[118:119], v[120:121]
	buffer_load_dword v121, off, s[0:3], 0 offset:428
	buffer_load_dword v120, off, s[0:3], 0 offset:424
	ds_read2_b64 v[116:119], v116 offset0:109 offset1:110
	s_waitcnt vmcnt(0) lgkmcnt(0)
	v_fmac_f64_e32 v[114:115], v[120:121], v[116:117]
	buffer_load_dword v117, off, s[0:3], 0 offset:436
	buffer_load_dword v116, off, s[0:3], 0 offset:432
	s_waitcnt vmcnt(0)
	v_fmac_f64_e32 v[114:115], v[116:117], v[118:119]
	v_add_f64 v[112:113], v[112:113], -v[114:115]
	buffer_store_dword v113, off, s[0:3], 0 offset:244
	buffer_store_dword v112, off, s[0:3], 0 offset:240
	s_and_saveexec_b64 s[4:5], vcc
	s_cbranch_execz .LBB54_279
; %bb.278:
	buffer_load_dword v112, off, s[0:3], 0 offset:232
	buffer_load_dword v113, off, s[0:3], 0 offset:236
	v_mov_b32_e32 v114, 0
	buffer_store_dword v114, off, s[0:3], 0 offset:232
	buffer_store_dword v114, off, s[0:3], 0 offset:236
	s_waitcnt vmcnt(2)
	ds_write_b64 v1, v[112:113]
.LBB54_279:
	s_or_b64 exec, exec, s[4:5]
	s_waitcnt lgkmcnt(0)
	; wave barrier
	s_waitcnt lgkmcnt(0)
	buffer_load_dword v112, off, s[0:3], 0 offset:232
	buffer_load_dword v113, off, s[0:3], 0 offset:236
	buffer_load_dword v114, off, s[0:3], 0 offset:240
	buffer_load_dword v115, off, s[0:3], 0 offset:244
	buffer_load_dword v134, off, s[0:3], 0 offset:248
	buffer_load_dword v135, off, s[0:3], 0 offset:252
	buffer_load_dword v136, off, s[0:3], 0 offset:256
	buffer_load_dword v137, off, s[0:3], 0 offset:260
	buffer_load_dword v138, off, s[0:3], 0 offset:264
	buffer_load_dword v139, off, s[0:3], 0 offset:268
	buffer_load_dword v140, off, s[0:3], 0 offset:272
	buffer_load_dword v141, off, s[0:3], 0 offset:276
	buffer_load_dword v142, off, s[0:3], 0 offset:280
	buffer_load_dword v143, off, s[0:3], 0 offset:284
	buffer_load_dword v144, off, s[0:3], 0 offset:288
	buffer_load_dword v145, off, s[0:3], 0 offset:292
	v_mov_b32_e32 v116, 0
	ds_read_b128 v[118:121], v116 offset:688
	ds_read_b128 v[122:125], v116 offset:704
	;; [unrolled: 1-line block ×4, first 2 shown]
	v_cmp_lt_u32_e32 vcc, 28, v0
	s_waitcnt vmcnt(12) lgkmcnt(3)
	v_fma_f64 v[114:115], v[114:115], v[118:119], 0
	buffer_load_dword v119, off, s[0:3], 0 offset:300
	buffer_load_dword v118, off, s[0:3], 0 offset:296
	s_waitcnt vmcnt(12)
	v_fmac_f64_e32 v[114:115], v[134:135], v[120:121]
	s_waitcnt vmcnt(10) lgkmcnt(2)
	v_fmac_f64_e32 v[114:115], v[136:137], v[122:123]
	buffer_load_dword v123, off, s[0:3], 0 offset:308
	buffer_load_dword v122, off, s[0:3], 0 offset:304
	s_waitcnt vmcnt(10)
	v_fmac_f64_e32 v[114:115], v[138:139], v[124:125]
	s_waitcnt vmcnt(8) lgkmcnt(1)
	v_fmac_f64_e32 v[114:115], v[140:141], v[126:127]
	s_waitcnt vmcnt(6)
	v_fmac_f64_e32 v[114:115], v[142:143], v[128:129]
	s_waitcnt vmcnt(4) lgkmcnt(0)
	v_fmac_f64_e32 v[114:115], v[144:145], v[130:131]
	s_waitcnt vmcnt(2)
	v_fmac_f64_e32 v[114:115], v[118:119], v[132:133]
	ds_read_b128 v[118:121], v116 offset:752
	s_waitcnt vmcnt(0) lgkmcnt(0)
	v_fmac_f64_e32 v[114:115], v[122:123], v[118:119]
	buffer_load_dword v119, off, s[0:3], 0 offset:316
	buffer_load_dword v118, off, s[0:3], 0 offset:312
	buffer_load_dword v123, off, s[0:3], 0 offset:324
	buffer_load_dword v122, off, s[0:3], 0 offset:320
	s_waitcnt vmcnt(2)
	v_fmac_f64_e32 v[114:115], v[118:119], v[120:121]
	ds_read_b128 v[118:121], v116 offset:768
	s_waitcnt vmcnt(0) lgkmcnt(0)
	v_fmac_f64_e32 v[114:115], v[122:123], v[118:119]
	buffer_load_dword v119, off, s[0:3], 0 offset:332
	buffer_load_dword v118, off, s[0:3], 0 offset:328
	buffer_load_dword v123, off, s[0:3], 0 offset:340
	buffer_load_dword v122, off, s[0:3], 0 offset:336
	;; [unrolled: 9-line block ×7, first 2 shown]
	s_waitcnt vmcnt(2)
	v_fmac_f64_e32 v[114:115], v[118:119], v[120:121]
	ds_read_b128 v[118:121], v116 offset:864
	s_waitcnt vmcnt(0) lgkmcnt(0)
	v_fmac_f64_e32 v[114:115], v[122:123], v[118:119]
	buffer_load_dword v119, off, s[0:3], 0 offset:428
	buffer_load_dword v118, off, s[0:3], 0 offset:424
	s_waitcnt vmcnt(0)
	v_fmac_f64_e32 v[114:115], v[118:119], v[120:121]
	buffer_load_dword v119, off, s[0:3], 0 offset:436
	buffer_load_dword v118, off, s[0:3], 0 offset:432
	ds_read_b64 v[120:121], v116 offset:880
	s_waitcnt vmcnt(0) lgkmcnt(0)
	v_fmac_f64_e32 v[114:115], v[118:119], v[120:121]
	v_add_f64 v[112:113], v[112:113], -v[114:115]
	buffer_store_dword v113, off, s[0:3], 0 offset:236
	buffer_store_dword v112, off, s[0:3], 0 offset:232
	s_and_saveexec_b64 s[4:5], vcc
	s_cbranch_execz .LBB54_281
; %bb.280:
	buffer_load_dword v112, off, s[0:3], 0 offset:224
	buffer_load_dword v113, off, s[0:3], 0 offset:228
	s_waitcnt vmcnt(0)
	ds_write_b64 v1, v[112:113]
	buffer_store_dword v116, off, s[0:3], 0 offset:224
	buffer_store_dword v116, off, s[0:3], 0 offset:228
.LBB54_281:
	s_or_b64 exec, exec, s[4:5]
	s_waitcnt lgkmcnt(0)
	; wave barrier
	s_waitcnt lgkmcnt(0)
	buffer_load_dword v112, off, s[0:3], 0 offset:224
	buffer_load_dword v113, off, s[0:3], 0 offset:228
	;; [unrolled: 1-line block ×16, first 2 shown]
	ds_read2_b64 v[118:121], v116 offset0:85 offset1:86
	v_cmp_lt_u32_e32 vcc, 27, v0
	s_waitcnt vmcnt(12) lgkmcnt(0)
	v_fma_f64 v[114:115], v[114:115], v[118:119], 0
	s_waitcnt vmcnt(10)
	v_fmac_f64_e32 v[114:115], v[122:123], v[120:121]
	ds_read2_b64 v[118:121], v116 offset0:87 offset1:88
	s_waitcnt vmcnt(8) lgkmcnt(0)
	v_fmac_f64_e32 v[114:115], v[124:125], v[118:119]
	s_waitcnt vmcnt(6)
	v_fmac_f64_e32 v[114:115], v[126:127], v[120:121]
	ds_read2_b64 v[118:121], v116 offset0:89 offset1:90
	s_waitcnt vmcnt(4) lgkmcnt(0)
	v_fmac_f64_e32 v[114:115], v[128:129], v[118:119]
	;; [unrolled: 5-line block ×3, first 2 shown]
	buffer_load_dword v119, off, s[0:3], 0 offset:292
	buffer_load_dword v118, off, s[0:3], 0 offset:288
	buffer_load_dword v123, off, s[0:3], 0 offset:300
	buffer_load_dword v122, off, s[0:3], 0 offset:296
	s_waitcnt vmcnt(2)
	v_fmac_f64_e32 v[114:115], v[118:119], v[120:121]
	ds_read2_b64 v[118:121], v116 offset0:93 offset1:94
	s_waitcnt vmcnt(0) lgkmcnt(0)
	v_fmac_f64_e32 v[114:115], v[122:123], v[118:119]
	buffer_load_dword v119, off, s[0:3], 0 offset:308
	buffer_load_dword v118, off, s[0:3], 0 offset:304
	buffer_load_dword v123, off, s[0:3], 0 offset:316
	buffer_load_dword v122, off, s[0:3], 0 offset:312
	s_waitcnt vmcnt(2)
	v_fmac_f64_e32 v[114:115], v[118:119], v[120:121]
	ds_read2_b64 v[118:121], v116 offset0:95 offset1:96
	s_waitcnt vmcnt(0) lgkmcnt(0)
	v_fmac_f64_e32 v[114:115], v[122:123], v[118:119]
	;; [unrolled: 9-line block ×8, first 2 shown]
	buffer_load_dword v119, off, s[0:3], 0 offset:420
	buffer_load_dword v118, off, s[0:3], 0 offset:416
	s_waitcnt vmcnt(0)
	v_fmac_f64_e32 v[114:115], v[118:119], v[120:121]
	buffer_load_dword v121, off, s[0:3], 0 offset:428
	buffer_load_dword v120, off, s[0:3], 0 offset:424
	ds_read2_b64 v[116:119], v116 offset0:109 offset1:110
	s_waitcnt vmcnt(0) lgkmcnt(0)
	v_fmac_f64_e32 v[114:115], v[120:121], v[116:117]
	buffer_load_dword v117, off, s[0:3], 0 offset:436
	buffer_load_dword v116, off, s[0:3], 0 offset:432
	s_waitcnt vmcnt(0)
	v_fmac_f64_e32 v[114:115], v[116:117], v[118:119]
	v_add_f64 v[112:113], v[112:113], -v[114:115]
	buffer_store_dword v113, off, s[0:3], 0 offset:228
	buffer_store_dword v112, off, s[0:3], 0 offset:224
	s_and_saveexec_b64 s[4:5], vcc
	s_cbranch_execz .LBB54_283
; %bb.282:
	buffer_load_dword v112, off, s[0:3], 0 offset:216
	buffer_load_dword v113, off, s[0:3], 0 offset:220
	v_mov_b32_e32 v114, 0
	buffer_store_dword v114, off, s[0:3], 0 offset:216
	buffer_store_dword v114, off, s[0:3], 0 offset:220
	s_waitcnt vmcnt(2)
	ds_write_b64 v1, v[112:113]
.LBB54_283:
	s_or_b64 exec, exec, s[4:5]
	s_waitcnt lgkmcnt(0)
	; wave barrier
	s_waitcnt lgkmcnt(0)
	buffer_load_dword v112, off, s[0:3], 0 offset:216
	buffer_load_dword v113, off, s[0:3], 0 offset:220
	;; [unrolled: 1-line block ×16, first 2 shown]
	v_mov_b32_e32 v116, 0
	ds_read_b128 v[118:121], v116 offset:672
	ds_read_b128 v[122:125], v116 offset:688
	;; [unrolled: 1-line block ×4, first 2 shown]
	v_cmp_lt_u32_e32 vcc, 26, v0
	s_waitcnt vmcnt(12) lgkmcnt(3)
	v_fma_f64 v[114:115], v[114:115], v[118:119], 0
	buffer_load_dword v119, off, s[0:3], 0 offset:284
	buffer_load_dword v118, off, s[0:3], 0 offset:280
	s_waitcnt vmcnt(12)
	v_fmac_f64_e32 v[114:115], v[134:135], v[120:121]
	s_waitcnt vmcnt(10) lgkmcnt(2)
	v_fmac_f64_e32 v[114:115], v[136:137], v[122:123]
	buffer_load_dword v123, off, s[0:3], 0 offset:292
	buffer_load_dword v122, off, s[0:3], 0 offset:288
	s_waitcnt vmcnt(10)
	v_fmac_f64_e32 v[114:115], v[138:139], v[124:125]
	s_waitcnt vmcnt(8) lgkmcnt(1)
	v_fmac_f64_e32 v[114:115], v[140:141], v[126:127]
	s_waitcnt vmcnt(6)
	v_fmac_f64_e32 v[114:115], v[142:143], v[128:129]
	s_waitcnt vmcnt(4) lgkmcnt(0)
	v_fmac_f64_e32 v[114:115], v[144:145], v[130:131]
	s_waitcnt vmcnt(2)
	v_fmac_f64_e32 v[114:115], v[118:119], v[132:133]
	ds_read_b128 v[118:121], v116 offset:736
	s_waitcnt vmcnt(0) lgkmcnt(0)
	v_fmac_f64_e32 v[114:115], v[122:123], v[118:119]
	buffer_load_dword v119, off, s[0:3], 0 offset:300
	buffer_load_dword v118, off, s[0:3], 0 offset:296
	buffer_load_dword v123, off, s[0:3], 0 offset:308
	buffer_load_dword v122, off, s[0:3], 0 offset:304
	s_waitcnt vmcnt(2)
	v_fmac_f64_e32 v[114:115], v[118:119], v[120:121]
	ds_read_b128 v[118:121], v116 offset:752
	s_waitcnt vmcnt(0) lgkmcnt(0)
	v_fmac_f64_e32 v[114:115], v[122:123], v[118:119]
	buffer_load_dword v119, off, s[0:3], 0 offset:316
	buffer_load_dword v118, off, s[0:3], 0 offset:312
	buffer_load_dword v123, off, s[0:3], 0 offset:324
	buffer_load_dword v122, off, s[0:3], 0 offset:320
	;; [unrolled: 9-line block ×8, first 2 shown]
	s_waitcnt vmcnt(2)
	v_fmac_f64_e32 v[114:115], v[118:119], v[120:121]
	ds_read_b128 v[118:121], v116 offset:864
	s_waitcnt vmcnt(0) lgkmcnt(0)
	v_fmac_f64_e32 v[114:115], v[122:123], v[118:119]
	buffer_load_dword v119, off, s[0:3], 0 offset:428
	buffer_load_dword v118, off, s[0:3], 0 offset:424
	s_waitcnt vmcnt(0)
	v_fmac_f64_e32 v[114:115], v[118:119], v[120:121]
	buffer_load_dword v119, off, s[0:3], 0 offset:436
	buffer_load_dword v118, off, s[0:3], 0 offset:432
	ds_read_b64 v[120:121], v116 offset:880
	s_waitcnt vmcnt(0) lgkmcnt(0)
	v_fmac_f64_e32 v[114:115], v[118:119], v[120:121]
	v_add_f64 v[112:113], v[112:113], -v[114:115]
	buffer_store_dword v113, off, s[0:3], 0 offset:220
	buffer_store_dword v112, off, s[0:3], 0 offset:216
	s_and_saveexec_b64 s[4:5], vcc
	s_cbranch_execz .LBB54_285
; %bb.284:
	buffer_load_dword v112, off, s[0:3], 0 offset:208
	buffer_load_dword v113, off, s[0:3], 0 offset:212
	s_waitcnt vmcnt(0)
	ds_write_b64 v1, v[112:113]
	buffer_store_dword v116, off, s[0:3], 0 offset:208
	buffer_store_dword v116, off, s[0:3], 0 offset:212
.LBB54_285:
	s_or_b64 exec, exec, s[4:5]
	s_waitcnt lgkmcnt(0)
	; wave barrier
	s_waitcnt lgkmcnt(0)
	buffer_load_dword v112, off, s[0:3], 0 offset:208
	buffer_load_dword v113, off, s[0:3], 0 offset:212
	;; [unrolled: 1-line block ×16, first 2 shown]
	ds_read2_b64 v[118:121], v116 offset0:83 offset1:84
	v_cmp_lt_u32_e32 vcc, 25, v0
	s_waitcnt vmcnt(12) lgkmcnt(0)
	v_fma_f64 v[114:115], v[114:115], v[118:119], 0
	s_waitcnt vmcnt(10)
	v_fmac_f64_e32 v[114:115], v[122:123], v[120:121]
	ds_read2_b64 v[118:121], v116 offset0:85 offset1:86
	s_waitcnt vmcnt(8) lgkmcnt(0)
	v_fmac_f64_e32 v[114:115], v[124:125], v[118:119]
	s_waitcnt vmcnt(6)
	v_fmac_f64_e32 v[114:115], v[126:127], v[120:121]
	ds_read2_b64 v[118:121], v116 offset0:87 offset1:88
	s_waitcnt vmcnt(4) lgkmcnt(0)
	v_fmac_f64_e32 v[114:115], v[128:129], v[118:119]
	;; [unrolled: 5-line block ×3, first 2 shown]
	buffer_load_dword v119, off, s[0:3], 0 offset:276
	buffer_load_dword v118, off, s[0:3], 0 offset:272
	buffer_load_dword v123, off, s[0:3], 0 offset:284
	buffer_load_dword v122, off, s[0:3], 0 offset:280
	s_waitcnt vmcnt(2)
	v_fmac_f64_e32 v[114:115], v[118:119], v[120:121]
	ds_read2_b64 v[118:121], v116 offset0:91 offset1:92
	s_waitcnt vmcnt(0) lgkmcnt(0)
	v_fmac_f64_e32 v[114:115], v[122:123], v[118:119]
	buffer_load_dword v119, off, s[0:3], 0 offset:292
	buffer_load_dword v118, off, s[0:3], 0 offset:288
	buffer_load_dword v123, off, s[0:3], 0 offset:300
	buffer_load_dword v122, off, s[0:3], 0 offset:296
	s_waitcnt vmcnt(2)
	v_fmac_f64_e32 v[114:115], v[118:119], v[120:121]
	ds_read2_b64 v[118:121], v116 offset0:93 offset1:94
	s_waitcnt vmcnt(0) lgkmcnt(0)
	v_fmac_f64_e32 v[114:115], v[122:123], v[118:119]
	;; [unrolled: 9-line block ×9, first 2 shown]
	buffer_load_dword v119, off, s[0:3], 0 offset:420
	buffer_load_dword v118, off, s[0:3], 0 offset:416
	s_waitcnt vmcnt(0)
	v_fmac_f64_e32 v[114:115], v[118:119], v[120:121]
	buffer_load_dword v121, off, s[0:3], 0 offset:428
	buffer_load_dword v120, off, s[0:3], 0 offset:424
	ds_read2_b64 v[116:119], v116 offset0:109 offset1:110
	s_waitcnt vmcnt(0) lgkmcnt(0)
	v_fmac_f64_e32 v[114:115], v[120:121], v[116:117]
	buffer_load_dword v117, off, s[0:3], 0 offset:436
	buffer_load_dword v116, off, s[0:3], 0 offset:432
	s_waitcnt vmcnt(0)
	v_fmac_f64_e32 v[114:115], v[116:117], v[118:119]
	v_add_f64 v[112:113], v[112:113], -v[114:115]
	buffer_store_dword v113, off, s[0:3], 0 offset:212
	buffer_store_dword v112, off, s[0:3], 0 offset:208
	s_and_saveexec_b64 s[4:5], vcc
	s_cbranch_execz .LBB54_287
; %bb.286:
	buffer_load_dword v112, off, s[0:3], 0 offset:200
	buffer_load_dword v113, off, s[0:3], 0 offset:204
	v_mov_b32_e32 v114, 0
	buffer_store_dword v114, off, s[0:3], 0 offset:200
	buffer_store_dword v114, off, s[0:3], 0 offset:204
	s_waitcnt vmcnt(2)
	ds_write_b64 v1, v[112:113]
.LBB54_287:
	s_or_b64 exec, exec, s[4:5]
	s_waitcnt lgkmcnt(0)
	; wave barrier
	s_waitcnt lgkmcnt(0)
	buffer_load_dword v112, off, s[0:3], 0 offset:200
	buffer_load_dword v113, off, s[0:3], 0 offset:204
	;; [unrolled: 1-line block ×16, first 2 shown]
	v_mov_b32_e32 v116, 0
	ds_read_b128 v[118:121], v116 offset:656
	ds_read_b128 v[122:125], v116 offset:672
	;; [unrolled: 1-line block ×4, first 2 shown]
	v_cmp_lt_u32_e32 vcc, 24, v0
	s_waitcnt vmcnt(12) lgkmcnt(3)
	v_fma_f64 v[114:115], v[114:115], v[118:119], 0
	buffer_load_dword v119, off, s[0:3], 0 offset:268
	buffer_load_dword v118, off, s[0:3], 0 offset:264
	s_waitcnt vmcnt(12)
	v_fmac_f64_e32 v[114:115], v[134:135], v[120:121]
	s_waitcnt vmcnt(10) lgkmcnt(2)
	v_fmac_f64_e32 v[114:115], v[136:137], v[122:123]
	buffer_load_dword v123, off, s[0:3], 0 offset:276
	buffer_load_dword v122, off, s[0:3], 0 offset:272
	s_waitcnt vmcnt(10)
	v_fmac_f64_e32 v[114:115], v[138:139], v[124:125]
	s_waitcnt vmcnt(8) lgkmcnt(1)
	v_fmac_f64_e32 v[114:115], v[140:141], v[126:127]
	s_waitcnt vmcnt(6)
	v_fmac_f64_e32 v[114:115], v[142:143], v[128:129]
	s_waitcnt vmcnt(4) lgkmcnt(0)
	v_fmac_f64_e32 v[114:115], v[144:145], v[130:131]
	s_waitcnt vmcnt(2)
	v_fmac_f64_e32 v[114:115], v[118:119], v[132:133]
	ds_read_b128 v[118:121], v116 offset:720
	s_waitcnt vmcnt(0) lgkmcnt(0)
	v_fmac_f64_e32 v[114:115], v[122:123], v[118:119]
	buffer_load_dword v119, off, s[0:3], 0 offset:284
	buffer_load_dword v118, off, s[0:3], 0 offset:280
	buffer_load_dword v123, off, s[0:3], 0 offset:292
	buffer_load_dword v122, off, s[0:3], 0 offset:288
	s_waitcnt vmcnt(2)
	v_fmac_f64_e32 v[114:115], v[118:119], v[120:121]
	ds_read_b128 v[118:121], v116 offset:736
	s_waitcnt vmcnt(0) lgkmcnt(0)
	v_fmac_f64_e32 v[114:115], v[122:123], v[118:119]
	buffer_load_dword v119, off, s[0:3], 0 offset:300
	buffer_load_dword v118, off, s[0:3], 0 offset:296
	buffer_load_dword v123, off, s[0:3], 0 offset:308
	buffer_load_dword v122, off, s[0:3], 0 offset:304
	;; [unrolled: 9-line block ×9, first 2 shown]
	s_waitcnt vmcnt(2)
	v_fmac_f64_e32 v[114:115], v[118:119], v[120:121]
	ds_read_b128 v[118:121], v116 offset:864
	s_waitcnt vmcnt(0) lgkmcnt(0)
	v_fmac_f64_e32 v[114:115], v[122:123], v[118:119]
	buffer_load_dword v119, off, s[0:3], 0 offset:428
	buffer_load_dword v118, off, s[0:3], 0 offset:424
	s_waitcnt vmcnt(0)
	v_fmac_f64_e32 v[114:115], v[118:119], v[120:121]
	buffer_load_dword v119, off, s[0:3], 0 offset:436
	buffer_load_dword v118, off, s[0:3], 0 offset:432
	ds_read_b64 v[120:121], v116 offset:880
	s_waitcnt vmcnt(0) lgkmcnt(0)
	v_fmac_f64_e32 v[114:115], v[118:119], v[120:121]
	v_add_f64 v[112:113], v[112:113], -v[114:115]
	buffer_store_dword v113, off, s[0:3], 0 offset:204
	buffer_store_dword v112, off, s[0:3], 0 offset:200
	s_and_saveexec_b64 s[4:5], vcc
	s_cbranch_execz .LBB54_289
; %bb.288:
	buffer_load_dword v112, off, s[0:3], 0 offset:192
	buffer_load_dword v113, off, s[0:3], 0 offset:196
	s_waitcnt vmcnt(0)
	ds_write_b64 v1, v[112:113]
	buffer_store_dword v116, off, s[0:3], 0 offset:192
	buffer_store_dword v116, off, s[0:3], 0 offset:196
.LBB54_289:
	s_or_b64 exec, exec, s[4:5]
	s_waitcnt lgkmcnt(0)
	; wave barrier
	s_waitcnt lgkmcnt(0)
	buffer_load_dword v112, off, s[0:3], 0 offset:192
	buffer_load_dword v113, off, s[0:3], 0 offset:196
	;; [unrolled: 1-line block ×16, first 2 shown]
	ds_read2_b64 v[118:121], v116 offset0:81 offset1:82
	v_cmp_lt_u32_e32 vcc, 23, v0
	s_waitcnt vmcnt(12) lgkmcnt(0)
	v_fma_f64 v[114:115], v[114:115], v[118:119], 0
	s_waitcnt vmcnt(10)
	v_fmac_f64_e32 v[114:115], v[122:123], v[120:121]
	ds_read2_b64 v[118:121], v116 offset0:83 offset1:84
	s_waitcnt vmcnt(8) lgkmcnt(0)
	v_fmac_f64_e32 v[114:115], v[124:125], v[118:119]
	s_waitcnt vmcnt(6)
	v_fmac_f64_e32 v[114:115], v[126:127], v[120:121]
	ds_read2_b64 v[118:121], v116 offset0:85 offset1:86
	s_waitcnt vmcnt(4) lgkmcnt(0)
	v_fmac_f64_e32 v[114:115], v[128:129], v[118:119]
	;; [unrolled: 5-line block ×3, first 2 shown]
	buffer_load_dword v119, off, s[0:3], 0 offset:260
	buffer_load_dword v118, off, s[0:3], 0 offset:256
	buffer_load_dword v123, off, s[0:3], 0 offset:268
	buffer_load_dword v122, off, s[0:3], 0 offset:264
	s_waitcnt vmcnt(2)
	v_fmac_f64_e32 v[114:115], v[118:119], v[120:121]
	ds_read2_b64 v[118:121], v116 offset0:89 offset1:90
	s_waitcnt vmcnt(0) lgkmcnt(0)
	v_fmac_f64_e32 v[114:115], v[122:123], v[118:119]
	buffer_load_dword v119, off, s[0:3], 0 offset:276
	buffer_load_dword v118, off, s[0:3], 0 offset:272
	buffer_load_dword v123, off, s[0:3], 0 offset:284
	buffer_load_dword v122, off, s[0:3], 0 offset:280
	s_waitcnt vmcnt(2)
	v_fmac_f64_e32 v[114:115], v[118:119], v[120:121]
	ds_read2_b64 v[118:121], v116 offset0:91 offset1:92
	s_waitcnt vmcnt(0) lgkmcnt(0)
	v_fmac_f64_e32 v[114:115], v[122:123], v[118:119]
	;; [unrolled: 9-line block ×10, first 2 shown]
	buffer_load_dword v119, off, s[0:3], 0 offset:420
	buffer_load_dword v118, off, s[0:3], 0 offset:416
	s_waitcnt vmcnt(0)
	v_fmac_f64_e32 v[114:115], v[118:119], v[120:121]
	buffer_load_dword v121, off, s[0:3], 0 offset:428
	buffer_load_dword v120, off, s[0:3], 0 offset:424
	ds_read2_b64 v[116:119], v116 offset0:109 offset1:110
	s_waitcnt vmcnt(0) lgkmcnt(0)
	v_fmac_f64_e32 v[114:115], v[120:121], v[116:117]
	buffer_load_dword v117, off, s[0:3], 0 offset:436
	buffer_load_dword v116, off, s[0:3], 0 offset:432
	s_waitcnt vmcnt(0)
	v_fmac_f64_e32 v[114:115], v[116:117], v[118:119]
	v_add_f64 v[112:113], v[112:113], -v[114:115]
	buffer_store_dword v113, off, s[0:3], 0 offset:196
	buffer_store_dword v112, off, s[0:3], 0 offset:192
	s_and_saveexec_b64 s[4:5], vcc
	s_cbranch_execz .LBB54_291
; %bb.290:
	buffer_load_dword v112, off, s[0:3], 0 offset:184
	buffer_load_dword v113, off, s[0:3], 0 offset:188
	v_mov_b32_e32 v114, 0
	buffer_store_dword v114, off, s[0:3], 0 offset:184
	buffer_store_dword v114, off, s[0:3], 0 offset:188
	s_waitcnt vmcnt(2)
	ds_write_b64 v1, v[112:113]
.LBB54_291:
	s_or_b64 exec, exec, s[4:5]
	s_waitcnt lgkmcnt(0)
	; wave barrier
	s_waitcnt lgkmcnt(0)
	buffer_load_dword v112, off, s[0:3], 0 offset:184
	buffer_load_dword v113, off, s[0:3], 0 offset:188
	;; [unrolled: 1-line block ×16, first 2 shown]
	v_mov_b32_e32 v116, 0
	ds_read_b128 v[118:121], v116 offset:640
	ds_read_b128 v[122:125], v116 offset:656
	;; [unrolled: 1-line block ×4, first 2 shown]
	v_cmp_lt_u32_e32 vcc, 22, v0
	s_waitcnt vmcnt(12) lgkmcnt(3)
	v_fma_f64 v[114:115], v[114:115], v[118:119], 0
	buffer_load_dword v119, off, s[0:3], 0 offset:252
	buffer_load_dword v118, off, s[0:3], 0 offset:248
	s_waitcnt vmcnt(12)
	v_fmac_f64_e32 v[114:115], v[134:135], v[120:121]
	s_waitcnt vmcnt(10) lgkmcnt(2)
	v_fmac_f64_e32 v[114:115], v[136:137], v[122:123]
	buffer_load_dword v123, off, s[0:3], 0 offset:260
	buffer_load_dword v122, off, s[0:3], 0 offset:256
	s_waitcnt vmcnt(10)
	v_fmac_f64_e32 v[114:115], v[138:139], v[124:125]
	s_waitcnt vmcnt(8) lgkmcnt(1)
	v_fmac_f64_e32 v[114:115], v[140:141], v[126:127]
	s_waitcnt vmcnt(6)
	v_fmac_f64_e32 v[114:115], v[142:143], v[128:129]
	s_waitcnt vmcnt(4) lgkmcnt(0)
	v_fmac_f64_e32 v[114:115], v[144:145], v[130:131]
	s_waitcnt vmcnt(2)
	v_fmac_f64_e32 v[114:115], v[118:119], v[132:133]
	ds_read_b128 v[118:121], v116 offset:704
	s_waitcnt vmcnt(0) lgkmcnt(0)
	v_fmac_f64_e32 v[114:115], v[122:123], v[118:119]
	buffer_load_dword v119, off, s[0:3], 0 offset:268
	buffer_load_dword v118, off, s[0:3], 0 offset:264
	buffer_load_dword v123, off, s[0:3], 0 offset:276
	buffer_load_dword v122, off, s[0:3], 0 offset:272
	s_waitcnt vmcnt(2)
	v_fmac_f64_e32 v[114:115], v[118:119], v[120:121]
	ds_read_b128 v[118:121], v116 offset:720
	s_waitcnt vmcnt(0) lgkmcnt(0)
	v_fmac_f64_e32 v[114:115], v[122:123], v[118:119]
	buffer_load_dword v119, off, s[0:3], 0 offset:284
	buffer_load_dword v118, off, s[0:3], 0 offset:280
	buffer_load_dword v123, off, s[0:3], 0 offset:292
	buffer_load_dword v122, off, s[0:3], 0 offset:288
	;; [unrolled: 9-line block ×10, first 2 shown]
	s_waitcnt vmcnt(2)
	v_fmac_f64_e32 v[114:115], v[118:119], v[120:121]
	ds_read_b128 v[118:121], v116 offset:864
	s_waitcnt vmcnt(0) lgkmcnt(0)
	v_fmac_f64_e32 v[114:115], v[122:123], v[118:119]
	buffer_load_dword v119, off, s[0:3], 0 offset:428
	buffer_load_dword v118, off, s[0:3], 0 offset:424
	s_waitcnt vmcnt(0)
	v_fmac_f64_e32 v[114:115], v[118:119], v[120:121]
	buffer_load_dword v119, off, s[0:3], 0 offset:436
	buffer_load_dword v118, off, s[0:3], 0 offset:432
	ds_read_b64 v[120:121], v116 offset:880
	s_waitcnt vmcnt(0) lgkmcnt(0)
	v_fmac_f64_e32 v[114:115], v[118:119], v[120:121]
	v_add_f64 v[112:113], v[112:113], -v[114:115]
	buffer_store_dword v113, off, s[0:3], 0 offset:188
	buffer_store_dword v112, off, s[0:3], 0 offset:184
	s_and_saveexec_b64 s[4:5], vcc
	s_cbranch_execz .LBB54_293
; %bb.292:
	buffer_load_dword v112, off, s[0:3], 0 offset:176
	buffer_load_dword v113, off, s[0:3], 0 offset:180
	s_waitcnt vmcnt(0)
	ds_write_b64 v1, v[112:113]
	buffer_store_dword v116, off, s[0:3], 0 offset:176
	buffer_store_dword v116, off, s[0:3], 0 offset:180
.LBB54_293:
	s_or_b64 exec, exec, s[4:5]
	s_waitcnt lgkmcnt(0)
	; wave barrier
	s_waitcnt lgkmcnt(0)
	buffer_load_dword v112, off, s[0:3], 0 offset:176
	buffer_load_dword v113, off, s[0:3], 0 offset:180
	;; [unrolled: 1-line block ×16, first 2 shown]
	ds_read2_b64 v[118:121], v116 offset0:79 offset1:80
	v_cmp_lt_u32_e32 vcc, 21, v0
	s_waitcnt vmcnt(12) lgkmcnt(0)
	v_fma_f64 v[114:115], v[114:115], v[118:119], 0
	s_waitcnt vmcnt(10)
	v_fmac_f64_e32 v[114:115], v[122:123], v[120:121]
	ds_read2_b64 v[118:121], v116 offset0:81 offset1:82
	s_waitcnt vmcnt(8) lgkmcnt(0)
	v_fmac_f64_e32 v[114:115], v[124:125], v[118:119]
	s_waitcnt vmcnt(6)
	v_fmac_f64_e32 v[114:115], v[126:127], v[120:121]
	ds_read2_b64 v[118:121], v116 offset0:83 offset1:84
	s_waitcnt vmcnt(4) lgkmcnt(0)
	v_fmac_f64_e32 v[114:115], v[128:129], v[118:119]
	;; [unrolled: 5-line block ×3, first 2 shown]
	buffer_load_dword v119, off, s[0:3], 0 offset:244
	buffer_load_dword v118, off, s[0:3], 0 offset:240
	buffer_load_dword v123, off, s[0:3], 0 offset:252
	buffer_load_dword v122, off, s[0:3], 0 offset:248
	s_waitcnt vmcnt(2)
	v_fmac_f64_e32 v[114:115], v[118:119], v[120:121]
	ds_read2_b64 v[118:121], v116 offset0:87 offset1:88
	s_waitcnt vmcnt(0) lgkmcnt(0)
	v_fmac_f64_e32 v[114:115], v[122:123], v[118:119]
	buffer_load_dword v119, off, s[0:3], 0 offset:260
	buffer_load_dword v118, off, s[0:3], 0 offset:256
	buffer_load_dword v123, off, s[0:3], 0 offset:268
	buffer_load_dword v122, off, s[0:3], 0 offset:264
	s_waitcnt vmcnt(2)
	v_fmac_f64_e32 v[114:115], v[118:119], v[120:121]
	ds_read2_b64 v[118:121], v116 offset0:89 offset1:90
	s_waitcnt vmcnt(0) lgkmcnt(0)
	v_fmac_f64_e32 v[114:115], v[122:123], v[118:119]
	;; [unrolled: 9-line block ×11, first 2 shown]
	buffer_load_dword v119, off, s[0:3], 0 offset:420
	buffer_load_dword v118, off, s[0:3], 0 offset:416
	s_waitcnt vmcnt(0)
	v_fmac_f64_e32 v[114:115], v[118:119], v[120:121]
	buffer_load_dword v121, off, s[0:3], 0 offset:428
	buffer_load_dword v120, off, s[0:3], 0 offset:424
	ds_read2_b64 v[116:119], v116 offset0:109 offset1:110
	s_waitcnt vmcnt(0) lgkmcnt(0)
	v_fmac_f64_e32 v[114:115], v[120:121], v[116:117]
	buffer_load_dword v117, off, s[0:3], 0 offset:436
	buffer_load_dword v116, off, s[0:3], 0 offset:432
	s_waitcnt vmcnt(0)
	v_fmac_f64_e32 v[114:115], v[116:117], v[118:119]
	v_add_f64 v[112:113], v[112:113], -v[114:115]
	buffer_store_dword v113, off, s[0:3], 0 offset:180
	buffer_store_dword v112, off, s[0:3], 0 offset:176
	s_and_saveexec_b64 s[4:5], vcc
	s_cbranch_execz .LBB54_295
; %bb.294:
	buffer_load_dword v112, off, s[0:3], 0 offset:168
	buffer_load_dword v113, off, s[0:3], 0 offset:172
	v_mov_b32_e32 v114, 0
	buffer_store_dword v114, off, s[0:3], 0 offset:168
	buffer_store_dword v114, off, s[0:3], 0 offset:172
	s_waitcnt vmcnt(2)
	ds_write_b64 v1, v[112:113]
.LBB54_295:
	s_or_b64 exec, exec, s[4:5]
	s_waitcnt lgkmcnt(0)
	; wave barrier
	s_waitcnt lgkmcnt(0)
	buffer_load_dword v112, off, s[0:3], 0 offset:168
	buffer_load_dword v113, off, s[0:3], 0 offset:172
	;; [unrolled: 1-line block ×16, first 2 shown]
	v_mov_b32_e32 v116, 0
	ds_read_b128 v[118:121], v116 offset:624
	ds_read_b128 v[122:125], v116 offset:640
	;; [unrolled: 1-line block ×4, first 2 shown]
	v_cmp_lt_u32_e32 vcc, 20, v0
	s_waitcnt vmcnt(12) lgkmcnt(3)
	v_fma_f64 v[114:115], v[114:115], v[118:119], 0
	buffer_load_dword v119, off, s[0:3], 0 offset:236
	buffer_load_dword v118, off, s[0:3], 0 offset:232
	s_waitcnt vmcnt(12)
	v_fmac_f64_e32 v[114:115], v[134:135], v[120:121]
	s_waitcnt vmcnt(10) lgkmcnt(2)
	v_fmac_f64_e32 v[114:115], v[136:137], v[122:123]
	buffer_load_dword v123, off, s[0:3], 0 offset:244
	buffer_load_dword v122, off, s[0:3], 0 offset:240
	s_waitcnt vmcnt(10)
	v_fmac_f64_e32 v[114:115], v[138:139], v[124:125]
	s_waitcnt vmcnt(8) lgkmcnt(1)
	v_fmac_f64_e32 v[114:115], v[140:141], v[126:127]
	s_waitcnt vmcnt(6)
	v_fmac_f64_e32 v[114:115], v[142:143], v[128:129]
	s_waitcnt vmcnt(4) lgkmcnt(0)
	v_fmac_f64_e32 v[114:115], v[144:145], v[130:131]
	s_waitcnt vmcnt(2)
	v_fmac_f64_e32 v[114:115], v[118:119], v[132:133]
	ds_read_b128 v[118:121], v116 offset:688
	s_waitcnt vmcnt(0) lgkmcnt(0)
	v_fmac_f64_e32 v[114:115], v[122:123], v[118:119]
	buffer_load_dword v119, off, s[0:3], 0 offset:252
	buffer_load_dword v118, off, s[0:3], 0 offset:248
	buffer_load_dword v123, off, s[0:3], 0 offset:260
	buffer_load_dword v122, off, s[0:3], 0 offset:256
	s_waitcnt vmcnt(2)
	v_fmac_f64_e32 v[114:115], v[118:119], v[120:121]
	ds_read_b128 v[118:121], v116 offset:704
	s_waitcnt vmcnt(0) lgkmcnt(0)
	v_fmac_f64_e32 v[114:115], v[122:123], v[118:119]
	buffer_load_dword v119, off, s[0:3], 0 offset:268
	buffer_load_dword v118, off, s[0:3], 0 offset:264
	buffer_load_dword v123, off, s[0:3], 0 offset:276
	buffer_load_dword v122, off, s[0:3], 0 offset:272
	;; [unrolled: 9-line block ×11, first 2 shown]
	s_waitcnt vmcnt(2)
	v_fmac_f64_e32 v[114:115], v[118:119], v[120:121]
	ds_read_b128 v[118:121], v116 offset:864
	s_waitcnt vmcnt(0) lgkmcnt(0)
	v_fmac_f64_e32 v[114:115], v[122:123], v[118:119]
	buffer_load_dword v119, off, s[0:3], 0 offset:428
	buffer_load_dword v118, off, s[0:3], 0 offset:424
	s_waitcnt vmcnt(0)
	v_fmac_f64_e32 v[114:115], v[118:119], v[120:121]
	buffer_load_dword v119, off, s[0:3], 0 offset:436
	buffer_load_dword v118, off, s[0:3], 0 offset:432
	ds_read_b64 v[120:121], v116 offset:880
	s_waitcnt vmcnt(0) lgkmcnt(0)
	v_fmac_f64_e32 v[114:115], v[118:119], v[120:121]
	v_add_f64 v[112:113], v[112:113], -v[114:115]
	buffer_store_dword v113, off, s[0:3], 0 offset:172
	buffer_store_dword v112, off, s[0:3], 0 offset:168
	s_and_saveexec_b64 s[4:5], vcc
	s_cbranch_execz .LBB54_297
; %bb.296:
	buffer_load_dword v112, off, s[0:3], 0 offset:160
	buffer_load_dword v113, off, s[0:3], 0 offset:164
	s_waitcnt vmcnt(0)
	ds_write_b64 v1, v[112:113]
	buffer_store_dword v116, off, s[0:3], 0 offset:160
	buffer_store_dword v116, off, s[0:3], 0 offset:164
.LBB54_297:
	s_or_b64 exec, exec, s[4:5]
	s_waitcnt lgkmcnt(0)
	; wave barrier
	s_waitcnt lgkmcnt(0)
	buffer_load_dword v112, off, s[0:3], 0 offset:160
	buffer_load_dword v113, off, s[0:3], 0 offset:164
	;; [unrolled: 1-line block ×16, first 2 shown]
	ds_read2_b64 v[118:121], v116 offset0:77 offset1:78
	v_cmp_lt_u32_e32 vcc, 19, v0
	s_waitcnt vmcnt(12) lgkmcnt(0)
	v_fma_f64 v[114:115], v[114:115], v[118:119], 0
	s_waitcnt vmcnt(10)
	v_fmac_f64_e32 v[114:115], v[122:123], v[120:121]
	ds_read2_b64 v[118:121], v116 offset0:79 offset1:80
	s_waitcnt vmcnt(8) lgkmcnt(0)
	v_fmac_f64_e32 v[114:115], v[124:125], v[118:119]
	s_waitcnt vmcnt(6)
	v_fmac_f64_e32 v[114:115], v[126:127], v[120:121]
	ds_read2_b64 v[118:121], v116 offset0:81 offset1:82
	s_waitcnt vmcnt(4) lgkmcnt(0)
	v_fmac_f64_e32 v[114:115], v[128:129], v[118:119]
	;; [unrolled: 5-line block ×3, first 2 shown]
	buffer_load_dword v119, off, s[0:3], 0 offset:228
	buffer_load_dword v118, off, s[0:3], 0 offset:224
	buffer_load_dword v123, off, s[0:3], 0 offset:236
	buffer_load_dword v122, off, s[0:3], 0 offset:232
	s_waitcnt vmcnt(2)
	v_fmac_f64_e32 v[114:115], v[118:119], v[120:121]
	ds_read2_b64 v[118:121], v116 offset0:85 offset1:86
	s_waitcnt vmcnt(0) lgkmcnt(0)
	v_fmac_f64_e32 v[114:115], v[122:123], v[118:119]
	buffer_load_dword v119, off, s[0:3], 0 offset:244
	buffer_load_dword v118, off, s[0:3], 0 offset:240
	buffer_load_dword v123, off, s[0:3], 0 offset:252
	buffer_load_dword v122, off, s[0:3], 0 offset:248
	s_waitcnt vmcnt(2)
	v_fmac_f64_e32 v[114:115], v[118:119], v[120:121]
	ds_read2_b64 v[118:121], v116 offset0:87 offset1:88
	s_waitcnt vmcnt(0) lgkmcnt(0)
	v_fmac_f64_e32 v[114:115], v[122:123], v[118:119]
	;; [unrolled: 9-line block ×12, first 2 shown]
	buffer_load_dword v119, off, s[0:3], 0 offset:420
	buffer_load_dword v118, off, s[0:3], 0 offset:416
	s_waitcnt vmcnt(0)
	v_fmac_f64_e32 v[114:115], v[118:119], v[120:121]
	buffer_load_dword v121, off, s[0:3], 0 offset:428
	buffer_load_dword v120, off, s[0:3], 0 offset:424
	ds_read2_b64 v[116:119], v116 offset0:109 offset1:110
	s_waitcnt vmcnt(0) lgkmcnt(0)
	v_fmac_f64_e32 v[114:115], v[120:121], v[116:117]
	buffer_load_dword v117, off, s[0:3], 0 offset:436
	buffer_load_dword v116, off, s[0:3], 0 offset:432
	s_waitcnt vmcnt(0)
	v_fmac_f64_e32 v[114:115], v[116:117], v[118:119]
	v_add_f64 v[112:113], v[112:113], -v[114:115]
	buffer_store_dword v113, off, s[0:3], 0 offset:164
	buffer_store_dword v112, off, s[0:3], 0 offset:160
	s_and_saveexec_b64 s[4:5], vcc
	s_cbranch_execz .LBB54_299
; %bb.298:
	buffer_load_dword v112, off, s[0:3], 0 offset:152
	buffer_load_dword v113, off, s[0:3], 0 offset:156
	v_mov_b32_e32 v114, 0
	buffer_store_dword v114, off, s[0:3], 0 offset:152
	buffer_store_dword v114, off, s[0:3], 0 offset:156
	s_waitcnt vmcnt(2)
	ds_write_b64 v1, v[112:113]
.LBB54_299:
	s_or_b64 exec, exec, s[4:5]
	s_waitcnt lgkmcnt(0)
	; wave barrier
	s_waitcnt lgkmcnt(0)
	buffer_load_dword v112, off, s[0:3], 0 offset:152
	buffer_load_dword v113, off, s[0:3], 0 offset:156
	;; [unrolled: 1-line block ×16, first 2 shown]
	v_mov_b32_e32 v116, 0
	ds_read_b128 v[118:121], v116 offset:608
	ds_read_b128 v[122:125], v116 offset:624
	;; [unrolled: 1-line block ×4, first 2 shown]
	v_cmp_lt_u32_e32 vcc, 18, v0
	s_waitcnt vmcnt(12) lgkmcnt(3)
	v_fma_f64 v[114:115], v[114:115], v[118:119], 0
	buffer_load_dword v119, off, s[0:3], 0 offset:220
	buffer_load_dword v118, off, s[0:3], 0 offset:216
	s_waitcnt vmcnt(12)
	v_fmac_f64_e32 v[114:115], v[134:135], v[120:121]
	s_waitcnt vmcnt(10) lgkmcnt(2)
	v_fmac_f64_e32 v[114:115], v[136:137], v[122:123]
	buffer_load_dword v123, off, s[0:3], 0 offset:228
	buffer_load_dword v122, off, s[0:3], 0 offset:224
	s_waitcnt vmcnt(10)
	v_fmac_f64_e32 v[114:115], v[138:139], v[124:125]
	s_waitcnt vmcnt(8) lgkmcnt(1)
	v_fmac_f64_e32 v[114:115], v[140:141], v[126:127]
	s_waitcnt vmcnt(6)
	v_fmac_f64_e32 v[114:115], v[142:143], v[128:129]
	s_waitcnt vmcnt(4) lgkmcnt(0)
	v_fmac_f64_e32 v[114:115], v[144:145], v[130:131]
	s_waitcnt vmcnt(2)
	v_fmac_f64_e32 v[114:115], v[118:119], v[132:133]
	ds_read_b128 v[118:121], v116 offset:672
	s_waitcnt vmcnt(0) lgkmcnt(0)
	v_fmac_f64_e32 v[114:115], v[122:123], v[118:119]
	buffer_load_dword v119, off, s[0:3], 0 offset:236
	buffer_load_dword v118, off, s[0:3], 0 offset:232
	buffer_load_dword v123, off, s[0:3], 0 offset:244
	buffer_load_dword v122, off, s[0:3], 0 offset:240
	s_waitcnt vmcnt(2)
	v_fmac_f64_e32 v[114:115], v[118:119], v[120:121]
	ds_read_b128 v[118:121], v116 offset:688
	s_waitcnt vmcnt(0) lgkmcnt(0)
	v_fmac_f64_e32 v[114:115], v[122:123], v[118:119]
	buffer_load_dword v119, off, s[0:3], 0 offset:252
	buffer_load_dword v118, off, s[0:3], 0 offset:248
	buffer_load_dword v123, off, s[0:3], 0 offset:260
	buffer_load_dword v122, off, s[0:3], 0 offset:256
	;; [unrolled: 9-line block ×12, first 2 shown]
	s_waitcnt vmcnt(2)
	v_fmac_f64_e32 v[114:115], v[118:119], v[120:121]
	ds_read_b128 v[118:121], v116 offset:864
	s_waitcnt vmcnt(0) lgkmcnt(0)
	v_fmac_f64_e32 v[114:115], v[122:123], v[118:119]
	buffer_load_dword v119, off, s[0:3], 0 offset:428
	buffer_load_dword v118, off, s[0:3], 0 offset:424
	s_waitcnt vmcnt(0)
	v_fmac_f64_e32 v[114:115], v[118:119], v[120:121]
	buffer_load_dword v119, off, s[0:3], 0 offset:436
	buffer_load_dword v118, off, s[0:3], 0 offset:432
	ds_read_b64 v[120:121], v116 offset:880
	s_waitcnt vmcnt(0) lgkmcnt(0)
	v_fmac_f64_e32 v[114:115], v[118:119], v[120:121]
	v_add_f64 v[112:113], v[112:113], -v[114:115]
	buffer_store_dword v113, off, s[0:3], 0 offset:156
	buffer_store_dword v112, off, s[0:3], 0 offset:152
	s_and_saveexec_b64 s[4:5], vcc
	s_cbranch_execz .LBB54_301
; %bb.300:
	buffer_load_dword v112, off, s[0:3], 0 offset:144
	buffer_load_dword v113, off, s[0:3], 0 offset:148
	s_waitcnt vmcnt(0)
	ds_write_b64 v1, v[112:113]
	buffer_store_dword v116, off, s[0:3], 0 offset:144
	buffer_store_dword v116, off, s[0:3], 0 offset:148
.LBB54_301:
	s_or_b64 exec, exec, s[4:5]
	s_waitcnt lgkmcnt(0)
	; wave barrier
	s_waitcnt lgkmcnt(0)
	buffer_load_dword v112, off, s[0:3], 0 offset:144
	buffer_load_dword v113, off, s[0:3], 0 offset:148
	buffer_load_dword v114, off, s[0:3], 0 offset:152
	buffer_load_dword v115, off, s[0:3], 0 offset:156
	buffer_load_dword v122, off, s[0:3], 0 offset:160
	buffer_load_dword v123, off, s[0:3], 0 offset:164
	buffer_load_dword v124, off, s[0:3], 0 offset:168
	buffer_load_dword v125, off, s[0:3], 0 offset:172
	buffer_load_dword v126, off, s[0:3], 0 offset:176
	buffer_load_dword v127, off, s[0:3], 0 offset:180
	buffer_load_dword v128, off, s[0:3], 0 offset:184
	buffer_load_dword v129, off, s[0:3], 0 offset:188
	buffer_load_dword v130, off, s[0:3], 0 offset:192
	buffer_load_dword v131, off, s[0:3], 0 offset:196
	buffer_load_dword v132, off, s[0:3], 0 offset:200
	buffer_load_dword v133, off, s[0:3], 0 offset:204
	ds_read2_b64 v[118:121], v116 offset0:75 offset1:76
	v_cmp_lt_u32_e32 vcc, 17, v0
	s_waitcnt vmcnt(12) lgkmcnt(0)
	v_fma_f64 v[114:115], v[114:115], v[118:119], 0
	s_waitcnt vmcnt(10)
	v_fmac_f64_e32 v[114:115], v[122:123], v[120:121]
	ds_read2_b64 v[118:121], v116 offset0:77 offset1:78
	s_waitcnt vmcnt(8) lgkmcnt(0)
	v_fmac_f64_e32 v[114:115], v[124:125], v[118:119]
	s_waitcnt vmcnt(6)
	v_fmac_f64_e32 v[114:115], v[126:127], v[120:121]
	ds_read2_b64 v[118:121], v116 offset0:79 offset1:80
	s_waitcnt vmcnt(4) lgkmcnt(0)
	v_fmac_f64_e32 v[114:115], v[128:129], v[118:119]
	;; [unrolled: 5-line block ×3, first 2 shown]
	buffer_load_dword v119, off, s[0:3], 0 offset:212
	buffer_load_dword v118, off, s[0:3], 0 offset:208
	buffer_load_dword v123, off, s[0:3], 0 offset:220
	buffer_load_dword v122, off, s[0:3], 0 offset:216
	s_waitcnt vmcnt(2)
	v_fmac_f64_e32 v[114:115], v[118:119], v[120:121]
	ds_read2_b64 v[118:121], v116 offset0:83 offset1:84
	s_waitcnt vmcnt(0) lgkmcnt(0)
	v_fmac_f64_e32 v[114:115], v[122:123], v[118:119]
	buffer_load_dword v119, off, s[0:3], 0 offset:228
	buffer_load_dword v118, off, s[0:3], 0 offset:224
	buffer_load_dword v123, off, s[0:3], 0 offset:236
	buffer_load_dword v122, off, s[0:3], 0 offset:232
	s_waitcnt vmcnt(2)
	v_fmac_f64_e32 v[114:115], v[118:119], v[120:121]
	ds_read2_b64 v[118:121], v116 offset0:85 offset1:86
	s_waitcnt vmcnt(0) lgkmcnt(0)
	v_fmac_f64_e32 v[114:115], v[122:123], v[118:119]
	;; [unrolled: 9-line block ×13, first 2 shown]
	buffer_load_dword v119, off, s[0:3], 0 offset:420
	buffer_load_dword v118, off, s[0:3], 0 offset:416
	s_waitcnt vmcnt(0)
	v_fmac_f64_e32 v[114:115], v[118:119], v[120:121]
	buffer_load_dword v121, off, s[0:3], 0 offset:428
	buffer_load_dword v120, off, s[0:3], 0 offset:424
	ds_read2_b64 v[116:119], v116 offset0:109 offset1:110
	s_waitcnt vmcnt(0) lgkmcnt(0)
	v_fmac_f64_e32 v[114:115], v[120:121], v[116:117]
	buffer_load_dword v117, off, s[0:3], 0 offset:436
	buffer_load_dword v116, off, s[0:3], 0 offset:432
	s_waitcnt vmcnt(0)
	v_fmac_f64_e32 v[114:115], v[116:117], v[118:119]
	v_add_f64 v[112:113], v[112:113], -v[114:115]
	buffer_store_dword v113, off, s[0:3], 0 offset:148
	buffer_store_dword v112, off, s[0:3], 0 offset:144
	s_and_saveexec_b64 s[4:5], vcc
	s_cbranch_execz .LBB54_303
; %bb.302:
	buffer_load_dword v112, off, s[0:3], 0 offset:136
	buffer_load_dword v113, off, s[0:3], 0 offset:140
	v_mov_b32_e32 v114, 0
	buffer_store_dword v114, off, s[0:3], 0 offset:136
	buffer_store_dword v114, off, s[0:3], 0 offset:140
	s_waitcnt vmcnt(2)
	ds_write_b64 v1, v[112:113]
.LBB54_303:
	s_or_b64 exec, exec, s[4:5]
	s_waitcnt lgkmcnt(0)
	; wave barrier
	s_waitcnt lgkmcnt(0)
	buffer_load_dword v112, off, s[0:3], 0 offset:136
	buffer_load_dword v113, off, s[0:3], 0 offset:140
	;; [unrolled: 1-line block ×16, first 2 shown]
	v_mov_b32_e32 v116, 0
	ds_read_b128 v[118:121], v116 offset:592
	ds_read_b128 v[122:125], v116 offset:608
	;; [unrolled: 1-line block ×4, first 2 shown]
	v_cmp_lt_u32_e32 vcc, 16, v0
	s_waitcnt vmcnt(12) lgkmcnt(3)
	v_fma_f64 v[114:115], v[114:115], v[118:119], 0
	buffer_load_dword v119, off, s[0:3], 0 offset:204
	buffer_load_dword v118, off, s[0:3], 0 offset:200
	s_waitcnt vmcnt(12)
	v_fmac_f64_e32 v[114:115], v[134:135], v[120:121]
	s_waitcnt vmcnt(10) lgkmcnt(2)
	v_fmac_f64_e32 v[114:115], v[136:137], v[122:123]
	buffer_load_dword v123, off, s[0:3], 0 offset:212
	buffer_load_dword v122, off, s[0:3], 0 offset:208
	s_waitcnt vmcnt(10)
	v_fmac_f64_e32 v[114:115], v[138:139], v[124:125]
	s_waitcnt vmcnt(8) lgkmcnt(1)
	v_fmac_f64_e32 v[114:115], v[140:141], v[126:127]
	s_waitcnt vmcnt(6)
	v_fmac_f64_e32 v[114:115], v[142:143], v[128:129]
	s_waitcnt vmcnt(4) lgkmcnt(0)
	v_fmac_f64_e32 v[114:115], v[144:145], v[130:131]
	s_waitcnt vmcnt(2)
	v_fmac_f64_e32 v[114:115], v[118:119], v[132:133]
	ds_read_b128 v[118:121], v116 offset:656
	s_waitcnt vmcnt(0) lgkmcnt(0)
	v_fmac_f64_e32 v[114:115], v[122:123], v[118:119]
	buffer_load_dword v119, off, s[0:3], 0 offset:220
	buffer_load_dword v118, off, s[0:3], 0 offset:216
	buffer_load_dword v123, off, s[0:3], 0 offset:228
	buffer_load_dword v122, off, s[0:3], 0 offset:224
	s_waitcnt vmcnt(2)
	v_fmac_f64_e32 v[114:115], v[118:119], v[120:121]
	ds_read_b128 v[118:121], v116 offset:672
	s_waitcnt vmcnt(0) lgkmcnt(0)
	v_fmac_f64_e32 v[114:115], v[122:123], v[118:119]
	buffer_load_dword v119, off, s[0:3], 0 offset:236
	buffer_load_dword v118, off, s[0:3], 0 offset:232
	buffer_load_dword v123, off, s[0:3], 0 offset:244
	buffer_load_dword v122, off, s[0:3], 0 offset:240
	;; [unrolled: 9-line block ×13, first 2 shown]
	s_waitcnt vmcnt(2)
	v_fmac_f64_e32 v[114:115], v[118:119], v[120:121]
	ds_read_b128 v[118:121], v116 offset:864
	s_waitcnt vmcnt(0) lgkmcnt(0)
	v_fmac_f64_e32 v[114:115], v[122:123], v[118:119]
	buffer_load_dword v119, off, s[0:3], 0 offset:428
	buffer_load_dword v118, off, s[0:3], 0 offset:424
	s_waitcnt vmcnt(0)
	v_fmac_f64_e32 v[114:115], v[118:119], v[120:121]
	buffer_load_dword v119, off, s[0:3], 0 offset:436
	buffer_load_dword v118, off, s[0:3], 0 offset:432
	ds_read_b64 v[120:121], v116 offset:880
	s_waitcnt vmcnt(0) lgkmcnt(0)
	v_fmac_f64_e32 v[114:115], v[118:119], v[120:121]
	v_add_f64 v[112:113], v[112:113], -v[114:115]
	buffer_store_dword v113, off, s[0:3], 0 offset:140
	buffer_store_dword v112, off, s[0:3], 0 offset:136
	s_and_saveexec_b64 s[4:5], vcc
	s_cbranch_execz .LBB54_305
; %bb.304:
	buffer_load_dword v112, off, s[0:3], 0 offset:128
	buffer_load_dword v113, off, s[0:3], 0 offset:132
	s_waitcnt vmcnt(0)
	ds_write_b64 v1, v[112:113]
	buffer_store_dword v116, off, s[0:3], 0 offset:128
	buffer_store_dword v116, off, s[0:3], 0 offset:132
.LBB54_305:
	s_or_b64 exec, exec, s[4:5]
	s_waitcnt lgkmcnt(0)
	; wave barrier
	s_waitcnt lgkmcnt(0)
	buffer_load_dword v112, off, s[0:3], 0 offset:128
	buffer_load_dword v113, off, s[0:3], 0 offset:132
	;; [unrolled: 1-line block ×16, first 2 shown]
	ds_read2_b64 v[118:121], v116 offset0:73 offset1:74
	v_cmp_lt_u32_e32 vcc, 15, v0
	s_waitcnt vmcnt(12) lgkmcnt(0)
	v_fma_f64 v[114:115], v[114:115], v[118:119], 0
	s_waitcnt vmcnt(10)
	v_fmac_f64_e32 v[114:115], v[122:123], v[120:121]
	ds_read2_b64 v[118:121], v116 offset0:75 offset1:76
	s_waitcnt vmcnt(8) lgkmcnt(0)
	v_fmac_f64_e32 v[114:115], v[124:125], v[118:119]
	s_waitcnt vmcnt(6)
	v_fmac_f64_e32 v[114:115], v[126:127], v[120:121]
	ds_read2_b64 v[118:121], v116 offset0:77 offset1:78
	s_waitcnt vmcnt(4) lgkmcnt(0)
	v_fmac_f64_e32 v[114:115], v[128:129], v[118:119]
	s_waitcnt vmcnt(2)
	v_fmac_f64_e32 v[114:115], v[130:131], v[120:121]
	ds_read2_b64 v[118:121], v116 offset0:79 offset1:80
	s_waitcnt vmcnt(0) lgkmcnt(0)
	v_fmac_f64_e32 v[114:115], v[132:133], v[118:119]
	buffer_load_dword v119, off, s[0:3], 0 offset:196
	buffer_load_dword v118, off, s[0:3], 0 offset:192
	buffer_load_dword v123, off, s[0:3], 0 offset:204
	buffer_load_dword v122, off, s[0:3], 0 offset:200
	s_waitcnt vmcnt(2)
	v_fmac_f64_e32 v[114:115], v[118:119], v[120:121]
	ds_read2_b64 v[118:121], v116 offset0:81 offset1:82
	s_waitcnt vmcnt(0) lgkmcnt(0)
	v_fmac_f64_e32 v[114:115], v[122:123], v[118:119]
	buffer_load_dword v119, off, s[0:3], 0 offset:212
	buffer_load_dword v118, off, s[0:3], 0 offset:208
	buffer_load_dword v123, off, s[0:3], 0 offset:220
	buffer_load_dword v122, off, s[0:3], 0 offset:216
	s_waitcnt vmcnt(2)
	v_fmac_f64_e32 v[114:115], v[118:119], v[120:121]
	ds_read2_b64 v[118:121], v116 offset0:83 offset1:84
	s_waitcnt vmcnt(0) lgkmcnt(0)
	v_fmac_f64_e32 v[114:115], v[122:123], v[118:119]
	;; [unrolled: 9-line block ×14, first 2 shown]
	buffer_load_dword v119, off, s[0:3], 0 offset:420
	buffer_load_dword v118, off, s[0:3], 0 offset:416
	s_waitcnt vmcnt(0)
	v_fmac_f64_e32 v[114:115], v[118:119], v[120:121]
	buffer_load_dword v121, off, s[0:3], 0 offset:428
	buffer_load_dword v120, off, s[0:3], 0 offset:424
	ds_read2_b64 v[116:119], v116 offset0:109 offset1:110
	s_waitcnt vmcnt(0) lgkmcnt(0)
	v_fmac_f64_e32 v[114:115], v[120:121], v[116:117]
	buffer_load_dword v117, off, s[0:3], 0 offset:436
	buffer_load_dword v116, off, s[0:3], 0 offset:432
	s_waitcnt vmcnt(0)
	v_fmac_f64_e32 v[114:115], v[116:117], v[118:119]
	v_add_f64 v[112:113], v[112:113], -v[114:115]
	buffer_store_dword v113, off, s[0:3], 0 offset:132
	buffer_store_dword v112, off, s[0:3], 0 offset:128
	s_and_saveexec_b64 s[4:5], vcc
	s_cbranch_execz .LBB54_307
; %bb.306:
	buffer_load_dword v112, off, s[0:3], 0 offset:120
	buffer_load_dword v113, off, s[0:3], 0 offset:124
	v_mov_b32_e32 v114, 0
	buffer_store_dword v114, off, s[0:3], 0 offset:120
	buffer_store_dword v114, off, s[0:3], 0 offset:124
	s_waitcnt vmcnt(2)
	ds_write_b64 v1, v[112:113]
.LBB54_307:
	s_or_b64 exec, exec, s[4:5]
	s_waitcnt lgkmcnt(0)
	; wave barrier
	s_waitcnt lgkmcnt(0)
	buffer_load_dword v112, off, s[0:3], 0 offset:120
	buffer_load_dword v113, off, s[0:3], 0 offset:124
	;; [unrolled: 1-line block ×16, first 2 shown]
	v_mov_b32_e32 v116, 0
	ds_read_b128 v[118:121], v116 offset:576
	ds_read_b128 v[122:125], v116 offset:592
	;; [unrolled: 1-line block ×4, first 2 shown]
	v_cmp_lt_u32_e32 vcc, 14, v0
	s_waitcnt vmcnt(12) lgkmcnt(3)
	v_fma_f64 v[114:115], v[114:115], v[118:119], 0
	buffer_load_dword v119, off, s[0:3], 0 offset:188
	buffer_load_dword v118, off, s[0:3], 0 offset:184
	s_waitcnt vmcnt(12)
	v_fmac_f64_e32 v[114:115], v[134:135], v[120:121]
	s_waitcnt vmcnt(10) lgkmcnt(2)
	v_fmac_f64_e32 v[114:115], v[136:137], v[122:123]
	buffer_load_dword v123, off, s[0:3], 0 offset:196
	buffer_load_dword v122, off, s[0:3], 0 offset:192
	s_waitcnt vmcnt(10)
	v_fmac_f64_e32 v[114:115], v[138:139], v[124:125]
	s_waitcnt vmcnt(8) lgkmcnt(1)
	v_fmac_f64_e32 v[114:115], v[140:141], v[126:127]
	s_waitcnt vmcnt(6)
	v_fmac_f64_e32 v[114:115], v[142:143], v[128:129]
	s_waitcnt vmcnt(4) lgkmcnt(0)
	v_fmac_f64_e32 v[114:115], v[144:145], v[130:131]
	s_waitcnt vmcnt(2)
	v_fmac_f64_e32 v[114:115], v[118:119], v[132:133]
	ds_read_b128 v[118:121], v116 offset:640
	s_waitcnt vmcnt(0) lgkmcnt(0)
	v_fmac_f64_e32 v[114:115], v[122:123], v[118:119]
	buffer_load_dword v119, off, s[0:3], 0 offset:204
	buffer_load_dword v118, off, s[0:3], 0 offset:200
	buffer_load_dword v123, off, s[0:3], 0 offset:212
	buffer_load_dword v122, off, s[0:3], 0 offset:208
	s_waitcnt vmcnt(2)
	v_fmac_f64_e32 v[114:115], v[118:119], v[120:121]
	ds_read_b128 v[118:121], v116 offset:656
	s_waitcnt vmcnt(0) lgkmcnt(0)
	v_fmac_f64_e32 v[114:115], v[122:123], v[118:119]
	buffer_load_dword v119, off, s[0:3], 0 offset:220
	buffer_load_dword v118, off, s[0:3], 0 offset:216
	buffer_load_dword v123, off, s[0:3], 0 offset:228
	buffer_load_dword v122, off, s[0:3], 0 offset:224
	s_waitcnt vmcnt(2)
	v_fmac_f64_e32 v[114:115], v[118:119], v[120:121]
	ds_read_b128 v[118:121], v116 offset:672
	s_waitcnt vmcnt(0) lgkmcnt(0)
	v_fmac_f64_e32 v[114:115], v[122:123], v[118:119]
	buffer_load_dword v119, off, s[0:3], 0 offset:236
	buffer_load_dword v118, off, s[0:3], 0 offset:232
	buffer_load_dword v123, off, s[0:3], 0 offset:244
	buffer_load_dword v122, off, s[0:3], 0 offset:240
	s_waitcnt vmcnt(2)
	v_fmac_f64_e32 v[114:115], v[118:119], v[120:121]
	ds_read_b128 v[118:121], v116 offset:688
	s_waitcnt vmcnt(0) lgkmcnt(0)
	v_fmac_f64_e32 v[114:115], v[122:123], v[118:119]
	buffer_load_dword v119, off, s[0:3], 0 offset:252
	buffer_load_dword v118, off, s[0:3], 0 offset:248
	buffer_load_dword v123, off, s[0:3], 0 offset:260
	buffer_load_dword v122, off, s[0:3], 0 offset:256
	s_waitcnt vmcnt(2)
	v_fmac_f64_e32 v[114:115], v[118:119], v[120:121]
	ds_read_b128 v[118:121], v116 offset:704
	s_waitcnt vmcnt(0) lgkmcnt(0)
	v_fmac_f64_e32 v[114:115], v[122:123], v[118:119]
	buffer_load_dword v119, off, s[0:3], 0 offset:268
	buffer_load_dword v118, off, s[0:3], 0 offset:264
	buffer_load_dword v123, off, s[0:3], 0 offset:276
	buffer_load_dword v122, off, s[0:3], 0 offset:272
	s_waitcnt vmcnt(2)
	v_fmac_f64_e32 v[114:115], v[118:119], v[120:121]
	ds_read_b128 v[118:121], v116 offset:720
	s_waitcnt vmcnt(0) lgkmcnt(0)
	v_fmac_f64_e32 v[114:115], v[122:123], v[118:119]
	buffer_load_dword v119, off, s[0:3], 0 offset:284
	buffer_load_dword v118, off, s[0:3], 0 offset:280
	buffer_load_dword v123, off, s[0:3], 0 offset:292
	buffer_load_dword v122, off, s[0:3], 0 offset:288
	s_waitcnt vmcnt(2)
	v_fmac_f64_e32 v[114:115], v[118:119], v[120:121]
	ds_read_b128 v[118:121], v116 offset:736
	s_waitcnt vmcnt(0) lgkmcnt(0)
	v_fmac_f64_e32 v[114:115], v[122:123], v[118:119]
	buffer_load_dword v119, off, s[0:3], 0 offset:300
	buffer_load_dword v118, off, s[0:3], 0 offset:296
	buffer_load_dword v123, off, s[0:3], 0 offset:308
	buffer_load_dword v122, off, s[0:3], 0 offset:304
	s_waitcnt vmcnt(2)
	v_fmac_f64_e32 v[114:115], v[118:119], v[120:121]
	ds_read_b128 v[118:121], v116 offset:752
	s_waitcnt vmcnt(0) lgkmcnt(0)
	v_fmac_f64_e32 v[114:115], v[122:123], v[118:119]
	buffer_load_dword v119, off, s[0:3], 0 offset:316
	buffer_load_dword v118, off, s[0:3], 0 offset:312
	buffer_load_dword v123, off, s[0:3], 0 offset:324
	buffer_load_dword v122, off, s[0:3], 0 offset:320
	s_waitcnt vmcnt(2)
	v_fmac_f64_e32 v[114:115], v[118:119], v[120:121]
	ds_read_b128 v[118:121], v116 offset:768
	s_waitcnt vmcnt(0) lgkmcnt(0)
	v_fmac_f64_e32 v[114:115], v[122:123], v[118:119]
	buffer_load_dword v119, off, s[0:3], 0 offset:332
	buffer_load_dword v118, off, s[0:3], 0 offset:328
	buffer_load_dword v123, off, s[0:3], 0 offset:340
	buffer_load_dword v122, off, s[0:3], 0 offset:336
	s_waitcnt vmcnt(2)
	v_fmac_f64_e32 v[114:115], v[118:119], v[120:121]
	ds_read_b128 v[118:121], v116 offset:784
	s_waitcnt vmcnt(0) lgkmcnt(0)
	v_fmac_f64_e32 v[114:115], v[122:123], v[118:119]
	buffer_load_dword v119, off, s[0:3], 0 offset:348
	buffer_load_dword v118, off, s[0:3], 0 offset:344
	buffer_load_dword v123, off, s[0:3], 0 offset:356
	buffer_load_dword v122, off, s[0:3], 0 offset:352
	s_waitcnt vmcnt(2)
	v_fmac_f64_e32 v[114:115], v[118:119], v[120:121]
	ds_read_b128 v[118:121], v116 offset:800
	s_waitcnt vmcnt(0) lgkmcnt(0)
	v_fmac_f64_e32 v[114:115], v[122:123], v[118:119]
	buffer_load_dword v119, off, s[0:3], 0 offset:364
	buffer_load_dword v118, off, s[0:3], 0 offset:360
	buffer_load_dword v123, off, s[0:3], 0 offset:372
	buffer_load_dword v122, off, s[0:3], 0 offset:368
	s_waitcnt vmcnt(2)
	v_fmac_f64_e32 v[114:115], v[118:119], v[120:121]
	ds_read_b128 v[118:121], v116 offset:816
	s_waitcnt vmcnt(0) lgkmcnt(0)
	v_fmac_f64_e32 v[114:115], v[122:123], v[118:119]
	buffer_load_dword v119, off, s[0:3], 0 offset:380
	buffer_load_dword v118, off, s[0:3], 0 offset:376
	buffer_load_dword v123, off, s[0:3], 0 offset:388
	buffer_load_dword v122, off, s[0:3], 0 offset:384
	s_waitcnt vmcnt(2)
	v_fmac_f64_e32 v[114:115], v[118:119], v[120:121]
	ds_read_b128 v[118:121], v116 offset:832
	s_waitcnt vmcnt(0) lgkmcnt(0)
	v_fmac_f64_e32 v[114:115], v[122:123], v[118:119]
	buffer_load_dword v119, off, s[0:3], 0 offset:396
	buffer_load_dword v118, off, s[0:3], 0 offset:392
	buffer_load_dword v123, off, s[0:3], 0 offset:404
	buffer_load_dword v122, off, s[0:3], 0 offset:400
	s_waitcnt vmcnt(2)
	v_fmac_f64_e32 v[114:115], v[118:119], v[120:121]
	ds_read_b128 v[118:121], v116 offset:848
	s_waitcnt vmcnt(0) lgkmcnt(0)
	v_fmac_f64_e32 v[114:115], v[122:123], v[118:119]
	buffer_load_dword v119, off, s[0:3], 0 offset:412
	buffer_load_dword v118, off, s[0:3], 0 offset:408
	buffer_load_dword v123, off, s[0:3], 0 offset:420
	buffer_load_dword v122, off, s[0:3], 0 offset:416
	s_waitcnt vmcnt(2)
	v_fmac_f64_e32 v[114:115], v[118:119], v[120:121]
	ds_read_b128 v[118:121], v116 offset:864
	s_waitcnt vmcnt(0) lgkmcnt(0)
	v_fmac_f64_e32 v[114:115], v[122:123], v[118:119]
	buffer_load_dword v119, off, s[0:3], 0 offset:428
	buffer_load_dword v118, off, s[0:3], 0 offset:424
	s_waitcnt vmcnt(0)
	v_fmac_f64_e32 v[114:115], v[118:119], v[120:121]
	buffer_load_dword v119, off, s[0:3], 0 offset:436
	buffer_load_dword v118, off, s[0:3], 0 offset:432
	ds_read_b64 v[120:121], v116 offset:880
	s_waitcnt vmcnt(0) lgkmcnt(0)
	v_fmac_f64_e32 v[114:115], v[118:119], v[120:121]
	v_add_f64 v[112:113], v[112:113], -v[114:115]
	buffer_store_dword v113, off, s[0:3], 0 offset:124
	buffer_store_dword v112, off, s[0:3], 0 offset:120
	s_and_saveexec_b64 s[4:5], vcc
	s_cbranch_execz .LBB54_309
; %bb.308:
	buffer_load_dword v112, off, s[0:3], 0 offset:112
	buffer_load_dword v113, off, s[0:3], 0 offset:116
	s_waitcnt vmcnt(0)
	ds_write_b64 v1, v[112:113]
	buffer_store_dword v116, off, s[0:3], 0 offset:112
	buffer_store_dword v116, off, s[0:3], 0 offset:116
.LBB54_309:
	s_or_b64 exec, exec, s[4:5]
	s_waitcnt lgkmcnt(0)
	; wave barrier
	s_waitcnt lgkmcnt(0)
	buffer_load_dword v112, off, s[0:3], 0 offset:112
	buffer_load_dword v113, off, s[0:3], 0 offset:116
	;; [unrolled: 1-line block ×16, first 2 shown]
	ds_read2_b64 v[118:121], v116 offset0:71 offset1:72
	v_cmp_lt_u32_e32 vcc, 13, v0
	s_waitcnt vmcnt(12) lgkmcnt(0)
	v_fma_f64 v[114:115], v[114:115], v[118:119], 0
	s_waitcnt vmcnt(10)
	v_fmac_f64_e32 v[114:115], v[122:123], v[120:121]
	ds_read2_b64 v[118:121], v116 offset0:73 offset1:74
	s_waitcnt vmcnt(8) lgkmcnt(0)
	v_fmac_f64_e32 v[114:115], v[124:125], v[118:119]
	s_waitcnt vmcnt(6)
	v_fmac_f64_e32 v[114:115], v[126:127], v[120:121]
	ds_read2_b64 v[118:121], v116 offset0:75 offset1:76
	s_waitcnt vmcnt(4) lgkmcnt(0)
	v_fmac_f64_e32 v[114:115], v[128:129], v[118:119]
	;; [unrolled: 5-line block ×3, first 2 shown]
	buffer_load_dword v119, off, s[0:3], 0 offset:180
	buffer_load_dword v118, off, s[0:3], 0 offset:176
	buffer_load_dword v123, off, s[0:3], 0 offset:188
	buffer_load_dword v122, off, s[0:3], 0 offset:184
	s_waitcnt vmcnt(2)
	v_fmac_f64_e32 v[114:115], v[118:119], v[120:121]
	ds_read2_b64 v[118:121], v116 offset0:79 offset1:80
	s_waitcnt vmcnt(0) lgkmcnt(0)
	v_fmac_f64_e32 v[114:115], v[122:123], v[118:119]
	buffer_load_dword v119, off, s[0:3], 0 offset:196
	buffer_load_dword v118, off, s[0:3], 0 offset:192
	buffer_load_dword v123, off, s[0:3], 0 offset:204
	buffer_load_dword v122, off, s[0:3], 0 offset:200
	s_waitcnt vmcnt(2)
	v_fmac_f64_e32 v[114:115], v[118:119], v[120:121]
	ds_read2_b64 v[118:121], v116 offset0:81 offset1:82
	s_waitcnt vmcnt(0) lgkmcnt(0)
	v_fmac_f64_e32 v[114:115], v[122:123], v[118:119]
	;; [unrolled: 9-line block ×15, first 2 shown]
	buffer_load_dword v119, off, s[0:3], 0 offset:420
	buffer_load_dword v118, off, s[0:3], 0 offset:416
	s_waitcnt vmcnt(0)
	v_fmac_f64_e32 v[114:115], v[118:119], v[120:121]
	buffer_load_dword v121, off, s[0:3], 0 offset:428
	buffer_load_dword v120, off, s[0:3], 0 offset:424
	ds_read2_b64 v[116:119], v116 offset0:109 offset1:110
	s_waitcnt vmcnt(0) lgkmcnt(0)
	v_fmac_f64_e32 v[114:115], v[120:121], v[116:117]
	buffer_load_dword v117, off, s[0:3], 0 offset:436
	buffer_load_dword v116, off, s[0:3], 0 offset:432
	s_waitcnt vmcnt(0)
	v_fmac_f64_e32 v[114:115], v[116:117], v[118:119]
	v_add_f64 v[112:113], v[112:113], -v[114:115]
	buffer_store_dword v113, off, s[0:3], 0 offset:116
	buffer_store_dword v112, off, s[0:3], 0 offset:112
	s_and_saveexec_b64 s[4:5], vcc
	s_cbranch_execz .LBB54_311
; %bb.310:
	buffer_load_dword v112, off, s[0:3], 0 offset:104
	buffer_load_dword v113, off, s[0:3], 0 offset:108
	v_mov_b32_e32 v114, 0
	buffer_store_dword v114, off, s[0:3], 0 offset:104
	buffer_store_dword v114, off, s[0:3], 0 offset:108
	s_waitcnt vmcnt(2)
	ds_write_b64 v1, v[112:113]
.LBB54_311:
	s_or_b64 exec, exec, s[4:5]
	s_waitcnt lgkmcnt(0)
	; wave barrier
	s_waitcnt lgkmcnt(0)
	buffer_load_dword v112, off, s[0:3], 0 offset:104
	buffer_load_dword v113, off, s[0:3], 0 offset:108
	;; [unrolled: 1-line block ×16, first 2 shown]
	v_mov_b32_e32 v116, 0
	ds_read_b128 v[118:121], v116 offset:560
	ds_read_b128 v[122:125], v116 offset:576
	;; [unrolled: 1-line block ×4, first 2 shown]
	v_cmp_lt_u32_e32 vcc, 12, v0
	s_waitcnt vmcnt(12) lgkmcnt(3)
	v_fma_f64 v[114:115], v[114:115], v[118:119], 0
	buffer_load_dword v119, off, s[0:3], 0 offset:172
	buffer_load_dword v118, off, s[0:3], 0 offset:168
	s_waitcnt vmcnt(12)
	v_fmac_f64_e32 v[114:115], v[134:135], v[120:121]
	s_waitcnt vmcnt(10) lgkmcnt(2)
	v_fmac_f64_e32 v[114:115], v[136:137], v[122:123]
	buffer_load_dword v123, off, s[0:3], 0 offset:180
	buffer_load_dword v122, off, s[0:3], 0 offset:176
	s_waitcnt vmcnt(10)
	v_fmac_f64_e32 v[114:115], v[138:139], v[124:125]
	s_waitcnt vmcnt(8) lgkmcnt(1)
	v_fmac_f64_e32 v[114:115], v[140:141], v[126:127]
	s_waitcnt vmcnt(6)
	v_fmac_f64_e32 v[114:115], v[142:143], v[128:129]
	s_waitcnt vmcnt(4) lgkmcnt(0)
	v_fmac_f64_e32 v[114:115], v[144:145], v[130:131]
	s_waitcnt vmcnt(2)
	v_fmac_f64_e32 v[114:115], v[118:119], v[132:133]
	ds_read_b128 v[118:121], v116 offset:624
	s_waitcnt vmcnt(0) lgkmcnt(0)
	v_fmac_f64_e32 v[114:115], v[122:123], v[118:119]
	buffer_load_dword v119, off, s[0:3], 0 offset:188
	buffer_load_dword v118, off, s[0:3], 0 offset:184
	buffer_load_dword v123, off, s[0:3], 0 offset:196
	buffer_load_dword v122, off, s[0:3], 0 offset:192
	s_waitcnt vmcnt(2)
	v_fmac_f64_e32 v[114:115], v[118:119], v[120:121]
	ds_read_b128 v[118:121], v116 offset:640
	s_waitcnt vmcnt(0) lgkmcnt(0)
	v_fmac_f64_e32 v[114:115], v[122:123], v[118:119]
	buffer_load_dword v119, off, s[0:3], 0 offset:204
	buffer_load_dword v118, off, s[0:3], 0 offset:200
	buffer_load_dword v123, off, s[0:3], 0 offset:212
	buffer_load_dword v122, off, s[0:3], 0 offset:208
	;; [unrolled: 9-line block ×15, first 2 shown]
	s_waitcnt vmcnt(2)
	v_fmac_f64_e32 v[114:115], v[118:119], v[120:121]
	ds_read_b128 v[118:121], v116 offset:864
	s_waitcnt vmcnt(0) lgkmcnt(0)
	v_fmac_f64_e32 v[114:115], v[122:123], v[118:119]
	buffer_load_dword v119, off, s[0:3], 0 offset:428
	buffer_load_dword v118, off, s[0:3], 0 offset:424
	s_waitcnt vmcnt(0)
	v_fmac_f64_e32 v[114:115], v[118:119], v[120:121]
	buffer_load_dword v119, off, s[0:3], 0 offset:436
	buffer_load_dword v118, off, s[0:3], 0 offset:432
	ds_read_b64 v[120:121], v116 offset:880
	s_waitcnt vmcnt(0) lgkmcnt(0)
	v_fmac_f64_e32 v[114:115], v[118:119], v[120:121]
	v_add_f64 v[112:113], v[112:113], -v[114:115]
	buffer_store_dword v113, off, s[0:3], 0 offset:108
	buffer_store_dword v112, off, s[0:3], 0 offset:104
	s_and_saveexec_b64 s[4:5], vcc
	s_cbranch_execz .LBB54_313
; %bb.312:
	buffer_load_dword v112, off, s[0:3], 0 offset:96
	buffer_load_dword v113, off, s[0:3], 0 offset:100
	s_waitcnt vmcnt(0)
	ds_write_b64 v1, v[112:113]
	buffer_store_dword v116, off, s[0:3], 0 offset:96
	buffer_store_dword v116, off, s[0:3], 0 offset:100
.LBB54_313:
	s_or_b64 exec, exec, s[4:5]
	s_waitcnt lgkmcnt(0)
	; wave barrier
	s_waitcnt lgkmcnt(0)
	buffer_load_dword v112, off, s[0:3], 0 offset:96
	buffer_load_dword v113, off, s[0:3], 0 offset:100
	buffer_load_dword v114, off, s[0:3], 0 offset:104
	buffer_load_dword v115, off, s[0:3], 0 offset:108
	buffer_load_dword v122, off, s[0:3], 0 offset:112
	buffer_load_dword v123, off, s[0:3], 0 offset:116
	buffer_load_dword v124, off, s[0:3], 0 offset:120
	buffer_load_dword v125, off, s[0:3], 0 offset:124
	buffer_load_dword v126, off, s[0:3], 0 offset:128
	buffer_load_dword v127, off, s[0:3], 0 offset:132
	buffer_load_dword v128, off, s[0:3], 0 offset:136
	buffer_load_dword v129, off, s[0:3], 0 offset:140
	buffer_load_dword v130, off, s[0:3], 0 offset:144
	buffer_load_dword v131, off, s[0:3], 0 offset:148
	buffer_load_dword v132, off, s[0:3], 0 offset:152
	buffer_load_dword v133, off, s[0:3], 0 offset:156
	ds_read2_b64 v[118:121], v116 offset0:69 offset1:70
	v_cmp_lt_u32_e32 vcc, 11, v0
	s_waitcnt vmcnt(12) lgkmcnt(0)
	v_fma_f64 v[114:115], v[114:115], v[118:119], 0
	s_waitcnt vmcnt(10)
	v_fmac_f64_e32 v[114:115], v[122:123], v[120:121]
	ds_read2_b64 v[118:121], v116 offset0:71 offset1:72
	s_waitcnt vmcnt(8) lgkmcnt(0)
	v_fmac_f64_e32 v[114:115], v[124:125], v[118:119]
	s_waitcnt vmcnt(6)
	v_fmac_f64_e32 v[114:115], v[126:127], v[120:121]
	ds_read2_b64 v[118:121], v116 offset0:73 offset1:74
	s_waitcnt vmcnt(4) lgkmcnt(0)
	v_fmac_f64_e32 v[114:115], v[128:129], v[118:119]
	s_waitcnt vmcnt(2)
	v_fmac_f64_e32 v[114:115], v[130:131], v[120:121]
	ds_read2_b64 v[118:121], v116 offset0:75 offset1:76
	s_waitcnt vmcnt(0) lgkmcnt(0)
	v_fmac_f64_e32 v[114:115], v[132:133], v[118:119]
	buffer_load_dword v119, off, s[0:3], 0 offset:164
	buffer_load_dword v118, off, s[0:3], 0 offset:160
	buffer_load_dword v123, off, s[0:3], 0 offset:172
	buffer_load_dword v122, off, s[0:3], 0 offset:168
	s_waitcnt vmcnt(2)
	v_fmac_f64_e32 v[114:115], v[118:119], v[120:121]
	ds_read2_b64 v[118:121], v116 offset0:77 offset1:78
	s_waitcnt vmcnt(0) lgkmcnt(0)
	v_fmac_f64_e32 v[114:115], v[122:123], v[118:119]
	buffer_load_dword v119, off, s[0:3], 0 offset:180
	buffer_load_dword v118, off, s[0:3], 0 offset:176
	buffer_load_dword v123, off, s[0:3], 0 offset:188
	buffer_load_dword v122, off, s[0:3], 0 offset:184
	s_waitcnt vmcnt(2)
	v_fmac_f64_e32 v[114:115], v[118:119], v[120:121]
	ds_read2_b64 v[118:121], v116 offset0:79 offset1:80
	s_waitcnt vmcnt(0) lgkmcnt(0)
	v_fmac_f64_e32 v[114:115], v[122:123], v[118:119]
	;; [unrolled: 9-line block ×16, first 2 shown]
	buffer_load_dword v119, off, s[0:3], 0 offset:420
	buffer_load_dword v118, off, s[0:3], 0 offset:416
	s_waitcnt vmcnt(0)
	v_fmac_f64_e32 v[114:115], v[118:119], v[120:121]
	buffer_load_dword v121, off, s[0:3], 0 offset:428
	buffer_load_dword v120, off, s[0:3], 0 offset:424
	ds_read2_b64 v[116:119], v116 offset0:109 offset1:110
	s_waitcnt vmcnt(0) lgkmcnt(0)
	v_fmac_f64_e32 v[114:115], v[120:121], v[116:117]
	buffer_load_dword v117, off, s[0:3], 0 offset:436
	buffer_load_dword v116, off, s[0:3], 0 offset:432
	s_waitcnt vmcnt(0)
	v_fmac_f64_e32 v[114:115], v[116:117], v[118:119]
	v_add_f64 v[112:113], v[112:113], -v[114:115]
	buffer_store_dword v113, off, s[0:3], 0 offset:100
	buffer_store_dword v112, off, s[0:3], 0 offset:96
	s_and_saveexec_b64 s[4:5], vcc
	s_cbranch_execz .LBB54_315
; %bb.314:
	buffer_load_dword v112, off, s[0:3], 0 offset:88
	buffer_load_dword v113, off, s[0:3], 0 offset:92
	v_mov_b32_e32 v114, 0
	buffer_store_dword v114, off, s[0:3], 0 offset:88
	buffer_store_dword v114, off, s[0:3], 0 offset:92
	s_waitcnt vmcnt(2)
	ds_write_b64 v1, v[112:113]
.LBB54_315:
	s_or_b64 exec, exec, s[4:5]
	s_waitcnt lgkmcnt(0)
	; wave barrier
	s_waitcnt lgkmcnt(0)
	buffer_load_dword v112, off, s[0:3], 0 offset:88
	buffer_load_dword v113, off, s[0:3], 0 offset:92
	;; [unrolled: 1-line block ×16, first 2 shown]
	v_mov_b32_e32 v116, 0
	ds_read_b128 v[118:121], v116 offset:544
	ds_read_b128 v[122:125], v116 offset:560
	;; [unrolled: 1-line block ×4, first 2 shown]
	v_cmp_lt_u32_e32 vcc, 10, v0
	s_waitcnt vmcnt(12) lgkmcnt(3)
	v_fma_f64 v[114:115], v[114:115], v[118:119], 0
	buffer_load_dword v119, off, s[0:3], 0 offset:156
	buffer_load_dword v118, off, s[0:3], 0 offset:152
	s_waitcnt vmcnt(12)
	v_fmac_f64_e32 v[114:115], v[134:135], v[120:121]
	s_waitcnt vmcnt(10) lgkmcnt(2)
	v_fmac_f64_e32 v[114:115], v[136:137], v[122:123]
	buffer_load_dword v123, off, s[0:3], 0 offset:164
	buffer_load_dword v122, off, s[0:3], 0 offset:160
	s_waitcnt vmcnt(10)
	v_fmac_f64_e32 v[114:115], v[138:139], v[124:125]
	s_waitcnt vmcnt(8) lgkmcnt(1)
	v_fmac_f64_e32 v[114:115], v[140:141], v[126:127]
	s_waitcnt vmcnt(6)
	v_fmac_f64_e32 v[114:115], v[142:143], v[128:129]
	s_waitcnt vmcnt(4) lgkmcnt(0)
	v_fmac_f64_e32 v[114:115], v[144:145], v[130:131]
	s_waitcnt vmcnt(2)
	v_fmac_f64_e32 v[114:115], v[118:119], v[132:133]
	ds_read_b128 v[118:121], v116 offset:608
	s_waitcnt vmcnt(0) lgkmcnt(0)
	v_fmac_f64_e32 v[114:115], v[122:123], v[118:119]
	buffer_load_dword v119, off, s[0:3], 0 offset:172
	buffer_load_dword v118, off, s[0:3], 0 offset:168
	buffer_load_dword v123, off, s[0:3], 0 offset:180
	buffer_load_dword v122, off, s[0:3], 0 offset:176
	s_waitcnt vmcnt(2)
	v_fmac_f64_e32 v[114:115], v[118:119], v[120:121]
	ds_read_b128 v[118:121], v116 offset:624
	s_waitcnt vmcnt(0) lgkmcnt(0)
	v_fmac_f64_e32 v[114:115], v[122:123], v[118:119]
	buffer_load_dword v119, off, s[0:3], 0 offset:188
	buffer_load_dword v118, off, s[0:3], 0 offset:184
	buffer_load_dword v123, off, s[0:3], 0 offset:196
	buffer_load_dword v122, off, s[0:3], 0 offset:192
	;; [unrolled: 9-line block ×16, first 2 shown]
	s_waitcnt vmcnt(2)
	v_fmac_f64_e32 v[114:115], v[118:119], v[120:121]
	ds_read_b128 v[118:121], v116 offset:864
	s_waitcnt vmcnt(0) lgkmcnt(0)
	v_fmac_f64_e32 v[114:115], v[122:123], v[118:119]
	buffer_load_dword v119, off, s[0:3], 0 offset:428
	buffer_load_dword v118, off, s[0:3], 0 offset:424
	s_waitcnt vmcnt(0)
	v_fmac_f64_e32 v[114:115], v[118:119], v[120:121]
	buffer_load_dword v119, off, s[0:3], 0 offset:436
	buffer_load_dword v118, off, s[0:3], 0 offset:432
	ds_read_b64 v[120:121], v116 offset:880
	s_waitcnt vmcnt(0) lgkmcnt(0)
	v_fmac_f64_e32 v[114:115], v[118:119], v[120:121]
	v_add_f64 v[112:113], v[112:113], -v[114:115]
	buffer_store_dword v113, off, s[0:3], 0 offset:92
	buffer_store_dword v112, off, s[0:3], 0 offset:88
	s_and_saveexec_b64 s[4:5], vcc
	s_cbranch_execz .LBB54_317
; %bb.316:
	buffer_load_dword v112, off, s[0:3], 0 offset:80
	buffer_load_dword v113, off, s[0:3], 0 offset:84
	s_waitcnt vmcnt(0)
	ds_write_b64 v1, v[112:113]
	buffer_store_dword v116, off, s[0:3], 0 offset:80
	buffer_store_dword v116, off, s[0:3], 0 offset:84
.LBB54_317:
	s_or_b64 exec, exec, s[4:5]
	s_waitcnt lgkmcnt(0)
	; wave barrier
	s_waitcnt lgkmcnt(0)
	buffer_load_dword v112, off, s[0:3], 0 offset:80
	buffer_load_dword v113, off, s[0:3], 0 offset:84
	;; [unrolled: 1-line block ×16, first 2 shown]
	ds_read2_b64 v[118:121], v116 offset0:67 offset1:68
	v_cmp_lt_u32_e32 vcc, 9, v0
	s_waitcnt vmcnt(12) lgkmcnt(0)
	v_fma_f64 v[114:115], v[114:115], v[118:119], 0
	s_waitcnt vmcnt(10)
	v_fmac_f64_e32 v[114:115], v[122:123], v[120:121]
	ds_read2_b64 v[118:121], v116 offset0:69 offset1:70
	s_waitcnt vmcnt(8) lgkmcnt(0)
	v_fmac_f64_e32 v[114:115], v[124:125], v[118:119]
	s_waitcnt vmcnt(6)
	v_fmac_f64_e32 v[114:115], v[126:127], v[120:121]
	ds_read2_b64 v[118:121], v116 offset0:71 offset1:72
	s_waitcnt vmcnt(4) lgkmcnt(0)
	v_fmac_f64_e32 v[114:115], v[128:129], v[118:119]
	;; [unrolled: 5-line block ×3, first 2 shown]
	buffer_load_dword v119, off, s[0:3], 0 offset:148
	buffer_load_dword v118, off, s[0:3], 0 offset:144
	buffer_load_dword v123, off, s[0:3], 0 offset:156
	buffer_load_dword v122, off, s[0:3], 0 offset:152
	s_waitcnt vmcnt(2)
	v_fmac_f64_e32 v[114:115], v[118:119], v[120:121]
	ds_read2_b64 v[118:121], v116 offset0:75 offset1:76
	s_waitcnt vmcnt(0) lgkmcnt(0)
	v_fmac_f64_e32 v[114:115], v[122:123], v[118:119]
	buffer_load_dword v119, off, s[0:3], 0 offset:164
	buffer_load_dword v118, off, s[0:3], 0 offset:160
	buffer_load_dword v123, off, s[0:3], 0 offset:172
	buffer_load_dword v122, off, s[0:3], 0 offset:168
	s_waitcnt vmcnt(2)
	v_fmac_f64_e32 v[114:115], v[118:119], v[120:121]
	ds_read2_b64 v[118:121], v116 offset0:77 offset1:78
	s_waitcnt vmcnt(0) lgkmcnt(0)
	v_fmac_f64_e32 v[114:115], v[122:123], v[118:119]
	buffer_load_dword v119, off, s[0:3], 0 offset:180
	buffer_load_dword v118, off, s[0:3], 0 offset:176
	buffer_load_dword v123, off, s[0:3], 0 offset:188
	buffer_load_dword v122, off, s[0:3], 0 offset:184
	s_waitcnt vmcnt(2)
	v_fmac_f64_e32 v[114:115], v[118:119], v[120:121]
	ds_read2_b64 v[118:121], v116 offset0:79 offset1:80
	s_waitcnt vmcnt(0) lgkmcnt(0)
	v_fmac_f64_e32 v[114:115], v[122:123], v[118:119]
	buffer_load_dword v119, off, s[0:3], 0 offset:196
	buffer_load_dword v118, off, s[0:3], 0 offset:192
	buffer_load_dword v123, off, s[0:3], 0 offset:204
	buffer_load_dword v122, off, s[0:3], 0 offset:200
	s_waitcnt vmcnt(2)
	v_fmac_f64_e32 v[114:115], v[118:119], v[120:121]
	ds_read2_b64 v[118:121], v116 offset0:81 offset1:82
	s_waitcnt vmcnt(0) lgkmcnt(0)
	v_fmac_f64_e32 v[114:115], v[122:123], v[118:119]
	buffer_load_dword v119, off, s[0:3], 0 offset:212
	buffer_load_dword v118, off, s[0:3], 0 offset:208
	buffer_load_dword v123, off, s[0:3], 0 offset:220
	buffer_load_dword v122, off, s[0:3], 0 offset:216
	s_waitcnt vmcnt(2)
	v_fmac_f64_e32 v[114:115], v[118:119], v[120:121]
	ds_read2_b64 v[118:121], v116 offset0:83 offset1:84
	s_waitcnt vmcnt(0) lgkmcnt(0)
	v_fmac_f64_e32 v[114:115], v[122:123], v[118:119]
	buffer_load_dword v119, off, s[0:3], 0 offset:228
	buffer_load_dword v118, off, s[0:3], 0 offset:224
	buffer_load_dword v123, off, s[0:3], 0 offset:236
	buffer_load_dword v122, off, s[0:3], 0 offset:232
	s_waitcnt vmcnt(2)
	v_fmac_f64_e32 v[114:115], v[118:119], v[120:121]
	ds_read2_b64 v[118:121], v116 offset0:85 offset1:86
	s_waitcnt vmcnt(0) lgkmcnt(0)
	v_fmac_f64_e32 v[114:115], v[122:123], v[118:119]
	buffer_load_dword v119, off, s[0:3], 0 offset:244
	buffer_load_dword v118, off, s[0:3], 0 offset:240
	buffer_load_dword v123, off, s[0:3], 0 offset:252
	buffer_load_dword v122, off, s[0:3], 0 offset:248
	s_waitcnt vmcnt(2)
	v_fmac_f64_e32 v[114:115], v[118:119], v[120:121]
	ds_read2_b64 v[118:121], v116 offset0:87 offset1:88
	s_waitcnt vmcnt(0) lgkmcnt(0)
	v_fmac_f64_e32 v[114:115], v[122:123], v[118:119]
	buffer_load_dword v119, off, s[0:3], 0 offset:260
	buffer_load_dword v118, off, s[0:3], 0 offset:256
	buffer_load_dword v123, off, s[0:3], 0 offset:268
	buffer_load_dword v122, off, s[0:3], 0 offset:264
	s_waitcnt vmcnt(2)
	v_fmac_f64_e32 v[114:115], v[118:119], v[120:121]
	ds_read2_b64 v[118:121], v116 offset0:89 offset1:90
	s_waitcnt vmcnt(0) lgkmcnt(0)
	v_fmac_f64_e32 v[114:115], v[122:123], v[118:119]
	buffer_load_dword v119, off, s[0:3], 0 offset:276
	buffer_load_dword v118, off, s[0:3], 0 offset:272
	buffer_load_dword v123, off, s[0:3], 0 offset:284
	buffer_load_dword v122, off, s[0:3], 0 offset:280
	s_waitcnt vmcnt(2)
	v_fmac_f64_e32 v[114:115], v[118:119], v[120:121]
	ds_read2_b64 v[118:121], v116 offset0:91 offset1:92
	s_waitcnt vmcnt(0) lgkmcnt(0)
	v_fmac_f64_e32 v[114:115], v[122:123], v[118:119]
	buffer_load_dword v119, off, s[0:3], 0 offset:292
	buffer_load_dword v118, off, s[0:3], 0 offset:288
	buffer_load_dword v123, off, s[0:3], 0 offset:300
	buffer_load_dword v122, off, s[0:3], 0 offset:296
	s_waitcnt vmcnt(2)
	v_fmac_f64_e32 v[114:115], v[118:119], v[120:121]
	ds_read2_b64 v[118:121], v116 offset0:93 offset1:94
	s_waitcnt vmcnt(0) lgkmcnt(0)
	v_fmac_f64_e32 v[114:115], v[122:123], v[118:119]
	buffer_load_dword v119, off, s[0:3], 0 offset:308
	buffer_load_dword v118, off, s[0:3], 0 offset:304
	buffer_load_dword v123, off, s[0:3], 0 offset:316
	buffer_load_dword v122, off, s[0:3], 0 offset:312
	s_waitcnt vmcnt(2)
	v_fmac_f64_e32 v[114:115], v[118:119], v[120:121]
	ds_read2_b64 v[118:121], v116 offset0:95 offset1:96
	s_waitcnt vmcnt(0) lgkmcnt(0)
	v_fmac_f64_e32 v[114:115], v[122:123], v[118:119]
	buffer_load_dword v119, off, s[0:3], 0 offset:324
	buffer_load_dword v118, off, s[0:3], 0 offset:320
	buffer_load_dword v123, off, s[0:3], 0 offset:332
	buffer_load_dword v122, off, s[0:3], 0 offset:328
	s_waitcnt vmcnt(2)
	v_fmac_f64_e32 v[114:115], v[118:119], v[120:121]
	ds_read2_b64 v[118:121], v116 offset0:97 offset1:98
	s_waitcnt vmcnt(0) lgkmcnt(0)
	v_fmac_f64_e32 v[114:115], v[122:123], v[118:119]
	buffer_load_dword v119, off, s[0:3], 0 offset:340
	buffer_load_dword v118, off, s[0:3], 0 offset:336
	buffer_load_dword v123, off, s[0:3], 0 offset:348
	buffer_load_dword v122, off, s[0:3], 0 offset:344
	s_waitcnt vmcnt(2)
	v_fmac_f64_e32 v[114:115], v[118:119], v[120:121]
	ds_read2_b64 v[118:121], v116 offset0:99 offset1:100
	s_waitcnt vmcnt(0) lgkmcnt(0)
	v_fmac_f64_e32 v[114:115], v[122:123], v[118:119]
	buffer_load_dword v119, off, s[0:3], 0 offset:356
	buffer_load_dword v118, off, s[0:3], 0 offset:352
	buffer_load_dword v123, off, s[0:3], 0 offset:364
	buffer_load_dword v122, off, s[0:3], 0 offset:360
	s_waitcnt vmcnt(2)
	v_fmac_f64_e32 v[114:115], v[118:119], v[120:121]
	ds_read2_b64 v[118:121], v116 offset0:101 offset1:102
	s_waitcnt vmcnt(0) lgkmcnt(0)
	v_fmac_f64_e32 v[114:115], v[122:123], v[118:119]
	buffer_load_dword v119, off, s[0:3], 0 offset:372
	buffer_load_dword v118, off, s[0:3], 0 offset:368
	buffer_load_dword v123, off, s[0:3], 0 offset:380
	buffer_load_dword v122, off, s[0:3], 0 offset:376
	s_waitcnt vmcnt(2)
	v_fmac_f64_e32 v[114:115], v[118:119], v[120:121]
	ds_read2_b64 v[118:121], v116 offset0:103 offset1:104
	s_waitcnt vmcnt(0) lgkmcnt(0)
	v_fmac_f64_e32 v[114:115], v[122:123], v[118:119]
	buffer_load_dword v119, off, s[0:3], 0 offset:388
	buffer_load_dword v118, off, s[0:3], 0 offset:384
	buffer_load_dword v123, off, s[0:3], 0 offset:396
	buffer_load_dword v122, off, s[0:3], 0 offset:392
	s_waitcnt vmcnt(2)
	v_fmac_f64_e32 v[114:115], v[118:119], v[120:121]
	ds_read2_b64 v[118:121], v116 offset0:105 offset1:106
	s_waitcnt vmcnt(0) lgkmcnt(0)
	v_fmac_f64_e32 v[114:115], v[122:123], v[118:119]
	buffer_load_dword v119, off, s[0:3], 0 offset:404
	buffer_load_dword v118, off, s[0:3], 0 offset:400
	buffer_load_dword v123, off, s[0:3], 0 offset:412
	buffer_load_dword v122, off, s[0:3], 0 offset:408
	s_waitcnt vmcnt(2)
	v_fmac_f64_e32 v[114:115], v[118:119], v[120:121]
	ds_read2_b64 v[118:121], v116 offset0:107 offset1:108
	s_waitcnt vmcnt(0) lgkmcnt(0)
	v_fmac_f64_e32 v[114:115], v[122:123], v[118:119]
	buffer_load_dword v119, off, s[0:3], 0 offset:420
	buffer_load_dword v118, off, s[0:3], 0 offset:416
	s_waitcnt vmcnt(0)
	v_fmac_f64_e32 v[114:115], v[118:119], v[120:121]
	buffer_load_dword v121, off, s[0:3], 0 offset:428
	buffer_load_dword v120, off, s[0:3], 0 offset:424
	ds_read2_b64 v[116:119], v116 offset0:109 offset1:110
	s_waitcnt vmcnt(0) lgkmcnt(0)
	v_fmac_f64_e32 v[114:115], v[120:121], v[116:117]
	buffer_load_dword v117, off, s[0:3], 0 offset:436
	buffer_load_dword v116, off, s[0:3], 0 offset:432
	s_waitcnt vmcnt(0)
	v_fmac_f64_e32 v[114:115], v[116:117], v[118:119]
	v_add_f64 v[112:113], v[112:113], -v[114:115]
	buffer_store_dword v113, off, s[0:3], 0 offset:84
	buffer_store_dword v112, off, s[0:3], 0 offset:80
	s_and_saveexec_b64 s[4:5], vcc
	s_cbranch_execz .LBB54_319
; %bb.318:
	buffer_load_dword v112, off, s[0:3], 0 offset:72
	buffer_load_dword v113, off, s[0:3], 0 offset:76
	v_mov_b32_e32 v114, 0
	buffer_store_dword v114, off, s[0:3], 0 offset:72
	buffer_store_dword v114, off, s[0:3], 0 offset:76
	s_waitcnt vmcnt(2)
	ds_write_b64 v1, v[112:113]
.LBB54_319:
	s_or_b64 exec, exec, s[4:5]
	s_waitcnt lgkmcnt(0)
	; wave barrier
	s_waitcnt lgkmcnt(0)
	buffer_load_dword v112, off, s[0:3], 0 offset:72
	buffer_load_dword v113, off, s[0:3], 0 offset:76
	;; [unrolled: 1-line block ×16, first 2 shown]
	v_mov_b32_e32 v116, 0
	ds_read_b128 v[118:121], v116 offset:528
	ds_read_b128 v[122:125], v116 offset:544
	;; [unrolled: 1-line block ×4, first 2 shown]
	v_cmp_lt_u32_e32 vcc, 8, v0
	s_waitcnt vmcnt(12) lgkmcnt(3)
	v_fma_f64 v[114:115], v[114:115], v[118:119], 0
	buffer_load_dword v119, off, s[0:3], 0 offset:140
	buffer_load_dword v118, off, s[0:3], 0 offset:136
	s_waitcnt vmcnt(12)
	v_fmac_f64_e32 v[114:115], v[134:135], v[120:121]
	s_waitcnt vmcnt(10) lgkmcnt(2)
	v_fmac_f64_e32 v[114:115], v[136:137], v[122:123]
	buffer_load_dword v123, off, s[0:3], 0 offset:148
	buffer_load_dword v122, off, s[0:3], 0 offset:144
	s_waitcnt vmcnt(10)
	v_fmac_f64_e32 v[114:115], v[138:139], v[124:125]
	s_waitcnt vmcnt(8) lgkmcnt(1)
	v_fmac_f64_e32 v[114:115], v[140:141], v[126:127]
	s_waitcnt vmcnt(6)
	v_fmac_f64_e32 v[114:115], v[142:143], v[128:129]
	s_waitcnt vmcnt(4) lgkmcnt(0)
	v_fmac_f64_e32 v[114:115], v[144:145], v[130:131]
	s_waitcnt vmcnt(2)
	v_fmac_f64_e32 v[114:115], v[118:119], v[132:133]
	ds_read_b128 v[118:121], v116 offset:592
	s_waitcnt vmcnt(0) lgkmcnt(0)
	v_fmac_f64_e32 v[114:115], v[122:123], v[118:119]
	buffer_load_dword v119, off, s[0:3], 0 offset:156
	buffer_load_dword v118, off, s[0:3], 0 offset:152
	buffer_load_dword v123, off, s[0:3], 0 offset:164
	buffer_load_dword v122, off, s[0:3], 0 offset:160
	s_waitcnt vmcnt(2)
	v_fmac_f64_e32 v[114:115], v[118:119], v[120:121]
	ds_read_b128 v[118:121], v116 offset:608
	s_waitcnt vmcnt(0) lgkmcnt(0)
	v_fmac_f64_e32 v[114:115], v[122:123], v[118:119]
	buffer_load_dword v119, off, s[0:3], 0 offset:172
	buffer_load_dword v118, off, s[0:3], 0 offset:168
	buffer_load_dword v123, off, s[0:3], 0 offset:180
	buffer_load_dword v122, off, s[0:3], 0 offset:176
	;; [unrolled: 9-line block ×17, first 2 shown]
	s_waitcnt vmcnt(2)
	v_fmac_f64_e32 v[114:115], v[118:119], v[120:121]
	ds_read_b128 v[118:121], v116 offset:864
	s_waitcnt vmcnt(0) lgkmcnt(0)
	v_fmac_f64_e32 v[114:115], v[122:123], v[118:119]
	buffer_load_dword v119, off, s[0:3], 0 offset:428
	buffer_load_dword v118, off, s[0:3], 0 offset:424
	s_waitcnt vmcnt(0)
	v_fmac_f64_e32 v[114:115], v[118:119], v[120:121]
	buffer_load_dword v119, off, s[0:3], 0 offset:436
	buffer_load_dword v118, off, s[0:3], 0 offset:432
	ds_read_b64 v[120:121], v116 offset:880
	s_waitcnt vmcnt(0) lgkmcnt(0)
	v_fmac_f64_e32 v[114:115], v[118:119], v[120:121]
	v_add_f64 v[112:113], v[112:113], -v[114:115]
	buffer_store_dword v113, off, s[0:3], 0 offset:76
	buffer_store_dword v112, off, s[0:3], 0 offset:72
	s_and_saveexec_b64 s[4:5], vcc
	s_cbranch_execz .LBB54_321
; %bb.320:
	buffer_load_dword v112, off, s[0:3], 0 offset:64
	buffer_load_dword v113, off, s[0:3], 0 offset:68
	s_waitcnt vmcnt(0)
	ds_write_b64 v1, v[112:113]
	buffer_store_dword v116, off, s[0:3], 0 offset:64
	buffer_store_dword v116, off, s[0:3], 0 offset:68
.LBB54_321:
	s_or_b64 exec, exec, s[4:5]
	s_waitcnt lgkmcnt(0)
	; wave barrier
	s_waitcnt lgkmcnt(0)
	buffer_load_dword v112, off, s[0:3], 0 offset:64
	buffer_load_dword v113, off, s[0:3], 0 offset:68
	;; [unrolled: 1-line block ×16, first 2 shown]
	ds_read2_b64 v[118:121], v116 offset0:65 offset1:66
	v_cmp_lt_u32_e32 vcc, 7, v0
	s_waitcnt vmcnt(12) lgkmcnt(0)
	v_fma_f64 v[114:115], v[114:115], v[118:119], 0
	s_waitcnt vmcnt(10)
	v_fmac_f64_e32 v[114:115], v[122:123], v[120:121]
	ds_read2_b64 v[118:121], v116 offset0:67 offset1:68
	s_waitcnt vmcnt(8) lgkmcnt(0)
	v_fmac_f64_e32 v[114:115], v[124:125], v[118:119]
	s_waitcnt vmcnt(6)
	v_fmac_f64_e32 v[114:115], v[126:127], v[120:121]
	ds_read2_b64 v[118:121], v116 offset0:69 offset1:70
	s_waitcnt vmcnt(4) lgkmcnt(0)
	v_fmac_f64_e32 v[114:115], v[128:129], v[118:119]
	;; [unrolled: 5-line block ×3, first 2 shown]
	buffer_load_dword v119, off, s[0:3], 0 offset:132
	buffer_load_dword v118, off, s[0:3], 0 offset:128
	buffer_load_dword v123, off, s[0:3], 0 offset:140
	buffer_load_dword v122, off, s[0:3], 0 offset:136
	s_waitcnt vmcnt(2)
	v_fmac_f64_e32 v[114:115], v[118:119], v[120:121]
	ds_read2_b64 v[118:121], v116 offset0:73 offset1:74
	s_waitcnt vmcnt(0) lgkmcnt(0)
	v_fmac_f64_e32 v[114:115], v[122:123], v[118:119]
	buffer_load_dword v119, off, s[0:3], 0 offset:148
	buffer_load_dword v118, off, s[0:3], 0 offset:144
	buffer_load_dword v123, off, s[0:3], 0 offset:156
	buffer_load_dword v122, off, s[0:3], 0 offset:152
	s_waitcnt vmcnt(2)
	v_fmac_f64_e32 v[114:115], v[118:119], v[120:121]
	ds_read2_b64 v[118:121], v116 offset0:75 offset1:76
	s_waitcnt vmcnt(0) lgkmcnt(0)
	v_fmac_f64_e32 v[114:115], v[122:123], v[118:119]
	;; [unrolled: 9-line block ×18, first 2 shown]
	buffer_load_dword v119, off, s[0:3], 0 offset:420
	buffer_load_dword v118, off, s[0:3], 0 offset:416
	s_waitcnt vmcnt(0)
	v_fmac_f64_e32 v[114:115], v[118:119], v[120:121]
	buffer_load_dword v121, off, s[0:3], 0 offset:428
	buffer_load_dword v120, off, s[0:3], 0 offset:424
	ds_read2_b64 v[116:119], v116 offset0:109 offset1:110
	s_waitcnt vmcnt(0) lgkmcnt(0)
	v_fmac_f64_e32 v[114:115], v[120:121], v[116:117]
	buffer_load_dword v117, off, s[0:3], 0 offset:436
	buffer_load_dword v116, off, s[0:3], 0 offset:432
	s_waitcnt vmcnt(0)
	v_fmac_f64_e32 v[114:115], v[116:117], v[118:119]
	v_add_f64 v[112:113], v[112:113], -v[114:115]
	buffer_store_dword v113, off, s[0:3], 0 offset:68
	buffer_store_dword v112, off, s[0:3], 0 offset:64
	s_and_saveexec_b64 s[4:5], vcc
	s_cbranch_execz .LBB54_323
; %bb.322:
	buffer_load_dword v112, off, s[0:3], 0 offset:56
	buffer_load_dword v113, off, s[0:3], 0 offset:60
	v_mov_b32_e32 v114, 0
	buffer_store_dword v114, off, s[0:3], 0 offset:56
	buffer_store_dword v114, off, s[0:3], 0 offset:60
	s_waitcnt vmcnt(2)
	ds_write_b64 v1, v[112:113]
.LBB54_323:
	s_or_b64 exec, exec, s[4:5]
	s_waitcnt lgkmcnt(0)
	; wave barrier
	s_waitcnt lgkmcnt(0)
	buffer_load_dword v112, off, s[0:3], 0 offset:56
	buffer_load_dword v113, off, s[0:3], 0 offset:60
	;; [unrolled: 1-line block ×16, first 2 shown]
	v_mov_b32_e32 v116, 0
	ds_read_b128 v[118:121], v116 offset:512
	ds_read_b128 v[122:125], v116 offset:528
	ds_read_b128 v[126:129], v116 offset:544
	ds_read_b128 v[130:133], v116 offset:560
	v_cmp_lt_u32_e32 vcc, 6, v0
	s_waitcnt vmcnt(12) lgkmcnt(3)
	v_fma_f64 v[114:115], v[114:115], v[118:119], 0
	buffer_load_dword v119, off, s[0:3], 0 offset:124
	buffer_load_dword v118, off, s[0:3], 0 offset:120
	s_waitcnt vmcnt(12)
	v_fmac_f64_e32 v[114:115], v[134:135], v[120:121]
	s_waitcnt vmcnt(10) lgkmcnt(2)
	v_fmac_f64_e32 v[114:115], v[136:137], v[122:123]
	buffer_load_dword v123, off, s[0:3], 0 offset:132
	buffer_load_dword v122, off, s[0:3], 0 offset:128
	s_waitcnt vmcnt(10)
	v_fmac_f64_e32 v[114:115], v[138:139], v[124:125]
	s_waitcnt vmcnt(8) lgkmcnt(1)
	v_fmac_f64_e32 v[114:115], v[140:141], v[126:127]
	s_waitcnt vmcnt(6)
	v_fmac_f64_e32 v[114:115], v[142:143], v[128:129]
	s_waitcnt vmcnt(4) lgkmcnt(0)
	v_fmac_f64_e32 v[114:115], v[144:145], v[130:131]
	s_waitcnt vmcnt(2)
	v_fmac_f64_e32 v[114:115], v[118:119], v[132:133]
	ds_read_b128 v[118:121], v116 offset:576
	s_waitcnt vmcnt(0) lgkmcnt(0)
	v_fmac_f64_e32 v[114:115], v[122:123], v[118:119]
	buffer_load_dword v119, off, s[0:3], 0 offset:140
	buffer_load_dword v118, off, s[0:3], 0 offset:136
	buffer_load_dword v123, off, s[0:3], 0 offset:148
	buffer_load_dword v122, off, s[0:3], 0 offset:144
	s_waitcnt vmcnt(2)
	v_fmac_f64_e32 v[114:115], v[118:119], v[120:121]
	ds_read_b128 v[118:121], v116 offset:592
	s_waitcnt vmcnt(0) lgkmcnt(0)
	v_fmac_f64_e32 v[114:115], v[122:123], v[118:119]
	buffer_load_dword v119, off, s[0:3], 0 offset:156
	buffer_load_dword v118, off, s[0:3], 0 offset:152
	buffer_load_dword v123, off, s[0:3], 0 offset:164
	buffer_load_dword v122, off, s[0:3], 0 offset:160
	;; [unrolled: 9-line block ×18, first 2 shown]
	s_waitcnt vmcnt(2)
	v_fmac_f64_e32 v[114:115], v[118:119], v[120:121]
	ds_read_b128 v[118:121], v116 offset:864
	s_waitcnt vmcnt(0) lgkmcnt(0)
	v_fmac_f64_e32 v[114:115], v[122:123], v[118:119]
	buffer_load_dword v119, off, s[0:3], 0 offset:428
	buffer_load_dword v118, off, s[0:3], 0 offset:424
	s_waitcnt vmcnt(0)
	v_fmac_f64_e32 v[114:115], v[118:119], v[120:121]
	buffer_load_dword v119, off, s[0:3], 0 offset:436
	buffer_load_dword v118, off, s[0:3], 0 offset:432
	ds_read_b64 v[120:121], v116 offset:880
	s_waitcnt vmcnt(0) lgkmcnt(0)
	v_fmac_f64_e32 v[114:115], v[118:119], v[120:121]
	v_add_f64 v[112:113], v[112:113], -v[114:115]
	buffer_store_dword v113, off, s[0:3], 0 offset:60
	buffer_store_dword v112, off, s[0:3], 0 offset:56
	s_and_saveexec_b64 s[4:5], vcc
	s_cbranch_execz .LBB54_325
; %bb.324:
	buffer_load_dword v112, off, s[0:3], 0 offset:48
	buffer_load_dword v113, off, s[0:3], 0 offset:52
	s_waitcnt vmcnt(0)
	ds_write_b64 v1, v[112:113]
	buffer_store_dword v116, off, s[0:3], 0 offset:48
	buffer_store_dword v116, off, s[0:3], 0 offset:52
.LBB54_325:
	s_or_b64 exec, exec, s[4:5]
	s_waitcnt lgkmcnt(0)
	; wave barrier
	s_waitcnt lgkmcnt(0)
	buffer_load_dword v112, off, s[0:3], 0 offset:48
	buffer_load_dword v113, off, s[0:3], 0 offset:52
	;; [unrolled: 1-line block ×16, first 2 shown]
	ds_read2_b64 v[118:121], v116 offset0:63 offset1:64
	v_cmp_lt_u32_e32 vcc, 5, v0
	s_waitcnt vmcnt(12) lgkmcnt(0)
	v_fma_f64 v[114:115], v[114:115], v[118:119], 0
	s_waitcnt vmcnt(10)
	v_fmac_f64_e32 v[114:115], v[122:123], v[120:121]
	ds_read2_b64 v[118:121], v116 offset0:65 offset1:66
	s_waitcnt vmcnt(8) lgkmcnt(0)
	v_fmac_f64_e32 v[114:115], v[124:125], v[118:119]
	s_waitcnt vmcnt(6)
	v_fmac_f64_e32 v[114:115], v[126:127], v[120:121]
	ds_read2_b64 v[118:121], v116 offset0:67 offset1:68
	s_waitcnt vmcnt(4) lgkmcnt(0)
	v_fmac_f64_e32 v[114:115], v[128:129], v[118:119]
	;; [unrolled: 5-line block ×3, first 2 shown]
	buffer_load_dword v119, off, s[0:3], 0 offset:116
	buffer_load_dword v118, off, s[0:3], 0 offset:112
	buffer_load_dword v123, off, s[0:3], 0 offset:124
	buffer_load_dword v122, off, s[0:3], 0 offset:120
	s_waitcnt vmcnt(2)
	v_fmac_f64_e32 v[114:115], v[118:119], v[120:121]
	ds_read2_b64 v[118:121], v116 offset0:71 offset1:72
	s_waitcnt vmcnt(0) lgkmcnt(0)
	v_fmac_f64_e32 v[114:115], v[122:123], v[118:119]
	buffer_load_dword v119, off, s[0:3], 0 offset:132
	buffer_load_dword v118, off, s[0:3], 0 offset:128
	buffer_load_dword v123, off, s[0:3], 0 offset:140
	buffer_load_dword v122, off, s[0:3], 0 offset:136
	s_waitcnt vmcnt(2)
	v_fmac_f64_e32 v[114:115], v[118:119], v[120:121]
	ds_read2_b64 v[118:121], v116 offset0:73 offset1:74
	s_waitcnt vmcnt(0) lgkmcnt(0)
	v_fmac_f64_e32 v[114:115], v[122:123], v[118:119]
	;; [unrolled: 9-line block ×19, first 2 shown]
	buffer_load_dword v119, off, s[0:3], 0 offset:420
	buffer_load_dword v118, off, s[0:3], 0 offset:416
	s_waitcnt vmcnt(0)
	v_fmac_f64_e32 v[114:115], v[118:119], v[120:121]
	buffer_load_dword v121, off, s[0:3], 0 offset:428
	buffer_load_dword v120, off, s[0:3], 0 offset:424
	ds_read2_b64 v[116:119], v116 offset0:109 offset1:110
	s_waitcnt vmcnt(0) lgkmcnt(0)
	v_fmac_f64_e32 v[114:115], v[120:121], v[116:117]
	buffer_load_dword v117, off, s[0:3], 0 offset:436
	buffer_load_dword v116, off, s[0:3], 0 offset:432
	s_waitcnt vmcnt(0)
	v_fmac_f64_e32 v[114:115], v[116:117], v[118:119]
	v_add_f64 v[112:113], v[112:113], -v[114:115]
	buffer_store_dword v113, off, s[0:3], 0 offset:52
	buffer_store_dword v112, off, s[0:3], 0 offset:48
	s_and_saveexec_b64 s[4:5], vcc
	s_cbranch_execz .LBB54_327
; %bb.326:
	buffer_load_dword v112, off, s[0:3], 0 offset:40
	buffer_load_dword v113, off, s[0:3], 0 offset:44
	v_mov_b32_e32 v114, 0
	buffer_store_dword v114, off, s[0:3], 0 offset:40
	buffer_store_dword v114, off, s[0:3], 0 offset:44
	s_waitcnt vmcnt(2)
	ds_write_b64 v1, v[112:113]
.LBB54_327:
	s_or_b64 exec, exec, s[4:5]
	s_waitcnt lgkmcnt(0)
	; wave barrier
	s_waitcnt lgkmcnt(0)
	buffer_load_dword v112, off, s[0:3], 0 offset:40
	buffer_load_dword v113, off, s[0:3], 0 offset:44
	;; [unrolled: 1-line block ×16, first 2 shown]
	v_mov_b32_e32 v116, 0
	ds_read_b128 v[118:121], v116 offset:496
	v_cmp_lt_u32_e32 vcc, 4, v0
	s_waitcnt vmcnt(12) lgkmcnt(0)
	v_fma_f64 v[114:115], v[114:115], v[118:119], 0
	s_waitcnt vmcnt(10)
	v_fmac_f64_e32 v[114:115], v[122:123], v[120:121]
	ds_read_b128 v[118:121], v116 offset:512
	s_waitcnt vmcnt(8) lgkmcnt(0)
	v_fmac_f64_e32 v[114:115], v[124:125], v[118:119]
	s_waitcnt vmcnt(6)
	v_fmac_f64_e32 v[114:115], v[126:127], v[120:121]
	ds_read_b128 v[118:121], v116 offset:528
	s_waitcnt vmcnt(4) lgkmcnt(0)
	v_fmac_f64_e32 v[114:115], v[128:129], v[118:119]
	s_waitcnt vmcnt(2)
	v_fmac_f64_e32 v[114:115], v[130:131], v[120:121]
	ds_read_b128 v[118:121], v116 offset:544
	s_waitcnt vmcnt(0) lgkmcnt(0)
	v_fmac_f64_e32 v[114:115], v[132:133], v[118:119]
	buffer_load_dword v119, off, s[0:3], 0 offset:108
	buffer_load_dword v118, off, s[0:3], 0 offset:104
	buffer_load_dword v123, off, s[0:3], 0 offset:116
	buffer_load_dword v122, off, s[0:3], 0 offset:112
	s_waitcnt vmcnt(2)
	v_fmac_f64_e32 v[114:115], v[118:119], v[120:121]
	ds_read_b128 v[118:121], v116 offset:560
	s_waitcnt vmcnt(0) lgkmcnt(0)
	v_fmac_f64_e32 v[114:115], v[122:123], v[118:119]
	buffer_load_dword v119, off, s[0:3], 0 offset:124
	buffer_load_dword v118, off, s[0:3], 0 offset:120
	buffer_load_dword v123, off, s[0:3], 0 offset:132
	buffer_load_dword v122, off, s[0:3], 0 offset:128
	s_waitcnt vmcnt(2)
	v_fmac_f64_e32 v[114:115], v[118:119], v[120:121]
	ds_read_b128 v[118:121], v116 offset:576
	s_waitcnt vmcnt(0) lgkmcnt(0)
	v_fmac_f64_e32 v[114:115], v[122:123], v[118:119]
	;; [unrolled: 9-line block ×20, first 2 shown]
	buffer_load_dword v119, off, s[0:3], 0 offset:428
	buffer_load_dword v118, off, s[0:3], 0 offset:424
	s_waitcnt vmcnt(0)
	v_fmac_f64_e32 v[114:115], v[118:119], v[120:121]
	buffer_load_dword v119, off, s[0:3], 0 offset:436
	buffer_load_dword v118, off, s[0:3], 0 offset:432
	ds_read_b64 v[120:121], v116 offset:880
	s_waitcnt vmcnt(0) lgkmcnt(0)
	v_fmac_f64_e32 v[114:115], v[118:119], v[120:121]
	v_add_f64 v[112:113], v[112:113], -v[114:115]
	buffer_store_dword v113, off, s[0:3], 0 offset:44
	buffer_store_dword v112, off, s[0:3], 0 offset:40
	s_and_saveexec_b64 s[4:5], vcc
	s_cbranch_execz .LBB54_329
; %bb.328:
	buffer_load_dword v112, off, s[0:3], 0 offset:32
	buffer_load_dword v113, off, s[0:3], 0 offset:36
	s_waitcnt vmcnt(0)
	ds_write_b64 v1, v[112:113]
	buffer_store_dword v116, off, s[0:3], 0 offset:32
	buffer_store_dword v116, off, s[0:3], 0 offset:36
.LBB54_329:
	s_or_b64 exec, exec, s[4:5]
	s_waitcnt lgkmcnt(0)
	; wave barrier
	s_waitcnt lgkmcnt(0)
	buffer_load_dword v112, off, s[0:3], 0 offset:32
	buffer_load_dword v113, off, s[0:3], 0 offset:36
	;; [unrolled: 1-line block ×16, first 2 shown]
	ds_read2_b64 v[118:121], v116 offset0:61 offset1:62
	v_cmp_lt_u32_e32 vcc, 3, v0
	s_waitcnt vmcnt(12) lgkmcnt(0)
	v_fma_f64 v[114:115], v[114:115], v[118:119], 0
	s_waitcnt vmcnt(10)
	v_fmac_f64_e32 v[114:115], v[122:123], v[120:121]
	ds_read2_b64 v[118:121], v116 offset0:63 offset1:64
	s_waitcnt vmcnt(8) lgkmcnt(0)
	v_fmac_f64_e32 v[114:115], v[124:125], v[118:119]
	s_waitcnt vmcnt(6)
	v_fmac_f64_e32 v[114:115], v[126:127], v[120:121]
	ds_read2_b64 v[118:121], v116 offset0:65 offset1:66
	s_waitcnt vmcnt(4) lgkmcnt(0)
	v_fmac_f64_e32 v[114:115], v[128:129], v[118:119]
	;; [unrolled: 5-line block ×3, first 2 shown]
	buffer_load_dword v119, off, s[0:3], 0 offset:100
	buffer_load_dword v118, off, s[0:3], 0 offset:96
	buffer_load_dword v123, off, s[0:3], 0 offset:108
	buffer_load_dword v122, off, s[0:3], 0 offset:104
	s_waitcnt vmcnt(2)
	v_fmac_f64_e32 v[114:115], v[118:119], v[120:121]
	ds_read2_b64 v[118:121], v116 offset0:69 offset1:70
	s_waitcnt vmcnt(0) lgkmcnt(0)
	v_fmac_f64_e32 v[114:115], v[122:123], v[118:119]
	buffer_load_dword v119, off, s[0:3], 0 offset:116
	buffer_load_dword v118, off, s[0:3], 0 offset:112
	buffer_load_dword v123, off, s[0:3], 0 offset:124
	buffer_load_dword v122, off, s[0:3], 0 offset:120
	s_waitcnt vmcnt(2)
	v_fmac_f64_e32 v[114:115], v[118:119], v[120:121]
	ds_read2_b64 v[118:121], v116 offset0:71 offset1:72
	s_waitcnt vmcnt(0) lgkmcnt(0)
	v_fmac_f64_e32 v[114:115], v[122:123], v[118:119]
	;; [unrolled: 9-line block ×20, first 2 shown]
	buffer_load_dword v119, off, s[0:3], 0 offset:420
	buffer_load_dword v118, off, s[0:3], 0 offset:416
	s_waitcnt vmcnt(0)
	v_fmac_f64_e32 v[114:115], v[118:119], v[120:121]
	buffer_load_dword v121, off, s[0:3], 0 offset:428
	buffer_load_dword v120, off, s[0:3], 0 offset:424
	ds_read2_b64 v[116:119], v116 offset0:109 offset1:110
	s_waitcnt vmcnt(0) lgkmcnt(0)
	v_fmac_f64_e32 v[114:115], v[120:121], v[116:117]
	buffer_load_dword v117, off, s[0:3], 0 offset:436
	buffer_load_dword v116, off, s[0:3], 0 offset:432
	s_waitcnt vmcnt(0)
	v_fmac_f64_e32 v[114:115], v[116:117], v[118:119]
	v_add_f64 v[112:113], v[112:113], -v[114:115]
	buffer_store_dword v113, off, s[0:3], 0 offset:36
	buffer_store_dword v112, off, s[0:3], 0 offset:32
	s_and_saveexec_b64 s[4:5], vcc
	s_cbranch_execz .LBB54_331
; %bb.330:
	buffer_load_dword v112, off, s[0:3], 0 offset:24
	buffer_load_dword v113, off, s[0:3], 0 offset:28
	v_mov_b32_e32 v114, 0
	buffer_store_dword v114, off, s[0:3], 0 offset:24
	buffer_store_dword v114, off, s[0:3], 0 offset:28
	s_waitcnt vmcnt(2)
	ds_write_b64 v1, v[112:113]
.LBB54_331:
	s_or_b64 exec, exec, s[4:5]
	s_waitcnt lgkmcnt(0)
	; wave barrier
	s_waitcnt lgkmcnt(0)
	buffer_load_dword v112, off, s[0:3], 0 offset:24
	buffer_load_dword v113, off, s[0:3], 0 offset:28
	;; [unrolled: 1-line block ×16, first 2 shown]
	v_mov_b32_e32 v116, 0
	ds_read_b128 v[118:121], v116 offset:480
	v_cmp_lt_u32_e32 vcc, 2, v0
	s_waitcnt vmcnt(12) lgkmcnt(0)
	v_fma_f64 v[114:115], v[114:115], v[118:119], 0
	s_waitcnt vmcnt(10)
	v_fmac_f64_e32 v[114:115], v[122:123], v[120:121]
	ds_read_b128 v[118:121], v116 offset:496
	s_waitcnt vmcnt(8) lgkmcnt(0)
	v_fmac_f64_e32 v[114:115], v[124:125], v[118:119]
	s_waitcnt vmcnt(6)
	v_fmac_f64_e32 v[114:115], v[126:127], v[120:121]
	ds_read_b128 v[118:121], v116 offset:512
	s_waitcnt vmcnt(4) lgkmcnt(0)
	v_fmac_f64_e32 v[114:115], v[128:129], v[118:119]
	;; [unrolled: 5-line block ×3, first 2 shown]
	buffer_load_dword v119, off, s[0:3], 0 offset:92
	buffer_load_dword v118, off, s[0:3], 0 offset:88
	buffer_load_dword v123, off, s[0:3], 0 offset:100
	buffer_load_dword v122, off, s[0:3], 0 offset:96
	s_waitcnt vmcnt(2)
	v_fmac_f64_e32 v[114:115], v[118:119], v[120:121]
	ds_read_b128 v[118:121], v116 offset:544
	s_waitcnt vmcnt(0) lgkmcnt(0)
	v_fmac_f64_e32 v[114:115], v[122:123], v[118:119]
	buffer_load_dword v119, off, s[0:3], 0 offset:108
	buffer_load_dword v118, off, s[0:3], 0 offset:104
	buffer_load_dword v123, off, s[0:3], 0 offset:116
	buffer_load_dword v122, off, s[0:3], 0 offset:112
	s_waitcnt vmcnt(2)
	v_fmac_f64_e32 v[114:115], v[118:119], v[120:121]
	ds_read_b128 v[118:121], v116 offset:560
	s_waitcnt vmcnt(0) lgkmcnt(0)
	v_fmac_f64_e32 v[114:115], v[122:123], v[118:119]
	;; [unrolled: 9-line block ×21, first 2 shown]
	buffer_load_dword v119, off, s[0:3], 0 offset:428
	buffer_load_dword v118, off, s[0:3], 0 offset:424
	s_waitcnt vmcnt(0)
	v_fmac_f64_e32 v[114:115], v[118:119], v[120:121]
	buffer_load_dword v119, off, s[0:3], 0 offset:436
	buffer_load_dword v118, off, s[0:3], 0 offset:432
	ds_read_b64 v[120:121], v116 offset:880
	s_waitcnt vmcnt(0) lgkmcnt(0)
	v_fmac_f64_e32 v[114:115], v[118:119], v[120:121]
	v_add_f64 v[112:113], v[112:113], -v[114:115]
	buffer_store_dword v113, off, s[0:3], 0 offset:28
	buffer_store_dword v112, off, s[0:3], 0 offset:24
	s_and_saveexec_b64 s[4:5], vcc
	s_cbranch_execz .LBB54_333
; %bb.332:
	buffer_load_dword v112, off, s[0:3], 0 offset:16
	buffer_load_dword v113, off, s[0:3], 0 offset:20
	s_waitcnt vmcnt(0)
	ds_write_b64 v1, v[112:113]
	buffer_store_dword v116, off, s[0:3], 0 offset:16
	buffer_store_dword v116, off, s[0:3], 0 offset:20
.LBB54_333:
	s_or_b64 exec, exec, s[4:5]
	s_waitcnt lgkmcnt(0)
	; wave barrier
	s_waitcnt lgkmcnt(0)
	buffer_load_dword v112, off, s[0:3], 0 offset:16
	buffer_load_dword v113, off, s[0:3], 0 offset:20
	;; [unrolled: 1-line block ×16, first 2 shown]
	ds_read2_b64 v[118:121], v116 offset0:59 offset1:60
	v_cmp_lt_u32_e32 vcc, 1, v0
	s_waitcnt vmcnt(12) lgkmcnt(0)
	v_fma_f64 v[114:115], v[114:115], v[118:119], 0
	s_waitcnt vmcnt(10)
	v_fmac_f64_e32 v[114:115], v[122:123], v[120:121]
	ds_read2_b64 v[118:121], v116 offset0:61 offset1:62
	s_waitcnt vmcnt(8) lgkmcnt(0)
	v_fmac_f64_e32 v[114:115], v[124:125], v[118:119]
	s_waitcnt vmcnt(6)
	v_fmac_f64_e32 v[114:115], v[126:127], v[120:121]
	ds_read2_b64 v[118:121], v116 offset0:63 offset1:64
	s_waitcnt vmcnt(4) lgkmcnt(0)
	v_fmac_f64_e32 v[114:115], v[128:129], v[118:119]
	s_waitcnt vmcnt(2)
	v_fmac_f64_e32 v[114:115], v[130:131], v[120:121]
	ds_read2_b64 v[118:121], v116 offset0:65 offset1:66
	s_waitcnt vmcnt(0) lgkmcnt(0)
	v_fmac_f64_e32 v[114:115], v[132:133], v[118:119]
	buffer_load_dword v119, off, s[0:3], 0 offset:84
	buffer_load_dword v118, off, s[0:3], 0 offset:80
	buffer_load_dword v123, off, s[0:3], 0 offset:92
	buffer_load_dword v122, off, s[0:3], 0 offset:88
	s_waitcnt vmcnt(2)
	v_fmac_f64_e32 v[114:115], v[118:119], v[120:121]
	ds_read2_b64 v[118:121], v116 offset0:67 offset1:68
	s_waitcnt vmcnt(0) lgkmcnt(0)
	v_fmac_f64_e32 v[114:115], v[122:123], v[118:119]
	buffer_load_dword v119, off, s[0:3], 0 offset:100
	buffer_load_dword v118, off, s[0:3], 0 offset:96
	buffer_load_dword v123, off, s[0:3], 0 offset:108
	buffer_load_dword v122, off, s[0:3], 0 offset:104
	s_waitcnt vmcnt(2)
	v_fmac_f64_e32 v[114:115], v[118:119], v[120:121]
	ds_read2_b64 v[118:121], v116 offset0:69 offset1:70
	s_waitcnt vmcnt(0) lgkmcnt(0)
	v_fmac_f64_e32 v[114:115], v[122:123], v[118:119]
	;; [unrolled: 9-line block ×21, first 2 shown]
	buffer_load_dword v119, off, s[0:3], 0 offset:420
	buffer_load_dword v118, off, s[0:3], 0 offset:416
	s_waitcnt vmcnt(0)
	v_fmac_f64_e32 v[114:115], v[118:119], v[120:121]
	buffer_load_dword v121, off, s[0:3], 0 offset:428
	buffer_load_dword v120, off, s[0:3], 0 offset:424
	ds_read2_b64 v[116:119], v116 offset0:109 offset1:110
	s_waitcnt vmcnt(0) lgkmcnt(0)
	v_fmac_f64_e32 v[114:115], v[120:121], v[116:117]
	buffer_load_dword v117, off, s[0:3], 0 offset:436
	buffer_load_dword v116, off, s[0:3], 0 offset:432
	s_waitcnt vmcnt(0)
	v_fmac_f64_e32 v[114:115], v[116:117], v[118:119]
	v_add_f64 v[112:113], v[112:113], -v[114:115]
	buffer_store_dword v113, off, s[0:3], 0 offset:20
	buffer_store_dword v112, off, s[0:3], 0 offset:16
	s_and_saveexec_b64 s[4:5], vcc
	s_cbranch_execz .LBB54_335
; %bb.334:
	buffer_load_dword v112, off, s[0:3], 0 offset:8
	buffer_load_dword v113, off, s[0:3], 0 offset:12
	v_mov_b32_e32 v114, 0
	buffer_store_dword v114, off, s[0:3], 0 offset:8
	buffer_store_dword v114, off, s[0:3], 0 offset:12
	s_waitcnt vmcnt(2)
	ds_write_b64 v1, v[112:113]
.LBB54_335:
	s_or_b64 exec, exec, s[4:5]
	s_waitcnt lgkmcnt(0)
	; wave barrier
	s_waitcnt lgkmcnt(0)
	buffer_load_dword v112, off, s[0:3], 0 offset:8
	buffer_load_dword v113, off, s[0:3], 0 offset:12
	;; [unrolled: 1-line block ×16, first 2 shown]
	v_mov_b32_e32 v116, 0
	ds_read_b128 v[118:121], v116 offset:464
	v_cmp_ne_u32_e32 vcc, 0, v0
	s_waitcnt vmcnt(12) lgkmcnt(0)
	v_fma_f64 v[114:115], v[114:115], v[118:119], 0
	s_waitcnt vmcnt(10)
	v_fmac_f64_e32 v[114:115], v[122:123], v[120:121]
	ds_read_b128 v[118:121], v116 offset:480
	s_waitcnt vmcnt(8) lgkmcnt(0)
	v_fmac_f64_e32 v[114:115], v[124:125], v[118:119]
	s_waitcnt vmcnt(6)
	v_fmac_f64_e32 v[114:115], v[126:127], v[120:121]
	ds_read_b128 v[118:121], v116 offset:496
	s_waitcnt vmcnt(4) lgkmcnt(0)
	v_fmac_f64_e32 v[114:115], v[128:129], v[118:119]
	;; [unrolled: 5-line block ×3, first 2 shown]
	buffer_load_dword v119, off, s[0:3], 0 offset:76
	buffer_load_dword v118, off, s[0:3], 0 offset:72
	buffer_load_dword v123, off, s[0:3], 0 offset:84
	buffer_load_dword v122, off, s[0:3], 0 offset:80
	s_waitcnt vmcnt(2)
	v_fmac_f64_e32 v[114:115], v[118:119], v[120:121]
	ds_read_b128 v[118:121], v116 offset:528
	s_waitcnt vmcnt(0) lgkmcnt(0)
	v_fmac_f64_e32 v[114:115], v[122:123], v[118:119]
	buffer_load_dword v119, off, s[0:3], 0 offset:92
	buffer_load_dword v118, off, s[0:3], 0 offset:88
	buffer_load_dword v123, off, s[0:3], 0 offset:100
	buffer_load_dword v122, off, s[0:3], 0 offset:96
	s_waitcnt vmcnt(2)
	v_fmac_f64_e32 v[114:115], v[118:119], v[120:121]
	ds_read_b128 v[118:121], v116 offset:544
	s_waitcnt vmcnt(0) lgkmcnt(0)
	v_fmac_f64_e32 v[114:115], v[122:123], v[118:119]
	;; [unrolled: 9-line block ×22, first 2 shown]
	buffer_load_dword v119, off, s[0:3], 0 offset:428
	buffer_load_dword v118, off, s[0:3], 0 offset:424
	s_waitcnt vmcnt(0)
	v_fmac_f64_e32 v[114:115], v[118:119], v[120:121]
	buffer_load_dword v119, off, s[0:3], 0 offset:436
	buffer_load_dword v118, off, s[0:3], 0 offset:432
	ds_read_b64 v[120:121], v116 offset:880
	s_waitcnt vmcnt(0) lgkmcnt(0)
	v_fmac_f64_e32 v[114:115], v[118:119], v[120:121]
	v_add_f64 v[112:113], v[112:113], -v[114:115]
	buffer_store_dword v113, off, s[0:3], 0 offset:12
	buffer_store_dword v112, off, s[0:3], 0 offset:8
	s_and_saveexec_b64 s[4:5], vcc
	s_cbranch_execz .LBB54_337
; %bb.336:
	buffer_load_dword v112, off, s[0:3], 0
	buffer_load_dword v113, off, s[0:3], 0 offset:4
	s_waitcnt vmcnt(0)
	ds_write_b64 v1, v[112:113]
	buffer_store_dword v116, off, s[0:3], 0
	buffer_store_dword v116, off, s[0:3], 0 offset:4
.LBB54_337:
	s_or_b64 exec, exec, s[4:5]
	s_waitcnt lgkmcnt(0)
	; wave barrier
	s_waitcnt lgkmcnt(0)
	buffer_load_dword v0, off, s[0:3], 0
	buffer_load_dword v1, off, s[0:3], 0 offset:4
	buffer_load_dword v118, off, s[0:3], 0 offset:8
	;; [unrolled: 1-line block ×15, first 2 shown]
	ds_read2_b64 v[112:115], v116 offset0:57 offset1:58
	s_and_b64 vcc, exec, s[20:21]
	s_waitcnt vmcnt(12) lgkmcnt(0)
	v_fma_f64 v[112:113], v[118:119], v[112:113], 0
	s_waitcnt vmcnt(10)
	v_fmac_f64_e32 v[112:113], v[120:121], v[114:115]
	ds_read2_b64 v[118:121], v116 offset0:59 offset1:60
	s_waitcnt vmcnt(8) lgkmcnt(0)
	v_fmac_f64_e32 v[112:113], v[122:123], v[118:119]
	s_waitcnt vmcnt(6)
	v_fmac_f64_e32 v[112:113], v[124:125], v[120:121]
	ds_read2_b64 v[118:121], v116 offset0:61 offset1:62
	s_waitcnt vmcnt(4) lgkmcnt(0)
	v_fmac_f64_e32 v[112:113], v[126:127], v[118:119]
	s_waitcnt vmcnt(2)
	v_fmac_f64_e32 v[112:113], v[128:129], v[120:121]
	ds_read2_b64 v[118:121], v116 offset0:63 offset1:64
	buffer_load_dword v115, off, s[0:3], 0 offset:68
	buffer_load_dword v114, off, s[0:3], 0 offset:64
	s_waitcnt vmcnt(2) lgkmcnt(0)
	v_fmac_f64_e32 v[112:113], v[130:131], v[118:119]
	s_waitcnt vmcnt(0)
	v_fmac_f64_e32 v[112:113], v[114:115], v[120:121]
	buffer_load_dword v115, off, s[0:3], 0 offset:76
	buffer_load_dword v114, off, s[0:3], 0 offset:72
	ds_read2_b64 v[118:121], v116 offset0:65 offset1:66
	s_waitcnt vmcnt(0) lgkmcnt(0)
	v_fmac_f64_e32 v[112:113], v[114:115], v[118:119]
	buffer_load_dword v115, off, s[0:3], 0 offset:84
	buffer_load_dword v114, off, s[0:3], 0 offset:80
	s_waitcnt vmcnt(0)
	v_fmac_f64_e32 v[112:113], v[114:115], v[120:121]
	buffer_load_dword v115, off, s[0:3], 0 offset:92
	buffer_load_dword v114, off, s[0:3], 0 offset:88
	ds_read2_b64 v[118:121], v116 offset0:67 offset1:68
	s_waitcnt vmcnt(0) lgkmcnt(0)
	v_fmac_f64_e32 v[112:113], v[114:115], v[118:119]
	buffer_load_dword v115, off, s[0:3], 0 offset:100
	buffer_load_dword v114, off, s[0:3], 0 offset:96
	;; [unrolled: 9-line block ×23, first 2 shown]
	s_waitcnt vmcnt(0)
	v_fmac_f64_e32 v[112:113], v[116:117], v[118:119]
	v_add_f64 v[0:1], v[0:1], -v[112:113]
	buffer_store_dword v1, off, s[0:3], 0 offset:4
	buffer_store_dword v0, off, s[0:3], 0
	s_cbranch_vccz .LBB54_447
; %bb.338:
	v_pk_mov_b32 v[0:1], s[10:11], s[10:11] op_sel:[0,1]
	flat_load_dword v0, v[0:1] offset:212
	s_waitcnt vmcnt(0) lgkmcnt(0)
	v_add_u32_e32 v0, -1, v0
	v_cmp_ne_u32_e32 vcc, 53, v0
	s_and_saveexec_b64 s[4:5], vcc
	s_cbranch_execz .LBB54_340
; %bb.339:
	v_mov_b32_e32 v1, 0
	v_lshl_add_u32 v0, v0, 3, v1
	buffer_load_dword v1, v0, s[0:3], 0 offen
	buffer_load_dword v112, v0, s[0:3], 0 offen offset:4
	s_waitcnt vmcnt(1)
	buffer_store_dword v1, off, s[0:3], 0 offset:424
	s_waitcnt vmcnt(1)
	buffer_store_dword v112, off, s[0:3], 0 offset:428
	buffer_store_dword v114, v0, s[0:3], 0 offen
	buffer_store_dword v115, v0, s[0:3], 0 offen offset:4
.LBB54_340:
	s_or_b64 exec, exec, s[4:5]
	v_pk_mov_b32 v[0:1], s[10:11], s[10:11] op_sel:[0,1]
	flat_load_dword v0, v[0:1] offset:208
	s_waitcnt vmcnt(0) lgkmcnt(0)
	v_add_u32_e32 v0, -1, v0
	v_cmp_ne_u32_e32 vcc, 52, v0
	s_and_saveexec_b64 s[4:5], vcc
	s_cbranch_execz .LBB54_342
; %bb.341:
	v_mov_b32_e32 v1, 0
	v_lshl_add_u32 v0, v0, 3, v1
	buffer_load_dword v1, v0, s[0:3], 0 offen
	buffer_load_dword v112, v0, s[0:3], 0 offen offset:4
	buffer_load_dword v113, off, s[0:3], 0 offset:420
	buffer_load_dword v114, off, s[0:3], 0 offset:416
	s_waitcnt vmcnt(3)
	buffer_store_dword v1, off, s[0:3], 0 offset:416
	s_waitcnt vmcnt(3)
	buffer_store_dword v112, off, s[0:3], 0 offset:420
	s_waitcnt vmcnt(3)
	buffer_store_dword v113, v0, s[0:3], 0 offen offset:4
	s_waitcnt vmcnt(3)
	buffer_store_dword v114, v0, s[0:3], 0 offen
.LBB54_342:
	s_or_b64 exec, exec, s[4:5]
	v_pk_mov_b32 v[0:1], s[10:11], s[10:11] op_sel:[0,1]
	flat_load_dword v0, v[0:1] offset:204
	s_waitcnt vmcnt(0) lgkmcnt(0)
	v_add_u32_e32 v0, -1, v0
	v_cmp_ne_u32_e32 vcc, 51, v0
	s_and_saveexec_b64 s[4:5], vcc
	s_cbranch_execz .LBB54_344
; %bb.343:
	v_mov_b32_e32 v1, 0
	v_lshl_add_u32 v0, v0, 3, v1
	buffer_load_dword v1, v0, s[0:3], 0 offen
	buffer_load_dword v112, v0, s[0:3], 0 offen offset:4
	buffer_load_dword v113, off, s[0:3], 0 offset:408
	buffer_load_dword v114, off, s[0:3], 0 offset:412
	s_waitcnt vmcnt(3)
	buffer_store_dword v1, off, s[0:3], 0 offset:408
	s_waitcnt vmcnt(3)
	buffer_store_dword v112, off, s[0:3], 0 offset:412
	s_waitcnt vmcnt(3)
	buffer_store_dword v113, v0, s[0:3], 0 offen
	s_waitcnt vmcnt(3)
	buffer_store_dword v114, v0, s[0:3], 0 offen offset:4
.LBB54_344:
	s_or_b64 exec, exec, s[4:5]
	v_pk_mov_b32 v[0:1], s[10:11], s[10:11] op_sel:[0,1]
	flat_load_dword v0, v[0:1] offset:200
	s_waitcnt vmcnt(0) lgkmcnt(0)
	v_add_u32_e32 v0, -1, v0
	v_cmp_ne_u32_e32 vcc, 50, v0
	s_and_saveexec_b64 s[4:5], vcc
	s_cbranch_execz .LBB54_346
; %bb.345:
	v_mov_b32_e32 v1, 0
	v_lshl_add_u32 v0, v0, 3, v1
	buffer_load_dword v1, v0, s[0:3], 0 offen
	buffer_load_dword v112, v0, s[0:3], 0 offen offset:4
	buffer_load_dword v113, off, s[0:3], 0 offset:404
	buffer_load_dword v114, off, s[0:3], 0 offset:400
	s_waitcnt vmcnt(3)
	buffer_store_dword v1, off, s[0:3], 0 offset:400
	s_waitcnt vmcnt(3)
	buffer_store_dword v112, off, s[0:3], 0 offset:404
	s_waitcnt vmcnt(3)
	buffer_store_dword v113, v0, s[0:3], 0 offen offset:4
	s_waitcnt vmcnt(3)
	buffer_store_dword v114, v0, s[0:3], 0 offen
.LBB54_346:
	s_or_b64 exec, exec, s[4:5]
	v_pk_mov_b32 v[0:1], s[10:11], s[10:11] op_sel:[0,1]
	flat_load_dword v0, v[0:1] offset:196
	s_waitcnt vmcnt(0) lgkmcnt(0)
	v_add_u32_e32 v0, -1, v0
	v_cmp_ne_u32_e32 vcc, 49, v0
	s_and_saveexec_b64 s[4:5], vcc
	s_cbranch_execz .LBB54_348
; %bb.347:
	v_mov_b32_e32 v1, 0
	v_lshl_add_u32 v0, v0, 3, v1
	buffer_load_dword v1, v0, s[0:3], 0 offen
	buffer_load_dword v112, v0, s[0:3], 0 offen offset:4
	buffer_load_dword v113, off, s[0:3], 0 offset:392
	buffer_load_dword v114, off, s[0:3], 0 offset:396
	s_waitcnt vmcnt(3)
	buffer_store_dword v1, off, s[0:3], 0 offset:392
	s_waitcnt vmcnt(3)
	buffer_store_dword v112, off, s[0:3], 0 offset:396
	s_waitcnt vmcnt(3)
	buffer_store_dword v113, v0, s[0:3], 0 offen
	s_waitcnt vmcnt(3)
	buffer_store_dword v114, v0, s[0:3], 0 offen offset:4
.LBB54_348:
	;; [unrolled: 48-line block ×26, first 2 shown]
	s_or_b64 exec, exec, s[4:5]
	v_pk_mov_b32 v[0:1], s[10:11], s[10:11] op_sel:[0,1]
	flat_load_dword v112, v[0:1]
	s_nop 0
	buffer_load_dword v0, off, s[0:3], 0
	buffer_load_dword v1, off, s[0:3], 0 offset:4
	s_waitcnt vmcnt(0) lgkmcnt(0)
	v_add_u32_e32 v112, -1, v112
	v_cmp_ne_u32_e32 vcc, 0, v112
	s_and_saveexec_b64 s[4:5], vcc
	s_cbranch_execz .LBB54_446
; %bb.445:
	v_mov_b32_e32 v113, 0
	v_lshl_add_u32 v112, v112, 3, v113
	buffer_load_dword v113, v112, s[0:3], 0 offen offset:4
	buffer_load_dword v114, v112, s[0:3], 0 offen
	s_waitcnt vmcnt(1)
	buffer_store_dword v113, off, s[0:3], 0 offset:4
	s_waitcnt vmcnt(1)
	buffer_store_dword v114, off, s[0:3], 0
	buffer_store_dword v1, v112, s[0:3], 0 offen offset:4
	buffer_store_dword v0, v112, s[0:3], 0 offen
	buffer_load_dword v0, off, s[0:3], 0
	s_nop 0
	buffer_load_dword v1, off, s[0:3], 0 offset:4
.LBB54_446:
	s_or_b64 exec, exec, s[4:5]
.LBB54_447:
	s_waitcnt vmcnt(0)
	global_store_dwordx2 v[110:111], v[0:1], off
	buffer_load_dword v0, off, s[0:3], 0 offset:8
	s_nop 0
	buffer_load_dword v1, off, s[0:3], 0 offset:12
	buffer_load_dword v110, off, s[0:3], 0 offset:16
	;; [unrolled: 1-line block ×15, first 2 shown]
	s_waitcnt vmcnt(14)
	global_store_dwordx2 v[108:109], v[0:1], off
	s_waitcnt vmcnt(13)
	global_store_dwordx2 v[2:3], v[110:111], off
	;; [unrolled: 2-line block ×8, first 2 shown]
	buffer_load_dword v0, off, s[0:3], 0 offset:72
	buffer_load_dword v1, off, s[0:3], 0 offset:76
	s_waitcnt vmcnt(0)
	global_store_dwordx2 v[14:15], v[0:1], off
	buffer_load_dword v0, off, s[0:3], 0 offset:80
	s_nop 0
	buffer_load_dword v1, off, s[0:3], 0 offset:84
	s_waitcnt vmcnt(0)
	global_store_dwordx2 v[16:17], v[0:1], off
	buffer_load_dword v0, off, s[0:3], 0 offset:88
	s_nop 0
	;; [unrolled: 5-line block ×45, first 2 shown]
	buffer_load_dword v1, off, s[0:3], 0 offset:436
	s_waitcnt vmcnt(0)
	global_store_dwordx2 v[98:99], v[0:1], off
	s_endpgm
	.section	.rodata,"a",@progbits
	.p2align	6, 0x0
	.amdhsa_kernel _ZN9rocsolver6v33100L18getri_kernel_smallILi55EdPdEEvT1_iilPiilS4_bb
		.amdhsa_group_segment_fixed_size 888
		.amdhsa_private_segment_fixed_size 448
		.amdhsa_kernarg_size 60
		.amdhsa_user_sgpr_count 8
		.amdhsa_user_sgpr_private_segment_buffer 1
		.amdhsa_user_sgpr_dispatch_ptr 0
		.amdhsa_user_sgpr_queue_ptr 0
		.amdhsa_user_sgpr_kernarg_segment_ptr 1
		.amdhsa_user_sgpr_dispatch_id 0
		.amdhsa_user_sgpr_flat_scratch_init 1
		.amdhsa_user_sgpr_kernarg_preload_length 0
		.amdhsa_user_sgpr_kernarg_preload_offset 0
		.amdhsa_user_sgpr_private_segment_size 0
		.amdhsa_uses_dynamic_stack 0
		.amdhsa_system_sgpr_private_segment_wavefront_offset 1
		.amdhsa_system_sgpr_workgroup_id_x 1
		.amdhsa_system_sgpr_workgroup_id_y 0
		.amdhsa_system_sgpr_workgroup_id_z 0
		.amdhsa_system_sgpr_workgroup_info 0
		.amdhsa_system_vgpr_workitem_id 0
		.amdhsa_next_free_vgpr 164
		.amdhsa_next_free_sgpr 23
		.amdhsa_accum_offset 164
		.amdhsa_reserve_vcc 1
		.amdhsa_reserve_flat_scratch 1
		.amdhsa_float_round_mode_32 0
		.amdhsa_float_round_mode_16_64 0
		.amdhsa_float_denorm_mode_32 3
		.amdhsa_float_denorm_mode_16_64 3
		.amdhsa_dx10_clamp 1
		.amdhsa_ieee_mode 1
		.amdhsa_fp16_overflow 0
		.amdhsa_tg_split 0
		.amdhsa_exception_fp_ieee_invalid_op 0
		.amdhsa_exception_fp_denorm_src 0
		.amdhsa_exception_fp_ieee_div_zero 0
		.amdhsa_exception_fp_ieee_overflow 0
		.amdhsa_exception_fp_ieee_underflow 0
		.amdhsa_exception_fp_ieee_inexact 0
		.amdhsa_exception_int_div_zero 0
	.end_amdhsa_kernel
	.section	.text._ZN9rocsolver6v33100L18getri_kernel_smallILi55EdPdEEvT1_iilPiilS4_bb,"axG",@progbits,_ZN9rocsolver6v33100L18getri_kernel_smallILi55EdPdEEvT1_iilPiilS4_bb,comdat
.Lfunc_end54:
	.size	_ZN9rocsolver6v33100L18getri_kernel_smallILi55EdPdEEvT1_iilPiilS4_bb, .Lfunc_end54-_ZN9rocsolver6v33100L18getri_kernel_smallILi55EdPdEEvT1_iilPiilS4_bb
                                        ; -- End function
	.section	.AMDGPU.csdata,"",@progbits
; Kernel info:
; codeLenInByte = 70468
; NumSgprs: 29
; NumVgprs: 164
; NumAgprs: 0
; TotalNumVgprs: 164
; ScratchSize: 448
; MemoryBound: 1
; FloatMode: 240
; IeeeMode: 1
; LDSByteSize: 888 bytes/workgroup (compile time only)
; SGPRBlocks: 3
; VGPRBlocks: 20
; NumSGPRsForWavesPerEU: 29
; NumVGPRsForWavesPerEU: 164
; AccumOffset: 164
; Occupancy: 3
; WaveLimiterHint : 1
; COMPUTE_PGM_RSRC2:SCRATCH_EN: 1
; COMPUTE_PGM_RSRC2:USER_SGPR: 8
; COMPUTE_PGM_RSRC2:TRAP_HANDLER: 0
; COMPUTE_PGM_RSRC2:TGID_X_EN: 1
; COMPUTE_PGM_RSRC2:TGID_Y_EN: 0
; COMPUTE_PGM_RSRC2:TGID_Z_EN: 0
; COMPUTE_PGM_RSRC2:TIDIG_COMP_CNT: 0
; COMPUTE_PGM_RSRC3_GFX90A:ACCUM_OFFSET: 40
; COMPUTE_PGM_RSRC3_GFX90A:TG_SPLIT: 0
	.section	.text._ZN9rocsolver6v33100L18getri_kernel_smallILi56EdPdEEvT1_iilPiilS4_bb,"axG",@progbits,_ZN9rocsolver6v33100L18getri_kernel_smallILi56EdPdEEvT1_iilPiilS4_bb,comdat
	.globl	_ZN9rocsolver6v33100L18getri_kernel_smallILi56EdPdEEvT1_iilPiilS4_bb ; -- Begin function _ZN9rocsolver6v33100L18getri_kernel_smallILi56EdPdEEvT1_iilPiilS4_bb
	.p2align	8
	.type	_ZN9rocsolver6v33100L18getri_kernel_smallILi56EdPdEEvT1_iilPiilS4_bb,@function
_ZN9rocsolver6v33100L18getri_kernel_smallILi56EdPdEEvT1_iilPiilS4_bb: ; @_ZN9rocsolver6v33100L18getri_kernel_smallILi56EdPdEEvT1_iilPiilS4_bb
; %bb.0:
	s_add_u32 flat_scratch_lo, s6, s9
	s_addc_u32 flat_scratch_hi, s7, 0
	s_add_u32 s0, s0, s9
	s_addc_u32 s1, s1, 0
	v_cmp_gt_u32_e32 vcc, 56, v0
	s_and_saveexec_b64 s[6:7], vcc
	s_cbranch_execz .LBB55_232
; %bb.1:
	s_load_dword s22, s[4:5], 0x38
	s_load_dwordx4 s[16:19], s[4:5], 0x10
	s_load_dwordx4 s[12:15], s[4:5], 0x28
                                        ; implicit-def: $sgpr10_sgpr11
	s_waitcnt lgkmcnt(0)
	s_bitcmp1_b32 s22, 8
	s_cselect_b64 s[20:21], -1, 0
	s_ashr_i32 s9, s8, 31
	s_bfe_u32 s6, s22, 0x10008
	s_cmp_eq_u32 s6, 0
	s_cbranch_scc1 .LBB55_3
; %bb.2:
	s_load_dword s6, s[4:5], 0x20
	s_mul_i32 s7, s8, s13
	s_mul_hi_u32 s10, s8, s12
	s_mul_i32 s11, s9, s12
	s_add_i32 s10, s10, s7
	s_add_i32 s11, s10, s11
	s_mul_i32 s10, s8, s12
	s_waitcnt lgkmcnt(0)
	s_ashr_i32 s7, s6, 31
	s_lshl_b64 s[10:11], s[10:11], 2
	s_add_u32 s10, s18, s10
	s_addc_u32 s11, s19, s11
	s_lshl_b64 s[6:7], s[6:7], 2
	s_add_u32 s10, s10, s6
	s_addc_u32 s11, s11, s7
.LBB55_3:
	s_load_dwordx4 s[4:7], s[4:5], 0x0
	s_mul_i32 s12, s8, s17
	s_mul_hi_u32 s13, s8, s16
	s_add_i32 s17, s13, s12
	s_waitcnt lgkmcnt(0)
	s_ashr_i32 s13, s6, 31
	s_mov_b32 s12, s6
	s_mul_i32 s6, s9, s16
	s_add_i32 s17, s17, s6
	s_mul_i32 s16, s8, s16
	s_lshl_b64 s[16:17], s[16:17], 3
	s_add_u32 s6, s4, s16
	s_addc_u32 s16, s5, s17
	s_lshl_b64 s[4:5], s[12:13], 3
	s_add_u32 s4, s6, s4
	s_addc_u32 s5, s16, s5
	s_add_i32 s6, s7, s7
	v_add_u32_e32 v4, s6, v0
	v_ashrrev_i32_e32 v5, 31, v4
	v_lshlrev_b64 v[2:3], 3, v[4:5]
	v_add_u32_e32 v6, s7, v4
	v_mov_b32_e32 v1, s5
	v_add_co_u32_e32 v2, vcc, s4, v2
	v_ashrrev_i32_e32 v7, 31, v6
	v_addc_co_u32_e32 v3, vcc, v1, v3, vcc
	v_lshlrev_b64 v[4:5], 3, v[6:7]
	v_add_u32_e32 v8, s7, v6
	v_add_co_u32_e32 v4, vcc, s4, v4
	v_ashrrev_i32_e32 v9, 31, v8
	v_addc_co_u32_e32 v5, vcc, v1, v5, vcc
	v_lshlrev_b64 v[6:7], 3, v[8:9]
	v_add_u32_e32 v10, s7, v8
	;; [unrolled: 5-line block ×5, first 2 shown]
	v_add_co_u32_e32 v12, vcc, s4, v12
	v_ashrrev_i32_e32 v15, 31, v14
	v_addc_co_u32_e32 v13, vcc, v1, v13, vcc
	v_lshlrev_b64 v[16:17], 3, v[14:15]
	v_add_co_u32_e32 v18, vcc, s4, v16
	v_add_u32_e32 v16, s7, v14
	v_addc_co_u32_e32 v19, vcc, v1, v17, vcc
	v_ashrrev_i32_e32 v17, 31, v16
	v_lshlrev_b64 v[14:15], 3, v[16:17]
	v_add_u32_e32 v20, s7, v16
	v_add_co_u32_e32 v14, vcc, s4, v14
	v_ashrrev_i32_e32 v21, 31, v20
	v_addc_co_u32_e32 v15, vcc, v1, v15, vcc
	v_lshlrev_b64 v[16:17], 3, v[20:21]
	v_add_u32_e32 v22, s7, v20
	v_add_co_u32_e32 v16, vcc, s4, v16
	v_ashrrev_i32_e32 v23, 31, v22
	v_addc_co_u32_e32 v17, vcc, v1, v17, vcc
	;; [unrolled: 5-line block ×39, first 2 shown]
	v_lshlrev_b64 v[94:95], 3, v[96:97]
	v_add_co_u32_e32 v94, vcc, s4, v94
	v_addc_co_u32_e32 v95, vcc, v1, v95, vcc
	v_add_u32_e32 v98, s7, v96
	v_lshlrev_b32_e32 v1, 3, v0
	v_ashrrev_i32_e32 v99, 31, v98
	global_load_dwordx2 v[114:115], v1, s[4:5]
	v_lshlrev_b64 v[96:97], 3, v[98:99]
	v_mov_b32_e32 v99, s5
	v_add_co_u32_e32 v112, vcc, s4, v1
	s_ashr_i32 s13, s7, 31
	s_mov_b32 s12, s7
	v_addc_co_u32_e32 v113, vcc, 0, v99, vcc
	s_lshl_b64 s[12:13], s[12:13], 3
	v_mov_b32_e32 v99, s13
	v_add_co_u32_e32 v110, vcc, s12, v112
	v_addc_co_u32_e32 v111, vcc, v113, v99, vcc
	global_load_dwordx2 v[116:117], v[110:111], off
	global_load_dwordx2 v[118:119], v[2:3], off
	;; [unrolled: 1-line block ×20, first 2 shown]
	v_mov_b32_e32 v100, s5
	v_add_co_u32_e32 v96, vcc, s4, v96
	v_addc_co_u32_e32 v97, vcc, v100, v97, vcc
	v_add_u32_e32 v100, s7, v98
	v_ashrrev_i32_e32 v101, 31, v100
	v_lshlrev_b64 v[98:99], 3, v[100:101]
	v_add_u32_e32 v100, s7, v100
	v_mov_b32_e32 v102, s5
	v_add_co_u32_e32 v98, vcc, s4, v98
	v_ashrrev_i32_e32 v101, 31, v100
	v_addc_co_u32_e32 v99, vcc, v102, v99, vcc
	v_lshlrev_b64 v[102:103], 3, v[100:101]
	v_add_u32_e32 v100, s7, v100
	v_mov_b32_e32 v104, s5
	v_add_co_u32_e32 v102, vcc, s4, v102
	v_ashrrev_i32_e32 v101, 31, v100
	v_addc_co_u32_e32 v103, vcc, v104, v103, vcc
	;; [unrolled: 6-line block ×5, first 2 shown]
	v_lshlrev_b64 v[100:101], 3, v[100:101]
	v_mov_b32_e32 v160, s5
	v_add_co_u32_e32 v100, vcc, s4, v100
	global_load_dwordx2 v[156:157], v[40:41], off
	global_load_dwordx2 v[158:159], v[42:43], off
	v_addc_co_u32_e32 v101, vcc, v160, v101, vcc
	global_load_dwordx2 v[160:161], v[44:45], off
	global_load_dwordx2 v[162:163], v[100:101], off
	s_waitcnt vmcnt(24)
	buffer_store_dword v115, off, s[0:3], 0 offset:4
	buffer_store_dword v114, off, s[0:3], 0
	global_load_dwordx2 v[114:115], v[46:47], off
	s_waitcnt vmcnt(26)
	buffer_store_dword v117, off, s[0:3], 0 offset:12
	buffer_store_dword v116, off, s[0:3], 0 offset:8
	global_load_dwordx2 v[116:117], v[48:49], off
	s_waitcnt vmcnt(28)
	buffer_store_dword v119, off, s[0:3], 0 offset:20
	buffer_store_dword v118, off, s[0:3], 0 offset:16
	;; [unrolled: 4-line block ×7, first 2 shown]
	s_waitcnt vmcnt(37)
	buffer_store_dword v131, off, s[0:3], 0 offset:68
	buffer_store_dword v130, off, s[0:3], 0 offset:64
	;; [unrolled: 1-line block ×6, first 2 shown]
	s_waitcnt vmcnt(42)
	buffer_store_dword v136, off, s[0:3], 0 offset:88
	buffer_store_dword v137, off, s[0:3], 0 offset:92
	s_waitcnt vmcnt(43)
	buffer_store_dword v138, off, s[0:3], 0 offset:96
	buffer_store_dword v139, off, s[0:3], 0 offset:100
	s_waitcnt vmcnt(44)
	buffer_store_dword v140, off, s[0:3], 0 offset:104
	buffer_store_dword v141, off, s[0:3], 0 offset:108
	s_waitcnt vmcnt(45)
	buffer_store_dword v143, off, s[0:3], 0 offset:116
	buffer_store_dword v142, off, s[0:3], 0 offset:112
	s_waitcnt vmcnt(46)
	buffer_store_dword v144, off, s[0:3], 0 offset:120
	buffer_store_dword v145, off, s[0:3], 0 offset:124
	s_waitcnt vmcnt(47)
	buffer_store_dword v146, off, s[0:3], 0 offset:128
	buffer_store_dword v147, off, s[0:3], 0 offset:132
	s_waitcnt vmcnt(48)
	buffer_store_dword v148, off, s[0:3], 0 offset:136
	buffer_store_dword v149, off, s[0:3], 0 offset:140
	s_waitcnt vmcnt(49)
	buffer_store_dword v150, off, s[0:3], 0 offset:144
	buffer_store_dword v151, off, s[0:3], 0 offset:148
	s_waitcnt vmcnt(50)
	buffer_store_dword v153, off, s[0:3], 0 offset:156
	global_load_dwordx2 v[128:129], v[60:61], off
	global_load_dwordx2 v[130:131], v[62:63], off
	;; [unrolled: 1-line block ×12, first 2 shown]
	s_bitcmp0_b32 s22, 0
	buffer_store_dword v152, off, s[0:3], 0 offset:152
	global_load_dwordx2 v[152:153], v[88:89], off
	s_mov_b64 s[6:7], -1
	s_waitcnt vmcnt(62)
	buffer_store_dword v155, off, s[0:3], 0 offset:164
	buffer_store_dword v154, off, s[0:3], 0 offset:160
	global_load_dwordx2 v[154:155], v[92:93], off
	s_nop 0
	buffer_store_dword v156, off, s[0:3], 0 offset:168
	buffer_store_dword v157, off, s[0:3], 0 offset:172
	global_load_dwordx2 v[156:157], v[96:97], off
	s_nop 0
	buffer_store_dword v158, off, s[0:3], 0 offset:176
	buffer_store_dword v159, off, s[0:3], 0 offset:180
	s_waitcnt vmcnt(62)
	buffer_store_dword v114, off, s[0:3], 0 offset:192
	buffer_store_dword v115, off, s[0:3], 0 offset:196
	global_load_dwordx2 v[114:115], v[82:83], off
	s_nop 0
	global_load_dwordx2 v[158:159], v[102:103], off
	s_nop 0
	buffer_store_dword v160, off, s[0:3], 0 offset:184
	buffer_store_dword v161, off, s[0:3], 0 offset:188
	;; [unrolled: 1-line block ×4, first 2 shown]
	global_load_dwordx2 v[116:117], v[86:87], off
	s_waitcnt vmcnt(62)
	buffer_store_dword v119, off, s[0:3], 0 offset:212
	buffer_store_dword v118, off, s[0:3], 0 offset:208
	global_load_dwordx2 v[118:119], v[90:91], off
	s_nop 0
	buffer_store_dword v120, off, s[0:3], 0 offset:216
	buffer_store_dword v121, off, s[0:3], 0 offset:220
	global_load_dwordx2 v[120:121], v[94:95], off
	s_nop 0
	buffer_store_dword v122, off, s[0:3], 0 offset:224
	buffer_store_dword v123, off, s[0:3], 0 offset:228
	global_load_dwordx2 v[122:123], v[98:99], off
	s_waitcnt vmcnt(62)
	buffer_store_dword v124, off, s[0:3], 0 offset:232
	buffer_store_dword v125, off, s[0:3], 0 offset:236
	global_load_dwordx2 v[124:125], v[104:105], off
	s_nop 0
	global_load_dwordx2 v[160:161], v[106:107], off
	s_nop 0
	buffer_store_dword v126, off, s[0:3], 0 offset:240
	buffer_store_dword v127, off, s[0:3], 0 offset:244
	global_load_dwordx2 v[126:127], v[108:109], off
	s_waitcnt vmcnt(46)
	buffer_store_dword v129, off, s[0:3], 0 offset:252
	buffer_store_dword v128, off, s[0:3], 0 offset:248
	s_waitcnt vmcnt(47)
	buffer_store_dword v131, off, s[0:3], 0 offset:260
	buffer_store_dword v130, off, s[0:3], 0 offset:256
	;; [unrolled: 3-line block ×12, first 2 shown]
	buffer_store_dword v151, off, s[0:3], 0 offset:348
	buffer_store_dword v150, off, s[0:3], 0 offset:344
	s_waitcnt vmcnt(42)
	buffer_store_dword v117, off, s[0:3], 0 offset:356
	buffer_store_dword v116, off, s[0:3], 0 offset:352
	buffer_store_dword v152, off, s[0:3], 0 offset:360
	buffer_store_dword v153, off, s[0:3], 0 offset:364
	s_waitcnt vmcnt(43)
	buffer_store_dword v118, off, s[0:3], 0 offset:368
	buffer_store_dword v119, off, s[0:3], 0 offset:372
	;; [unrolled: 5-line block ×5, first 2 shown]
	s_waitcnt vmcnt(47)
	buffer_store_dword v160, off, s[0:3], 0 offset:424
	buffer_store_dword v161, off, s[0:3], 0 offset:428
	s_waitcnt vmcnt(46)
	buffer_store_dword v126, off, s[0:3], 0 offset:432
	buffer_store_dword v127, off, s[0:3], 0 offset:436
	;; [unrolled: 1-line block ×4, first 2 shown]
	s_cbranch_scc1 .LBB55_230
; %bb.4:
	v_cmp_eq_u32_e64 s[4:5], 0, v0
	s_and_saveexec_b64 s[6:7], s[4:5]
	s_cbranch_execz .LBB55_6
; %bb.5:
	v_mov_b32_e32 v114, 0
	ds_write_b32 v114, v114 offset:896
.LBB55_6:
	s_or_b64 exec, exec, s[6:7]
	v_mov_b32_e32 v114, 0
	v_lshl_add_u32 v114, v0, 3, v114
	s_waitcnt lgkmcnt(0)
	; wave barrier
	s_waitcnt lgkmcnt(0)
	buffer_load_dword v116, v114, s[0:3], 0 offen
	buffer_load_dword v117, v114, s[0:3], 0 offen offset:4
	s_waitcnt vmcnt(0)
	v_cmp_eq_f64_e32 vcc, 0, v[116:117]
	s_and_saveexec_b64 s[12:13], vcc
	s_cbranch_execz .LBB55_10
; %bb.7:
	v_mov_b32_e32 v115, 0
	ds_read_b32 v117, v115 offset:896
	v_add_u32_e32 v116, 1, v0
	s_waitcnt lgkmcnt(0)
	v_readfirstlane_b32 s6, v117
	s_cmp_eq_u32 s6, 0
	s_cselect_b64 s[16:17], -1, 0
	v_cmp_gt_i32_e32 vcc, s6, v116
	s_or_b64 s[16:17], s[16:17], vcc
	s_and_b64 exec, exec, s[16:17]
	s_cbranch_execz .LBB55_10
; %bb.8:
	s_mov_b64 s[16:17], 0
	v_mov_b32_e32 v117, s6
.LBB55_9:                               ; =>This Inner Loop Header: Depth=1
	ds_cmpst_rtn_b32 v117, v115, v117, v116 offset:896
	s_waitcnt lgkmcnt(0)
	v_cmp_ne_u32_e32 vcc, 0, v117
	v_cmp_le_i32_e64 s[6:7], v117, v116
	s_and_b64 s[6:7], vcc, s[6:7]
	s_and_b64 s[6:7], exec, s[6:7]
	s_or_b64 s[16:17], s[6:7], s[16:17]
	s_andn2_b64 exec, exec, s[16:17]
	s_cbranch_execnz .LBB55_9
.LBB55_10:
	s_or_b64 exec, exec, s[12:13]
	v_mov_b32_e32 v116, 0
	s_waitcnt lgkmcnt(0)
	; wave barrier
	ds_read_b32 v115, v116 offset:896
	s_and_saveexec_b64 s[6:7], s[4:5]
	s_cbranch_execz .LBB55_12
; %bb.11:
	s_lshl_b64 s[12:13], s[8:9], 2
	s_add_u32 s12, s14, s12
	s_addc_u32 s13, s15, s13
	s_waitcnt lgkmcnt(0)
	global_store_dword v116, v115, s[12:13]
.LBB55_12:
	s_or_b64 exec, exec, s[6:7]
	s_waitcnt lgkmcnt(0)
	v_cmp_ne_u32_e32 vcc, 0, v115
	s_mov_b64 s[6:7], 0
	s_cbranch_vccnz .LBB55_230
; %bb.13:
	buffer_load_dword v116, v114, s[0:3], 0 offen
	buffer_load_dword v117, v114, s[0:3], 0 offen offset:4
	s_waitcnt vmcnt(0)
	v_div_scale_f64 v[118:119], s[6:7], v[116:117], v[116:117], 1.0
	v_rcp_f64_e32 v[120:121], v[118:119]
	v_div_scale_f64 v[122:123], vcc, 1.0, v[116:117], 1.0
	v_fma_f64 v[124:125], -v[118:119], v[120:121], 1.0
	v_fmac_f64_e32 v[120:121], v[120:121], v[124:125]
	v_fma_f64 v[124:125], -v[118:119], v[120:121], 1.0
	v_fmac_f64_e32 v[120:121], v[120:121], v[124:125]
	v_mul_f64 v[124:125], v[122:123], v[120:121]
	v_fma_f64 v[118:119], -v[118:119], v[124:125], v[122:123]
	v_div_fmas_f64 v[118:119], v[118:119], v[120:121], v[124:125]
	v_div_fixup_f64 v[118:119], v[118:119], v[116:117], 1.0
	buffer_store_dword v119, v114, s[0:3], 0 offen offset:4
	buffer_store_dword v118, v114, s[0:3], 0 offen
	buffer_load_dword v121, off, s[0:3], 0 offset:12
	buffer_load_dword v120, off, s[0:3], 0 offset:8
	v_add_u32_e32 v116, 0x1c0, v1
	v_xor_b32_e32 v119, 0x80000000, v119
	s_waitcnt vmcnt(0)
	ds_write2_b64 v1, v[118:119], v[120:121] offset1:56
	s_waitcnt lgkmcnt(0)
	; wave barrier
	s_waitcnt lgkmcnt(0)
	s_and_saveexec_b64 s[6:7], s[4:5]
	s_cbranch_execz .LBB55_15
; %bb.14:
	buffer_load_dword v118, v114, s[0:3], 0 offen
	buffer_load_dword v119, v114, s[0:3], 0 offen offset:4
	v_mov_b32_e32 v115, 0
	ds_read_b64 v[120:121], v116
	ds_read_b64 v[122:123], v115 offset:8
	s_waitcnt vmcnt(0) lgkmcnt(1)
	v_fma_f64 v[118:119], v[118:119], v[120:121], 0
	s_waitcnt lgkmcnt(0)
	v_mul_f64 v[118:119], v[118:119], v[122:123]
	buffer_store_dword v118, off, s[0:3], 0 offset:8
	buffer_store_dword v119, off, s[0:3], 0 offset:12
.LBB55_15:
	s_or_b64 exec, exec, s[6:7]
	s_waitcnt lgkmcnt(0)
	; wave barrier
	buffer_load_dword v118, off, s[0:3], 0 offset:16
	buffer_load_dword v119, off, s[0:3], 0 offset:20
	v_cmp_gt_u32_e32 vcc, 2, v0
	s_waitcnt vmcnt(0)
	ds_write_b64 v116, v[118:119]
	s_waitcnt lgkmcnt(0)
	; wave barrier
	s_waitcnt lgkmcnt(0)
	s_and_saveexec_b64 s[6:7], vcc
	s_cbranch_execz .LBB55_17
; %bb.16:
	buffer_load_dword v115, v114, s[0:3], 0 offen offset:4
	buffer_load_dword v122, off, s[0:3], 0 offset:8
	s_nop 0
	buffer_load_dword v114, v114, s[0:3], 0 offen
	s_nop 0
	buffer_load_dword v123, off, s[0:3], 0 offset:12
	ds_read_b64 v[124:125], v116
	v_mov_b32_e32 v117, 0
	ds_read2_b64 v[118:121], v117 offset0:2 offset1:57
	s_waitcnt vmcnt(1) lgkmcnt(1)
	v_fma_f64 v[114:115], v[114:115], v[124:125], 0
	s_waitcnt vmcnt(0) lgkmcnt(0)
	v_fma_f64 v[120:121], v[122:123], v[120:121], v[114:115]
	v_cndmask_b32_e64 v115, v115, v121, s[4:5]
	v_cndmask_b32_e64 v114, v114, v120, s[4:5]
	v_mul_f64 v[114:115], v[114:115], v[118:119]
	buffer_store_dword v115, off, s[0:3], 0 offset:20
	buffer_store_dword v114, off, s[0:3], 0 offset:16
.LBB55_17:
	s_or_b64 exec, exec, s[6:7]
	s_waitcnt lgkmcnt(0)
	; wave barrier
	buffer_load_dword v114, off, s[0:3], 0 offset:24
	buffer_load_dword v115, off, s[0:3], 0 offset:28
	v_cmp_gt_u32_e32 vcc, 3, v0
	v_add_u32_e32 v117, -1, v0
	s_waitcnt vmcnt(0)
	ds_write_b64 v116, v[114:115]
	s_waitcnt lgkmcnt(0)
	; wave barrier
	s_waitcnt lgkmcnt(0)
	s_and_saveexec_b64 s[4:5], vcc
	s_cbranch_execz .LBB55_21
; %bb.18:
	v_add_u32_e32 v118, -1, v0
	v_add_u32_e32 v119, 0x1c0, v1
	v_add_u32_e32 v120, 0, v1
	s_mov_b64 s[6:7], 0
	v_pk_mov_b32 v[114:115], 0, 0
.LBB55_19:                              ; =>This Inner Loop Header: Depth=1
	buffer_load_dword v122, v120, s[0:3], 0 offen
	buffer_load_dword v123, v120, s[0:3], 0 offen offset:4
	ds_read_b64 v[124:125], v119
	v_add_u32_e32 v118, 1, v118
	v_cmp_lt_u32_e32 vcc, 1, v118
	v_add_u32_e32 v119, 8, v119
	v_add_u32_e32 v120, 8, v120
	s_or_b64 s[6:7], vcc, s[6:7]
	s_waitcnt vmcnt(0) lgkmcnt(0)
	v_fmac_f64_e32 v[114:115], v[122:123], v[124:125]
	s_andn2_b64 exec, exec, s[6:7]
	s_cbranch_execnz .LBB55_19
; %bb.20:
	s_or_b64 exec, exec, s[6:7]
	v_mov_b32_e32 v118, 0
	ds_read_b64 v[118:119], v118 offset:24
	s_waitcnt lgkmcnt(0)
	v_mul_f64 v[114:115], v[114:115], v[118:119]
	buffer_store_dword v115, off, s[0:3], 0 offset:28
	buffer_store_dword v114, off, s[0:3], 0 offset:24
.LBB55_21:
	s_or_b64 exec, exec, s[4:5]
	s_waitcnt lgkmcnt(0)
	; wave barrier
	buffer_load_dword v114, off, s[0:3], 0 offset:32
	buffer_load_dword v115, off, s[0:3], 0 offset:36
	v_cmp_gt_u32_e32 vcc, 4, v0
	s_waitcnt vmcnt(0)
	ds_write_b64 v116, v[114:115]
	s_waitcnt lgkmcnt(0)
	; wave barrier
	s_waitcnt lgkmcnt(0)
	s_and_saveexec_b64 s[4:5], vcc
	s_cbranch_execz .LBB55_25
; %bb.22:
	v_add_u32_e32 v118, -1, v0
	v_add_u32_e32 v119, 0x1c0, v1
	v_add_u32_e32 v120, 0, v1
	s_mov_b64 s[6:7], 0
	v_pk_mov_b32 v[114:115], 0, 0
.LBB55_23:                              ; =>This Inner Loop Header: Depth=1
	buffer_load_dword v122, v120, s[0:3], 0 offen
	buffer_load_dword v123, v120, s[0:3], 0 offen offset:4
	ds_read_b64 v[124:125], v119
	v_add_u32_e32 v118, 1, v118
	v_cmp_lt_u32_e32 vcc, 2, v118
	v_add_u32_e32 v119, 8, v119
	v_add_u32_e32 v120, 8, v120
	s_or_b64 s[6:7], vcc, s[6:7]
	s_waitcnt vmcnt(0) lgkmcnt(0)
	v_fmac_f64_e32 v[114:115], v[122:123], v[124:125]
	s_andn2_b64 exec, exec, s[6:7]
	s_cbranch_execnz .LBB55_23
; %bb.24:
	s_or_b64 exec, exec, s[6:7]
	v_mov_b32_e32 v118, 0
	ds_read_b64 v[118:119], v118 offset:32
	s_waitcnt lgkmcnt(0)
	v_mul_f64 v[114:115], v[114:115], v[118:119]
	buffer_store_dword v115, off, s[0:3], 0 offset:36
	buffer_store_dword v114, off, s[0:3], 0 offset:32
.LBB55_25:
	s_or_b64 exec, exec, s[4:5]
	s_waitcnt lgkmcnt(0)
	; wave barrier
	buffer_load_dword v114, off, s[0:3], 0 offset:40
	buffer_load_dword v115, off, s[0:3], 0 offset:44
	v_cmp_gt_u32_e32 vcc, 5, v0
	;; [unrolled: 41-line block ×21, first 2 shown]
	s_waitcnt vmcnt(0)
	ds_write_b64 v116, v[114:115]
	s_waitcnt lgkmcnt(0)
	; wave barrier
	s_waitcnt lgkmcnt(0)
	s_and_saveexec_b64 s[4:5], vcc
	s_cbranch_execz .LBB55_105
; %bb.102:
	v_add_u32_e32 v118, -1, v0
	v_add_u32_e32 v119, 0x1c0, v1
	v_add_u32_e32 v120, 0, v1
	s_mov_b64 s[6:7], 0
	v_pk_mov_b32 v[114:115], 0, 0
.LBB55_103:                             ; =>This Inner Loop Header: Depth=1
	buffer_load_dword v122, v120, s[0:3], 0 offen
	buffer_load_dword v123, v120, s[0:3], 0 offen offset:4
	ds_read_b64 v[124:125], v119
	v_add_u32_e32 v118, 1, v118
	v_cmp_lt_u32_e32 vcc, 22, v118
	v_add_u32_e32 v119, 8, v119
	v_add_u32_e32 v120, 8, v120
	s_or_b64 s[6:7], vcc, s[6:7]
	s_waitcnt vmcnt(0) lgkmcnt(0)
	v_fmac_f64_e32 v[114:115], v[122:123], v[124:125]
	s_andn2_b64 exec, exec, s[6:7]
	s_cbranch_execnz .LBB55_103
; %bb.104:
	s_or_b64 exec, exec, s[6:7]
	v_mov_b32_e32 v118, 0
	ds_read_b64 v[118:119], v118 offset:192
	s_waitcnt lgkmcnt(0)
	v_mul_f64 v[114:115], v[114:115], v[118:119]
	buffer_store_dword v115, off, s[0:3], 0 offset:196
	buffer_store_dword v114, off, s[0:3], 0 offset:192
.LBB55_105:
	s_or_b64 exec, exec, s[4:5]
	s_waitcnt lgkmcnt(0)
	; wave barrier
	buffer_load_dword v114, off, s[0:3], 0 offset:200
	buffer_load_dword v115, off, s[0:3], 0 offset:204
	v_cmp_gt_u32_e32 vcc, 25, v0
	s_waitcnt vmcnt(0)
	ds_write_b64 v116, v[114:115]
	s_waitcnt lgkmcnt(0)
	; wave barrier
	s_waitcnt lgkmcnt(0)
	s_and_saveexec_b64 s[4:5], vcc
	s_cbranch_execz .LBB55_109
; %bb.106:
	v_add_u32_e32 v118, -1, v0
	v_add_u32_e32 v119, 0x1c0, v1
	v_add_u32_e32 v120, 0, v1
	s_mov_b64 s[6:7], 0
	v_pk_mov_b32 v[114:115], 0, 0
.LBB55_107:                             ; =>This Inner Loop Header: Depth=1
	buffer_load_dword v122, v120, s[0:3], 0 offen
	buffer_load_dword v123, v120, s[0:3], 0 offen offset:4
	ds_read_b64 v[124:125], v119
	v_add_u32_e32 v118, 1, v118
	v_cmp_lt_u32_e32 vcc, 23, v118
	v_add_u32_e32 v119, 8, v119
	v_add_u32_e32 v120, 8, v120
	s_or_b64 s[6:7], vcc, s[6:7]
	s_waitcnt vmcnt(0) lgkmcnt(0)
	v_fmac_f64_e32 v[114:115], v[122:123], v[124:125]
	s_andn2_b64 exec, exec, s[6:7]
	s_cbranch_execnz .LBB55_107
; %bb.108:
	s_or_b64 exec, exec, s[6:7]
	v_mov_b32_e32 v118, 0
	ds_read_b64 v[118:119], v118 offset:200
	s_waitcnt lgkmcnt(0)
	v_mul_f64 v[114:115], v[114:115], v[118:119]
	buffer_store_dword v115, off, s[0:3], 0 offset:204
	buffer_store_dword v114, off, s[0:3], 0 offset:200
.LBB55_109:
	s_or_b64 exec, exec, s[4:5]
	s_waitcnt lgkmcnt(0)
	; wave barrier
	buffer_load_dword v114, off, s[0:3], 0 offset:208
	buffer_load_dword v115, off, s[0:3], 0 offset:212
	v_cmp_gt_u32_e32 vcc, 26, v0
	;; [unrolled: 41-line block ×30, first 2 shown]
	s_waitcnt vmcnt(0)
	ds_write_b64 v116, v[114:115]
	s_waitcnt lgkmcnt(0)
	; wave barrier
	s_waitcnt lgkmcnt(0)
	s_and_saveexec_b64 s[4:5], vcc
	s_cbranch_execz .LBB55_225
; %bb.222:
	v_add_u32_e32 v118, -1, v0
	v_add_u32_e32 v119, 0x1c0, v1
	v_add_u32_e32 v120, 0, v1
	s_mov_b64 s[6:7], 0
	v_pk_mov_b32 v[114:115], 0, 0
.LBB55_223:                             ; =>This Inner Loop Header: Depth=1
	buffer_load_dword v122, v120, s[0:3], 0 offen
	buffer_load_dword v123, v120, s[0:3], 0 offen offset:4
	ds_read_b64 v[124:125], v119
	v_add_u32_e32 v118, 1, v118
	v_cmp_lt_u32_e32 vcc, 52, v118
	v_add_u32_e32 v119, 8, v119
	v_add_u32_e32 v120, 8, v120
	s_or_b64 s[6:7], vcc, s[6:7]
	s_waitcnt vmcnt(0) lgkmcnt(0)
	v_fmac_f64_e32 v[114:115], v[122:123], v[124:125]
	s_andn2_b64 exec, exec, s[6:7]
	s_cbranch_execnz .LBB55_223
; %bb.224:
	s_or_b64 exec, exec, s[6:7]
	v_mov_b32_e32 v118, 0
	ds_read_b64 v[118:119], v118 offset:432
	s_waitcnt lgkmcnt(0)
	v_mul_f64 v[114:115], v[114:115], v[118:119]
	buffer_store_dword v115, off, s[0:3], 0 offset:436
	buffer_store_dword v114, off, s[0:3], 0 offset:432
.LBB55_225:
	s_or_b64 exec, exec, s[4:5]
	s_waitcnt lgkmcnt(0)
	; wave barrier
	buffer_load_dword v114, off, s[0:3], 0 offset:440
	buffer_load_dword v115, off, s[0:3], 0 offset:444
	v_cmp_ne_u32_e32 vcc, 55, v0
	s_waitcnt vmcnt(0)
	ds_write_b64 v116, v[114:115]
	s_waitcnt lgkmcnt(0)
	; wave barrier
	s_waitcnt lgkmcnt(0)
	s_and_saveexec_b64 s[4:5], vcc
	s_cbranch_execz .LBB55_229
; %bb.226:
	v_add_u32_e32 v116, 0x1c0, v1
	v_add_u32_e32 v1, 0, v1
	s_mov_b64 s[6:7], 0
	v_pk_mov_b32 v[114:115], 0, 0
.LBB55_227:                             ; =>This Inner Loop Header: Depth=1
	buffer_load_dword v118, v1, s[0:3], 0 offen
	buffer_load_dword v119, v1, s[0:3], 0 offen offset:4
	ds_read_b64 v[120:121], v116
	v_add_u32_e32 v117, 1, v117
	v_cmp_lt_u32_e32 vcc, 53, v117
	v_add_u32_e32 v116, 8, v116
	v_add_u32_e32 v1, 8, v1
	s_or_b64 s[6:7], vcc, s[6:7]
	s_waitcnt vmcnt(0) lgkmcnt(0)
	v_fmac_f64_e32 v[114:115], v[118:119], v[120:121]
	s_andn2_b64 exec, exec, s[6:7]
	s_cbranch_execnz .LBB55_227
; %bb.228:
	s_or_b64 exec, exec, s[6:7]
	v_mov_b32_e32 v1, 0
	ds_read_b64 v[116:117], v1 offset:440
	s_waitcnt lgkmcnt(0)
	v_mul_f64 v[114:115], v[114:115], v[116:117]
	buffer_store_dword v115, off, s[0:3], 0 offset:444
	buffer_store_dword v114, off, s[0:3], 0 offset:440
.LBB55_229:
	s_or_b64 exec, exec, s[4:5]
	s_mov_b64 s[6:7], -1
	s_waitcnt lgkmcnt(0)
	; wave barrier
.LBB55_230:
	s_and_b64 vcc, exec, s[6:7]
	s_cbranch_vccz .LBB55_232
; %bb.231:
	s_lshl_b64 s[4:5], s[8:9], 2
	s_add_u32 s4, s14, s4
	s_addc_u32 s5, s15, s5
	v_mov_b32_e32 v1, 0
	global_load_dword v1, v1, s[4:5]
	s_waitcnt vmcnt(0)
	v_cmp_ne_u32_e32 vcc, 0, v1
	s_cbranch_vccz .LBB55_233
.LBB55_232:
	s_endpgm
.LBB55_233:
	v_mov_b32_e32 v1, 0x1c0
	v_lshl_add_u32 v1, v0, 3, v1
	v_cmp_eq_u32_e32 vcc, 55, v0
	s_and_saveexec_b64 s[4:5], vcc
	s_cbranch_execz .LBB55_235
; %bb.234:
	buffer_load_dword v114, off, s[0:3], 0 offset:432
	buffer_load_dword v115, off, s[0:3], 0 offset:436
	v_mov_b32_e32 v116, 0
	buffer_store_dword v116, off, s[0:3], 0 offset:432
	buffer_store_dword v116, off, s[0:3], 0 offset:436
	s_waitcnt vmcnt(2)
	ds_write_b64 v1, v[114:115]
.LBB55_235:
	s_or_b64 exec, exec, s[4:5]
	s_waitcnt lgkmcnt(0)
	; wave barrier
	s_waitcnt lgkmcnt(0)
	buffer_load_dword v116, off, s[0:3], 0 offset:440
	buffer_load_dword v117, off, s[0:3], 0 offset:444
	;; [unrolled: 1-line block ×4, first 2 shown]
	v_mov_b32_e32 v114, 0
	ds_read_b64 v[120:121], v114 offset:888
	v_cmp_lt_u32_e32 vcc, 53, v0
	s_waitcnt vmcnt(2) lgkmcnt(0)
	v_fma_f64 v[116:117], v[116:117], v[120:121], 0
	s_waitcnt vmcnt(0)
	v_add_f64 v[116:117], v[118:119], -v[116:117]
	buffer_store_dword v116, off, s[0:3], 0 offset:432
	buffer_store_dword v117, off, s[0:3], 0 offset:436
	s_and_saveexec_b64 s[4:5], vcc
	s_cbranch_execz .LBB55_237
; %bb.236:
	buffer_load_dword v116, off, s[0:3], 0 offset:424
	buffer_load_dword v117, off, s[0:3], 0 offset:428
	s_waitcnt vmcnt(0)
	ds_write_b64 v1, v[116:117]
	buffer_store_dword v114, off, s[0:3], 0 offset:424
	buffer_store_dword v114, off, s[0:3], 0 offset:428
.LBB55_237:
	s_or_b64 exec, exec, s[4:5]
	s_waitcnt lgkmcnt(0)
	; wave barrier
	s_waitcnt lgkmcnt(0)
	buffer_load_dword v118, off, s[0:3], 0 offset:432
	buffer_load_dword v119, off, s[0:3], 0 offset:436
	;; [unrolled: 1-line block ×6, first 2 shown]
	ds_read_b128 v[114:117], v114 offset:880
	v_cmp_lt_u32_e32 vcc, 52, v0
	s_waitcnt vmcnt(4) lgkmcnt(0)
	v_fma_f64 v[114:115], v[118:119], v[114:115], 0
	s_waitcnt vmcnt(2)
	v_fmac_f64_e32 v[114:115], v[120:121], v[116:117]
	s_waitcnt vmcnt(0)
	v_add_f64 v[114:115], v[122:123], -v[114:115]
	buffer_store_dword v114, off, s[0:3], 0 offset:424
	buffer_store_dword v115, off, s[0:3], 0 offset:428
	s_and_saveexec_b64 s[4:5], vcc
	s_cbranch_execz .LBB55_239
; %bb.238:
	buffer_load_dword v114, off, s[0:3], 0 offset:416
	buffer_load_dword v115, off, s[0:3], 0 offset:420
	v_mov_b32_e32 v116, 0
	buffer_store_dword v116, off, s[0:3], 0 offset:416
	buffer_store_dword v116, off, s[0:3], 0 offset:420
	s_waitcnt vmcnt(2)
	ds_write_b64 v1, v[114:115]
.LBB55_239:
	s_or_b64 exec, exec, s[4:5]
	s_waitcnt lgkmcnt(0)
	; wave barrier
	s_waitcnt lgkmcnt(0)
	buffer_load_dword v120, off, s[0:3], 0 offset:424
	buffer_load_dword v121, off, s[0:3], 0 offset:428
	;; [unrolled: 1-line block ×8, first 2 shown]
	v_mov_b32_e32 v114, 0
	ds_read2_b64 v[116:119], v114 offset0:109 offset1:110
	ds_read_b64 v[128:129], v114 offset:888
	v_cmp_lt_u32_e32 vcc, 51, v0
	s_waitcnt vmcnt(6) lgkmcnt(1)
	v_fma_f64 v[116:117], v[120:121], v[116:117], 0
	s_waitcnt vmcnt(4)
	v_fmac_f64_e32 v[116:117], v[122:123], v[118:119]
	s_waitcnt vmcnt(2) lgkmcnt(0)
	v_fmac_f64_e32 v[116:117], v[124:125], v[128:129]
	s_waitcnt vmcnt(0)
	v_add_f64 v[116:117], v[126:127], -v[116:117]
	buffer_store_dword v116, off, s[0:3], 0 offset:416
	buffer_store_dword v117, off, s[0:3], 0 offset:420
	s_and_saveexec_b64 s[4:5], vcc
	s_cbranch_execz .LBB55_241
; %bb.240:
	buffer_load_dword v116, off, s[0:3], 0 offset:408
	buffer_load_dword v117, off, s[0:3], 0 offset:412
	s_waitcnt vmcnt(0)
	ds_write_b64 v1, v[116:117]
	buffer_store_dword v114, off, s[0:3], 0 offset:408
	buffer_store_dword v114, off, s[0:3], 0 offset:412
.LBB55_241:
	s_or_b64 exec, exec, s[4:5]
	s_waitcnt lgkmcnt(0)
	; wave barrier
	s_waitcnt lgkmcnt(0)
	buffer_load_dword v124, off, s[0:3], 0 offset:416
	buffer_load_dword v125, off, s[0:3], 0 offset:420
	buffer_load_dword v126, off, s[0:3], 0 offset:424
	buffer_load_dword v127, off, s[0:3], 0 offset:428
	buffer_load_dword v128, off, s[0:3], 0 offset:432
	buffer_load_dword v129, off, s[0:3], 0 offset:436
	buffer_load_dword v130, off, s[0:3], 0 offset:440
	buffer_load_dword v131, off, s[0:3], 0 offset:444
	buffer_load_dword v132, off, s[0:3], 0 offset:408
	buffer_load_dword v133, off, s[0:3], 0 offset:412
	ds_read_b128 v[116:119], v114 offset:864
	ds_read_b128 v[120:123], v114 offset:880
	v_cmp_lt_u32_e32 vcc, 50, v0
	s_waitcnt vmcnt(8) lgkmcnt(1)
	v_fma_f64 v[114:115], v[124:125], v[116:117], 0
	s_waitcnt vmcnt(6)
	v_fmac_f64_e32 v[114:115], v[126:127], v[118:119]
	s_waitcnt vmcnt(4) lgkmcnt(0)
	v_fmac_f64_e32 v[114:115], v[128:129], v[120:121]
	s_waitcnt vmcnt(2)
	v_fmac_f64_e32 v[114:115], v[130:131], v[122:123]
	s_waitcnt vmcnt(0)
	v_add_f64 v[114:115], v[132:133], -v[114:115]
	buffer_store_dword v114, off, s[0:3], 0 offset:408
	buffer_store_dword v115, off, s[0:3], 0 offset:412
	s_and_saveexec_b64 s[4:5], vcc
	s_cbranch_execz .LBB55_243
; %bb.242:
	buffer_load_dword v114, off, s[0:3], 0 offset:400
	buffer_load_dword v115, off, s[0:3], 0 offset:404
	v_mov_b32_e32 v116, 0
	buffer_store_dword v116, off, s[0:3], 0 offset:400
	buffer_store_dword v116, off, s[0:3], 0 offset:404
	s_waitcnt vmcnt(2)
	ds_write_b64 v1, v[114:115]
.LBB55_243:
	s_or_b64 exec, exec, s[4:5]
	s_waitcnt lgkmcnt(0)
	; wave barrier
	s_waitcnt lgkmcnt(0)
	buffer_load_dword v124, off, s[0:3], 0 offset:408
	buffer_load_dword v125, off, s[0:3], 0 offset:412
	buffer_load_dword v126, off, s[0:3], 0 offset:416
	buffer_load_dword v127, off, s[0:3], 0 offset:420
	buffer_load_dword v128, off, s[0:3], 0 offset:424
	buffer_load_dword v129, off, s[0:3], 0 offset:428
	buffer_load_dword v130, off, s[0:3], 0 offset:432
	buffer_load_dword v131, off, s[0:3], 0 offset:436
	buffer_load_dword v132, off, s[0:3], 0 offset:440
	buffer_load_dword v133, off, s[0:3], 0 offset:444
	buffer_load_dword v134, off, s[0:3], 0 offset:400
	buffer_load_dword v135, off, s[0:3], 0 offset:404
	v_mov_b32_e32 v114, 0
	ds_read2_b64 v[116:119], v114 offset0:107 offset1:108
	ds_read2_b64 v[120:123], v114 offset0:109 offset1:110
	ds_read_b64 v[136:137], v114 offset:888
	v_cmp_lt_u32_e32 vcc, 49, v0
	s_waitcnt vmcnt(10) lgkmcnt(2)
	v_fma_f64 v[116:117], v[124:125], v[116:117], 0
	s_waitcnt vmcnt(8)
	v_fmac_f64_e32 v[116:117], v[126:127], v[118:119]
	s_waitcnt vmcnt(6) lgkmcnt(1)
	v_fmac_f64_e32 v[116:117], v[128:129], v[120:121]
	s_waitcnt vmcnt(4)
	v_fmac_f64_e32 v[116:117], v[130:131], v[122:123]
	s_waitcnt vmcnt(2) lgkmcnt(0)
	v_fmac_f64_e32 v[116:117], v[132:133], v[136:137]
	s_waitcnt vmcnt(0)
	v_add_f64 v[116:117], v[134:135], -v[116:117]
	buffer_store_dword v116, off, s[0:3], 0 offset:400
	buffer_store_dword v117, off, s[0:3], 0 offset:404
	s_and_saveexec_b64 s[4:5], vcc
	s_cbranch_execz .LBB55_245
; %bb.244:
	buffer_load_dword v116, off, s[0:3], 0 offset:392
	buffer_load_dword v117, off, s[0:3], 0 offset:396
	s_waitcnt vmcnt(0)
	ds_write_b64 v1, v[116:117]
	buffer_store_dword v114, off, s[0:3], 0 offset:392
	buffer_store_dword v114, off, s[0:3], 0 offset:396
.LBB55_245:
	s_or_b64 exec, exec, s[4:5]
	s_waitcnt lgkmcnt(0)
	; wave barrier
	s_waitcnt lgkmcnt(0)
	buffer_load_dword v128, off, s[0:3], 0 offset:400
	buffer_load_dword v129, off, s[0:3], 0 offset:404
	;; [unrolled: 1-line block ×14, first 2 shown]
	ds_read_b128 v[116:119], v114 offset:848
	ds_read_b128 v[120:123], v114 offset:864
	;; [unrolled: 1-line block ×3, first 2 shown]
	v_cmp_lt_u32_e32 vcc, 48, v0
	s_waitcnt vmcnt(12) lgkmcnt(2)
	v_fma_f64 v[114:115], v[128:129], v[116:117], 0
	s_waitcnt vmcnt(10)
	v_fmac_f64_e32 v[114:115], v[130:131], v[118:119]
	s_waitcnt vmcnt(8) lgkmcnt(1)
	v_fmac_f64_e32 v[114:115], v[132:133], v[120:121]
	s_waitcnt vmcnt(6)
	v_fmac_f64_e32 v[114:115], v[134:135], v[122:123]
	s_waitcnt vmcnt(4) lgkmcnt(0)
	v_fmac_f64_e32 v[114:115], v[136:137], v[124:125]
	s_waitcnt vmcnt(2)
	v_fmac_f64_e32 v[114:115], v[138:139], v[126:127]
	s_waitcnt vmcnt(0)
	v_add_f64 v[114:115], v[140:141], -v[114:115]
	buffer_store_dword v114, off, s[0:3], 0 offset:392
	buffer_store_dword v115, off, s[0:3], 0 offset:396
	s_and_saveexec_b64 s[4:5], vcc
	s_cbranch_execz .LBB55_247
; %bb.246:
	buffer_load_dword v114, off, s[0:3], 0 offset:384
	buffer_load_dword v115, off, s[0:3], 0 offset:388
	v_mov_b32_e32 v116, 0
	buffer_store_dword v116, off, s[0:3], 0 offset:384
	buffer_store_dword v116, off, s[0:3], 0 offset:388
	s_waitcnt vmcnt(2)
	ds_write_b64 v1, v[114:115]
.LBB55_247:
	s_or_b64 exec, exec, s[4:5]
	s_waitcnt lgkmcnt(0)
	; wave barrier
	s_waitcnt lgkmcnt(0)
	buffer_load_dword v128, off, s[0:3], 0 offset:392
	buffer_load_dword v129, off, s[0:3], 0 offset:396
	;; [unrolled: 1-line block ×16, first 2 shown]
	v_mov_b32_e32 v114, 0
	ds_read2_b64 v[116:119], v114 offset0:105 offset1:106
	ds_read2_b64 v[120:123], v114 offset0:107 offset1:108
	;; [unrolled: 1-line block ×3, first 2 shown]
	ds_read_b64 v[144:145], v114 offset:888
	v_cmp_lt_u32_e32 vcc, 47, v0
	s_waitcnt vmcnt(14) lgkmcnt(3)
	v_fma_f64 v[116:117], v[128:129], v[116:117], 0
	s_waitcnt vmcnt(12)
	v_fmac_f64_e32 v[116:117], v[130:131], v[118:119]
	s_waitcnt vmcnt(10) lgkmcnt(2)
	v_fmac_f64_e32 v[116:117], v[132:133], v[120:121]
	s_waitcnt vmcnt(8)
	v_fmac_f64_e32 v[116:117], v[134:135], v[122:123]
	s_waitcnt vmcnt(6) lgkmcnt(1)
	v_fmac_f64_e32 v[116:117], v[136:137], v[124:125]
	;; [unrolled: 4-line block ×3, first 2 shown]
	s_waitcnt vmcnt(0)
	v_add_f64 v[116:117], v[142:143], -v[116:117]
	buffer_store_dword v116, off, s[0:3], 0 offset:384
	buffer_store_dword v117, off, s[0:3], 0 offset:388
	s_and_saveexec_b64 s[4:5], vcc
	s_cbranch_execz .LBB55_249
; %bb.248:
	buffer_load_dword v116, off, s[0:3], 0 offset:376
	buffer_load_dword v117, off, s[0:3], 0 offset:380
	s_waitcnt vmcnt(0)
	ds_write_b64 v1, v[116:117]
	buffer_store_dword v114, off, s[0:3], 0 offset:376
	buffer_store_dword v114, off, s[0:3], 0 offset:380
.LBB55_249:
	s_or_b64 exec, exec, s[4:5]
	s_waitcnt lgkmcnt(0)
	; wave barrier
	s_waitcnt lgkmcnt(0)
	buffer_load_dword v132, off, s[0:3], 0 offset:384
	buffer_load_dword v133, off, s[0:3], 0 offset:388
	buffer_load_dword v134, off, s[0:3], 0 offset:392
	buffer_load_dword v135, off, s[0:3], 0 offset:396
	buffer_load_dword v136, off, s[0:3], 0 offset:400
	buffer_load_dword v137, off, s[0:3], 0 offset:404
	buffer_load_dword v138, off, s[0:3], 0 offset:408
	buffer_load_dword v139, off, s[0:3], 0 offset:412
	buffer_load_dword v140, off, s[0:3], 0 offset:416
	buffer_load_dword v141, off, s[0:3], 0 offset:420
	buffer_load_dword v142, off, s[0:3], 0 offset:424
	buffer_load_dword v143, off, s[0:3], 0 offset:428
	buffer_load_dword v144, off, s[0:3], 0 offset:432
	buffer_load_dword v145, off, s[0:3], 0 offset:436
	buffer_load_dword v147, off, s[0:3], 0 offset:444
	buffer_load_dword v146, off, s[0:3], 0 offset:440
	buffer_load_dword v148, off, s[0:3], 0 offset:376
	buffer_load_dword v149, off, s[0:3], 0 offset:380
	ds_read_b128 v[116:119], v114 offset:832
	ds_read_b128 v[120:123], v114 offset:848
	;; [unrolled: 1-line block ×4, first 2 shown]
	v_cmp_lt_u32_e32 vcc, 46, v0
	s_waitcnt vmcnt(16) lgkmcnt(3)
	v_fma_f64 v[114:115], v[132:133], v[116:117], 0
	s_waitcnt vmcnt(14)
	v_fmac_f64_e32 v[114:115], v[134:135], v[118:119]
	s_waitcnt vmcnt(12) lgkmcnt(2)
	v_fmac_f64_e32 v[114:115], v[136:137], v[120:121]
	s_waitcnt vmcnt(10)
	v_fmac_f64_e32 v[114:115], v[138:139], v[122:123]
	s_waitcnt vmcnt(8) lgkmcnt(1)
	v_fmac_f64_e32 v[114:115], v[140:141], v[124:125]
	;; [unrolled: 4-line block ×3, first 2 shown]
	s_waitcnt vmcnt(2)
	v_fmac_f64_e32 v[114:115], v[146:147], v[130:131]
	s_waitcnt vmcnt(0)
	v_add_f64 v[114:115], v[148:149], -v[114:115]
	buffer_store_dword v114, off, s[0:3], 0 offset:376
	buffer_store_dword v115, off, s[0:3], 0 offset:380
	s_and_saveexec_b64 s[4:5], vcc
	s_cbranch_execz .LBB55_251
; %bb.250:
	buffer_load_dword v114, off, s[0:3], 0 offset:368
	buffer_load_dword v115, off, s[0:3], 0 offset:372
	v_mov_b32_e32 v116, 0
	buffer_store_dword v116, off, s[0:3], 0 offset:368
	buffer_store_dword v116, off, s[0:3], 0 offset:372
	s_waitcnt vmcnt(2)
	ds_write_b64 v1, v[114:115]
.LBB55_251:
	s_or_b64 exec, exec, s[4:5]
	s_waitcnt lgkmcnt(0)
	; wave barrier
	s_waitcnt lgkmcnt(0)
	buffer_load_dword v132, off, s[0:3], 0 offset:376
	buffer_load_dword v133, off, s[0:3], 0 offset:380
	buffer_load_dword v134, off, s[0:3], 0 offset:384
	buffer_load_dword v135, off, s[0:3], 0 offset:388
	buffer_load_dword v136, off, s[0:3], 0 offset:392
	buffer_load_dword v137, off, s[0:3], 0 offset:396
	buffer_load_dword v138, off, s[0:3], 0 offset:400
	buffer_load_dword v139, off, s[0:3], 0 offset:404
	buffer_load_dword v140, off, s[0:3], 0 offset:408
	buffer_load_dword v141, off, s[0:3], 0 offset:412
	buffer_load_dword v142, off, s[0:3], 0 offset:416
	buffer_load_dword v143, off, s[0:3], 0 offset:420
	buffer_load_dword v144, off, s[0:3], 0 offset:424
	buffer_load_dword v145, off, s[0:3], 0 offset:428
	buffer_load_dword v147, off, s[0:3], 0 offset:444
	buffer_load_dword v146, off, s[0:3], 0 offset:440
	buffer_load_dword v149, off, s[0:3], 0 offset:436
	buffer_load_dword v148, off, s[0:3], 0 offset:432
	buffer_load_dword v150, off, s[0:3], 0 offset:368
	buffer_load_dword v151, off, s[0:3], 0 offset:372
	v_mov_b32_e32 v114, 0
	ds_read2_b64 v[116:119], v114 offset0:103 offset1:104
	ds_read2_b64 v[120:123], v114 offset0:105 offset1:106
	;; [unrolled: 1-line block ×4, first 2 shown]
	ds_read_b64 v[152:153], v114 offset:888
	v_cmp_lt_u32_e32 vcc, 45, v0
	s_waitcnt vmcnt(18) lgkmcnt(4)
	v_fma_f64 v[116:117], v[132:133], v[116:117], 0
	s_waitcnt vmcnt(16)
	v_fmac_f64_e32 v[116:117], v[134:135], v[118:119]
	s_waitcnt vmcnt(14) lgkmcnt(3)
	v_fmac_f64_e32 v[116:117], v[136:137], v[120:121]
	s_waitcnt vmcnt(12)
	v_fmac_f64_e32 v[116:117], v[138:139], v[122:123]
	s_waitcnt vmcnt(10) lgkmcnt(2)
	v_fmac_f64_e32 v[116:117], v[140:141], v[124:125]
	;; [unrolled: 4-line block ×3, first 2 shown]
	s_waitcnt vmcnt(2)
	v_fmac_f64_e32 v[116:117], v[148:149], v[130:131]
	s_waitcnt lgkmcnt(0)
	v_fmac_f64_e32 v[116:117], v[146:147], v[152:153]
	s_waitcnt vmcnt(0)
	v_add_f64 v[116:117], v[150:151], -v[116:117]
	buffer_store_dword v116, off, s[0:3], 0 offset:368
	buffer_store_dword v117, off, s[0:3], 0 offset:372
	s_and_saveexec_b64 s[4:5], vcc
	s_cbranch_execz .LBB55_253
; %bb.252:
	buffer_load_dword v116, off, s[0:3], 0 offset:360
	buffer_load_dword v117, off, s[0:3], 0 offset:364
	s_waitcnt vmcnt(0)
	ds_write_b64 v1, v[116:117]
	buffer_store_dword v114, off, s[0:3], 0 offset:360
	buffer_store_dword v114, off, s[0:3], 0 offset:364
.LBB55_253:
	s_or_b64 exec, exec, s[4:5]
	s_waitcnt lgkmcnt(0)
	; wave barrier
	s_waitcnt lgkmcnt(0)
	buffer_load_dword v136, off, s[0:3], 0 offset:368
	buffer_load_dword v137, off, s[0:3], 0 offset:372
	;; [unrolled: 1-line block ×22, first 2 shown]
	ds_read_b128 v[116:119], v114 offset:816
	ds_read_b128 v[120:123], v114 offset:832
	;; [unrolled: 1-line block ×5, first 2 shown]
	v_cmp_lt_u32_e32 vcc, 44, v0
	s_waitcnt vmcnt(20) lgkmcnt(4)
	v_fma_f64 v[114:115], v[136:137], v[116:117], 0
	s_waitcnt vmcnt(18)
	v_fmac_f64_e32 v[114:115], v[138:139], v[118:119]
	s_waitcnt vmcnt(16) lgkmcnt(3)
	v_fmac_f64_e32 v[114:115], v[140:141], v[120:121]
	s_waitcnt vmcnt(14)
	v_fmac_f64_e32 v[114:115], v[142:143], v[122:123]
	s_waitcnt vmcnt(12) lgkmcnt(2)
	v_fmac_f64_e32 v[114:115], v[144:145], v[124:125]
	s_waitcnt vmcnt(10)
	v_fmac_f64_e32 v[114:115], v[146:147], v[126:127]
	s_waitcnt vmcnt(8) lgkmcnt(1)
	v_fmac_f64_e32 v[114:115], v[148:149], v[128:129]
	s_waitcnt vmcnt(3)
	v_fmac_f64_e32 v[114:115], v[154:155], v[130:131]
	s_waitcnt lgkmcnt(0)
	v_fmac_f64_e32 v[114:115], v[152:153], v[132:133]
	s_waitcnt vmcnt(2)
	v_fmac_f64_e32 v[114:115], v[150:151], v[134:135]
	s_waitcnt vmcnt(0)
	v_add_f64 v[114:115], v[156:157], -v[114:115]
	buffer_store_dword v114, off, s[0:3], 0 offset:360
	buffer_store_dword v115, off, s[0:3], 0 offset:364
	s_and_saveexec_b64 s[4:5], vcc
	s_cbranch_execz .LBB55_255
; %bb.254:
	buffer_load_dword v114, off, s[0:3], 0 offset:352
	buffer_load_dword v115, off, s[0:3], 0 offset:356
	v_mov_b32_e32 v116, 0
	buffer_store_dword v116, off, s[0:3], 0 offset:352
	buffer_store_dword v116, off, s[0:3], 0 offset:356
	s_waitcnt vmcnt(2)
	ds_write_b64 v1, v[114:115]
.LBB55_255:
	s_or_b64 exec, exec, s[4:5]
	s_waitcnt lgkmcnt(0)
	; wave barrier
	s_waitcnt lgkmcnt(0)
	buffer_load_dword v136, off, s[0:3], 0 offset:360
	buffer_load_dword v137, off, s[0:3], 0 offset:364
	;; [unrolled: 1-line block ×24, first 2 shown]
	v_mov_b32_e32 v114, 0
	ds_read2_b64 v[116:119], v114 offset0:101 offset1:102
	ds_read2_b64 v[120:123], v114 offset0:103 offset1:104
	;; [unrolled: 1-line block ×5, first 2 shown]
	ds_read_b64 v[160:161], v114 offset:888
	v_cmp_lt_u32_e32 vcc, 43, v0
	s_waitcnt vmcnt(22) lgkmcnt(5)
	v_fma_f64 v[116:117], v[136:137], v[116:117], 0
	s_waitcnt vmcnt(20)
	v_fmac_f64_e32 v[116:117], v[138:139], v[118:119]
	s_waitcnt vmcnt(18) lgkmcnt(4)
	v_fmac_f64_e32 v[116:117], v[140:141], v[120:121]
	s_waitcnt vmcnt(16)
	v_fmac_f64_e32 v[116:117], v[142:143], v[122:123]
	s_waitcnt vmcnt(14) lgkmcnt(3)
	v_fmac_f64_e32 v[116:117], v[144:145], v[124:125]
	;; [unrolled: 4-line block ×3, first 2 shown]
	s_waitcnt vmcnt(4)
	v_fmac_f64_e32 v[116:117], v[156:157], v[130:131]
	s_waitcnt lgkmcnt(1)
	v_fmac_f64_e32 v[116:117], v[154:155], v[132:133]
	s_waitcnt vmcnt(3)
	v_fmac_f64_e32 v[116:117], v[152:153], v[134:135]
	s_waitcnt vmcnt(2) lgkmcnt(0)
	v_fmac_f64_e32 v[116:117], v[150:151], v[160:161]
	s_waitcnt vmcnt(0)
	v_add_f64 v[116:117], v[158:159], -v[116:117]
	buffer_store_dword v117, off, s[0:3], 0 offset:356
	buffer_store_dword v116, off, s[0:3], 0 offset:352
	s_and_saveexec_b64 s[4:5], vcc
	s_cbranch_execz .LBB55_257
; %bb.256:
	buffer_load_dword v116, off, s[0:3], 0 offset:344
	buffer_load_dword v117, off, s[0:3], 0 offset:348
	s_waitcnt vmcnt(0)
	ds_write_b64 v1, v[116:117]
	buffer_store_dword v114, off, s[0:3], 0 offset:344
	buffer_store_dword v114, off, s[0:3], 0 offset:348
.LBB55_257:
	s_or_b64 exec, exec, s[4:5]
	s_waitcnt lgkmcnt(0)
	; wave barrier
	s_waitcnt lgkmcnt(0)
	buffer_load_dword v140, off, s[0:3], 0 offset:352
	buffer_load_dword v141, off, s[0:3], 0 offset:356
	buffer_load_dword v142, off, s[0:3], 0 offset:360
	buffer_load_dword v143, off, s[0:3], 0 offset:364
	buffer_load_dword v144, off, s[0:3], 0 offset:368
	buffer_load_dword v145, off, s[0:3], 0 offset:372
	buffer_load_dword v146, off, s[0:3], 0 offset:376
	buffer_load_dword v147, off, s[0:3], 0 offset:380
	buffer_load_dword v148, off, s[0:3], 0 offset:384
	buffer_load_dword v149, off, s[0:3], 0 offset:388
	buffer_load_dword v150, off, s[0:3], 0 offset:392
	buffer_load_dword v151, off, s[0:3], 0 offset:396
	buffer_load_dword v152, off, s[0:3], 0 offset:400
	buffer_load_dword v153, off, s[0:3], 0 offset:404
	buffer_load_dword v154, off, s[0:3], 0 offset:432
	buffer_load_dword v157, off, s[0:3], 0 offset:428
	buffer_load_dword v156, off, s[0:3], 0 offset:424
	buffer_load_dword v159, off, s[0:3], 0 offset:420
	buffer_load_dword v158, off, s[0:3], 0 offset:416
	buffer_load_dword v161, off, s[0:3], 0 offset:412
	buffer_load_dword v160, off, s[0:3], 0 offset:408
	buffer_load_dword v155, off, s[0:3], 0 offset:436
	buffer_load_dword v163, off, s[0:3], 0 offset:444
	buffer_load_dword v162, off, s[0:3], 0 offset:440
	buffer_load_dword v164, off, s[0:3], 0 offset:344
	buffer_load_dword v165, off, s[0:3], 0 offset:348
	ds_read_b128 v[116:119], v114 offset:800
	ds_read_b128 v[120:123], v114 offset:816
	;; [unrolled: 1-line block ×6, first 2 shown]
	v_cmp_lt_u32_e32 vcc, 42, v0
	s_waitcnt vmcnt(24) lgkmcnt(5)
	v_fma_f64 v[114:115], v[140:141], v[116:117], 0
	s_waitcnt vmcnt(22)
	v_fmac_f64_e32 v[114:115], v[142:143], v[118:119]
	s_waitcnt vmcnt(20) lgkmcnt(4)
	v_fmac_f64_e32 v[114:115], v[144:145], v[120:121]
	s_waitcnt vmcnt(18)
	v_fmac_f64_e32 v[114:115], v[146:147], v[122:123]
	s_waitcnt vmcnt(16) lgkmcnt(3)
	v_fmac_f64_e32 v[114:115], v[148:149], v[124:125]
	;; [unrolled: 4-line block ×3, first 2 shown]
	s_waitcnt vmcnt(5)
	v_fmac_f64_e32 v[114:115], v[160:161], v[130:131]
	s_waitcnt lgkmcnt(1)
	v_fmac_f64_e32 v[114:115], v[158:159], v[132:133]
	v_fmac_f64_e32 v[114:115], v[156:157], v[134:135]
	s_waitcnt vmcnt(4) lgkmcnt(0)
	v_fmac_f64_e32 v[114:115], v[154:155], v[136:137]
	s_waitcnt vmcnt(2)
	v_fmac_f64_e32 v[114:115], v[162:163], v[138:139]
	s_waitcnt vmcnt(0)
	v_add_f64 v[114:115], v[164:165], -v[114:115]
	buffer_store_dword v115, off, s[0:3], 0 offset:348
	buffer_store_dword v114, off, s[0:3], 0 offset:344
	s_and_saveexec_b64 s[4:5], vcc
	s_cbranch_execz .LBB55_259
; %bb.258:
	buffer_load_dword v114, off, s[0:3], 0 offset:336
	buffer_load_dword v115, off, s[0:3], 0 offset:340
	v_mov_b32_e32 v116, 0
	buffer_store_dword v116, off, s[0:3], 0 offset:336
	buffer_store_dword v116, off, s[0:3], 0 offset:340
	s_waitcnt vmcnt(2)
	ds_write_b64 v1, v[114:115]
.LBB55_259:
	s_or_b64 exec, exec, s[4:5]
	s_waitcnt lgkmcnt(0)
	; wave barrier
	s_waitcnt lgkmcnt(0)
	buffer_load_dword v120, off, s[0:3], 0 offset:336
	buffer_load_dword v121, off, s[0:3], 0 offset:340
	;; [unrolled: 1-line block ×16, first 2 shown]
	v_mov_b32_e32 v114, 0
	ds_read2_b64 v[116:119], v114 offset0:99 offset1:100
	v_cmp_lt_u32_e32 vcc, 41, v0
	s_waitcnt vmcnt(12) lgkmcnt(0)
	v_fma_f64 v[122:123], v[122:123], v[116:117], 0
	s_waitcnt vmcnt(10)
	v_fmac_f64_e32 v[122:123], v[124:125], v[118:119]
	ds_read2_b64 v[116:119], v114 offset0:101 offset1:102
	s_waitcnt vmcnt(8) lgkmcnt(0)
	v_fmac_f64_e32 v[122:123], v[126:127], v[116:117]
	s_waitcnt vmcnt(6)
	v_fmac_f64_e32 v[122:123], v[128:129], v[118:119]
	ds_read2_b64 v[116:119], v114 offset0:103 offset1:104
	s_waitcnt vmcnt(4) lgkmcnt(0)
	v_fmac_f64_e32 v[122:123], v[130:131], v[116:117]
	;; [unrolled: 5-line block ×3, first 2 shown]
	buffer_load_dword v117, off, s[0:3], 0 offset:404
	buffer_load_dword v116, off, s[0:3], 0 offset:400
	;; [unrolled: 1-line block ×4, first 2 shown]
	s_waitcnt vmcnt(2)
	v_fmac_f64_e32 v[122:123], v[116:117], v[118:119]
	ds_read2_b64 v[116:119], v114 offset0:107 offset1:108
	s_waitcnt vmcnt(0) lgkmcnt(0)
	v_fmac_f64_e32 v[122:123], v[124:125], v[116:117]
	buffer_load_dword v117, off, s[0:3], 0 offset:420
	buffer_load_dword v116, off, s[0:3], 0 offset:416
	;; [unrolled: 1-line block ×4, first 2 shown]
	s_waitcnt vmcnt(2)
	v_fmac_f64_e32 v[122:123], v[116:117], v[118:119]
	ds_read2_b64 v[116:119], v114 offset0:109 offset1:110
	s_waitcnt vmcnt(0) lgkmcnt(0)
	v_fmac_f64_e32 v[122:123], v[124:125], v[116:117]
	buffer_load_dword v117, off, s[0:3], 0 offset:436
	buffer_load_dword v116, off, s[0:3], 0 offset:432
	s_waitcnt vmcnt(0)
	v_fmac_f64_e32 v[122:123], v[116:117], v[118:119]
	buffer_load_dword v117, off, s[0:3], 0 offset:444
	buffer_load_dword v116, off, s[0:3], 0 offset:440
	ds_read_b64 v[118:119], v114 offset:888
	s_waitcnt vmcnt(0) lgkmcnt(0)
	v_fmac_f64_e32 v[122:123], v[116:117], v[118:119]
	v_add_f64 v[116:117], v[120:121], -v[122:123]
	buffer_store_dword v117, off, s[0:3], 0 offset:340
	buffer_store_dword v116, off, s[0:3], 0 offset:336
	s_and_saveexec_b64 s[4:5], vcc
	s_cbranch_execz .LBB55_261
; %bb.260:
	buffer_load_dword v116, off, s[0:3], 0 offset:328
	buffer_load_dword v117, off, s[0:3], 0 offset:332
	s_waitcnt vmcnt(0)
	ds_write_b64 v1, v[116:117]
	buffer_store_dword v114, off, s[0:3], 0 offset:328
	buffer_store_dword v114, off, s[0:3], 0 offset:332
.LBB55_261:
	s_or_b64 exec, exec, s[4:5]
	s_waitcnt lgkmcnt(0)
	; wave barrier
	s_waitcnt lgkmcnt(0)
	buffer_load_dword v132, off, s[0:3], 0 offset:328
	buffer_load_dword v133, off, s[0:3], 0 offset:332
	;; [unrolled: 1-line block ×16, first 2 shown]
	ds_read_b128 v[116:119], v114 offset:784
	ds_read_b128 v[120:123], v114 offset:800
	;; [unrolled: 1-line block ×4, first 2 shown]
	v_cmp_lt_u32_e32 vcc, 40, v0
	s_waitcnt vmcnt(12) lgkmcnt(3)
	v_fma_f64 v[134:135], v[134:135], v[116:117], 0
	buffer_load_dword v117, off, s[0:3], 0 offset:396
	buffer_load_dword v116, off, s[0:3], 0 offset:392
	s_waitcnt vmcnt(12)
	v_fmac_f64_e32 v[134:135], v[136:137], v[118:119]
	s_waitcnt vmcnt(10) lgkmcnt(2)
	v_fmac_f64_e32 v[134:135], v[138:139], v[120:121]
	buffer_load_dword v121, off, s[0:3], 0 offset:404
	buffer_load_dword v120, off, s[0:3], 0 offset:400
	s_waitcnt vmcnt(10)
	v_fmac_f64_e32 v[134:135], v[140:141], v[122:123]
	s_waitcnt vmcnt(8) lgkmcnt(1)
	v_fmac_f64_e32 v[134:135], v[142:143], v[124:125]
	s_waitcnt vmcnt(6)
	v_fmac_f64_e32 v[134:135], v[144:145], v[126:127]
	s_waitcnt vmcnt(4) lgkmcnt(0)
	v_fmac_f64_e32 v[134:135], v[146:147], v[128:129]
	s_waitcnt vmcnt(2)
	v_fmac_f64_e32 v[134:135], v[116:117], v[130:131]
	ds_read_b128 v[116:119], v114 offset:848
	s_waitcnt vmcnt(0) lgkmcnt(0)
	v_fmac_f64_e32 v[134:135], v[120:121], v[116:117]
	buffer_load_dword v117, off, s[0:3], 0 offset:412
	buffer_load_dword v116, off, s[0:3], 0 offset:408
	;; [unrolled: 1-line block ×4, first 2 shown]
	s_waitcnt vmcnt(2)
	v_fmac_f64_e32 v[134:135], v[116:117], v[118:119]
	ds_read_b128 v[116:119], v114 offset:864
	s_waitcnt vmcnt(0) lgkmcnt(0)
	v_fmac_f64_e32 v[134:135], v[120:121], v[116:117]
	buffer_load_dword v117, off, s[0:3], 0 offset:428
	buffer_load_dword v116, off, s[0:3], 0 offset:424
	s_waitcnt vmcnt(0)
	v_fmac_f64_e32 v[134:135], v[116:117], v[118:119]
	buffer_load_dword v119, off, s[0:3], 0 offset:436
	buffer_load_dword v118, off, s[0:3], 0 offset:432
	ds_read_b128 v[114:117], v114 offset:880
	s_waitcnt vmcnt(0) lgkmcnt(0)
	v_fmac_f64_e32 v[134:135], v[118:119], v[114:115]
	buffer_load_dword v115, off, s[0:3], 0 offset:444
	buffer_load_dword v114, off, s[0:3], 0 offset:440
	s_waitcnt vmcnt(0)
	v_fmac_f64_e32 v[134:135], v[114:115], v[116:117]
	v_add_f64 v[114:115], v[132:133], -v[134:135]
	buffer_store_dword v115, off, s[0:3], 0 offset:332
	buffer_store_dword v114, off, s[0:3], 0 offset:328
	s_and_saveexec_b64 s[4:5], vcc
	s_cbranch_execz .LBB55_263
; %bb.262:
	buffer_load_dword v114, off, s[0:3], 0 offset:320
	buffer_load_dword v115, off, s[0:3], 0 offset:324
	v_mov_b32_e32 v116, 0
	buffer_store_dword v116, off, s[0:3], 0 offset:320
	buffer_store_dword v116, off, s[0:3], 0 offset:324
	s_waitcnt vmcnt(2)
	ds_write_b64 v1, v[114:115]
.LBB55_263:
	s_or_b64 exec, exec, s[4:5]
	s_waitcnt lgkmcnt(0)
	; wave barrier
	s_waitcnt lgkmcnt(0)
	buffer_load_dword v120, off, s[0:3], 0 offset:320
	buffer_load_dword v121, off, s[0:3], 0 offset:324
	;; [unrolled: 1-line block ×16, first 2 shown]
	v_mov_b32_e32 v114, 0
	ds_read2_b64 v[116:119], v114 offset0:97 offset1:98
	v_cmp_lt_u32_e32 vcc, 39, v0
	s_waitcnt vmcnt(12) lgkmcnt(0)
	v_fma_f64 v[122:123], v[122:123], v[116:117], 0
	s_waitcnt vmcnt(10)
	v_fmac_f64_e32 v[122:123], v[124:125], v[118:119]
	ds_read2_b64 v[116:119], v114 offset0:99 offset1:100
	s_waitcnt vmcnt(8) lgkmcnt(0)
	v_fmac_f64_e32 v[122:123], v[126:127], v[116:117]
	s_waitcnt vmcnt(6)
	v_fmac_f64_e32 v[122:123], v[128:129], v[118:119]
	ds_read2_b64 v[116:119], v114 offset0:101 offset1:102
	s_waitcnt vmcnt(4) lgkmcnt(0)
	v_fmac_f64_e32 v[122:123], v[130:131], v[116:117]
	;; [unrolled: 5-line block ×3, first 2 shown]
	buffer_load_dword v117, off, s[0:3], 0 offset:388
	buffer_load_dword v116, off, s[0:3], 0 offset:384
	buffer_load_dword v125, off, s[0:3], 0 offset:396
	buffer_load_dword v124, off, s[0:3], 0 offset:392
	s_waitcnt vmcnt(2)
	v_fmac_f64_e32 v[122:123], v[116:117], v[118:119]
	ds_read2_b64 v[116:119], v114 offset0:105 offset1:106
	s_waitcnt vmcnt(0) lgkmcnt(0)
	v_fmac_f64_e32 v[122:123], v[124:125], v[116:117]
	buffer_load_dword v117, off, s[0:3], 0 offset:404
	buffer_load_dword v116, off, s[0:3], 0 offset:400
	buffer_load_dword v125, off, s[0:3], 0 offset:412
	buffer_load_dword v124, off, s[0:3], 0 offset:408
	s_waitcnt vmcnt(2)
	v_fmac_f64_e32 v[122:123], v[116:117], v[118:119]
	ds_read2_b64 v[116:119], v114 offset0:107 offset1:108
	s_waitcnt vmcnt(0) lgkmcnt(0)
	v_fmac_f64_e32 v[122:123], v[124:125], v[116:117]
	buffer_load_dword v117, off, s[0:3], 0 offset:420
	buffer_load_dword v116, off, s[0:3], 0 offset:416
	buffer_load_dword v125, off, s[0:3], 0 offset:428
	buffer_load_dword v124, off, s[0:3], 0 offset:424
	s_waitcnt vmcnt(2)
	v_fmac_f64_e32 v[122:123], v[116:117], v[118:119]
	ds_read2_b64 v[116:119], v114 offset0:109 offset1:110
	s_waitcnt vmcnt(0) lgkmcnt(0)
	v_fmac_f64_e32 v[122:123], v[124:125], v[116:117]
	buffer_load_dword v117, off, s[0:3], 0 offset:436
	buffer_load_dword v116, off, s[0:3], 0 offset:432
	s_waitcnt vmcnt(0)
	v_fmac_f64_e32 v[122:123], v[116:117], v[118:119]
	buffer_load_dword v117, off, s[0:3], 0 offset:444
	buffer_load_dword v116, off, s[0:3], 0 offset:440
	ds_read_b64 v[118:119], v114 offset:888
	s_waitcnt vmcnt(0) lgkmcnt(0)
	v_fmac_f64_e32 v[122:123], v[116:117], v[118:119]
	v_add_f64 v[116:117], v[120:121], -v[122:123]
	buffer_store_dword v117, off, s[0:3], 0 offset:324
	buffer_store_dword v116, off, s[0:3], 0 offset:320
	s_and_saveexec_b64 s[4:5], vcc
	s_cbranch_execz .LBB55_265
; %bb.264:
	buffer_load_dword v116, off, s[0:3], 0 offset:312
	buffer_load_dword v117, off, s[0:3], 0 offset:316
	s_waitcnt vmcnt(0)
	ds_write_b64 v1, v[116:117]
	buffer_store_dword v114, off, s[0:3], 0 offset:312
	buffer_store_dword v114, off, s[0:3], 0 offset:316
.LBB55_265:
	s_or_b64 exec, exec, s[4:5]
	s_waitcnt lgkmcnt(0)
	; wave barrier
	s_waitcnt lgkmcnt(0)
	buffer_load_dword v132, off, s[0:3], 0 offset:312
	buffer_load_dword v133, off, s[0:3], 0 offset:316
	;; [unrolled: 1-line block ×16, first 2 shown]
	ds_read_b128 v[116:119], v114 offset:768
	ds_read_b128 v[120:123], v114 offset:784
	;; [unrolled: 1-line block ×4, first 2 shown]
	v_cmp_lt_u32_e32 vcc, 38, v0
	s_waitcnt vmcnt(12) lgkmcnt(3)
	v_fma_f64 v[134:135], v[134:135], v[116:117], 0
	buffer_load_dword v117, off, s[0:3], 0 offset:380
	buffer_load_dword v116, off, s[0:3], 0 offset:376
	s_waitcnt vmcnt(12)
	v_fmac_f64_e32 v[134:135], v[136:137], v[118:119]
	s_waitcnt vmcnt(10) lgkmcnt(2)
	v_fmac_f64_e32 v[134:135], v[138:139], v[120:121]
	buffer_load_dword v121, off, s[0:3], 0 offset:388
	buffer_load_dword v120, off, s[0:3], 0 offset:384
	s_waitcnt vmcnt(10)
	v_fmac_f64_e32 v[134:135], v[140:141], v[122:123]
	s_waitcnt vmcnt(8) lgkmcnt(1)
	v_fmac_f64_e32 v[134:135], v[142:143], v[124:125]
	s_waitcnt vmcnt(6)
	v_fmac_f64_e32 v[134:135], v[144:145], v[126:127]
	s_waitcnt vmcnt(4) lgkmcnt(0)
	v_fmac_f64_e32 v[134:135], v[146:147], v[128:129]
	s_waitcnt vmcnt(2)
	v_fmac_f64_e32 v[134:135], v[116:117], v[130:131]
	ds_read_b128 v[116:119], v114 offset:832
	s_waitcnt vmcnt(0) lgkmcnt(0)
	v_fmac_f64_e32 v[134:135], v[120:121], v[116:117]
	buffer_load_dword v117, off, s[0:3], 0 offset:396
	buffer_load_dword v116, off, s[0:3], 0 offset:392
	;; [unrolled: 1-line block ×4, first 2 shown]
	s_waitcnt vmcnt(2)
	v_fmac_f64_e32 v[134:135], v[116:117], v[118:119]
	ds_read_b128 v[116:119], v114 offset:848
	s_waitcnt vmcnt(0) lgkmcnt(0)
	v_fmac_f64_e32 v[134:135], v[120:121], v[116:117]
	buffer_load_dword v117, off, s[0:3], 0 offset:412
	buffer_load_dword v116, off, s[0:3], 0 offset:408
	;; [unrolled: 1-line block ×4, first 2 shown]
	s_waitcnt vmcnt(2)
	v_fmac_f64_e32 v[134:135], v[116:117], v[118:119]
	ds_read_b128 v[116:119], v114 offset:864
	s_waitcnt vmcnt(0) lgkmcnt(0)
	v_fmac_f64_e32 v[134:135], v[120:121], v[116:117]
	buffer_load_dword v117, off, s[0:3], 0 offset:428
	buffer_load_dword v116, off, s[0:3], 0 offset:424
	s_waitcnt vmcnt(0)
	v_fmac_f64_e32 v[134:135], v[116:117], v[118:119]
	buffer_load_dword v119, off, s[0:3], 0 offset:436
	buffer_load_dword v118, off, s[0:3], 0 offset:432
	ds_read_b128 v[114:117], v114 offset:880
	s_waitcnt vmcnt(0) lgkmcnt(0)
	v_fmac_f64_e32 v[134:135], v[118:119], v[114:115]
	buffer_load_dword v115, off, s[0:3], 0 offset:444
	buffer_load_dword v114, off, s[0:3], 0 offset:440
	s_waitcnt vmcnt(0)
	v_fmac_f64_e32 v[134:135], v[114:115], v[116:117]
	v_add_f64 v[114:115], v[132:133], -v[134:135]
	buffer_store_dword v115, off, s[0:3], 0 offset:316
	buffer_store_dword v114, off, s[0:3], 0 offset:312
	s_and_saveexec_b64 s[4:5], vcc
	s_cbranch_execz .LBB55_267
; %bb.266:
	buffer_load_dword v114, off, s[0:3], 0 offset:304
	buffer_load_dword v115, off, s[0:3], 0 offset:308
	v_mov_b32_e32 v116, 0
	buffer_store_dword v116, off, s[0:3], 0 offset:304
	buffer_store_dword v116, off, s[0:3], 0 offset:308
	s_waitcnt vmcnt(2)
	ds_write_b64 v1, v[114:115]
.LBB55_267:
	s_or_b64 exec, exec, s[4:5]
	s_waitcnt lgkmcnt(0)
	; wave barrier
	s_waitcnt lgkmcnt(0)
	buffer_load_dword v114, off, s[0:3], 0 offset:304
	buffer_load_dword v115, off, s[0:3], 0 offset:308
	buffer_load_dword v116, off, s[0:3], 0 offset:312
	buffer_load_dword v117, off, s[0:3], 0 offset:316
	buffer_load_dword v124, off, s[0:3], 0 offset:320
	buffer_load_dword v125, off, s[0:3], 0 offset:324
	buffer_load_dword v126, off, s[0:3], 0 offset:328
	buffer_load_dword v127, off, s[0:3], 0 offset:332
	buffer_load_dword v128, off, s[0:3], 0 offset:336
	buffer_load_dword v129, off, s[0:3], 0 offset:340
	buffer_load_dword v130, off, s[0:3], 0 offset:344
	buffer_load_dword v131, off, s[0:3], 0 offset:348
	buffer_load_dword v132, off, s[0:3], 0 offset:352
	buffer_load_dword v133, off, s[0:3], 0 offset:356
	buffer_load_dword v134, off, s[0:3], 0 offset:360
	buffer_load_dword v135, off, s[0:3], 0 offset:364
	v_mov_b32_e32 v118, 0
	ds_read2_b64 v[120:123], v118 offset0:95 offset1:96
	v_cmp_lt_u32_e32 vcc, 37, v0
	s_waitcnt vmcnt(12) lgkmcnt(0)
	v_fma_f64 v[116:117], v[116:117], v[120:121], 0
	s_waitcnt vmcnt(10)
	v_fmac_f64_e32 v[116:117], v[124:125], v[122:123]
	ds_read2_b64 v[120:123], v118 offset0:97 offset1:98
	s_waitcnt vmcnt(8) lgkmcnt(0)
	v_fmac_f64_e32 v[116:117], v[126:127], v[120:121]
	s_waitcnt vmcnt(6)
	v_fmac_f64_e32 v[116:117], v[128:129], v[122:123]
	ds_read2_b64 v[120:123], v118 offset0:99 offset1:100
	s_waitcnt vmcnt(4) lgkmcnt(0)
	v_fmac_f64_e32 v[116:117], v[130:131], v[120:121]
	;; [unrolled: 5-line block ×3, first 2 shown]
	buffer_load_dword v121, off, s[0:3], 0 offset:372
	buffer_load_dword v120, off, s[0:3], 0 offset:368
	buffer_load_dword v125, off, s[0:3], 0 offset:380
	buffer_load_dword v124, off, s[0:3], 0 offset:376
	s_waitcnt vmcnt(2)
	v_fmac_f64_e32 v[116:117], v[120:121], v[122:123]
	ds_read2_b64 v[120:123], v118 offset0:103 offset1:104
	s_waitcnt vmcnt(0) lgkmcnt(0)
	v_fmac_f64_e32 v[116:117], v[124:125], v[120:121]
	buffer_load_dword v121, off, s[0:3], 0 offset:388
	buffer_load_dword v120, off, s[0:3], 0 offset:384
	buffer_load_dword v125, off, s[0:3], 0 offset:396
	buffer_load_dword v124, off, s[0:3], 0 offset:392
	s_waitcnt vmcnt(2)
	v_fmac_f64_e32 v[116:117], v[120:121], v[122:123]
	ds_read2_b64 v[120:123], v118 offset0:105 offset1:106
	s_waitcnt vmcnt(0) lgkmcnt(0)
	v_fmac_f64_e32 v[116:117], v[124:125], v[120:121]
	;; [unrolled: 9-line block ×4, first 2 shown]
	buffer_load_dword v121, off, s[0:3], 0 offset:436
	buffer_load_dword v120, off, s[0:3], 0 offset:432
	s_waitcnt vmcnt(0)
	v_fmac_f64_e32 v[116:117], v[120:121], v[122:123]
	buffer_load_dword v121, off, s[0:3], 0 offset:444
	buffer_load_dword v120, off, s[0:3], 0 offset:440
	ds_read_b64 v[122:123], v118 offset:888
	s_waitcnt vmcnt(0) lgkmcnt(0)
	v_fmac_f64_e32 v[116:117], v[120:121], v[122:123]
	v_add_f64 v[114:115], v[114:115], -v[116:117]
	buffer_store_dword v115, off, s[0:3], 0 offset:308
	buffer_store_dword v114, off, s[0:3], 0 offset:304
	s_and_saveexec_b64 s[4:5], vcc
	s_cbranch_execz .LBB55_269
; %bb.268:
	buffer_load_dword v114, off, s[0:3], 0 offset:296
	buffer_load_dword v115, off, s[0:3], 0 offset:300
	s_waitcnt vmcnt(0)
	ds_write_b64 v1, v[114:115]
	buffer_store_dword v118, off, s[0:3], 0 offset:296
	buffer_store_dword v118, off, s[0:3], 0 offset:300
.LBB55_269:
	s_or_b64 exec, exec, s[4:5]
	s_waitcnt lgkmcnt(0)
	; wave barrier
	s_waitcnt lgkmcnt(0)
	buffer_load_dword v114, off, s[0:3], 0 offset:296
	buffer_load_dword v115, off, s[0:3], 0 offset:300
	;; [unrolled: 1-line block ×16, first 2 shown]
	ds_read_b128 v[120:123], v118 offset:752
	ds_read_b128 v[124:127], v118 offset:768
	;; [unrolled: 1-line block ×4, first 2 shown]
	v_cmp_lt_u32_e32 vcc, 36, v0
	s_waitcnt vmcnt(12) lgkmcnt(3)
	v_fma_f64 v[116:117], v[116:117], v[120:121], 0
	buffer_load_dword v121, off, s[0:3], 0 offset:364
	buffer_load_dword v120, off, s[0:3], 0 offset:360
	s_waitcnt vmcnt(12)
	v_fmac_f64_e32 v[116:117], v[136:137], v[122:123]
	s_waitcnt vmcnt(10) lgkmcnt(2)
	v_fmac_f64_e32 v[116:117], v[138:139], v[124:125]
	buffer_load_dword v125, off, s[0:3], 0 offset:372
	buffer_load_dword v124, off, s[0:3], 0 offset:368
	s_waitcnt vmcnt(10)
	v_fmac_f64_e32 v[116:117], v[140:141], v[126:127]
	s_waitcnt vmcnt(8) lgkmcnt(1)
	v_fmac_f64_e32 v[116:117], v[142:143], v[128:129]
	s_waitcnt vmcnt(6)
	v_fmac_f64_e32 v[116:117], v[144:145], v[130:131]
	s_waitcnt vmcnt(4) lgkmcnt(0)
	v_fmac_f64_e32 v[116:117], v[146:147], v[132:133]
	s_waitcnt vmcnt(2)
	v_fmac_f64_e32 v[116:117], v[120:121], v[134:135]
	ds_read_b128 v[120:123], v118 offset:816
	s_waitcnt vmcnt(0) lgkmcnt(0)
	v_fmac_f64_e32 v[116:117], v[124:125], v[120:121]
	buffer_load_dword v121, off, s[0:3], 0 offset:380
	buffer_load_dword v120, off, s[0:3], 0 offset:376
	buffer_load_dword v125, off, s[0:3], 0 offset:388
	buffer_load_dword v124, off, s[0:3], 0 offset:384
	s_waitcnt vmcnt(2)
	v_fmac_f64_e32 v[116:117], v[120:121], v[122:123]
	ds_read_b128 v[120:123], v118 offset:832
	s_waitcnt vmcnt(0) lgkmcnt(0)
	v_fmac_f64_e32 v[116:117], v[124:125], v[120:121]
	buffer_load_dword v121, off, s[0:3], 0 offset:396
	buffer_load_dword v120, off, s[0:3], 0 offset:392
	buffer_load_dword v125, off, s[0:3], 0 offset:404
	buffer_load_dword v124, off, s[0:3], 0 offset:400
	;; [unrolled: 9-line block ×3, first 2 shown]
	s_waitcnt vmcnt(2)
	v_fmac_f64_e32 v[116:117], v[120:121], v[122:123]
	ds_read_b128 v[120:123], v118 offset:864
	s_waitcnt vmcnt(0) lgkmcnt(0)
	v_fmac_f64_e32 v[116:117], v[124:125], v[120:121]
	buffer_load_dword v121, off, s[0:3], 0 offset:428
	buffer_load_dword v120, off, s[0:3], 0 offset:424
	s_waitcnt vmcnt(0)
	v_fmac_f64_e32 v[116:117], v[120:121], v[122:123]
	buffer_load_dword v123, off, s[0:3], 0 offset:436
	buffer_load_dword v122, off, s[0:3], 0 offset:432
	ds_read_b128 v[118:121], v118 offset:880
	s_waitcnt vmcnt(0) lgkmcnt(0)
	v_fmac_f64_e32 v[116:117], v[122:123], v[118:119]
	buffer_load_dword v119, off, s[0:3], 0 offset:444
	buffer_load_dword v118, off, s[0:3], 0 offset:440
	s_waitcnt vmcnt(0)
	v_fmac_f64_e32 v[116:117], v[118:119], v[120:121]
	v_add_f64 v[114:115], v[114:115], -v[116:117]
	buffer_store_dword v115, off, s[0:3], 0 offset:300
	buffer_store_dword v114, off, s[0:3], 0 offset:296
	s_and_saveexec_b64 s[4:5], vcc
	s_cbranch_execz .LBB55_271
; %bb.270:
	buffer_load_dword v114, off, s[0:3], 0 offset:288
	buffer_load_dword v115, off, s[0:3], 0 offset:292
	v_mov_b32_e32 v116, 0
	buffer_store_dword v116, off, s[0:3], 0 offset:288
	buffer_store_dword v116, off, s[0:3], 0 offset:292
	s_waitcnt vmcnt(2)
	ds_write_b64 v1, v[114:115]
.LBB55_271:
	s_or_b64 exec, exec, s[4:5]
	s_waitcnt lgkmcnt(0)
	; wave barrier
	s_waitcnt lgkmcnt(0)
	buffer_load_dword v114, off, s[0:3], 0 offset:288
	buffer_load_dword v115, off, s[0:3], 0 offset:292
	buffer_load_dword v116, off, s[0:3], 0 offset:296
	buffer_load_dword v117, off, s[0:3], 0 offset:300
	buffer_load_dword v124, off, s[0:3], 0 offset:304
	buffer_load_dword v125, off, s[0:3], 0 offset:308
	buffer_load_dword v126, off, s[0:3], 0 offset:312
	buffer_load_dword v127, off, s[0:3], 0 offset:316
	buffer_load_dword v128, off, s[0:3], 0 offset:320
	buffer_load_dword v129, off, s[0:3], 0 offset:324
	buffer_load_dword v130, off, s[0:3], 0 offset:328
	buffer_load_dword v131, off, s[0:3], 0 offset:332
	buffer_load_dword v132, off, s[0:3], 0 offset:336
	buffer_load_dword v133, off, s[0:3], 0 offset:340
	buffer_load_dword v134, off, s[0:3], 0 offset:344
	buffer_load_dword v135, off, s[0:3], 0 offset:348
	v_mov_b32_e32 v118, 0
	ds_read2_b64 v[120:123], v118 offset0:93 offset1:94
	v_cmp_lt_u32_e32 vcc, 35, v0
	s_waitcnt vmcnt(12) lgkmcnt(0)
	v_fma_f64 v[116:117], v[116:117], v[120:121], 0
	s_waitcnt vmcnt(10)
	v_fmac_f64_e32 v[116:117], v[124:125], v[122:123]
	ds_read2_b64 v[120:123], v118 offset0:95 offset1:96
	s_waitcnt vmcnt(8) lgkmcnt(0)
	v_fmac_f64_e32 v[116:117], v[126:127], v[120:121]
	s_waitcnt vmcnt(6)
	v_fmac_f64_e32 v[116:117], v[128:129], v[122:123]
	ds_read2_b64 v[120:123], v118 offset0:97 offset1:98
	s_waitcnt vmcnt(4) lgkmcnt(0)
	v_fmac_f64_e32 v[116:117], v[130:131], v[120:121]
	;; [unrolled: 5-line block ×3, first 2 shown]
	buffer_load_dword v121, off, s[0:3], 0 offset:356
	buffer_load_dword v120, off, s[0:3], 0 offset:352
	buffer_load_dword v125, off, s[0:3], 0 offset:364
	buffer_load_dword v124, off, s[0:3], 0 offset:360
	s_waitcnt vmcnt(2)
	v_fmac_f64_e32 v[116:117], v[120:121], v[122:123]
	ds_read2_b64 v[120:123], v118 offset0:101 offset1:102
	s_waitcnt vmcnt(0) lgkmcnt(0)
	v_fmac_f64_e32 v[116:117], v[124:125], v[120:121]
	buffer_load_dword v121, off, s[0:3], 0 offset:372
	buffer_load_dword v120, off, s[0:3], 0 offset:368
	buffer_load_dword v125, off, s[0:3], 0 offset:380
	buffer_load_dword v124, off, s[0:3], 0 offset:376
	s_waitcnt vmcnt(2)
	v_fmac_f64_e32 v[116:117], v[120:121], v[122:123]
	ds_read2_b64 v[120:123], v118 offset0:103 offset1:104
	s_waitcnt vmcnt(0) lgkmcnt(0)
	v_fmac_f64_e32 v[116:117], v[124:125], v[120:121]
	;; [unrolled: 9-line block ×5, first 2 shown]
	buffer_load_dword v121, off, s[0:3], 0 offset:436
	buffer_load_dword v120, off, s[0:3], 0 offset:432
	s_waitcnt vmcnt(0)
	v_fmac_f64_e32 v[116:117], v[120:121], v[122:123]
	buffer_load_dword v121, off, s[0:3], 0 offset:444
	buffer_load_dword v120, off, s[0:3], 0 offset:440
	ds_read_b64 v[122:123], v118 offset:888
	s_waitcnt vmcnt(0) lgkmcnt(0)
	v_fmac_f64_e32 v[116:117], v[120:121], v[122:123]
	v_add_f64 v[114:115], v[114:115], -v[116:117]
	buffer_store_dword v115, off, s[0:3], 0 offset:292
	buffer_store_dword v114, off, s[0:3], 0 offset:288
	s_and_saveexec_b64 s[4:5], vcc
	s_cbranch_execz .LBB55_273
; %bb.272:
	buffer_load_dword v114, off, s[0:3], 0 offset:280
	buffer_load_dword v115, off, s[0:3], 0 offset:284
	s_waitcnt vmcnt(0)
	ds_write_b64 v1, v[114:115]
	buffer_store_dword v118, off, s[0:3], 0 offset:280
	buffer_store_dword v118, off, s[0:3], 0 offset:284
.LBB55_273:
	s_or_b64 exec, exec, s[4:5]
	s_waitcnt lgkmcnt(0)
	; wave barrier
	s_waitcnt lgkmcnt(0)
	buffer_load_dword v114, off, s[0:3], 0 offset:280
	buffer_load_dword v115, off, s[0:3], 0 offset:284
	;; [unrolled: 1-line block ×16, first 2 shown]
	ds_read_b128 v[120:123], v118 offset:736
	ds_read_b128 v[124:127], v118 offset:752
	;; [unrolled: 1-line block ×4, first 2 shown]
	v_cmp_lt_u32_e32 vcc, 34, v0
	s_waitcnt vmcnt(12) lgkmcnt(3)
	v_fma_f64 v[116:117], v[116:117], v[120:121], 0
	buffer_load_dword v121, off, s[0:3], 0 offset:348
	buffer_load_dword v120, off, s[0:3], 0 offset:344
	s_waitcnt vmcnt(12)
	v_fmac_f64_e32 v[116:117], v[136:137], v[122:123]
	s_waitcnt vmcnt(10) lgkmcnt(2)
	v_fmac_f64_e32 v[116:117], v[138:139], v[124:125]
	buffer_load_dword v125, off, s[0:3], 0 offset:356
	buffer_load_dword v124, off, s[0:3], 0 offset:352
	s_waitcnt vmcnt(10)
	v_fmac_f64_e32 v[116:117], v[140:141], v[126:127]
	s_waitcnt vmcnt(8) lgkmcnt(1)
	v_fmac_f64_e32 v[116:117], v[142:143], v[128:129]
	s_waitcnt vmcnt(6)
	v_fmac_f64_e32 v[116:117], v[144:145], v[130:131]
	s_waitcnt vmcnt(4) lgkmcnt(0)
	v_fmac_f64_e32 v[116:117], v[146:147], v[132:133]
	s_waitcnt vmcnt(2)
	v_fmac_f64_e32 v[116:117], v[120:121], v[134:135]
	ds_read_b128 v[120:123], v118 offset:800
	s_waitcnt vmcnt(0) lgkmcnt(0)
	v_fmac_f64_e32 v[116:117], v[124:125], v[120:121]
	buffer_load_dword v121, off, s[0:3], 0 offset:364
	buffer_load_dword v120, off, s[0:3], 0 offset:360
	buffer_load_dword v125, off, s[0:3], 0 offset:372
	buffer_load_dword v124, off, s[0:3], 0 offset:368
	s_waitcnt vmcnt(2)
	v_fmac_f64_e32 v[116:117], v[120:121], v[122:123]
	ds_read_b128 v[120:123], v118 offset:816
	s_waitcnt vmcnt(0) lgkmcnt(0)
	v_fmac_f64_e32 v[116:117], v[124:125], v[120:121]
	buffer_load_dword v121, off, s[0:3], 0 offset:380
	buffer_load_dword v120, off, s[0:3], 0 offset:376
	buffer_load_dword v125, off, s[0:3], 0 offset:388
	buffer_load_dword v124, off, s[0:3], 0 offset:384
	;; [unrolled: 9-line block ×4, first 2 shown]
	s_waitcnt vmcnt(2)
	v_fmac_f64_e32 v[116:117], v[120:121], v[122:123]
	ds_read_b128 v[120:123], v118 offset:864
	s_waitcnt vmcnt(0) lgkmcnt(0)
	v_fmac_f64_e32 v[116:117], v[124:125], v[120:121]
	buffer_load_dword v121, off, s[0:3], 0 offset:428
	buffer_load_dword v120, off, s[0:3], 0 offset:424
	s_waitcnt vmcnt(0)
	v_fmac_f64_e32 v[116:117], v[120:121], v[122:123]
	buffer_load_dword v123, off, s[0:3], 0 offset:436
	buffer_load_dword v122, off, s[0:3], 0 offset:432
	ds_read_b128 v[118:121], v118 offset:880
	s_waitcnt vmcnt(0) lgkmcnt(0)
	v_fmac_f64_e32 v[116:117], v[122:123], v[118:119]
	buffer_load_dword v119, off, s[0:3], 0 offset:444
	buffer_load_dword v118, off, s[0:3], 0 offset:440
	s_waitcnt vmcnt(0)
	v_fmac_f64_e32 v[116:117], v[118:119], v[120:121]
	v_add_f64 v[114:115], v[114:115], -v[116:117]
	buffer_store_dword v115, off, s[0:3], 0 offset:284
	buffer_store_dword v114, off, s[0:3], 0 offset:280
	s_and_saveexec_b64 s[4:5], vcc
	s_cbranch_execz .LBB55_275
; %bb.274:
	buffer_load_dword v114, off, s[0:3], 0 offset:272
	buffer_load_dword v115, off, s[0:3], 0 offset:276
	v_mov_b32_e32 v116, 0
	buffer_store_dword v116, off, s[0:3], 0 offset:272
	buffer_store_dword v116, off, s[0:3], 0 offset:276
	s_waitcnt vmcnt(2)
	ds_write_b64 v1, v[114:115]
.LBB55_275:
	s_or_b64 exec, exec, s[4:5]
	s_waitcnt lgkmcnt(0)
	; wave barrier
	s_waitcnt lgkmcnt(0)
	buffer_load_dword v114, off, s[0:3], 0 offset:272
	buffer_load_dword v115, off, s[0:3], 0 offset:276
	;; [unrolled: 1-line block ×16, first 2 shown]
	v_mov_b32_e32 v118, 0
	ds_read2_b64 v[120:123], v118 offset0:91 offset1:92
	v_cmp_lt_u32_e32 vcc, 33, v0
	s_waitcnt vmcnt(12) lgkmcnt(0)
	v_fma_f64 v[116:117], v[116:117], v[120:121], 0
	s_waitcnt vmcnt(10)
	v_fmac_f64_e32 v[116:117], v[124:125], v[122:123]
	ds_read2_b64 v[120:123], v118 offset0:93 offset1:94
	s_waitcnt vmcnt(8) lgkmcnt(0)
	v_fmac_f64_e32 v[116:117], v[126:127], v[120:121]
	s_waitcnt vmcnt(6)
	v_fmac_f64_e32 v[116:117], v[128:129], v[122:123]
	ds_read2_b64 v[120:123], v118 offset0:95 offset1:96
	s_waitcnt vmcnt(4) lgkmcnt(0)
	v_fmac_f64_e32 v[116:117], v[130:131], v[120:121]
	;; [unrolled: 5-line block ×3, first 2 shown]
	buffer_load_dword v121, off, s[0:3], 0 offset:340
	buffer_load_dword v120, off, s[0:3], 0 offset:336
	buffer_load_dword v125, off, s[0:3], 0 offset:348
	buffer_load_dword v124, off, s[0:3], 0 offset:344
	s_waitcnt vmcnt(2)
	v_fmac_f64_e32 v[116:117], v[120:121], v[122:123]
	ds_read2_b64 v[120:123], v118 offset0:99 offset1:100
	s_waitcnt vmcnt(0) lgkmcnt(0)
	v_fmac_f64_e32 v[116:117], v[124:125], v[120:121]
	buffer_load_dword v121, off, s[0:3], 0 offset:356
	buffer_load_dword v120, off, s[0:3], 0 offset:352
	buffer_load_dword v125, off, s[0:3], 0 offset:364
	buffer_load_dword v124, off, s[0:3], 0 offset:360
	s_waitcnt vmcnt(2)
	v_fmac_f64_e32 v[116:117], v[120:121], v[122:123]
	ds_read2_b64 v[120:123], v118 offset0:101 offset1:102
	s_waitcnt vmcnt(0) lgkmcnt(0)
	v_fmac_f64_e32 v[116:117], v[124:125], v[120:121]
	;; [unrolled: 9-line block ×6, first 2 shown]
	buffer_load_dword v121, off, s[0:3], 0 offset:436
	buffer_load_dword v120, off, s[0:3], 0 offset:432
	s_waitcnt vmcnt(0)
	v_fmac_f64_e32 v[116:117], v[120:121], v[122:123]
	buffer_load_dword v121, off, s[0:3], 0 offset:444
	buffer_load_dword v120, off, s[0:3], 0 offset:440
	ds_read_b64 v[122:123], v118 offset:888
	s_waitcnt vmcnt(0) lgkmcnt(0)
	v_fmac_f64_e32 v[116:117], v[120:121], v[122:123]
	v_add_f64 v[114:115], v[114:115], -v[116:117]
	buffer_store_dword v115, off, s[0:3], 0 offset:276
	buffer_store_dword v114, off, s[0:3], 0 offset:272
	s_and_saveexec_b64 s[4:5], vcc
	s_cbranch_execz .LBB55_277
; %bb.276:
	buffer_load_dword v114, off, s[0:3], 0 offset:264
	buffer_load_dword v115, off, s[0:3], 0 offset:268
	s_waitcnt vmcnt(0)
	ds_write_b64 v1, v[114:115]
	buffer_store_dword v118, off, s[0:3], 0 offset:264
	buffer_store_dword v118, off, s[0:3], 0 offset:268
.LBB55_277:
	s_or_b64 exec, exec, s[4:5]
	s_waitcnt lgkmcnt(0)
	; wave barrier
	s_waitcnt lgkmcnt(0)
	buffer_load_dword v114, off, s[0:3], 0 offset:264
	buffer_load_dword v115, off, s[0:3], 0 offset:268
	;; [unrolled: 1-line block ×16, first 2 shown]
	ds_read_b128 v[120:123], v118 offset:720
	ds_read_b128 v[124:127], v118 offset:736
	;; [unrolled: 1-line block ×4, first 2 shown]
	v_cmp_lt_u32_e32 vcc, 32, v0
	s_waitcnt vmcnt(12) lgkmcnt(3)
	v_fma_f64 v[116:117], v[116:117], v[120:121], 0
	buffer_load_dword v121, off, s[0:3], 0 offset:332
	buffer_load_dword v120, off, s[0:3], 0 offset:328
	s_waitcnt vmcnt(12)
	v_fmac_f64_e32 v[116:117], v[136:137], v[122:123]
	s_waitcnt vmcnt(10) lgkmcnt(2)
	v_fmac_f64_e32 v[116:117], v[138:139], v[124:125]
	buffer_load_dword v125, off, s[0:3], 0 offset:340
	buffer_load_dword v124, off, s[0:3], 0 offset:336
	s_waitcnt vmcnt(10)
	v_fmac_f64_e32 v[116:117], v[140:141], v[126:127]
	s_waitcnt vmcnt(8) lgkmcnt(1)
	v_fmac_f64_e32 v[116:117], v[142:143], v[128:129]
	s_waitcnt vmcnt(6)
	v_fmac_f64_e32 v[116:117], v[144:145], v[130:131]
	s_waitcnt vmcnt(4) lgkmcnt(0)
	v_fmac_f64_e32 v[116:117], v[146:147], v[132:133]
	s_waitcnt vmcnt(2)
	v_fmac_f64_e32 v[116:117], v[120:121], v[134:135]
	ds_read_b128 v[120:123], v118 offset:784
	s_waitcnt vmcnt(0) lgkmcnt(0)
	v_fmac_f64_e32 v[116:117], v[124:125], v[120:121]
	buffer_load_dword v121, off, s[0:3], 0 offset:348
	buffer_load_dword v120, off, s[0:3], 0 offset:344
	buffer_load_dword v125, off, s[0:3], 0 offset:356
	buffer_load_dword v124, off, s[0:3], 0 offset:352
	s_waitcnt vmcnt(2)
	v_fmac_f64_e32 v[116:117], v[120:121], v[122:123]
	ds_read_b128 v[120:123], v118 offset:800
	s_waitcnt vmcnt(0) lgkmcnt(0)
	v_fmac_f64_e32 v[116:117], v[124:125], v[120:121]
	buffer_load_dword v121, off, s[0:3], 0 offset:364
	buffer_load_dword v120, off, s[0:3], 0 offset:360
	buffer_load_dword v125, off, s[0:3], 0 offset:372
	buffer_load_dword v124, off, s[0:3], 0 offset:368
	;; [unrolled: 9-line block ×5, first 2 shown]
	s_waitcnt vmcnt(2)
	v_fmac_f64_e32 v[116:117], v[120:121], v[122:123]
	ds_read_b128 v[120:123], v118 offset:864
	s_waitcnt vmcnt(0) lgkmcnt(0)
	v_fmac_f64_e32 v[116:117], v[124:125], v[120:121]
	buffer_load_dword v121, off, s[0:3], 0 offset:428
	buffer_load_dword v120, off, s[0:3], 0 offset:424
	s_waitcnt vmcnt(0)
	v_fmac_f64_e32 v[116:117], v[120:121], v[122:123]
	buffer_load_dword v123, off, s[0:3], 0 offset:436
	buffer_load_dword v122, off, s[0:3], 0 offset:432
	ds_read_b128 v[118:121], v118 offset:880
	s_waitcnt vmcnt(0) lgkmcnt(0)
	v_fmac_f64_e32 v[116:117], v[122:123], v[118:119]
	buffer_load_dword v119, off, s[0:3], 0 offset:444
	buffer_load_dword v118, off, s[0:3], 0 offset:440
	s_waitcnt vmcnt(0)
	v_fmac_f64_e32 v[116:117], v[118:119], v[120:121]
	v_add_f64 v[114:115], v[114:115], -v[116:117]
	buffer_store_dword v115, off, s[0:3], 0 offset:268
	buffer_store_dword v114, off, s[0:3], 0 offset:264
	s_and_saveexec_b64 s[4:5], vcc
	s_cbranch_execz .LBB55_279
; %bb.278:
	buffer_load_dword v114, off, s[0:3], 0 offset:256
	buffer_load_dword v115, off, s[0:3], 0 offset:260
	v_mov_b32_e32 v116, 0
	buffer_store_dword v116, off, s[0:3], 0 offset:256
	buffer_store_dword v116, off, s[0:3], 0 offset:260
	s_waitcnt vmcnt(2)
	ds_write_b64 v1, v[114:115]
.LBB55_279:
	s_or_b64 exec, exec, s[4:5]
	s_waitcnt lgkmcnt(0)
	; wave barrier
	s_waitcnt lgkmcnt(0)
	buffer_load_dword v114, off, s[0:3], 0 offset:256
	buffer_load_dword v115, off, s[0:3], 0 offset:260
	;; [unrolled: 1-line block ×16, first 2 shown]
	v_mov_b32_e32 v118, 0
	ds_read2_b64 v[120:123], v118 offset0:89 offset1:90
	v_cmp_lt_u32_e32 vcc, 31, v0
	s_waitcnt vmcnt(12) lgkmcnt(0)
	v_fma_f64 v[116:117], v[116:117], v[120:121], 0
	s_waitcnt vmcnt(10)
	v_fmac_f64_e32 v[116:117], v[124:125], v[122:123]
	ds_read2_b64 v[120:123], v118 offset0:91 offset1:92
	s_waitcnt vmcnt(8) lgkmcnt(0)
	v_fmac_f64_e32 v[116:117], v[126:127], v[120:121]
	s_waitcnt vmcnt(6)
	v_fmac_f64_e32 v[116:117], v[128:129], v[122:123]
	ds_read2_b64 v[120:123], v118 offset0:93 offset1:94
	s_waitcnt vmcnt(4) lgkmcnt(0)
	v_fmac_f64_e32 v[116:117], v[130:131], v[120:121]
	;; [unrolled: 5-line block ×3, first 2 shown]
	buffer_load_dword v121, off, s[0:3], 0 offset:324
	buffer_load_dword v120, off, s[0:3], 0 offset:320
	buffer_load_dword v125, off, s[0:3], 0 offset:332
	buffer_load_dword v124, off, s[0:3], 0 offset:328
	s_waitcnt vmcnt(2)
	v_fmac_f64_e32 v[116:117], v[120:121], v[122:123]
	ds_read2_b64 v[120:123], v118 offset0:97 offset1:98
	s_waitcnt vmcnt(0) lgkmcnt(0)
	v_fmac_f64_e32 v[116:117], v[124:125], v[120:121]
	buffer_load_dword v121, off, s[0:3], 0 offset:340
	buffer_load_dword v120, off, s[0:3], 0 offset:336
	buffer_load_dword v125, off, s[0:3], 0 offset:348
	buffer_load_dword v124, off, s[0:3], 0 offset:344
	s_waitcnt vmcnt(2)
	v_fmac_f64_e32 v[116:117], v[120:121], v[122:123]
	ds_read2_b64 v[120:123], v118 offset0:99 offset1:100
	s_waitcnt vmcnt(0) lgkmcnt(0)
	v_fmac_f64_e32 v[116:117], v[124:125], v[120:121]
	;; [unrolled: 9-line block ×7, first 2 shown]
	buffer_load_dword v121, off, s[0:3], 0 offset:436
	buffer_load_dword v120, off, s[0:3], 0 offset:432
	s_waitcnt vmcnt(0)
	v_fmac_f64_e32 v[116:117], v[120:121], v[122:123]
	buffer_load_dword v121, off, s[0:3], 0 offset:444
	buffer_load_dword v120, off, s[0:3], 0 offset:440
	ds_read_b64 v[122:123], v118 offset:888
	s_waitcnt vmcnt(0) lgkmcnt(0)
	v_fmac_f64_e32 v[116:117], v[120:121], v[122:123]
	v_add_f64 v[114:115], v[114:115], -v[116:117]
	buffer_store_dword v115, off, s[0:3], 0 offset:260
	buffer_store_dword v114, off, s[0:3], 0 offset:256
	s_and_saveexec_b64 s[4:5], vcc
	s_cbranch_execz .LBB55_281
; %bb.280:
	buffer_load_dword v114, off, s[0:3], 0 offset:248
	buffer_load_dword v115, off, s[0:3], 0 offset:252
	s_waitcnt vmcnt(0)
	ds_write_b64 v1, v[114:115]
	buffer_store_dword v118, off, s[0:3], 0 offset:248
	buffer_store_dword v118, off, s[0:3], 0 offset:252
.LBB55_281:
	s_or_b64 exec, exec, s[4:5]
	s_waitcnt lgkmcnt(0)
	; wave barrier
	s_waitcnt lgkmcnt(0)
	buffer_load_dword v114, off, s[0:3], 0 offset:248
	buffer_load_dword v115, off, s[0:3], 0 offset:252
	;; [unrolled: 1-line block ×16, first 2 shown]
	ds_read_b128 v[120:123], v118 offset:704
	ds_read_b128 v[124:127], v118 offset:720
	;; [unrolled: 1-line block ×4, first 2 shown]
	v_cmp_lt_u32_e32 vcc, 30, v0
	s_waitcnt vmcnt(12) lgkmcnt(3)
	v_fma_f64 v[116:117], v[116:117], v[120:121], 0
	buffer_load_dword v121, off, s[0:3], 0 offset:316
	buffer_load_dword v120, off, s[0:3], 0 offset:312
	s_waitcnt vmcnt(12)
	v_fmac_f64_e32 v[116:117], v[136:137], v[122:123]
	s_waitcnt vmcnt(10) lgkmcnt(2)
	v_fmac_f64_e32 v[116:117], v[138:139], v[124:125]
	buffer_load_dword v125, off, s[0:3], 0 offset:324
	buffer_load_dword v124, off, s[0:3], 0 offset:320
	s_waitcnt vmcnt(10)
	v_fmac_f64_e32 v[116:117], v[140:141], v[126:127]
	s_waitcnt vmcnt(8) lgkmcnt(1)
	v_fmac_f64_e32 v[116:117], v[142:143], v[128:129]
	s_waitcnt vmcnt(6)
	v_fmac_f64_e32 v[116:117], v[144:145], v[130:131]
	s_waitcnt vmcnt(4) lgkmcnt(0)
	v_fmac_f64_e32 v[116:117], v[146:147], v[132:133]
	s_waitcnt vmcnt(2)
	v_fmac_f64_e32 v[116:117], v[120:121], v[134:135]
	ds_read_b128 v[120:123], v118 offset:768
	s_waitcnt vmcnt(0) lgkmcnt(0)
	v_fmac_f64_e32 v[116:117], v[124:125], v[120:121]
	buffer_load_dword v121, off, s[0:3], 0 offset:332
	buffer_load_dword v120, off, s[0:3], 0 offset:328
	buffer_load_dword v125, off, s[0:3], 0 offset:340
	buffer_load_dword v124, off, s[0:3], 0 offset:336
	s_waitcnt vmcnt(2)
	v_fmac_f64_e32 v[116:117], v[120:121], v[122:123]
	ds_read_b128 v[120:123], v118 offset:784
	s_waitcnt vmcnt(0) lgkmcnt(0)
	v_fmac_f64_e32 v[116:117], v[124:125], v[120:121]
	buffer_load_dword v121, off, s[0:3], 0 offset:348
	buffer_load_dword v120, off, s[0:3], 0 offset:344
	buffer_load_dword v125, off, s[0:3], 0 offset:356
	buffer_load_dword v124, off, s[0:3], 0 offset:352
	;; [unrolled: 9-line block ×6, first 2 shown]
	s_waitcnt vmcnt(2)
	v_fmac_f64_e32 v[116:117], v[120:121], v[122:123]
	ds_read_b128 v[120:123], v118 offset:864
	s_waitcnt vmcnt(0) lgkmcnt(0)
	v_fmac_f64_e32 v[116:117], v[124:125], v[120:121]
	buffer_load_dword v121, off, s[0:3], 0 offset:428
	buffer_load_dword v120, off, s[0:3], 0 offset:424
	s_waitcnt vmcnt(0)
	v_fmac_f64_e32 v[116:117], v[120:121], v[122:123]
	buffer_load_dword v123, off, s[0:3], 0 offset:436
	buffer_load_dword v122, off, s[0:3], 0 offset:432
	ds_read_b128 v[118:121], v118 offset:880
	s_waitcnt vmcnt(0) lgkmcnt(0)
	v_fmac_f64_e32 v[116:117], v[122:123], v[118:119]
	buffer_load_dword v119, off, s[0:3], 0 offset:444
	buffer_load_dword v118, off, s[0:3], 0 offset:440
	s_waitcnt vmcnt(0)
	v_fmac_f64_e32 v[116:117], v[118:119], v[120:121]
	v_add_f64 v[114:115], v[114:115], -v[116:117]
	buffer_store_dword v115, off, s[0:3], 0 offset:252
	buffer_store_dword v114, off, s[0:3], 0 offset:248
	s_and_saveexec_b64 s[4:5], vcc
	s_cbranch_execz .LBB55_283
; %bb.282:
	buffer_load_dword v114, off, s[0:3], 0 offset:240
	buffer_load_dword v115, off, s[0:3], 0 offset:244
	v_mov_b32_e32 v116, 0
	buffer_store_dword v116, off, s[0:3], 0 offset:240
	buffer_store_dword v116, off, s[0:3], 0 offset:244
	s_waitcnt vmcnt(2)
	ds_write_b64 v1, v[114:115]
.LBB55_283:
	s_or_b64 exec, exec, s[4:5]
	s_waitcnt lgkmcnt(0)
	; wave barrier
	s_waitcnt lgkmcnt(0)
	buffer_load_dword v114, off, s[0:3], 0 offset:240
	buffer_load_dword v115, off, s[0:3], 0 offset:244
	buffer_load_dword v116, off, s[0:3], 0 offset:248
	buffer_load_dword v117, off, s[0:3], 0 offset:252
	buffer_load_dword v124, off, s[0:3], 0 offset:256
	buffer_load_dword v125, off, s[0:3], 0 offset:260
	buffer_load_dword v126, off, s[0:3], 0 offset:264
	buffer_load_dword v127, off, s[0:3], 0 offset:268
	buffer_load_dword v128, off, s[0:3], 0 offset:272
	buffer_load_dword v129, off, s[0:3], 0 offset:276
	buffer_load_dword v130, off, s[0:3], 0 offset:280
	buffer_load_dword v131, off, s[0:3], 0 offset:284
	buffer_load_dword v132, off, s[0:3], 0 offset:288
	buffer_load_dword v133, off, s[0:3], 0 offset:292
	buffer_load_dword v134, off, s[0:3], 0 offset:296
	buffer_load_dword v135, off, s[0:3], 0 offset:300
	v_mov_b32_e32 v118, 0
	ds_read2_b64 v[120:123], v118 offset0:87 offset1:88
	v_cmp_lt_u32_e32 vcc, 29, v0
	s_waitcnt vmcnt(12) lgkmcnt(0)
	v_fma_f64 v[116:117], v[116:117], v[120:121], 0
	s_waitcnt vmcnt(10)
	v_fmac_f64_e32 v[116:117], v[124:125], v[122:123]
	ds_read2_b64 v[120:123], v118 offset0:89 offset1:90
	s_waitcnt vmcnt(8) lgkmcnt(0)
	v_fmac_f64_e32 v[116:117], v[126:127], v[120:121]
	s_waitcnt vmcnt(6)
	v_fmac_f64_e32 v[116:117], v[128:129], v[122:123]
	ds_read2_b64 v[120:123], v118 offset0:91 offset1:92
	s_waitcnt vmcnt(4) lgkmcnt(0)
	v_fmac_f64_e32 v[116:117], v[130:131], v[120:121]
	;; [unrolled: 5-line block ×3, first 2 shown]
	buffer_load_dword v121, off, s[0:3], 0 offset:308
	buffer_load_dword v120, off, s[0:3], 0 offset:304
	buffer_load_dword v125, off, s[0:3], 0 offset:316
	buffer_load_dword v124, off, s[0:3], 0 offset:312
	s_waitcnt vmcnt(2)
	v_fmac_f64_e32 v[116:117], v[120:121], v[122:123]
	ds_read2_b64 v[120:123], v118 offset0:95 offset1:96
	s_waitcnt vmcnt(0) lgkmcnt(0)
	v_fmac_f64_e32 v[116:117], v[124:125], v[120:121]
	buffer_load_dword v121, off, s[0:3], 0 offset:324
	buffer_load_dword v120, off, s[0:3], 0 offset:320
	buffer_load_dword v125, off, s[0:3], 0 offset:332
	buffer_load_dword v124, off, s[0:3], 0 offset:328
	s_waitcnt vmcnt(2)
	v_fmac_f64_e32 v[116:117], v[120:121], v[122:123]
	ds_read2_b64 v[120:123], v118 offset0:97 offset1:98
	s_waitcnt vmcnt(0) lgkmcnt(0)
	v_fmac_f64_e32 v[116:117], v[124:125], v[120:121]
	;; [unrolled: 9-line block ×8, first 2 shown]
	buffer_load_dword v121, off, s[0:3], 0 offset:436
	buffer_load_dword v120, off, s[0:3], 0 offset:432
	s_waitcnt vmcnt(0)
	v_fmac_f64_e32 v[116:117], v[120:121], v[122:123]
	buffer_load_dword v121, off, s[0:3], 0 offset:444
	buffer_load_dword v120, off, s[0:3], 0 offset:440
	ds_read_b64 v[122:123], v118 offset:888
	s_waitcnt vmcnt(0) lgkmcnt(0)
	v_fmac_f64_e32 v[116:117], v[120:121], v[122:123]
	v_add_f64 v[114:115], v[114:115], -v[116:117]
	buffer_store_dword v115, off, s[0:3], 0 offset:244
	buffer_store_dword v114, off, s[0:3], 0 offset:240
	s_and_saveexec_b64 s[4:5], vcc
	s_cbranch_execz .LBB55_285
; %bb.284:
	buffer_load_dword v114, off, s[0:3], 0 offset:232
	buffer_load_dword v115, off, s[0:3], 0 offset:236
	s_waitcnt vmcnt(0)
	ds_write_b64 v1, v[114:115]
	buffer_store_dword v118, off, s[0:3], 0 offset:232
	buffer_store_dword v118, off, s[0:3], 0 offset:236
.LBB55_285:
	s_or_b64 exec, exec, s[4:5]
	s_waitcnt lgkmcnt(0)
	; wave barrier
	s_waitcnt lgkmcnt(0)
	buffer_load_dword v114, off, s[0:3], 0 offset:232
	buffer_load_dword v115, off, s[0:3], 0 offset:236
	;; [unrolled: 1-line block ×16, first 2 shown]
	ds_read_b128 v[120:123], v118 offset:688
	ds_read_b128 v[124:127], v118 offset:704
	ds_read_b128 v[128:131], v118 offset:720
	ds_read_b128 v[132:135], v118 offset:736
	v_cmp_lt_u32_e32 vcc, 28, v0
	s_waitcnt vmcnt(12) lgkmcnt(3)
	v_fma_f64 v[116:117], v[116:117], v[120:121], 0
	buffer_load_dword v121, off, s[0:3], 0 offset:300
	buffer_load_dword v120, off, s[0:3], 0 offset:296
	s_waitcnt vmcnt(12)
	v_fmac_f64_e32 v[116:117], v[136:137], v[122:123]
	s_waitcnt vmcnt(10) lgkmcnt(2)
	v_fmac_f64_e32 v[116:117], v[138:139], v[124:125]
	buffer_load_dword v125, off, s[0:3], 0 offset:308
	buffer_load_dword v124, off, s[0:3], 0 offset:304
	s_waitcnt vmcnt(10)
	v_fmac_f64_e32 v[116:117], v[140:141], v[126:127]
	s_waitcnt vmcnt(8) lgkmcnt(1)
	v_fmac_f64_e32 v[116:117], v[142:143], v[128:129]
	s_waitcnt vmcnt(6)
	v_fmac_f64_e32 v[116:117], v[144:145], v[130:131]
	s_waitcnt vmcnt(4) lgkmcnt(0)
	v_fmac_f64_e32 v[116:117], v[146:147], v[132:133]
	s_waitcnt vmcnt(2)
	v_fmac_f64_e32 v[116:117], v[120:121], v[134:135]
	ds_read_b128 v[120:123], v118 offset:752
	s_waitcnt vmcnt(0) lgkmcnt(0)
	v_fmac_f64_e32 v[116:117], v[124:125], v[120:121]
	buffer_load_dword v121, off, s[0:3], 0 offset:316
	buffer_load_dword v120, off, s[0:3], 0 offset:312
	buffer_load_dword v125, off, s[0:3], 0 offset:324
	buffer_load_dword v124, off, s[0:3], 0 offset:320
	s_waitcnt vmcnt(2)
	v_fmac_f64_e32 v[116:117], v[120:121], v[122:123]
	ds_read_b128 v[120:123], v118 offset:768
	s_waitcnt vmcnt(0) lgkmcnt(0)
	v_fmac_f64_e32 v[116:117], v[124:125], v[120:121]
	buffer_load_dword v121, off, s[0:3], 0 offset:332
	buffer_load_dword v120, off, s[0:3], 0 offset:328
	buffer_load_dword v125, off, s[0:3], 0 offset:340
	buffer_load_dword v124, off, s[0:3], 0 offset:336
	s_waitcnt vmcnt(2)
	v_fmac_f64_e32 v[116:117], v[120:121], v[122:123]
	ds_read_b128 v[120:123], v118 offset:784
	s_waitcnt vmcnt(0) lgkmcnt(0)
	v_fmac_f64_e32 v[116:117], v[124:125], v[120:121]
	buffer_load_dword v121, off, s[0:3], 0 offset:348
	buffer_load_dword v120, off, s[0:3], 0 offset:344
	buffer_load_dword v125, off, s[0:3], 0 offset:356
	buffer_load_dword v124, off, s[0:3], 0 offset:352
	s_waitcnt vmcnt(2)
	v_fmac_f64_e32 v[116:117], v[120:121], v[122:123]
	ds_read_b128 v[120:123], v118 offset:800
	s_waitcnt vmcnt(0) lgkmcnt(0)
	v_fmac_f64_e32 v[116:117], v[124:125], v[120:121]
	buffer_load_dword v121, off, s[0:3], 0 offset:364
	buffer_load_dword v120, off, s[0:3], 0 offset:360
	buffer_load_dword v125, off, s[0:3], 0 offset:372
	buffer_load_dword v124, off, s[0:3], 0 offset:368
	s_waitcnt vmcnt(2)
	v_fmac_f64_e32 v[116:117], v[120:121], v[122:123]
	ds_read_b128 v[120:123], v118 offset:816
	s_waitcnt vmcnt(0) lgkmcnt(0)
	v_fmac_f64_e32 v[116:117], v[124:125], v[120:121]
	buffer_load_dword v121, off, s[0:3], 0 offset:380
	buffer_load_dword v120, off, s[0:3], 0 offset:376
	buffer_load_dword v125, off, s[0:3], 0 offset:388
	buffer_load_dword v124, off, s[0:3], 0 offset:384
	s_waitcnt vmcnt(2)
	v_fmac_f64_e32 v[116:117], v[120:121], v[122:123]
	ds_read_b128 v[120:123], v118 offset:832
	s_waitcnt vmcnt(0) lgkmcnt(0)
	v_fmac_f64_e32 v[116:117], v[124:125], v[120:121]
	buffer_load_dword v121, off, s[0:3], 0 offset:396
	buffer_load_dword v120, off, s[0:3], 0 offset:392
	buffer_load_dword v125, off, s[0:3], 0 offset:404
	buffer_load_dword v124, off, s[0:3], 0 offset:400
	s_waitcnt vmcnt(2)
	v_fmac_f64_e32 v[116:117], v[120:121], v[122:123]
	ds_read_b128 v[120:123], v118 offset:848
	s_waitcnt vmcnt(0) lgkmcnt(0)
	v_fmac_f64_e32 v[116:117], v[124:125], v[120:121]
	buffer_load_dword v121, off, s[0:3], 0 offset:412
	buffer_load_dword v120, off, s[0:3], 0 offset:408
	buffer_load_dword v125, off, s[0:3], 0 offset:420
	buffer_load_dword v124, off, s[0:3], 0 offset:416
	s_waitcnt vmcnt(2)
	v_fmac_f64_e32 v[116:117], v[120:121], v[122:123]
	ds_read_b128 v[120:123], v118 offset:864
	s_waitcnt vmcnt(0) lgkmcnt(0)
	v_fmac_f64_e32 v[116:117], v[124:125], v[120:121]
	buffer_load_dword v121, off, s[0:3], 0 offset:428
	buffer_load_dword v120, off, s[0:3], 0 offset:424
	s_waitcnt vmcnt(0)
	v_fmac_f64_e32 v[116:117], v[120:121], v[122:123]
	buffer_load_dword v123, off, s[0:3], 0 offset:436
	buffer_load_dword v122, off, s[0:3], 0 offset:432
	ds_read_b128 v[118:121], v118 offset:880
	s_waitcnt vmcnt(0) lgkmcnt(0)
	v_fmac_f64_e32 v[116:117], v[122:123], v[118:119]
	buffer_load_dword v119, off, s[0:3], 0 offset:444
	buffer_load_dword v118, off, s[0:3], 0 offset:440
	s_waitcnt vmcnt(0)
	v_fmac_f64_e32 v[116:117], v[118:119], v[120:121]
	v_add_f64 v[114:115], v[114:115], -v[116:117]
	buffer_store_dword v115, off, s[0:3], 0 offset:236
	buffer_store_dword v114, off, s[0:3], 0 offset:232
	s_and_saveexec_b64 s[4:5], vcc
	s_cbranch_execz .LBB55_287
; %bb.286:
	buffer_load_dword v114, off, s[0:3], 0 offset:224
	buffer_load_dword v115, off, s[0:3], 0 offset:228
	v_mov_b32_e32 v116, 0
	buffer_store_dword v116, off, s[0:3], 0 offset:224
	buffer_store_dword v116, off, s[0:3], 0 offset:228
	s_waitcnt vmcnt(2)
	ds_write_b64 v1, v[114:115]
.LBB55_287:
	s_or_b64 exec, exec, s[4:5]
	s_waitcnt lgkmcnt(0)
	; wave barrier
	s_waitcnt lgkmcnt(0)
	buffer_load_dword v114, off, s[0:3], 0 offset:224
	buffer_load_dword v115, off, s[0:3], 0 offset:228
	;; [unrolled: 1-line block ×16, first 2 shown]
	v_mov_b32_e32 v118, 0
	ds_read2_b64 v[120:123], v118 offset0:85 offset1:86
	v_cmp_lt_u32_e32 vcc, 27, v0
	s_waitcnt vmcnt(12) lgkmcnt(0)
	v_fma_f64 v[116:117], v[116:117], v[120:121], 0
	s_waitcnt vmcnt(10)
	v_fmac_f64_e32 v[116:117], v[124:125], v[122:123]
	ds_read2_b64 v[120:123], v118 offset0:87 offset1:88
	s_waitcnt vmcnt(8) lgkmcnt(0)
	v_fmac_f64_e32 v[116:117], v[126:127], v[120:121]
	s_waitcnt vmcnt(6)
	v_fmac_f64_e32 v[116:117], v[128:129], v[122:123]
	ds_read2_b64 v[120:123], v118 offset0:89 offset1:90
	s_waitcnt vmcnt(4) lgkmcnt(0)
	v_fmac_f64_e32 v[116:117], v[130:131], v[120:121]
	s_waitcnt vmcnt(2)
	v_fmac_f64_e32 v[116:117], v[132:133], v[122:123]
	ds_read2_b64 v[120:123], v118 offset0:91 offset1:92
	s_waitcnt vmcnt(0) lgkmcnt(0)
	v_fmac_f64_e32 v[116:117], v[134:135], v[120:121]
	buffer_load_dword v121, off, s[0:3], 0 offset:292
	buffer_load_dword v120, off, s[0:3], 0 offset:288
	buffer_load_dword v125, off, s[0:3], 0 offset:300
	buffer_load_dword v124, off, s[0:3], 0 offset:296
	s_waitcnt vmcnt(2)
	v_fmac_f64_e32 v[116:117], v[120:121], v[122:123]
	ds_read2_b64 v[120:123], v118 offset0:93 offset1:94
	s_waitcnt vmcnt(0) lgkmcnt(0)
	v_fmac_f64_e32 v[116:117], v[124:125], v[120:121]
	buffer_load_dword v121, off, s[0:3], 0 offset:308
	buffer_load_dword v120, off, s[0:3], 0 offset:304
	buffer_load_dword v125, off, s[0:3], 0 offset:316
	buffer_load_dword v124, off, s[0:3], 0 offset:312
	s_waitcnt vmcnt(2)
	v_fmac_f64_e32 v[116:117], v[120:121], v[122:123]
	ds_read2_b64 v[120:123], v118 offset0:95 offset1:96
	s_waitcnt vmcnt(0) lgkmcnt(0)
	v_fmac_f64_e32 v[116:117], v[124:125], v[120:121]
	;; [unrolled: 9-line block ×9, first 2 shown]
	buffer_load_dword v121, off, s[0:3], 0 offset:436
	buffer_load_dword v120, off, s[0:3], 0 offset:432
	s_waitcnt vmcnt(0)
	v_fmac_f64_e32 v[116:117], v[120:121], v[122:123]
	buffer_load_dword v121, off, s[0:3], 0 offset:444
	buffer_load_dword v120, off, s[0:3], 0 offset:440
	ds_read_b64 v[122:123], v118 offset:888
	s_waitcnt vmcnt(0) lgkmcnt(0)
	v_fmac_f64_e32 v[116:117], v[120:121], v[122:123]
	v_add_f64 v[114:115], v[114:115], -v[116:117]
	buffer_store_dword v115, off, s[0:3], 0 offset:228
	buffer_store_dword v114, off, s[0:3], 0 offset:224
	s_and_saveexec_b64 s[4:5], vcc
	s_cbranch_execz .LBB55_289
; %bb.288:
	buffer_load_dword v114, off, s[0:3], 0 offset:216
	buffer_load_dword v115, off, s[0:3], 0 offset:220
	s_waitcnt vmcnt(0)
	ds_write_b64 v1, v[114:115]
	buffer_store_dword v118, off, s[0:3], 0 offset:216
	buffer_store_dword v118, off, s[0:3], 0 offset:220
.LBB55_289:
	s_or_b64 exec, exec, s[4:5]
	s_waitcnt lgkmcnt(0)
	; wave barrier
	s_waitcnt lgkmcnt(0)
	buffer_load_dword v114, off, s[0:3], 0 offset:216
	buffer_load_dword v115, off, s[0:3], 0 offset:220
	;; [unrolled: 1-line block ×16, first 2 shown]
	ds_read_b128 v[120:123], v118 offset:672
	ds_read_b128 v[124:127], v118 offset:688
	;; [unrolled: 1-line block ×4, first 2 shown]
	v_cmp_lt_u32_e32 vcc, 26, v0
	s_waitcnt vmcnt(12) lgkmcnt(3)
	v_fma_f64 v[116:117], v[116:117], v[120:121], 0
	buffer_load_dword v121, off, s[0:3], 0 offset:284
	buffer_load_dword v120, off, s[0:3], 0 offset:280
	s_waitcnt vmcnt(12)
	v_fmac_f64_e32 v[116:117], v[136:137], v[122:123]
	s_waitcnt vmcnt(10) lgkmcnt(2)
	v_fmac_f64_e32 v[116:117], v[138:139], v[124:125]
	buffer_load_dword v125, off, s[0:3], 0 offset:292
	buffer_load_dword v124, off, s[0:3], 0 offset:288
	s_waitcnt vmcnt(10)
	v_fmac_f64_e32 v[116:117], v[140:141], v[126:127]
	s_waitcnt vmcnt(8) lgkmcnt(1)
	v_fmac_f64_e32 v[116:117], v[142:143], v[128:129]
	s_waitcnt vmcnt(6)
	v_fmac_f64_e32 v[116:117], v[144:145], v[130:131]
	s_waitcnt vmcnt(4) lgkmcnt(0)
	v_fmac_f64_e32 v[116:117], v[146:147], v[132:133]
	s_waitcnt vmcnt(2)
	v_fmac_f64_e32 v[116:117], v[120:121], v[134:135]
	ds_read_b128 v[120:123], v118 offset:736
	s_waitcnt vmcnt(0) lgkmcnt(0)
	v_fmac_f64_e32 v[116:117], v[124:125], v[120:121]
	buffer_load_dword v121, off, s[0:3], 0 offset:300
	buffer_load_dword v120, off, s[0:3], 0 offset:296
	buffer_load_dword v125, off, s[0:3], 0 offset:308
	buffer_load_dword v124, off, s[0:3], 0 offset:304
	s_waitcnt vmcnt(2)
	v_fmac_f64_e32 v[116:117], v[120:121], v[122:123]
	ds_read_b128 v[120:123], v118 offset:752
	s_waitcnt vmcnt(0) lgkmcnt(0)
	v_fmac_f64_e32 v[116:117], v[124:125], v[120:121]
	buffer_load_dword v121, off, s[0:3], 0 offset:316
	buffer_load_dword v120, off, s[0:3], 0 offset:312
	buffer_load_dword v125, off, s[0:3], 0 offset:324
	buffer_load_dword v124, off, s[0:3], 0 offset:320
	;; [unrolled: 9-line block ×8, first 2 shown]
	s_waitcnt vmcnt(2)
	v_fmac_f64_e32 v[116:117], v[120:121], v[122:123]
	ds_read_b128 v[120:123], v118 offset:864
	s_waitcnt vmcnt(0) lgkmcnt(0)
	v_fmac_f64_e32 v[116:117], v[124:125], v[120:121]
	buffer_load_dword v121, off, s[0:3], 0 offset:428
	buffer_load_dword v120, off, s[0:3], 0 offset:424
	s_waitcnt vmcnt(0)
	v_fmac_f64_e32 v[116:117], v[120:121], v[122:123]
	buffer_load_dword v123, off, s[0:3], 0 offset:436
	buffer_load_dword v122, off, s[0:3], 0 offset:432
	ds_read_b128 v[118:121], v118 offset:880
	s_waitcnt vmcnt(0) lgkmcnt(0)
	v_fmac_f64_e32 v[116:117], v[122:123], v[118:119]
	buffer_load_dword v119, off, s[0:3], 0 offset:444
	buffer_load_dword v118, off, s[0:3], 0 offset:440
	s_waitcnt vmcnt(0)
	v_fmac_f64_e32 v[116:117], v[118:119], v[120:121]
	v_add_f64 v[114:115], v[114:115], -v[116:117]
	buffer_store_dword v115, off, s[0:3], 0 offset:220
	buffer_store_dword v114, off, s[0:3], 0 offset:216
	s_and_saveexec_b64 s[4:5], vcc
	s_cbranch_execz .LBB55_291
; %bb.290:
	buffer_load_dword v114, off, s[0:3], 0 offset:208
	buffer_load_dword v115, off, s[0:3], 0 offset:212
	v_mov_b32_e32 v116, 0
	buffer_store_dword v116, off, s[0:3], 0 offset:208
	buffer_store_dword v116, off, s[0:3], 0 offset:212
	s_waitcnt vmcnt(2)
	ds_write_b64 v1, v[114:115]
.LBB55_291:
	s_or_b64 exec, exec, s[4:5]
	s_waitcnt lgkmcnt(0)
	; wave barrier
	s_waitcnt lgkmcnt(0)
	buffer_load_dword v114, off, s[0:3], 0 offset:208
	buffer_load_dword v115, off, s[0:3], 0 offset:212
	;; [unrolled: 1-line block ×16, first 2 shown]
	v_mov_b32_e32 v118, 0
	ds_read2_b64 v[120:123], v118 offset0:83 offset1:84
	v_cmp_lt_u32_e32 vcc, 25, v0
	s_waitcnt vmcnt(12) lgkmcnt(0)
	v_fma_f64 v[116:117], v[116:117], v[120:121], 0
	s_waitcnt vmcnt(10)
	v_fmac_f64_e32 v[116:117], v[124:125], v[122:123]
	ds_read2_b64 v[120:123], v118 offset0:85 offset1:86
	s_waitcnt vmcnt(8) lgkmcnt(0)
	v_fmac_f64_e32 v[116:117], v[126:127], v[120:121]
	s_waitcnt vmcnt(6)
	v_fmac_f64_e32 v[116:117], v[128:129], v[122:123]
	ds_read2_b64 v[120:123], v118 offset0:87 offset1:88
	s_waitcnt vmcnt(4) lgkmcnt(0)
	v_fmac_f64_e32 v[116:117], v[130:131], v[120:121]
	;; [unrolled: 5-line block ×3, first 2 shown]
	buffer_load_dword v121, off, s[0:3], 0 offset:276
	buffer_load_dword v120, off, s[0:3], 0 offset:272
	buffer_load_dword v125, off, s[0:3], 0 offset:284
	buffer_load_dword v124, off, s[0:3], 0 offset:280
	s_waitcnt vmcnt(2)
	v_fmac_f64_e32 v[116:117], v[120:121], v[122:123]
	ds_read2_b64 v[120:123], v118 offset0:91 offset1:92
	s_waitcnt vmcnt(0) lgkmcnt(0)
	v_fmac_f64_e32 v[116:117], v[124:125], v[120:121]
	buffer_load_dword v121, off, s[0:3], 0 offset:292
	buffer_load_dword v120, off, s[0:3], 0 offset:288
	buffer_load_dword v125, off, s[0:3], 0 offset:300
	buffer_load_dword v124, off, s[0:3], 0 offset:296
	s_waitcnt vmcnt(2)
	v_fmac_f64_e32 v[116:117], v[120:121], v[122:123]
	ds_read2_b64 v[120:123], v118 offset0:93 offset1:94
	s_waitcnt vmcnt(0) lgkmcnt(0)
	v_fmac_f64_e32 v[116:117], v[124:125], v[120:121]
	;; [unrolled: 9-line block ×10, first 2 shown]
	buffer_load_dword v121, off, s[0:3], 0 offset:436
	buffer_load_dword v120, off, s[0:3], 0 offset:432
	s_waitcnt vmcnt(0)
	v_fmac_f64_e32 v[116:117], v[120:121], v[122:123]
	buffer_load_dword v121, off, s[0:3], 0 offset:444
	buffer_load_dword v120, off, s[0:3], 0 offset:440
	ds_read_b64 v[122:123], v118 offset:888
	s_waitcnt vmcnt(0) lgkmcnt(0)
	v_fmac_f64_e32 v[116:117], v[120:121], v[122:123]
	v_add_f64 v[114:115], v[114:115], -v[116:117]
	buffer_store_dword v115, off, s[0:3], 0 offset:212
	buffer_store_dword v114, off, s[0:3], 0 offset:208
	s_and_saveexec_b64 s[4:5], vcc
	s_cbranch_execz .LBB55_293
; %bb.292:
	buffer_load_dword v114, off, s[0:3], 0 offset:200
	buffer_load_dword v115, off, s[0:3], 0 offset:204
	s_waitcnt vmcnt(0)
	ds_write_b64 v1, v[114:115]
	buffer_store_dword v118, off, s[0:3], 0 offset:200
	buffer_store_dword v118, off, s[0:3], 0 offset:204
.LBB55_293:
	s_or_b64 exec, exec, s[4:5]
	s_waitcnt lgkmcnt(0)
	; wave barrier
	s_waitcnt lgkmcnt(0)
	buffer_load_dword v114, off, s[0:3], 0 offset:200
	buffer_load_dword v115, off, s[0:3], 0 offset:204
	;; [unrolled: 1-line block ×16, first 2 shown]
	ds_read_b128 v[120:123], v118 offset:656
	ds_read_b128 v[124:127], v118 offset:672
	;; [unrolled: 1-line block ×4, first 2 shown]
	v_cmp_lt_u32_e32 vcc, 24, v0
	s_waitcnt vmcnt(12) lgkmcnt(3)
	v_fma_f64 v[116:117], v[116:117], v[120:121], 0
	buffer_load_dword v121, off, s[0:3], 0 offset:268
	buffer_load_dword v120, off, s[0:3], 0 offset:264
	s_waitcnt vmcnt(12)
	v_fmac_f64_e32 v[116:117], v[136:137], v[122:123]
	s_waitcnt vmcnt(10) lgkmcnt(2)
	v_fmac_f64_e32 v[116:117], v[138:139], v[124:125]
	buffer_load_dword v125, off, s[0:3], 0 offset:276
	buffer_load_dword v124, off, s[0:3], 0 offset:272
	s_waitcnt vmcnt(10)
	v_fmac_f64_e32 v[116:117], v[140:141], v[126:127]
	s_waitcnt vmcnt(8) lgkmcnt(1)
	v_fmac_f64_e32 v[116:117], v[142:143], v[128:129]
	s_waitcnt vmcnt(6)
	v_fmac_f64_e32 v[116:117], v[144:145], v[130:131]
	s_waitcnt vmcnt(4) lgkmcnt(0)
	v_fmac_f64_e32 v[116:117], v[146:147], v[132:133]
	s_waitcnt vmcnt(2)
	v_fmac_f64_e32 v[116:117], v[120:121], v[134:135]
	ds_read_b128 v[120:123], v118 offset:720
	s_waitcnt vmcnt(0) lgkmcnt(0)
	v_fmac_f64_e32 v[116:117], v[124:125], v[120:121]
	buffer_load_dword v121, off, s[0:3], 0 offset:284
	buffer_load_dword v120, off, s[0:3], 0 offset:280
	buffer_load_dword v125, off, s[0:3], 0 offset:292
	buffer_load_dword v124, off, s[0:3], 0 offset:288
	s_waitcnt vmcnt(2)
	v_fmac_f64_e32 v[116:117], v[120:121], v[122:123]
	ds_read_b128 v[120:123], v118 offset:736
	s_waitcnt vmcnt(0) lgkmcnt(0)
	v_fmac_f64_e32 v[116:117], v[124:125], v[120:121]
	buffer_load_dword v121, off, s[0:3], 0 offset:300
	buffer_load_dword v120, off, s[0:3], 0 offset:296
	buffer_load_dword v125, off, s[0:3], 0 offset:308
	buffer_load_dword v124, off, s[0:3], 0 offset:304
	;; [unrolled: 9-line block ×9, first 2 shown]
	s_waitcnt vmcnt(2)
	v_fmac_f64_e32 v[116:117], v[120:121], v[122:123]
	ds_read_b128 v[120:123], v118 offset:864
	s_waitcnt vmcnt(0) lgkmcnt(0)
	v_fmac_f64_e32 v[116:117], v[124:125], v[120:121]
	buffer_load_dword v121, off, s[0:3], 0 offset:428
	buffer_load_dword v120, off, s[0:3], 0 offset:424
	s_waitcnt vmcnt(0)
	v_fmac_f64_e32 v[116:117], v[120:121], v[122:123]
	buffer_load_dword v123, off, s[0:3], 0 offset:436
	buffer_load_dword v122, off, s[0:3], 0 offset:432
	ds_read_b128 v[118:121], v118 offset:880
	s_waitcnt vmcnt(0) lgkmcnt(0)
	v_fmac_f64_e32 v[116:117], v[122:123], v[118:119]
	buffer_load_dword v119, off, s[0:3], 0 offset:444
	buffer_load_dword v118, off, s[0:3], 0 offset:440
	s_waitcnt vmcnt(0)
	v_fmac_f64_e32 v[116:117], v[118:119], v[120:121]
	v_add_f64 v[114:115], v[114:115], -v[116:117]
	buffer_store_dword v115, off, s[0:3], 0 offset:204
	buffer_store_dword v114, off, s[0:3], 0 offset:200
	s_and_saveexec_b64 s[4:5], vcc
	s_cbranch_execz .LBB55_295
; %bb.294:
	buffer_load_dword v114, off, s[0:3], 0 offset:192
	buffer_load_dword v115, off, s[0:3], 0 offset:196
	v_mov_b32_e32 v116, 0
	buffer_store_dword v116, off, s[0:3], 0 offset:192
	buffer_store_dword v116, off, s[0:3], 0 offset:196
	s_waitcnt vmcnt(2)
	ds_write_b64 v1, v[114:115]
.LBB55_295:
	s_or_b64 exec, exec, s[4:5]
	s_waitcnt lgkmcnt(0)
	; wave barrier
	s_waitcnt lgkmcnt(0)
	buffer_load_dword v114, off, s[0:3], 0 offset:192
	buffer_load_dword v115, off, s[0:3], 0 offset:196
	;; [unrolled: 1-line block ×16, first 2 shown]
	v_mov_b32_e32 v118, 0
	ds_read2_b64 v[120:123], v118 offset0:81 offset1:82
	v_cmp_lt_u32_e32 vcc, 23, v0
	s_waitcnt vmcnt(12) lgkmcnt(0)
	v_fma_f64 v[116:117], v[116:117], v[120:121], 0
	s_waitcnt vmcnt(10)
	v_fmac_f64_e32 v[116:117], v[124:125], v[122:123]
	ds_read2_b64 v[120:123], v118 offset0:83 offset1:84
	s_waitcnt vmcnt(8) lgkmcnt(0)
	v_fmac_f64_e32 v[116:117], v[126:127], v[120:121]
	s_waitcnt vmcnt(6)
	v_fmac_f64_e32 v[116:117], v[128:129], v[122:123]
	ds_read2_b64 v[120:123], v118 offset0:85 offset1:86
	s_waitcnt vmcnt(4) lgkmcnt(0)
	v_fmac_f64_e32 v[116:117], v[130:131], v[120:121]
	;; [unrolled: 5-line block ×3, first 2 shown]
	buffer_load_dword v121, off, s[0:3], 0 offset:260
	buffer_load_dword v120, off, s[0:3], 0 offset:256
	buffer_load_dword v125, off, s[0:3], 0 offset:268
	buffer_load_dword v124, off, s[0:3], 0 offset:264
	s_waitcnt vmcnt(2)
	v_fmac_f64_e32 v[116:117], v[120:121], v[122:123]
	ds_read2_b64 v[120:123], v118 offset0:89 offset1:90
	s_waitcnt vmcnt(0) lgkmcnt(0)
	v_fmac_f64_e32 v[116:117], v[124:125], v[120:121]
	buffer_load_dword v121, off, s[0:3], 0 offset:276
	buffer_load_dword v120, off, s[0:3], 0 offset:272
	buffer_load_dword v125, off, s[0:3], 0 offset:284
	buffer_load_dword v124, off, s[0:3], 0 offset:280
	s_waitcnt vmcnt(2)
	v_fmac_f64_e32 v[116:117], v[120:121], v[122:123]
	ds_read2_b64 v[120:123], v118 offset0:91 offset1:92
	s_waitcnt vmcnt(0) lgkmcnt(0)
	v_fmac_f64_e32 v[116:117], v[124:125], v[120:121]
	;; [unrolled: 9-line block ×11, first 2 shown]
	buffer_load_dword v121, off, s[0:3], 0 offset:436
	buffer_load_dword v120, off, s[0:3], 0 offset:432
	s_waitcnt vmcnt(0)
	v_fmac_f64_e32 v[116:117], v[120:121], v[122:123]
	buffer_load_dword v121, off, s[0:3], 0 offset:444
	buffer_load_dword v120, off, s[0:3], 0 offset:440
	ds_read_b64 v[122:123], v118 offset:888
	s_waitcnt vmcnt(0) lgkmcnt(0)
	v_fmac_f64_e32 v[116:117], v[120:121], v[122:123]
	v_add_f64 v[114:115], v[114:115], -v[116:117]
	buffer_store_dword v115, off, s[0:3], 0 offset:196
	buffer_store_dword v114, off, s[0:3], 0 offset:192
	s_and_saveexec_b64 s[4:5], vcc
	s_cbranch_execz .LBB55_297
; %bb.296:
	buffer_load_dword v114, off, s[0:3], 0 offset:184
	buffer_load_dword v115, off, s[0:3], 0 offset:188
	s_waitcnt vmcnt(0)
	ds_write_b64 v1, v[114:115]
	buffer_store_dword v118, off, s[0:3], 0 offset:184
	buffer_store_dword v118, off, s[0:3], 0 offset:188
.LBB55_297:
	s_or_b64 exec, exec, s[4:5]
	s_waitcnt lgkmcnt(0)
	; wave barrier
	s_waitcnt lgkmcnt(0)
	buffer_load_dword v114, off, s[0:3], 0 offset:184
	buffer_load_dword v115, off, s[0:3], 0 offset:188
	;; [unrolled: 1-line block ×16, first 2 shown]
	ds_read_b128 v[120:123], v118 offset:640
	ds_read_b128 v[124:127], v118 offset:656
	ds_read_b128 v[128:131], v118 offset:672
	ds_read_b128 v[132:135], v118 offset:688
	v_cmp_lt_u32_e32 vcc, 22, v0
	s_waitcnt vmcnt(12) lgkmcnt(3)
	v_fma_f64 v[116:117], v[116:117], v[120:121], 0
	buffer_load_dword v121, off, s[0:3], 0 offset:252
	buffer_load_dword v120, off, s[0:3], 0 offset:248
	s_waitcnt vmcnt(12)
	v_fmac_f64_e32 v[116:117], v[136:137], v[122:123]
	s_waitcnt vmcnt(10) lgkmcnt(2)
	v_fmac_f64_e32 v[116:117], v[138:139], v[124:125]
	buffer_load_dword v125, off, s[0:3], 0 offset:260
	buffer_load_dword v124, off, s[0:3], 0 offset:256
	s_waitcnt vmcnt(10)
	v_fmac_f64_e32 v[116:117], v[140:141], v[126:127]
	s_waitcnt vmcnt(8) lgkmcnt(1)
	v_fmac_f64_e32 v[116:117], v[142:143], v[128:129]
	s_waitcnt vmcnt(6)
	v_fmac_f64_e32 v[116:117], v[144:145], v[130:131]
	s_waitcnt vmcnt(4) lgkmcnt(0)
	v_fmac_f64_e32 v[116:117], v[146:147], v[132:133]
	s_waitcnt vmcnt(2)
	v_fmac_f64_e32 v[116:117], v[120:121], v[134:135]
	ds_read_b128 v[120:123], v118 offset:704
	s_waitcnt vmcnt(0) lgkmcnt(0)
	v_fmac_f64_e32 v[116:117], v[124:125], v[120:121]
	buffer_load_dword v121, off, s[0:3], 0 offset:268
	buffer_load_dword v120, off, s[0:3], 0 offset:264
	buffer_load_dword v125, off, s[0:3], 0 offset:276
	buffer_load_dword v124, off, s[0:3], 0 offset:272
	s_waitcnt vmcnt(2)
	v_fmac_f64_e32 v[116:117], v[120:121], v[122:123]
	ds_read_b128 v[120:123], v118 offset:720
	s_waitcnt vmcnt(0) lgkmcnt(0)
	v_fmac_f64_e32 v[116:117], v[124:125], v[120:121]
	buffer_load_dword v121, off, s[0:3], 0 offset:284
	buffer_load_dword v120, off, s[0:3], 0 offset:280
	buffer_load_dword v125, off, s[0:3], 0 offset:292
	buffer_load_dword v124, off, s[0:3], 0 offset:288
	;; [unrolled: 9-line block ×10, first 2 shown]
	s_waitcnt vmcnt(2)
	v_fmac_f64_e32 v[116:117], v[120:121], v[122:123]
	ds_read_b128 v[120:123], v118 offset:864
	s_waitcnt vmcnt(0) lgkmcnt(0)
	v_fmac_f64_e32 v[116:117], v[124:125], v[120:121]
	buffer_load_dword v121, off, s[0:3], 0 offset:428
	buffer_load_dword v120, off, s[0:3], 0 offset:424
	s_waitcnt vmcnt(0)
	v_fmac_f64_e32 v[116:117], v[120:121], v[122:123]
	buffer_load_dword v123, off, s[0:3], 0 offset:436
	buffer_load_dword v122, off, s[0:3], 0 offset:432
	ds_read_b128 v[118:121], v118 offset:880
	s_waitcnt vmcnt(0) lgkmcnt(0)
	v_fmac_f64_e32 v[116:117], v[122:123], v[118:119]
	buffer_load_dword v119, off, s[0:3], 0 offset:444
	buffer_load_dword v118, off, s[0:3], 0 offset:440
	s_waitcnt vmcnt(0)
	v_fmac_f64_e32 v[116:117], v[118:119], v[120:121]
	v_add_f64 v[114:115], v[114:115], -v[116:117]
	buffer_store_dword v115, off, s[0:3], 0 offset:188
	buffer_store_dword v114, off, s[0:3], 0 offset:184
	s_and_saveexec_b64 s[4:5], vcc
	s_cbranch_execz .LBB55_299
; %bb.298:
	buffer_load_dword v114, off, s[0:3], 0 offset:176
	buffer_load_dword v115, off, s[0:3], 0 offset:180
	v_mov_b32_e32 v116, 0
	buffer_store_dword v116, off, s[0:3], 0 offset:176
	buffer_store_dword v116, off, s[0:3], 0 offset:180
	s_waitcnt vmcnt(2)
	ds_write_b64 v1, v[114:115]
.LBB55_299:
	s_or_b64 exec, exec, s[4:5]
	s_waitcnt lgkmcnt(0)
	; wave barrier
	s_waitcnt lgkmcnt(0)
	buffer_load_dword v114, off, s[0:3], 0 offset:176
	buffer_load_dword v115, off, s[0:3], 0 offset:180
	;; [unrolled: 1-line block ×16, first 2 shown]
	v_mov_b32_e32 v118, 0
	ds_read2_b64 v[120:123], v118 offset0:79 offset1:80
	v_cmp_lt_u32_e32 vcc, 21, v0
	s_waitcnt vmcnt(12) lgkmcnt(0)
	v_fma_f64 v[116:117], v[116:117], v[120:121], 0
	s_waitcnt vmcnt(10)
	v_fmac_f64_e32 v[116:117], v[124:125], v[122:123]
	ds_read2_b64 v[120:123], v118 offset0:81 offset1:82
	s_waitcnt vmcnt(8) lgkmcnt(0)
	v_fmac_f64_e32 v[116:117], v[126:127], v[120:121]
	s_waitcnt vmcnt(6)
	v_fmac_f64_e32 v[116:117], v[128:129], v[122:123]
	ds_read2_b64 v[120:123], v118 offset0:83 offset1:84
	s_waitcnt vmcnt(4) lgkmcnt(0)
	v_fmac_f64_e32 v[116:117], v[130:131], v[120:121]
	;; [unrolled: 5-line block ×3, first 2 shown]
	buffer_load_dword v121, off, s[0:3], 0 offset:244
	buffer_load_dword v120, off, s[0:3], 0 offset:240
	buffer_load_dword v125, off, s[0:3], 0 offset:252
	buffer_load_dword v124, off, s[0:3], 0 offset:248
	s_waitcnt vmcnt(2)
	v_fmac_f64_e32 v[116:117], v[120:121], v[122:123]
	ds_read2_b64 v[120:123], v118 offset0:87 offset1:88
	s_waitcnt vmcnt(0) lgkmcnt(0)
	v_fmac_f64_e32 v[116:117], v[124:125], v[120:121]
	buffer_load_dword v121, off, s[0:3], 0 offset:260
	buffer_load_dword v120, off, s[0:3], 0 offset:256
	buffer_load_dword v125, off, s[0:3], 0 offset:268
	buffer_load_dword v124, off, s[0:3], 0 offset:264
	s_waitcnt vmcnt(2)
	v_fmac_f64_e32 v[116:117], v[120:121], v[122:123]
	ds_read2_b64 v[120:123], v118 offset0:89 offset1:90
	s_waitcnt vmcnt(0) lgkmcnt(0)
	v_fmac_f64_e32 v[116:117], v[124:125], v[120:121]
	;; [unrolled: 9-line block ×12, first 2 shown]
	buffer_load_dword v121, off, s[0:3], 0 offset:436
	buffer_load_dword v120, off, s[0:3], 0 offset:432
	s_waitcnt vmcnt(0)
	v_fmac_f64_e32 v[116:117], v[120:121], v[122:123]
	buffer_load_dword v121, off, s[0:3], 0 offset:444
	buffer_load_dword v120, off, s[0:3], 0 offset:440
	ds_read_b64 v[122:123], v118 offset:888
	s_waitcnt vmcnt(0) lgkmcnt(0)
	v_fmac_f64_e32 v[116:117], v[120:121], v[122:123]
	v_add_f64 v[114:115], v[114:115], -v[116:117]
	buffer_store_dword v115, off, s[0:3], 0 offset:180
	buffer_store_dword v114, off, s[0:3], 0 offset:176
	s_and_saveexec_b64 s[4:5], vcc
	s_cbranch_execz .LBB55_301
; %bb.300:
	buffer_load_dword v114, off, s[0:3], 0 offset:168
	buffer_load_dword v115, off, s[0:3], 0 offset:172
	s_waitcnt vmcnt(0)
	ds_write_b64 v1, v[114:115]
	buffer_store_dword v118, off, s[0:3], 0 offset:168
	buffer_store_dword v118, off, s[0:3], 0 offset:172
.LBB55_301:
	s_or_b64 exec, exec, s[4:5]
	s_waitcnt lgkmcnt(0)
	; wave barrier
	s_waitcnt lgkmcnt(0)
	buffer_load_dword v114, off, s[0:3], 0 offset:168
	buffer_load_dword v115, off, s[0:3], 0 offset:172
	;; [unrolled: 1-line block ×16, first 2 shown]
	ds_read_b128 v[120:123], v118 offset:624
	ds_read_b128 v[124:127], v118 offset:640
	;; [unrolled: 1-line block ×4, first 2 shown]
	v_cmp_lt_u32_e32 vcc, 20, v0
	s_waitcnt vmcnt(12) lgkmcnt(3)
	v_fma_f64 v[116:117], v[116:117], v[120:121], 0
	buffer_load_dword v121, off, s[0:3], 0 offset:236
	buffer_load_dword v120, off, s[0:3], 0 offset:232
	s_waitcnt vmcnt(12)
	v_fmac_f64_e32 v[116:117], v[136:137], v[122:123]
	s_waitcnt vmcnt(10) lgkmcnt(2)
	v_fmac_f64_e32 v[116:117], v[138:139], v[124:125]
	buffer_load_dword v125, off, s[0:3], 0 offset:244
	buffer_load_dword v124, off, s[0:3], 0 offset:240
	s_waitcnt vmcnt(10)
	v_fmac_f64_e32 v[116:117], v[140:141], v[126:127]
	s_waitcnt vmcnt(8) lgkmcnt(1)
	v_fmac_f64_e32 v[116:117], v[142:143], v[128:129]
	s_waitcnt vmcnt(6)
	v_fmac_f64_e32 v[116:117], v[144:145], v[130:131]
	s_waitcnt vmcnt(4) lgkmcnt(0)
	v_fmac_f64_e32 v[116:117], v[146:147], v[132:133]
	s_waitcnt vmcnt(2)
	v_fmac_f64_e32 v[116:117], v[120:121], v[134:135]
	ds_read_b128 v[120:123], v118 offset:688
	s_waitcnt vmcnt(0) lgkmcnt(0)
	v_fmac_f64_e32 v[116:117], v[124:125], v[120:121]
	buffer_load_dword v121, off, s[0:3], 0 offset:252
	buffer_load_dword v120, off, s[0:3], 0 offset:248
	buffer_load_dword v125, off, s[0:3], 0 offset:260
	buffer_load_dword v124, off, s[0:3], 0 offset:256
	s_waitcnt vmcnt(2)
	v_fmac_f64_e32 v[116:117], v[120:121], v[122:123]
	ds_read_b128 v[120:123], v118 offset:704
	s_waitcnt vmcnt(0) lgkmcnt(0)
	v_fmac_f64_e32 v[116:117], v[124:125], v[120:121]
	buffer_load_dword v121, off, s[0:3], 0 offset:268
	buffer_load_dword v120, off, s[0:3], 0 offset:264
	buffer_load_dword v125, off, s[0:3], 0 offset:276
	buffer_load_dword v124, off, s[0:3], 0 offset:272
	;; [unrolled: 9-line block ×11, first 2 shown]
	s_waitcnt vmcnt(2)
	v_fmac_f64_e32 v[116:117], v[120:121], v[122:123]
	ds_read_b128 v[120:123], v118 offset:864
	s_waitcnt vmcnt(0) lgkmcnt(0)
	v_fmac_f64_e32 v[116:117], v[124:125], v[120:121]
	buffer_load_dword v121, off, s[0:3], 0 offset:428
	buffer_load_dword v120, off, s[0:3], 0 offset:424
	s_waitcnt vmcnt(0)
	v_fmac_f64_e32 v[116:117], v[120:121], v[122:123]
	buffer_load_dword v123, off, s[0:3], 0 offset:436
	buffer_load_dword v122, off, s[0:3], 0 offset:432
	ds_read_b128 v[118:121], v118 offset:880
	s_waitcnt vmcnt(0) lgkmcnt(0)
	v_fmac_f64_e32 v[116:117], v[122:123], v[118:119]
	buffer_load_dword v119, off, s[0:3], 0 offset:444
	buffer_load_dword v118, off, s[0:3], 0 offset:440
	s_waitcnt vmcnt(0)
	v_fmac_f64_e32 v[116:117], v[118:119], v[120:121]
	v_add_f64 v[114:115], v[114:115], -v[116:117]
	buffer_store_dword v115, off, s[0:3], 0 offset:172
	buffer_store_dword v114, off, s[0:3], 0 offset:168
	s_and_saveexec_b64 s[4:5], vcc
	s_cbranch_execz .LBB55_303
; %bb.302:
	buffer_load_dword v114, off, s[0:3], 0 offset:160
	buffer_load_dword v115, off, s[0:3], 0 offset:164
	v_mov_b32_e32 v116, 0
	buffer_store_dword v116, off, s[0:3], 0 offset:160
	buffer_store_dword v116, off, s[0:3], 0 offset:164
	s_waitcnt vmcnt(2)
	ds_write_b64 v1, v[114:115]
.LBB55_303:
	s_or_b64 exec, exec, s[4:5]
	s_waitcnt lgkmcnt(0)
	; wave barrier
	s_waitcnt lgkmcnt(0)
	buffer_load_dword v114, off, s[0:3], 0 offset:160
	buffer_load_dword v115, off, s[0:3], 0 offset:164
	;; [unrolled: 1-line block ×16, first 2 shown]
	v_mov_b32_e32 v118, 0
	ds_read2_b64 v[120:123], v118 offset0:77 offset1:78
	v_cmp_lt_u32_e32 vcc, 19, v0
	s_waitcnt vmcnt(12) lgkmcnt(0)
	v_fma_f64 v[116:117], v[116:117], v[120:121], 0
	s_waitcnt vmcnt(10)
	v_fmac_f64_e32 v[116:117], v[124:125], v[122:123]
	ds_read2_b64 v[120:123], v118 offset0:79 offset1:80
	s_waitcnt vmcnt(8) lgkmcnt(0)
	v_fmac_f64_e32 v[116:117], v[126:127], v[120:121]
	s_waitcnt vmcnt(6)
	v_fmac_f64_e32 v[116:117], v[128:129], v[122:123]
	ds_read2_b64 v[120:123], v118 offset0:81 offset1:82
	s_waitcnt vmcnt(4) lgkmcnt(0)
	v_fmac_f64_e32 v[116:117], v[130:131], v[120:121]
	;; [unrolled: 5-line block ×3, first 2 shown]
	buffer_load_dword v121, off, s[0:3], 0 offset:228
	buffer_load_dword v120, off, s[0:3], 0 offset:224
	buffer_load_dword v125, off, s[0:3], 0 offset:236
	buffer_load_dword v124, off, s[0:3], 0 offset:232
	s_waitcnt vmcnt(2)
	v_fmac_f64_e32 v[116:117], v[120:121], v[122:123]
	ds_read2_b64 v[120:123], v118 offset0:85 offset1:86
	s_waitcnt vmcnt(0) lgkmcnt(0)
	v_fmac_f64_e32 v[116:117], v[124:125], v[120:121]
	buffer_load_dword v121, off, s[0:3], 0 offset:244
	buffer_load_dword v120, off, s[0:3], 0 offset:240
	buffer_load_dword v125, off, s[0:3], 0 offset:252
	buffer_load_dword v124, off, s[0:3], 0 offset:248
	s_waitcnt vmcnt(2)
	v_fmac_f64_e32 v[116:117], v[120:121], v[122:123]
	ds_read2_b64 v[120:123], v118 offset0:87 offset1:88
	s_waitcnt vmcnt(0) lgkmcnt(0)
	v_fmac_f64_e32 v[116:117], v[124:125], v[120:121]
	;; [unrolled: 9-line block ×13, first 2 shown]
	buffer_load_dword v121, off, s[0:3], 0 offset:436
	buffer_load_dword v120, off, s[0:3], 0 offset:432
	s_waitcnt vmcnt(0)
	v_fmac_f64_e32 v[116:117], v[120:121], v[122:123]
	buffer_load_dword v121, off, s[0:3], 0 offset:444
	buffer_load_dword v120, off, s[0:3], 0 offset:440
	ds_read_b64 v[122:123], v118 offset:888
	s_waitcnt vmcnt(0) lgkmcnt(0)
	v_fmac_f64_e32 v[116:117], v[120:121], v[122:123]
	v_add_f64 v[114:115], v[114:115], -v[116:117]
	buffer_store_dword v115, off, s[0:3], 0 offset:164
	buffer_store_dword v114, off, s[0:3], 0 offset:160
	s_and_saveexec_b64 s[4:5], vcc
	s_cbranch_execz .LBB55_305
; %bb.304:
	buffer_load_dword v114, off, s[0:3], 0 offset:152
	buffer_load_dword v115, off, s[0:3], 0 offset:156
	s_waitcnt vmcnt(0)
	ds_write_b64 v1, v[114:115]
	buffer_store_dword v118, off, s[0:3], 0 offset:152
	buffer_store_dword v118, off, s[0:3], 0 offset:156
.LBB55_305:
	s_or_b64 exec, exec, s[4:5]
	s_waitcnt lgkmcnt(0)
	; wave barrier
	s_waitcnt lgkmcnt(0)
	buffer_load_dword v114, off, s[0:3], 0 offset:152
	buffer_load_dword v115, off, s[0:3], 0 offset:156
	;; [unrolled: 1-line block ×16, first 2 shown]
	ds_read_b128 v[120:123], v118 offset:608
	ds_read_b128 v[124:127], v118 offset:624
	;; [unrolled: 1-line block ×4, first 2 shown]
	v_cmp_lt_u32_e32 vcc, 18, v0
	s_waitcnt vmcnt(12) lgkmcnt(3)
	v_fma_f64 v[116:117], v[116:117], v[120:121], 0
	buffer_load_dword v121, off, s[0:3], 0 offset:220
	buffer_load_dword v120, off, s[0:3], 0 offset:216
	s_waitcnt vmcnt(12)
	v_fmac_f64_e32 v[116:117], v[136:137], v[122:123]
	s_waitcnt vmcnt(10) lgkmcnt(2)
	v_fmac_f64_e32 v[116:117], v[138:139], v[124:125]
	buffer_load_dword v125, off, s[0:3], 0 offset:228
	buffer_load_dword v124, off, s[0:3], 0 offset:224
	s_waitcnt vmcnt(10)
	v_fmac_f64_e32 v[116:117], v[140:141], v[126:127]
	s_waitcnt vmcnt(8) lgkmcnt(1)
	v_fmac_f64_e32 v[116:117], v[142:143], v[128:129]
	s_waitcnt vmcnt(6)
	v_fmac_f64_e32 v[116:117], v[144:145], v[130:131]
	s_waitcnt vmcnt(4) lgkmcnt(0)
	v_fmac_f64_e32 v[116:117], v[146:147], v[132:133]
	s_waitcnt vmcnt(2)
	v_fmac_f64_e32 v[116:117], v[120:121], v[134:135]
	ds_read_b128 v[120:123], v118 offset:672
	s_waitcnt vmcnt(0) lgkmcnt(0)
	v_fmac_f64_e32 v[116:117], v[124:125], v[120:121]
	buffer_load_dword v121, off, s[0:3], 0 offset:236
	buffer_load_dword v120, off, s[0:3], 0 offset:232
	buffer_load_dword v125, off, s[0:3], 0 offset:244
	buffer_load_dword v124, off, s[0:3], 0 offset:240
	s_waitcnt vmcnt(2)
	v_fmac_f64_e32 v[116:117], v[120:121], v[122:123]
	ds_read_b128 v[120:123], v118 offset:688
	s_waitcnt vmcnt(0) lgkmcnt(0)
	v_fmac_f64_e32 v[116:117], v[124:125], v[120:121]
	buffer_load_dword v121, off, s[0:3], 0 offset:252
	buffer_load_dword v120, off, s[0:3], 0 offset:248
	buffer_load_dword v125, off, s[0:3], 0 offset:260
	buffer_load_dword v124, off, s[0:3], 0 offset:256
	s_waitcnt vmcnt(2)
	v_fmac_f64_e32 v[116:117], v[120:121], v[122:123]
	ds_read_b128 v[120:123], v118 offset:704
	s_waitcnt vmcnt(0) lgkmcnt(0)
	v_fmac_f64_e32 v[116:117], v[124:125], v[120:121]
	buffer_load_dword v121, off, s[0:3], 0 offset:268
	buffer_load_dword v120, off, s[0:3], 0 offset:264
	buffer_load_dword v125, off, s[0:3], 0 offset:276
	buffer_load_dword v124, off, s[0:3], 0 offset:272
	s_waitcnt vmcnt(2)
	v_fmac_f64_e32 v[116:117], v[120:121], v[122:123]
	ds_read_b128 v[120:123], v118 offset:720
	s_waitcnt vmcnt(0) lgkmcnt(0)
	v_fmac_f64_e32 v[116:117], v[124:125], v[120:121]
	buffer_load_dword v121, off, s[0:3], 0 offset:284
	buffer_load_dword v120, off, s[0:3], 0 offset:280
	buffer_load_dword v125, off, s[0:3], 0 offset:292
	buffer_load_dword v124, off, s[0:3], 0 offset:288
	s_waitcnt vmcnt(2)
	v_fmac_f64_e32 v[116:117], v[120:121], v[122:123]
	ds_read_b128 v[120:123], v118 offset:736
	s_waitcnt vmcnt(0) lgkmcnt(0)
	v_fmac_f64_e32 v[116:117], v[124:125], v[120:121]
	buffer_load_dword v121, off, s[0:3], 0 offset:300
	buffer_load_dword v120, off, s[0:3], 0 offset:296
	buffer_load_dword v125, off, s[0:3], 0 offset:308
	buffer_load_dword v124, off, s[0:3], 0 offset:304
	s_waitcnt vmcnt(2)
	v_fmac_f64_e32 v[116:117], v[120:121], v[122:123]
	ds_read_b128 v[120:123], v118 offset:752
	s_waitcnt vmcnt(0) lgkmcnt(0)
	v_fmac_f64_e32 v[116:117], v[124:125], v[120:121]
	buffer_load_dword v121, off, s[0:3], 0 offset:316
	buffer_load_dword v120, off, s[0:3], 0 offset:312
	buffer_load_dword v125, off, s[0:3], 0 offset:324
	buffer_load_dword v124, off, s[0:3], 0 offset:320
	s_waitcnt vmcnt(2)
	v_fmac_f64_e32 v[116:117], v[120:121], v[122:123]
	ds_read_b128 v[120:123], v118 offset:768
	s_waitcnt vmcnt(0) lgkmcnt(0)
	v_fmac_f64_e32 v[116:117], v[124:125], v[120:121]
	buffer_load_dword v121, off, s[0:3], 0 offset:332
	buffer_load_dword v120, off, s[0:3], 0 offset:328
	buffer_load_dword v125, off, s[0:3], 0 offset:340
	buffer_load_dword v124, off, s[0:3], 0 offset:336
	s_waitcnt vmcnt(2)
	v_fmac_f64_e32 v[116:117], v[120:121], v[122:123]
	ds_read_b128 v[120:123], v118 offset:784
	s_waitcnt vmcnt(0) lgkmcnt(0)
	v_fmac_f64_e32 v[116:117], v[124:125], v[120:121]
	buffer_load_dword v121, off, s[0:3], 0 offset:348
	buffer_load_dword v120, off, s[0:3], 0 offset:344
	buffer_load_dword v125, off, s[0:3], 0 offset:356
	buffer_load_dword v124, off, s[0:3], 0 offset:352
	s_waitcnt vmcnt(2)
	v_fmac_f64_e32 v[116:117], v[120:121], v[122:123]
	ds_read_b128 v[120:123], v118 offset:800
	s_waitcnt vmcnt(0) lgkmcnt(0)
	v_fmac_f64_e32 v[116:117], v[124:125], v[120:121]
	buffer_load_dword v121, off, s[0:3], 0 offset:364
	buffer_load_dword v120, off, s[0:3], 0 offset:360
	buffer_load_dword v125, off, s[0:3], 0 offset:372
	buffer_load_dword v124, off, s[0:3], 0 offset:368
	s_waitcnt vmcnt(2)
	v_fmac_f64_e32 v[116:117], v[120:121], v[122:123]
	ds_read_b128 v[120:123], v118 offset:816
	s_waitcnt vmcnt(0) lgkmcnt(0)
	v_fmac_f64_e32 v[116:117], v[124:125], v[120:121]
	buffer_load_dword v121, off, s[0:3], 0 offset:380
	buffer_load_dword v120, off, s[0:3], 0 offset:376
	buffer_load_dword v125, off, s[0:3], 0 offset:388
	buffer_load_dword v124, off, s[0:3], 0 offset:384
	s_waitcnt vmcnt(2)
	v_fmac_f64_e32 v[116:117], v[120:121], v[122:123]
	ds_read_b128 v[120:123], v118 offset:832
	s_waitcnt vmcnt(0) lgkmcnt(0)
	v_fmac_f64_e32 v[116:117], v[124:125], v[120:121]
	buffer_load_dword v121, off, s[0:3], 0 offset:396
	buffer_load_dword v120, off, s[0:3], 0 offset:392
	buffer_load_dword v125, off, s[0:3], 0 offset:404
	buffer_load_dword v124, off, s[0:3], 0 offset:400
	s_waitcnt vmcnt(2)
	v_fmac_f64_e32 v[116:117], v[120:121], v[122:123]
	ds_read_b128 v[120:123], v118 offset:848
	s_waitcnt vmcnt(0) lgkmcnt(0)
	v_fmac_f64_e32 v[116:117], v[124:125], v[120:121]
	buffer_load_dword v121, off, s[0:3], 0 offset:412
	buffer_load_dword v120, off, s[0:3], 0 offset:408
	buffer_load_dword v125, off, s[0:3], 0 offset:420
	buffer_load_dword v124, off, s[0:3], 0 offset:416
	s_waitcnt vmcnt(2)
	v_fmac_f64_e32 v[116:117], v[120:121], v[122:123]
	ds_read_b128 v[120:123], v118 offset:864
	s_waitcnt vmcnt(0) lgkmcnt(0)
	v_fmac_f64_e32 v[116:117], v[124:125], v[120:121]
	buffer_load_dword v121, off, s[0:3], 0 offset:428
	buffer_load_dword v120, off, s[0:3], 0 offset:424
	s_waitcnt vmcnt(0)
	v_fmac_f64_e32 v[116:117], v[120:121], v[122:123]
	buffer_load_dword v123, off, s[0:3], 0 offset:436
	buffer_load_dword v122, off, s[0:3], 0 offset:432
	ds_read_b128 v[118:121], v118 offset:880
	s_waitcnt vmcnt(0) lgkmcnt(0)
	v_fmac_f64_e32 v[116:117], v[122:123], v[118:119]
	buffer_load_dword v119, off, s[0:3], 0 offset:444
	buffer_load_dword v118, off, s[0:3], 0 offset:440
	s_waitcnt vmcnt(0)
	v_fmac_f64_e32 v[116:117], v[118:119], v[120:121]
	v_add_f64 v[114:115], v[114:115], -v[116:117]
	buffer_store_dword v115, off, s[0:3], 0 offset:156
	buffer_store_dword v114, off, s[0:3], 0 offset:152
	s_and_saveexec_b64 s[4:5], vcc
	s_cbranch_execz .LBB55_307
; %bb.306:
	buffer_load_dword v114, off, s[0:3], 0 offset:144
	buffer_load_dword v115, off, s[0:3], 0 offset:148
	v_mov_b32_e32 v116, 0
	buffer_store_dword v116, off, s[0:3], 0 offset:144
	buffer_store_dword v116, off, s[0:3], 0 offset:148
	s_waitcnt vmcnt(2)
	ds_write_b64 v1, v[114:115]
.LBB55_307:
	s_or_b64 exec, exec, s[4:5]
	s_waitcnt lgkmcnt(0)
	; wave barrier
	s_waitcnt lgkmcnt(0)
	buffer_load_dword v114, off, s[0:3], 0 offset:144
	buffer_load_dword v115, off, s[0:3], 0 offset:148
	;; [unrolled: 1-line block ×16, first 2 shown]
	v_mov_b32_e32 v118, 0
	ds_read2_b64 v[120:123], v118 offset0:75 offset1:76
	v_cmp_lt_u32_e32 vcc, 17, v0
	s_waitcnt vmcnt(12) lgkmcnt(0)
	v_fma_f64 v[116:117], v[116:117], v[120:121], 0
	s_waitcnt vmcnt(10)
	v_fmac_f64_e32 v[116:117], v[124:125], v[122:123]
	ds_read2_b64 v[120:123], v118 offset0:77 offset1:78
	s_waitcnt vmcnt(8) lgkmcnt(0)
	v_fmac_f64_e32 v[116:117], v[126:127], v[120:121]
	s_waitcnt vmcnt(6)
	v_fmac_f64_e32 v[116:117], v[128:129], v[122:123]
	ds_read2_b64 v[120:123], v118 offset0:79 offset1:80
	s_waitcnt vmcnt(4) lgkmcnt(0)
	v_fmac_f64_e32 v[116:117], v[130:131], v[120:121]
	;; [unrolled: 5-line block ×3, first 2 shown]
	buffer_load_dword v121, off, s[0:3], 0 offset:212
	buffer_load_dword v120, off, s[0:3], 0 offset:208
	buffer_load_dword v125, off, s[0:3], 0 offset:220
	buffer_load_dword v124, off, s[0:3], 0 offset:216
	s_waitcnt vmcnt(2)
	v_fmac_f64_e32 v[116:117], v[120:121], v[122:123]
	ds_read2_b64 v[120:123], v118 offset0:83 offset1:84
	s_waitcnt vmcnt(0) lgkmcnt(0)
	v_fmac_f64_e32 v[116:117], v[124:125], v[120:121]
	buffer_load_dword v121, off, s[0:3], 0 offset:228
	buffer_load_dword v120, off, s[0:3], 0 offset:224
	buffer_load_dword v125, off, s[0:3], 0 offset:236
	buffer_load_dword v124, off, s[0:3], 0 offset:232
	s_waitcnt vmcnt(2)
	v_fmac_f64_e32 v[116:117], v[120:121], v[122:123]
	ds_read2_b64 v[120:123], v118 offset0:85 offset1:86
	s_waitcnt vmcnt(0) lgkmcnt(0)
	v_fmac_f64_e32 v[116:117], v[124:125], v[120:121]
	;; [unrolled: 9-line block ×14, first 2 shown]
	buffer_load_dword v121, off, s[0:3], 0 offset:436
	buffer_load_dword v120, off, s[0:3], 0 offset:432
	s_waitcnt vmcnt(0)
	v_fmac_f64_e32 v[116:117], v[120:121], v[122:123]
	buffer_load_dword v121, off, s[0:3], 0 offset:444
	buffer_load_dword v120, off, s[0:3], 0 offset:440
	ds_read_b64 v[122:123], v118 offset:888
	s_waitcnt vmcnt(0) lgkmcnt(0)
	v_fmac_f64_e32 v[116:117], v[120:121], v[122:123]
	v_add_f64 v[114:115], v[114:115], -v[116:117]
	buffer_store_dword v115, off, s[0:3], 0 offset:148
	buffer_store_dword v114, off, s[0:3], 0 offset:144
	s_and_saveexec_b64 s[4:5], vcc
	s_cbranch_execz .LBB55_309
; %bb.308:
	buffer_load_dword v114, off, s[0:3], 0 offset:136
	buffer_load_dword v115, off, s[0:3], 0 offset:140
	s_waitcnt vmcnt(0)
	ds_write_b64 v1, v[114:115]
	buffer_store_dword v118, off, s[0:3], 0 offset:136
	buffer_store_dword v118, off, s[0:3], 0 offset:140
.LBB55_309:
	s_or_b64 exec, exec, s[4:5]
	s_waitcnt lgkmcnt(0)
	; wave barrier
	s_waitcnt lgkmcnt(0)
	buffer_load_dword v114, off, s[0:3], 0 offset:136
	buffer_load_dword v115, off, s[0:3], 0 offset:140
	buffer_load_dword v116, off, s[0:3], 0 offset:144
	buffer_load_dword v117, off, s[0:3], 0 offset:148
	buffer_load_dword v136, off, s[0:3], 0 offset:152
	buffer_load_dword v137, off, s[0:3], 0 offset:156
	buffer_load_dword v138, off, s[0:3], 0 offset:160
	buffer_load_dword v139, off, s[0:3], 0 offset:164
	buffer_load_dword v140, off, s[0:3], 0 offset:168
	buffer_load_dword v141, off, s[0:3], 0 offset:172
	buffer_load_dword v142, off, s[0:3], 0 offset:176
	buffer_load_dword v143, off, s[0:3], 0 offset:180
	buffer_load_dword v144, off, s[0:3], 0 offset:184
	buffer_load_dword v145, off, s[0:3], 0 offset:188
	buffer_load_dword v146, off, s[0:3], 0 offset:192
	buffer_load_dword v147, off, s[0:3], 0 offset:196
	ds_read_b128 v[120:123], v118 offset:592
	ds_read_b128 v[124:127], v118 offset:608
	;; [unrolled: 1-line block ×4, first 2 shown]
	v_cmp_lt_u32_e32 vcc, 16, v0
	s_waitcnt vmcnt(12) lgkmcnt(3)
	v_fma_f64 v[116:117], v[116:117], v[120:121], 0
	buffer_load_dword v121, off, s[0:3], 0 offset:204
	buffer_load_dword v120, off, s[0:3], 0 offset:200
	s_waitcnt vmcnt(12)
	v_fmac_f64_e32 v[116:117], v[136:137], v[122:123]
	s_waitcnt vmcnt(10) lgkmcnt(2)
	v_fmac_f64_e32 v[116:117], v[138:139], v[124:125]
	buffer_load_dword v125, off, s[0:3], 0 offset:212
	buffer_load_dword v124, off, s[0:3], 0 offset:208
	s_waitcnt vmcnt(10)
	v_fmac_f64_e32 v[116:117], v[140:141], v[126:127]
	s_waitcnt vmcnt(8) lgkmcnt(1)
	v_fmac_f64_e32 v[116:117], v[142:143], v[128:129]
	s_waitcnt vmcnt(6)
	v_fmac_f64_e32 v[116:117], v[144:145], v[130:131]
	s_waitcnt vmcnt(4) lgkmcnt(0)
	v_fmac_f64_e32 v[116:117], v[146:147], v[132:133]
	s_waitcnt vmcnt(2)
	v_fmac_f64_e32 v[116:117], v[120:121], v[134:135]
	ds_read_b128 v[120:123], v118 offset:656
	s_waitcnt vmcnt(0) lgkmcnt(0)
	v_fmac_f64_e32 v[116:117], v[124:125], v[120:121]
	buffer_load_dword v121, off, s[0:3], 0 offset:220
	buffer_load_dword v120, off, s[0:3], 0 offset:216
	buffer_load_dword v125, off, s[0:3], 0 offset:228
	buffer_load_dword v124, off, s[0:3], 0 offset:224
	s_waitcnt vmcnt(2)
	v_fmac_f64_e32 v[116:117], v[120:121], v[122:123]
	ds_read_b128 v[120:123], v118 offset:672
	s_waitcnt vmcnt(0) lgkmcnt(0)
	v_fmac_f64_e32 v[116:117], v[124:125], v[120:121]
	buffer_load_dword v121, off, s[0:3], 0 offset:236
	buffer_load_dword v120, off, s[0:3], 0 offset:232
	buffer_load_dword v125, off, s[0:3], 0 offset:244
	buffer_load_dword v124, off, s[0:3], 0 offset:240
	;; [unrolled: 9-line block ×13, first 2 shown]
	s_waitcnt vmcnt(2)
	v_fmac_f64_e32 v[116:117], v[120:121], v[122:123]
	ds_read_b128 v[120:123], v118 offset:864
	s_waitcnt vmcnt(0) lgkmcnt(0)
	v_fmac_f64_e32 v[116:117], v[124:125], v[120:121]
	buffer_load_dword v121, off, s[0:3], 0 offset:428
	buffer_load_dword v120, off, s[0:3], 0 offset:424
	s_waitcnt vmcnt(0)
	v_fmac_f64_e32 v[116:117], v[120:121], v[122:123]
	buffer_load_dword v123, off, s[0:3], 0 offset:436
	buffer_load_dword v122, off, s[0:3], 0 offset:432
	ds_read_b128 v[118:121], v118 offset:880
	s_waitcnt vmcnt(0) lgkmcnt(0)
	v_fmac_f64_e32 v[116:117], v[122:123], v[118:119]
	buffer_load_dword v119, off, s[0:3], 0 offset:444
	buffer_load_dword v118, off, s[0:3], 0 offset:440
	s_waitcnt vmcnt(0)
	v_fmac_f64_e32 v[116:117], v[118:119], v[120:121]
	v_add_f64 v[114:115], v[114:115], -v[116:117]
	buffer_store_dword v115, off, s[0:3], 0 offset:140
	buffer_store_dword v114, off, s[0:3], 0 offset:136
	s_and_saveexec_b64 s[4:5], vcc
	s_cbranch_execz .LBB55_311
; %bb.310:
	buffer_load_dword v114, off, s[0:3], 0 offset:128
	buffer_load_dword v115, off, s[0:3], 0 offset:132
	v_mov_b32_e32 v116, 0
	buffer_store_dword v116, off, s[0:3], 0 offset:128
	buffer_store_dword v116, off, s[0:3], 0 offset:132
	s_waitcnt vmcnt(2)
	ds_write_b64 v1, v[114:115]
.LBB55_311:
	s_or_b64 exec, exec, s[4:5]
	s_waitcnt lgkmcnt(0)
	; wave barrier
	s_waitcnt lgkmcnt(0)
	buffer_load_dword v114, off, s[0:3], 0 offset:128
	buffer_load_dword v115, off, s[0:3], 0 offset:132
	;; [unrolled: 1-line block ×16, first 2 shown]
	v_mov_b32_e32 v118, 0
	ds_read2_b64 v[120:123], v118 offset0:73 offset1:74
	v_cmp_lt_u32_e32 vcc, 15, v0
	s_waitcnt vmcnt(12) lgkmcnt(0)
	v_fma_f64 v[116:117], v[116:117], v[120:121], 0
	s_waitcnt vmcnt(10)
	v_fmac_f64_e32 v[116:117], v[124:125], v[122:123]
	ds_read2_b64 v[120:123], v118 offset0:75 offset1:76
	s_waitcnt vmcnt(8) lgkmcnt(0)
	v_fmac_f64_e32 v[116:117], v[126:127], v[120:121]
	s_waitcnt vmcnt(6)
	v_fmac_f64_e32 v[116:117], v[128:129], v[122:123]
	ds_read2_b64 v[120:123], v118 offset0:77 offset1:78
	s_waitcnt vmcnt(4) lgkmcnt(0)
	v_fmac_f64_e32 v[116:117], v[130:131], v[120:121]
	;; [unrolled: 5-line block ×3, first 2 shown]
	buffer_load_dword v121, off, s[0:3], 0 offset:196
	buffer_load_dword v120, off, s[0:3], 0 offset:192
	buffer_load_dword v125, off, s[0:3], 0 offset:204
	buffer_load_dword v124, off, s[0:3], 0 offset:200
	s_waitcnt vmcnt(2)
	v_fmac_f64_e32 v[116:117], v[120:121], v[122:123]
	ds_read2_b64 v[120:123], v118 offset0:81 offset1:82
	s_waitcnt vmcnt(0) lgkmcnt(0)
	v_fmac_f64_e32 v[116:117], v[124:125], v[120:121]
	buffer_load_dword v121, off, s[0:3], 0 offset:212
	buffer_load_dword v120, off, s[0:3], 0 offset:208
	buffer_load_dword v125, off, s[0:3], 0 offset:220
	buffer_load_dword v124, off, s[0:3], 0 offset:216
	s_waitcnt vmcnt(2)
	v_fmac_f64_e32 v[116:117], v[120:121], v[122:123]
	ds_read2_b64 v[120:123], v118 offset0:83 offset1:84
	s_waitcnt vmcnt(0) lgkmcnt(0)
	v_fmac_f64_e32 v[116:117], v[124:125], v[120:121]
	;; [unrolled: 9-line block ×15, first 2 shown]
	buffer_load_dword v121, off, s[0:3], 0 offset:436
	buffer_load_dword v120, off, s[0:3], 0 offset:432
	s_waitcnt vmcnt(0)
	v_fmac_f64_e32 v[116:117], v[120:121], v[122:123]
	buffer_load_dword v121, off, s[0:3], 0 offset:444
	buffer_load_dword v120, off, s[0:3], 0 offset:440
	ds_read_b64 v[122:123], v118 offset:888
	s_waitcnt vmcnt(0) lgkmcnt(0)
	v_fmac_f64_e32 v[116:117], v[120:121], v[122:123]
	v_add_f64 v[114:115], v[114:115], -v[116:117]
	buffer_store_dword v115, off, s[0:3], 0 offset:132
	buffer_store_dword v114, off, s[0:3], 0 offset:128
	s_and_saveexec_b64 s[4:5], vcc
	s_cbranch_execz .LBB55_313
; %bb.312:
	buffer_load_dword v114, off, s[0:3], 0 offset:120
	buffer_load_dword v115, off, s[0:3], 0 offset:124
	s_waitcnt vmcnt(0)
	ds_write_b64 v1, v[114:115]
	buffer_store_dword v118, off, s[0:3], 0 offset:120
	buffer_store_dword v118, off, s[0:3], 0 offset:124
.LBB55_313:
	s_or_b64 exec, exec, s[4:5]
	s_waitcnt lgkmcnt(0)
	; wave barrier
	s_waitcnt lgkmcnt(0)
	buffer_load_dword v114, off, s[0:3], 0 offset:120
	buffer_load_dword v115, off, s[0:3], 0 offset:124
	;; [unrolled: 1-line block ×16, first 2 shown]
	ds_read_b128 v[120:123], v118 offset:576
	ds_read_b128 v[124:127], v118 offset:592
	;; [unrolled: 1-line block ×4, first 2 shown]
	v_cmp_lt_u32_e32 vcc, 14, v0
	s_waitcnt vmcnt(12) lgkmcnt(3)
	v_fma_f64 v[116:117], v[116:117], v[120:121], 0
	buffer_load_dword v121, off, s[0:3], 0 offset:188
	buffer_load_dword v120, off, s[0:3], 0 offset:184
	s_waitcnt vmcnt(12)
	v_fmac_f64_e32 v[116:117], v[136:137], v[122:123]
	s_waitcnt vmcnt(10) lgkmcnt(2)
	v_fmac_f64_e32 v[116:117], v[138:139], v[124:125]
	buffer_load_dword v125, off, s[0:3], 0 offset:196
	buffer_load_dword v124, off, s[0:3], 0 offset:192
	s_waitcnt vmcnt(10)
	v_fmac_f64_e32 v[116:117], v[140:141], v[126:127]
	s_waitcnt vmcnt(8) lgkmcnt(1)
	v_fmac_f64_e32 v[116:117], v[142:143], v[128:129]
	s_waitcnt vmcnt(6)
	v_fmac_f64_e32 v[116:117], v[144:145], v[130:131]
	s_waitcnt vmcnt(4) lgkmcnt(0)
	v_fmac_f64_e32 v[116:117], v[146:147], v[132:133]
	s_waitcnt vmcnt(2)
	v_fmac_f64_e32 v[116:117], v[120:121], v[134:135]
	ds_read_b128 v[120:123], v118 offset:640
	s_waitcnt vmcnt(0) lgkmcnt(0)
	v_fmac_f64_e32 v[116:117], v[124:125], v[120:121]
	buffer_load_dword v121, off, s[0:3], 0 offset:204
	buffer_load_dword v120, off, s[0:3], 0 offset:200
	buffer_load_dword v125, off, s[0:3], 0 offset:212
	buffer_load_dword v124, off, s[0:3], 0 offset:208
	s_waitcnt vmcnt(2)
	v_fmac_f64_e32 v[116:117], v[120:121], v[122:123]
	ds_read_b128 v[120:123], v118 offset:656
	s_waitcnt vmcnt(0) lgkmcnt(0)
	v_fmac_f64_e32 v[116:117], v[124:125], v[120:121]
	buffer_load_dword v121, off, s[0:3], 0 offset:220
	buffer_load_dword v120, off, s[0:3], 0 offset:216
	buffer_load_dword v125, off, s[0:3], 0 offset:228
	buffer_load_dword v124, off, s[0:3], 0 offset:224
	;; [unrolled: 9-line block ×14, first 2 shown]
	s_waitcnt vmcnt(2)
	v_fmac_f64_e32 v[116:117], v[120:121], v[122:123]
	ds_read_b128 v[120:123], v118 offset:864
	s_waitcnt vmcnt(0) lgkmcnt(0)
	v_fmac_f64_e32 v[116:117], v[124:125], v[120:121]
	buffer_load_dword v121, off, s[0:3], 0 offset:428
	buffer_load_dword v120, off, s[0:3], 0 offset:424
	s_waitcnt vmcnt(0)
	v_fmac_f64_e32 v[116:117], v[120:121], v[122:123]
	buffer_load_dword v123, off, s[0:3], 0 offset:436
	buffer_load_dword v122, off, s[0:3], 0 offset:432
	ds_read_b128 v[118:121], v118 offset:880
	s_waitcnt vmcnt(0) lgkmcnt(0)
	v_fmac_f64_e32 v[116:117], v[122:123], v[118:119]
	buffer_load_dword v119, off, s[0:3], 0 offset:444
	buffer_load_dword v118, off, s[0:3], 0 offset:440
	s_waitcnt vmcnt(0)
	v_fmac_f64_e32 v[116:117], v[118:119], v[120:121]
	v_add_f64 v[114:115], v[114:115], -v[116:117]
	buffer_store_dword v115, off, s[0:3], 0 offset:124
	buffer_store_dword v114, off, s[0:3], 0 offset:120
	s_and_saveexec_b64 s[4:5], vcc
	s_cbranch_execz .LBB55_315
; %bb.314:
	buffer_load_dword v114, off, s[0:3], 0 offset:112
	buffer_load_dword v115, off, s[0:3], 0 offset:116
	v_mov_b32_e32 v116, 0
	buffer_store_dword v116, off, s[0:3], 0 offset:112
	buffer_store_dword v116, off, s[0:3], 0 offset:116
	s_waitcnt vmcnt(2)
	ds_write_b64 v1, v[114:115]
.LBB55_315:
	s_or_b64 exec, exec, s[4:5]
	s_waitcnt lgkmcnt(0)
	; wave barrier
	s_waitcnt lgkmcnt(0)
	buffer_load_dword v114, off, s[0:3], 0 offset:112
	buffer_load_dword v115, off, s[0:3], 0 offset:116
	buffer_load_dword v116, off, s[0:3], 0 offset:120
	buffer_load_dword v117, off, s[0:3], 0 offset:124
	buffer_load_dword v124, off, s[0:3], 0 offset:128
	buffer_load_dword v125, off, s[0:3], 0 offset:132
	buffer_load_dword v126, off, s[0:3], 0 offset:136
	buffer_load_dword v127, off, s[0:3], 0 offset:140
	buffer_load_dword v128, off, s[0:3], 0 offset:144
	buffer_load_dword v129, off, s[0:3], 0 offset:148
	buffer_load_dword v130, off, s[0:3], 0 offset:152
	buffer_load_dword v131, off, s[0:3], 0 offset:156
	buffer_load_dword v132, off, s[0:3], 0 offset:160
	buffer_load_dword v133, off, s[0:3], 0 offset:164
	buffer_load_dword v134, off, s[0:3], 0 offset:168
	buffer_load_dword v135, off, s[0:3], 0 offset:172
	v_mov_b32_e32 v118, 0
	ds_read2_b64 v[120:123], v118 offset0:71 offset1:72
	v_cmp_lt_u32_e32 vcc, 13, v0
	s_waitcnt vmcnt(12) lgkmcnt(0)
	v_fma_f64 v[116:117], v[116:117], v[120:121], 0
	s_waitcnt vmcnt(10)
	v_fmac_f64_e32 v[116:117], v[124:125], v[122:123]
	ds_read2_b64 v[120:123], v118 offset0:73 offset1:74
	s_waitcnt vmcnt(8) lgkmcnt(0)
	v_fmac_f64_e32 v[116:117], v[126:127], v[120:121]
	s_waitcnt vmcnt(6)
	v_fmac_f64_e32 v[116:117], v[128:129], v[122:123]
	ds_read2_b64 v[120:123], v118 offset0:75 offset1:76
	s_waitcnt vmcnt(4) lgkmcnt(0)
	v_fmac_f64_e32 v[116:117], v[130:131], v[120:121]
	s_waitcnt vmcnt(2)
	v_fmac_f64_e32 v[116:117], v[132:133], v[122:123]
	ds_read2_b64 v[120:123], v118 offset0:77 offset1:78
	s_waitcnt vmcnt(0) lgkmcnt(0)
	v_fmac_f64_e32 v[116:117], v[134:135], v[120:121]
	buffer_load_dword v121, off, s[0:3], 0 offset:180
	buffer_load_dword v120, off, s[0:3], 0 offset:176
	buffer_load_dword v125, off, s[0:3], 0 offset:188
	buffer_load_dword v124, off, s[0:3], 0 offset:184
	s_waitcnt vmcnt(2)
	v_fmac_f64_e32 v[116:117], v[120:121], v[122:123]
	ds_read2_b64 v[120:123], v118 offset0:79 offset1:80
	s_waitcnt vmcnt(0) lgkmcnt(0)
	v_fmac_f64_e32 v[116:117], v[124:125], v[120:121]
	buffer_load_dword v121, off, s[0:3], 0 offset:196
	buffer_load_dword v120, off, s[0:3], 0 offset:192
	buffer_load_dword v125, off, s[0:3], 0 offset:204
	buffer_load_dword v124, off, s[0:3], 0 offset:200
	s_waitcnt vmcnt(2)
	v_fmac_f64_e32 v[116:117], v[120:121], v[122:123]
	ds_read2_b64 v[120:123], v118 offset0:81 offset1:82
	s_waitcnt vmcnt(0) lgkmcnt(0)
	v_fmac_f64_e32 v[116:117], v[124:125], v[120:121]
	buffer_load_dword v121, off, s[0:3], 0 offset:212
	buffer_load_dword v120, off, s[0:3], 0 offset:208
	buffer_load_dword v125, off, s[0:3], 0 offset:220
	buffer_load_dword v124, off, s[0:3], 0 offset:216
	s_waitcnt vmcnt(2)
	v_fmac_f64_e32 v[116:117], v[120:121], v[122:123]
	ds_read2_b64 v[120:123], v118 offset0:83 offset1:84
	s_waitcnt vmcnt(0) lgkmcnt(0)
	v_fmac_f64_e32 v[116:117], v[124:125], v[120:121]
	buffer_load_dword v121, off, s[0:3], 0 offset:228
	buffer_load_dword v120, off, s[0:3], 0 offset:224
	buffer_load_dword v125, off, s[0:3], 0 offset:236
	buffer_load_dword v124, off, s[0:3], 0 offset:232
	s_waitcnt vmcnt(2)
	v_fmac_f64_e32 v[116:117], v[120:121], v[122:123]
	ds_read2_b64 v[120:123], v118 offset0:85 offset1:86
	s_waitcnt vmcnt(0) lgkmcnt(0)
	v_fmac_f64_e32 v[116:117], v[124:125], v[120:121]
	buffer_load_dword v121, off, s[0:3], 0 offset:244
	buffer_load_dword v120, off, s[0:3], 0 offset:240
	buffer_load_dword v125, off, s[0:3], 0 offset:252
	buffer_load_dword v124, off, s[0:3], 0 offset:248
	s_waitcnt vmcnt(2)
	v_fmac_f64_e32 v[116:117], v[120:121], v[122:123]
	ds_read2_b64 v[120:123], v118 offset0:87 offset1:88
	s_waitcnt vmcnt(0) lgkmcnt(0)
	v_fmac_f64_e32 v[116:117], v[124:125], v[120:121]
	buffer_load_dword v121, off, s[0:3], 0 offset:260
	buffer_load_dword v120, off, s[0:3], 0 offset:256
	buffer_load_dword v125, off, s[0:3], 0 offset:268
	buffer_load_dword v124, off, s[0:3], 0 offset:264
	s_waitcnt vmcnt(2)
	v_fmac_f64_e32 v[116:117], v[120:121], v[122:123]
	ds_read2_b64 v[120:123], v118 offset0:89 offset1:90
	s_waitcnt vmcnt(0) lgkmcnt(0)
	v_fmac_f64_e32 v[116:117], v[124:125], v[120:121]
	buffer_load_dword v121, off, s[0:3], 0 offset:276
	buffer_load_dword v120, off, s[0:3], 0 offset:272
	buffer_load_dword v125, off, s[0:3], 0 offset:284
	buffer_load_dword v124, off, s[0:3], 0 offset:280
	s_waitcnt vmcnt(2)
	v_fmac_f64_e32 v[116:117], v[120:121], v[122:123]
	ds_read2_b64 v[120:123], v118 offset0:91 offset1:92
	s_waitcnt vmcnt(0) lgkmcnt(0)
	v_fmac_f64_e32 v[116:117], v[124:125], v[120:121]
	buffer_load_dword v121, off, s[0:3], 0 offset:292
	buffer_load_dword v120, off, s[0:3], 0 offset:288
	buffer_load_dword v125, off, s[0:3], 0 offset:300
	buffer_load_dword v124, off, s[0:3], 0 offset:296
	s_waitcnt vmcnt(2)
	v_fmac_f64_e32 v[116:117], v[120:121], v[122:123]
	ds_read2_b64 v[120:123], v118 offset0:93 offset1:94
	s_waitcnt vmcnt(0) lgkmcnt(0)
	v_fmac_f64_e32 v[116:117], v[124:125], v[120:121]
	buffer_load_dword v121, off, s[0:3], 0 offset:308
	buffer_load_dword v120, off, s[0:3], 0 offset:304
	buffer_load_dword v125, off, s[0:3], 0 offset:316
	buffer_load_dword v124, off, s[0:3], 0 offset:312
	s_waitcnt vmcnt(2)
	v_fmac_f64_e32 v[116:117], v[120:121], v[122:123]
	ds_read2_b64 v[120:123], v118 offset0:95 offset1:96
	s_waitcnt vmcnt(0) lgkmcnt(0)
	v_fmac_f64_e32 v[116:117], v[124:125], v[120:121]
	buffer_load_dword v121, off, s[0:3], 0 offset:324
	buffer_load_dword v120, off, s[0:3], 0 offset:320
	buffer_load_dword v125, off, s[0:3], 0 offset:332
	buffer_load_dword v124, off, s[0:3], 0 offset:328
	s_waitcnt vmcnt(2)
	v_fmac_f64_e32 v[116:117], v[120:121], v[122:123]
	ds_read2_b64 v[120:123], v118 offset0:97 offset1:98
	s_waitcnt vmcnt(0) lgkmcnt(0)
	v_fmac_f64_e32 v[116:117], v[124:125], v[120:121]
	buffer_load_dword v121, off, s[0:3], 0 offset:340
	buffer_load_dword v120, off, s[0:3], 0 offset:336
	buffer_load_dword v125, off, s[0:3], 0 offset:348
	buffer_load_dword v124, off, s[0:3], 0 offset:344
	s_waitcnt vmcnt(2)
	v_fmac_f64_e32 v[116:117], v[120:121], v[122:123]
	ds_read2_b64 v[120:123], v118 offset0:99 offset1:100
	s_waitcnt vmcnt(0) lgkmcnt(0)
	v_fmac_f64_e32 v[116:117], v[124:125], v[120:121]
	buffer_load_dword v121, off, s[0:3], 0 offset:356
	buffer_load_dword v120, off, s[0:3], 0 offset:352
	buffer_load_dword v125, off, s[0:3], 0 offset:364
	buffer_load_dword v124, off, s[0:3], 0 offset:360
	s_waitcnt vmcnt(2)
	v_fmac_f64_e32 v[116:117], v[120:121], v[122:123]
	ds_read2_b64 v[120:123], v118 offset0:101 offset1:102
	s_waitcnt vmcnt(0) lgkmcnt(0)
	v_fmac_f64_e32 v[116:117], v[124:125], v[120:121]
	buffer_load_dword v121, off, s[0:3], 0 offset:372
	buffer_load_dword v120, off, s[0:3], 0 offset:368
	buffer_load_dword v125, off, s[0:3], 0 offset:380
	buffer_load_dword v124, off, s[0:3], 0 offset:376
	s_waitcnt vmcnt(2)
	v_fmac_f64_e32 v[116:117], v[120:121], v[122:123]
	ds_read2_b64 v[120:123], v118 offset0:103 offset1:104
	s_waitcnt vmcnt(0) lgkmcnt(0)
	v_fmac_f64_e32 v[116:117], v[124:125], v[120:121]
	buffer_load_dword v121, off, s[0:3], 0 offset:388
	buffer_load_dword v120, off, s[0:3], 0 offset:384
	buffer_load_dword v125, off, s[0:3], 0 offset:396
	buffer_load_dword v124, off, s[0:3], 0 offset:392
	s_waitcnt vmcnt(2)
	v_fmac_f64_e32 v[116:117], v[120:121], v[122:123]
	ds_read2_b64 v[120:123], v118 offset0:105 offset1:106
	s_waitcnt vmcnt(0) lgkmcnt(0)
	v_fmac_f64_e32 v[116:117], v[124:125], v[120:121]
	buffer_load_dword v121, off, s[0:3], 0 offset:404
	buffer_load_dword v120, off, s[0:3], 0 offset:400
	buffer_load_dword v125, off, s[0:3], 0 offset:412
	buffer_load_dword v124, off, s[0:3], 0 offset:408
	s_waitcnt vmcnt(2)
	v_fmac_f64_e32 v[116:117], v[120:121], v[122:123]
	ds_read2_b64 v[120:123], v118 offset0:107 offset1:108
	s_waitcnt vmcnt(0) lgkmcnt(0)
	v_fmac_f64_e32 v[116:117], v[124:125], v[120:121]
	buffer_load_dword v121, off, s[0:3], 0 offset:420
	buffer_load_dword v120, off, s[0:3], 0 offset:416
	buffer_load_dword v125, off, s[0:3], 0 offset:428
	buffer_load_dword v124, off, s[0:3], 0 offset:424
	s_waitcnt vmcnt(2)
	v_fmac_f64_e32 v[116:117], v[120:121], v[122:123]
	ds_read2_b64 v[120:123], v118 offset0:109 offset1:110
	s_waitcnt vmcnt(0) lgkmcnt(0)
	v_fmac_f64_e32 v[116:117], v[124:125], v[120:121]
	buffer_load_dword v121, off, s[0:3], 0 offset:436
	buffer_load_dword v120, off, s[0:3], 0 offset:432
	s_waitcnt vmcnt(0)
	v_fmac_f64_e32 v[116:117], v[120:121], v[122:123]
	buffer_load_dword v121, off, s[0:3], 0 offset:444
	buffer_load_dword v120, off, s[0:3], 0 offset:440
	ds_read_b64 v[122:123], v118 offset:888
	s_waitcnt vmcnt(0) lgkmcnt(0)
	v_fmac_f64_e32 v[116:117], v[120:121], v[122:123]
	v_add_f64 v[114:115], v[114:115], -v[116:117]
	buffer_store_dword v115, off, s[0:3], 0 offset:116
	buffer_store_dword v114, off, s[0:3], 0 offset:112
	s_and_saveexec_b64 s[4:5], vcc
	s_cbranch_execz .LBB55_317
; %bb.316:
	buffer_load_dword v114, off, s[0:3], 0 offset:104
	buffer_load_dword v115, off, s[0:3], 0 offset:108
	s_waitcnt vmcnt(0)
	ds_write_b64 v1, v[114:115]
	buffer_store_dword v118, off, s[0:3], 0 offset:104
	buffer_store_dword v118, off, s[0:3], 0 offset:108
.LBB55_317:
	s_or_b64 exec, exec, s[4:5]
	s_waitcnt lgkmcnt(0)
	; wave barrier
	s_waitcnt lgkmcnt(0)
	buffer_load_dword v114, off, s[0:3], 0 offset:104
	buffer_load_dword v115, off, s[0:3], 0 offset:108
	buffer_load_dword v116, off, s[0:3], 0 offset:112
	buffer_load_dword v117, off, s[0:3], 0 offset:116
	buffer_load_dword v136, off, s[0:3], 0 offset:120
	buffer_load_dword v137, off, s[0:3], 0 offset:124
	buffer_load_dword v138, off, s[0:3], 0 offset:128
	buffer_load_dword v139, off, s[0:3], 0 offset:132
	buffer_load_dword v140, off, s[0:3], 0 offset:136
	buffer_load_dword v141, off, s[0:3], 0 offset:140
	buffer_load_dword v142, off, s[0:3], 0 offset:144
	buffer_load_dword v143, off, s[0:3], 0 offset:148
	buffer_load_dword v144, off, s[0:3], 0 offset:152
	buffer_load_dword v145, off, s[0:3], 0 offset:156
	buffer_load_dword v146, off, s[0:3], 0 offset:160
	buffer_load_dword v147, off, s[0:3], 0 offset:164
	ds_read_b128 v[120:123], v118 offset:560
	ds_read_b128 v[124:127], v118 offset:576
	;; [unrolled: 1-line block ×4, first 2 shown]
	v_cmp_lt_u32_e32 vcc, 12, v0
	s_waitcnt vmcnt(12) lgkmcnt(3)
	v_fma_f64 v[116:117], v[116:117], v[120:121], 0
	buffer_load_dword v121, off, s[0:3], 0 offset:172
	buffer_load_dword v120, off, s[0:3], 0 offset:168
	s_waitcnt vmcnt(12)
	v_fmac_f64_e32 v[116:117], v[136:137], v[122:123]
	s_waitcnt vmcnt(10) lgkmcnt(2)
	v_fmac_f64_e32 v[116:117], v[138:139], v[124:125]
	buffer_load_dword v125, off, s[0:3], 0 offset:180
	buffer_load_dword v124, off, s[0:3], 0 offset:176
	s_waitcnt vmcnt(10)
	v_fmac_f64_e32 v[116:117], v[140:141], v[126:127]
	s_waitcnt vmcnt(8) lgkmcnt(1)
	v_fmac_f64_e32 v[116:117], v[142:143], v[128:129]
	s_waitcnt vmcnt(6)
	v_fmac_f64_e32 v[116:117], v[144:145], v[130:131]
	s_waitcnt vmcnt(4) lgkmcnt(0)
	v_fmac_f64_e32 v[116:117], v[146:147], v[132:133]
	s_waitcnt vmcnt(2)
	v_fmac_f64_e32 v[116:117], v[120:121], v[134:135]
	ds_read_b128 v[120:123], v118 offset:624
	s_waitcnt vmcnt(0) lgkmcnt(0)
	v_fmac_f64_e32 v[116:117], v[124:125], v[120:121]
	buffer_load_dword v121, off, s[0:3], 0 offset:188
	buffer_load_dword v120, off, s[0:3], 0 offset:184
	buffer_load_dword v125, off, s[0:3], 0 offset:196
	buffer_load_dword v124, off, s[0:3], 0 offset:192
	s_waitcnt vmcnt(2)
	v_fmac_f64_e32 v[116:117], v[120:121], v[122:123]
	ds_read_b128 v[120:123], v118 offset:640
	s_waitcnt vmcnt(0) lgkmcnt(0)
	v_fmac_f64_e32 v[116:117], v[124:125], v[120:121]
	buffer_load_dword v121, off, s[0:3], 0 offset:204
	buffer_load_dword v120, off, s[0:3], 0 offset:200
	buffer_load_dword v125, off, s[0:3], 0 offset:212
	buffer_load_dword v124, off, s[0:3], 0 offset:208
	;; [unrolled: 9-line block ×15, first 2 shown]
	s_waitcnt vmcnt(2)
	v_fmac_f64_e32 v[116:117], v[120:121], v[122:123]
	ds_read_b128 v[120:123], v118 offset:864
	s_waitcnt vmcnt(0) lgkmcnt(0)
	v_fmac_f64_e32 v[116:117], v[124:125], v[120:121]
	buffer_load_dword v121, off, s[0:3], 0 offset:428
	buffer_load_dword v120, off, s[0:3], 0 offset:424
	s_waitcnt vmcnt(0)
	v_fmac_f64_e32 v[116:117], v[120:121], v[122:123]
	buffer_load_dword v123, off, s[0:3], 0 offset:436
	buffer_load_dword v122, off, s[0:3], 0 offset:432
	ds_read_b128 v[118:121], v118 offset:880
	s_waitcnt vmcnt(0) lgkmcnt(0)
	v_fmac_f64_e32 v[116:117], v[122:123], v[118:119]
	buffer_load_dword v119, off, s[0:3], 0 offset:444
	buffer_load_dword v118, off, s[0:3], 0 offset:440
	s_waitcnt vmcnt(0)
	v_fmac_f64_e32 v[116:117], v[118:119], v[120:121]
	v_add_f64 v[114:115], v[114:115], -v[116:117]
	buffer_store_dword v115, off, s[0:3], 0 offset:108
	buffer_store_dword v114, off, s[0:3], 0 offset:104
	s_and_saveexec_b64 s[4:5], vcc
	s_cbranch_execz .LBB55_319
; %bb.318:
	buffer_load_dword v114, off, s[0:3], 0 offset:96
	buffer_load_dword v115, off, s[0:3], 0 offset:100
	v_mov_b32_e32 v116, 0
	buffer_store_dword v116, off, s[0:3], 0 offset:96
	buffer_store_dword v116, off, s[0:3], 0 offset:100
	s_waitcnt vmcnt(2)
	ds_write_b64 v1, v[114:115]
.LBB55_319:
	s_or_b64 exec, exec, s[4:5]
	s_waitcnt lgkmcnt(0)
	; wave barrier
	s_waitcnt lgkmcnt(0)
	buffer_load_dword v114, off, s[0:3], 0 offset:96
	buffer_load_dword v115, off, s[0:3], 0 offset:100
	;; [unrolled: 1-line block ×16, first 2 shown]
	v_mov_b32_e32 v118, 0
	ds_read2_b64 v[120:123], v118 offset0:69 offset1:70
	v_cmp_lt_u32_e32 vcc, 11, v0
	s_waitcnt vmcnt(12) lgkmcnt(0)
	v_fma_f64 v[116:117], v[116:117], v[120:121], 0
	s_waitcnt vmcnt(10)
	v_fmac_f64_e32 v[116:117], v[124:125], v[122:123]
	ds_read2_b64 v[120:123], v118 offset0:71 offset1:72
	s_waitcnt vmcnt(8) lgkmcnt(0)
	v_fmac_f64_e32 v[116:117], v[126:127], v[120:121]
	s_waitcnt vmcnt(6)
	v_fmac_f64_e32 v[116:117], v[128:129], v[122:123]
	ds_read2_b64 v[120:123], v118 offset0:73 offset1:74
	s_waitcnt vmcnt(4) lgkmcnt(0)
	v_fmac_f64_e32 v[116:117], v[130:131], v[120:121]
	s_waitcnt vmcnt(2)
	v_fmac_f64_e32 v[116:117], v[132:133], v[122:123]
	ds_read2_b64 v[120:123], v118 offset0:75 offset1:76
	s_waitcnt vmcnt(0) lgkmcnt(0)
	v_fmac_f64_e32 v[116:117], v[134:135], v[120:121]
	buffer_load_dword v121, off, s[0:3], 0 offset:164
	buffer_load_dword v120, off, s[0:3], 0 offset:160
	buffer_load_dword v125, off, s[0:3], 0 offset:172
	buffer_load_dword v124, off, s[0:3], 0 offset:168
	s_waitcnt vmcnt(2)
	v_fmac_f64_e32 v[116:117], v[120:121], v[122:123]
	ds_read2_b64 v[120:123], v118 offset0:77 offset1:78
	s_waitcnt vmcnt(0) lgkmcnt(0)
	v_fmac_f64_e32 v[116:117], v[124:125], v[120:121]
	buffer_load_dword v121, off, s[0:3], 0 offset:180
	buffer_load_dword v120, off, s[0:3], 0 offset:176
	buffer_load_dword v125, off, s[0:3], 0 offset:188
	buffer_load_dword v124, off, s[0:3], 0 offset:184
	s_waitcnt vmcnt(2)
	v_fmac_f64_e32 v[116:117], v[120:121], v[122:123]
	ds_read2_b64 v[120:123], v118 offset0:79 offset1:80
	s_waitcnt vmcnt(0) lgkmcnt(0)
	v_fmac_f64_e32 v[116:117], v[124:125], v[120:121]
	;; [unrolled: 9-line block ×17, first 2 shown]
	buffer_load_dword v121, off, s[0:3], 0 offset:436
	buffer_load_dword v120, off, s[0:3], 0 offset:432
	s_waitcnt vmcnt(0)
	v_fmac_f64_e32 v[116:117], v[120:121], v[122:123]
	buffer_load_dword v121, off, s[0:3], 0 offset:444
	buffer_load_dword v120, off, s[0:3], 0 offset:440
	ds_read_b64 v[122:123], v118 offset:888
	s_waitcnt vmcnt(0) lgkmcnt(0)
	v_fmac_f64_e32 v[116:117], v[120:121], v[122:123]
	v_add_f64 v[114:115], v[114:115], -v[116:117]
	buffer_store_dword v115, off, s[0:3], 0 offset:100
	buffer_store_dword v114, off, s[0:3], 0 offset:96
	s_and_saveexec_b64 s[4:5], vcc
	s_cbranch_execz .LBB55_321
; %bb.320:
	buffer_load_dword v114, off, s[0:3], 0 offset:88
	buffer_load_dword v115, off, s[0:3], 0 offset:92
	s_waitcnt vmcnt(0)
	ds_write_b64 v1, v[114:115]
	buffer_store_dword v118, off, s[0:3], 0 offset:88
	buffer_store_dword v118, off, s[0:3], 0 offset:92
.LBB55_321:
	s_or_b64 exec, exec, s[4:5]
	s_waitcnt lgkmcnt(0)
	; wave barrier
	s_waitcnt lgkmcnt(0)
	buffer_load_dword v114, off, s[0:3], 0 offset:88
	buffer_load_dword v115, off, s[0:3], 0 offset:92
	;; [unrolled: 1-line block ×16, first 2 shown]
	ds_read_b128 v[120:123], v118 offset:544
	ds_read_b128 v[124:127], v118 offset:560
	ds_read_b128 v[128:131], v118 offset:576
	ds_read_b128 v[132:135], v118 offset:592
	v_cmp_lt_u32_e32 vcc, 10, v0
	s_waitcnt vmcnt(12) lgkmcnt(3)
	v_fma_f64 v[116:117], v[116:117], v[120:121], 0
	buffer_load_dword v121, off, s[0:3], 0 offset:156
	buffer_load_dword v120, off, s[0:3], 0 offset:152
	s_waitcnt vmcnt(12)
	v_fmac_f64_e32 v[116:117], v[136:137], v[122:123]
	s_waitcnt vmcnt(10) lgkmcnt(2)
	v_fmac_f64_e32 v[116:117], v[138:139], v[124:125]
	buffer_load_dword v125, off, s[0:3], 0 offset:164
	buffer_load_dword v124, off, s[0:3], 0 offset:160
	s_waitcnt vmcnt(10)
	v_fmac_f64_e32 v[116:117], v[140:141], v[126:127]
	s_waitcnt vmcnt(8) lgkmcnt(1)
	v_fmac_f64_e32 v[116:117], v[142:143], v[128:129]
	s_waitcnt vmcnt(6)
	v_fmac_f64_e32 v[116:117], v[144:145], v[130:131]
	s_waitcnt vmcnt(4) lgkmcnt(0)
	v_fmac_f64_e32 v[116:117], v[146:147], v[132:133]
	s_waitcnt vmcnt(2)
	v_fmac_f64_e32 v[116:117], v[120:121], v[134:135]
	ds_read_b128 v[120:123], v118 offset:608
	s_waitcnt vmcnt(0) lgkmcnt(0)
	v_fmac_f64_e32 v[116:117], v[124:125], v[120:121]
	buffer_load_dword v121, off, s[0:3], 0 offset:172
	buffer_load_dword v120, off, s[0:3], 0 offset:168
	buffer_load_dword v125, off, s[0:3], 0 offset:180
	buffer_load_dword v124, off, s[0:3], 0 offset:176
	s_waitcnt vmcnt(2)
	v_fmac_f64_e32 v[116:117], v[120:121], v[122:123]
	ds_read_b128 v[120:123], v118 offset:624
	s_waitcnt vmcnt(0) lgkmcnt(0)
	v_fmac_f64_e32 v[116:117], v[124:125], v[120:121]
	buffer_load_dword v121, off, s[0:3], 0 offset:188
	buffer_load_dword v120, off, s[0:3], 0 offset:184
	buffer_load_dword v125, off, s[0:3], 0 offset:196
	buffer_load_dword v124, off, s[0:3], 0 offset:192
	;; [unrolled: 9-line block ×16, first 2 shown]
	s_waitcnt vmcnt(2)
	v_fmac_f64_e32 v[116:117], v[120:121], v[122:123]
	ds_read_b128 v[120:123], v118 offset:864
	s_waitcnt vmcnt(0) lgkmcnt(0)
	v_fmac_f64_e32 v[116:117], v[124:125], v[120:121]
	buffer_load_dword v121, off, s[0:3], 0 offset:428
	buffer_load_dword v120, off, s[0:3], 0 offset:424
	s_waitcnt vmcnt(0)
	v_fmac_f64_e32 v[116:117], v[120:121], v[122:123]
	buffer_load_dword v123, off, s[0:3], 0 offset:436
	buffer_load_dword v122, off, s[0:3], 0 offset:432
	ds_read_b128 v[118:121], v118 offset:880
	s_waitcnt vmcnt(0) lgkmcnt(0)
	v_fmac_f64_e32 v[116:117], v[122:123], v[118:119]
	buffer_load_dword v119, off, s[0:3], 0 offset:444
	buffer_load_dword v118, off, s[0:3], 0 offset:440
	s_waitcnt vmcnt(0)
	v_fmac_f64_e32 v[116:117], v[118:119], v[120:121]
	v_add_f64 v[114:115], v[114:115], -v[116:117]
	buffer_store_dword v115, off, s[0:3], 0 offset:92
	buffer_store_dword v114, off, s[0:3], 0 offset:88
	s_and_saveexec_b64 s[4:5], vcc
	s_cbranch_execz .LBB55_323
; %bb.322:
	buffer_load_dword v114, off, s[0:3], 0 offset:80
	buffer_load_dword v115, off, s[0:3], 0 offset:84
	v_mov_b32_e32 v116, 0
	buffer_store_dword v116, off, s[0:3], 0 offset:80
	buffer_store_dword v116, off, s[0:3], 0 offset:84
	s_waitcnt vmcnt(2)
	ds_write_b64 v1, v[114:115]
.LBB55_323:
	s_or_b64 exec, exec, s[4:5]
	s_waitcnt lgkmcnt(0)
	; wave barrier
	s_waitcnt lgkmcnt(0)
	buffer_load_dword v114, off, s[0:3], 0 offset:80
	buffer_load_dword v115, off, s[0:3], 0 offset:84
	;; [unrolled: 1-line block ×16, first 2 shown]
	v_mov_b32_e32 v118, 0
	ds_read2_b64 v[120:123], v118 offset0:67 offset1:68
	v_cmp_lt_u32_e32 vcc, 9, v0
	s_waitcnt vmcnt(12) lgkmcnt(0)
	v_fma_f64 v[116:117], v[116:117], v[120:121], 0
	s_waitcnt vmcnt(10)
	v_fmac_f64_e32 v[116:117], v[124:125], v[122:123]
	ds_read2_b64 v[120:123], v118 offset0:69 offset1:70
	s_waitcnt vmcnt(8) lgkmcnt(0)
	v_fmac_f64_e32 v[116:117], v[126:127], v[120:121]
	s_waitcnt vmcnt(6)
	v_fmac_f64_e32 v[116:117], v[128:129], v[122:123]
	ds_read2_b64 v[120:123], v118 offset0:71 offset1:72
	s_waitcnt vmcnt(4) lgkmcnt(0)
	v_fmac_f64_e32 v[116:117], v[130:131], v[120:121]
	;; [unrolled: 5-line block ×3, first 2 shown]
	buffer_load_dword v121, off, s[0:3], 0 offset:148
	buffer_load_dword v120, off, s[0:3], 0 offset:144
	buffer_load_dword v125, off, s[0:3], 0 offset:156
	buffer_load_dword v124, off, s[0:3], 0 offset:152
	s_waitcnt vmcnt(2)
	v_fmac_f64_e32 v[116:117], v[120:121], v[122:123]
	ds_read2_b64 v[120:123], v118 offset0:75 offset1:76
	s_waitcnt vmcnt(0) lgkmcnt(0)
	v_fmac_f64_e32 v[116:117], v[124:125], v[120:121]
	buffer_load_dword v121, off, s[0:3], 0 offset:164
	buffer_load_dword v120, off, s[0:3], 0 offset:160
	buffer_load_dword v125, off, s[0:3], 0 offset:172
	buffer_load_dword v124, off, s[0:3], 0 offset:168
	s_waitcnt vmcnt(2)
	v_fmac_f64_e32 v[116:117], v[120:121], v[122:123]
	ds_read2_b64 v[120:123], v118 offset0:77 offset1:78
	s_waitcnt vmcnt(0) lgkmcnt(0)
	v_fmac_f64_e32 v[116:117], v[124:125], v[120:121]
	;; [unrolled: 9-line block ×18, first 2 shown]
	buffer_load_dword v121, off, s[0:3], 0 offset:436
	buffer_load_dword v120, off, s[0:3], 0 offset:432
	s_waitcnt vmcnt(0)
	v_fmac_f64_e32 v[116:117], v[120:121], v[122:123]
	buffer_load_dword v121, off, s[0:3], 0 offset:444
	buffer_load_dword v120, off, s[0:3], 0 offset:440
	ds_read_b64 v[122:123], v118 offset:888
	s_waitcnt vmcnt(0) lgkmcnt(0)
	v_fmac_f64_e32 v[116:117], v[120:121], v[122:123]
	v_add_f64 v[114:115], v[114:115], -v[116:117]
	buffer_store_dword v115, off, s[0:3], 0 offset:84
	buffer_store_dword v114, off, s[0:3], 0 offset:80
	s_and_saveexec_b64 s[4:5], vcc
	s_cbranch_execz .LBB55_325
; %bb.324:
	buffer_load_dword v114, off, s[0:3], 0 offset:72
	buffer_load_dword v115, off, s[0:3], 0 offset:76
	s_waitcnt vmcnt(0)
	ds_write_b64 v1, v[114:115]
	buffer_store_dword v118, off, s[0:3], 0 offset:72
	buffer_store_dword v118, off, s[0:3], 0 offset:76
.LBB55_325:
	s_or_b64 exec, exec, s[4:5]
	s_waitcnt lgkmcnt(0)
	; wave barrier
	s_waitcnt lgkmcnt(0)
	buffer_load_dword v114, off, s[0:3], 0 offset:72
	buffer_load_dword v115, off, s[0:3], 0 offset:76
	;; [unrolled: 1-line block ×16, first 2 shown]
	ds_read_b128 v[120:123], v118 offset:528
	ds_read_b128 v[124:127], v118 offset:544
	;; [unrolled: 1-line block ×4, first 2 shown]
	v_cmp_lt_u32_e32 vcc, 8, v0
	s_waitcnt vmcnt(12) lgkmcnt(3)
	v_fma_f64 v[116:117], v[116:117], v[120:121], 0
	buffer_load_dword v121, off, s[0:3], 0 offset:140
	buffer_load_dword v120, off, s[0:3], 0 offset:136
	s_waitcnt vmcnt(12)
	v_fmac_f64_e32 v[116:117], v[136:137], v[122:123]
	s_waitcnt vmcnt(10) lgkmcnt(2)
	v_fmac_f64_e32 v[116:117], v[138:139], v[124:125]
	buffer_load_dword v125, off, s[0:3], 0 offset:148
	buffer_load_dword v124, off, s[0:3], 0 offset:144
	s_waitcnt vmcnt(10)
	v_fmac_f64_e32 v[116:117], v[140:141], v[126:127]
	s_waitcnt vmcnt(8) lgkmcnt(1)
	v_fmac_f64_e32 v[116:117], v[142:143], v[128:129]
	s_waitcnt vmcnt(6)
	v_fmac_f64_e32 v[116:117], v[144:145], v[130:131]
	s_waitcnt vmcnt(4) lgkmcnt(0)
	v_fmac_f64_e32 v[116:117], v[146:147], v[132:133]
	s_waitcnt vmcnt(2)
	v_fmac_f64_e32 v[116:117], v[120:121], v[134:135]
	ds_read_b128 v[120:123], v118 offset:592
	s_waitcnt vmcnt(0) lgkmcnt(0)
	v_fmac_f64_e32 v[116:117], v[124:125], v[120:121]
	buffer_load_dword v121, off, s[0:3], 0 offset:156
	buffer_load_dword v120, off, s[0:3], 0 offset:152
	buffer_load_dword v125, off, s[0:3], 0 offset:164
	buffer_load_dword v124, off, s[0:3], 0 offset:160
	s_waitcnt vmcnt(2)
	v_fmac_f64_e32 v[116:117], v[120:121], v[122:123]
	ds_read_b128 v[120:123], v118 offset:608
	s_waitcnt vmcnt(0) lgkmcnt(0)
	v_fmac_f64_e32 v[116:117], v[124:125], v[120:121]
	buffer_load_dword v121, off, s[0:3], 0 offset:172
	buffer_load_dword v120, off, s[0:3], 0 offset:168
	buffer_load_dword v125, off, s[0:3], 0 offset:180
	buffer_load_dword v124, off, s[0:3], 0 offset:176
	;; [unrolled: 9-line block ×17, first 2 shown]
	s_waitcnt vmcnt(2)
	v_fmac_f64_e32 v[116:117], v[120:121], v[122:123]
	ds_read_b128 v[120:123], v118 offset:864
	s_waitcnt vmcnt(0) lgkmcnt(0)
	v_fmac_f64_e32 v[116:117], v[124:125], v[120:121]
	buffer_load_dword v121, off, s[0:3], 0 offset:428
	buffer_load_dword v120, off, s[0:3], 0 offset:424
	s_waitcnt vmcnt(0)
	v_fmac_f64_e32 v[116:117], v[120:121], v[122:123]
	buffer_load_dword v123, off, s[0:3], 0 offset:436
	buffer_load_dword v122, off, s[0:3], 0 offset:432
	ds_read_b128 v[118:121], v118 offset:880
	s_waitcnt vmcnt(0) lgkmcnt(0)
	v_fmac_f64_e32 v[116:117], v[122:123], v[118:119]
	buffer_load_dword v119, off, s[0:3], 0 offset:444
	buffer_load_dword v118, off, s[0:3], 0 offset:440
	s_waitcnt vmcnt(0)
	v_fmac_f64_e32 v[116:117], v[118:119], v[120:121]
	v_add_f64 v[114:115], v[114:115], -v[116:117]
	buffer_store_dword v115, off, s[0:3], 0 offset:76
	buffer_store_dword v114, off, s[0:3], 0 offset:72
	s_and_saveexec_b64 s[4:5], vcc
	s_cbranch_execz .LBB55_327
; %bb.326:
	buffer_load_dword v114, off, s[0:3], 0 offset:64
	buffer_load_dword v115, off, s[0:3], 0 offset:68
	v_mov_b32_e32 v116, 0
	buffer_store_dword v116, off, s[0:3], 0 offset:64
	buffer_store_dword v116, off, s[0:3], 0 offset:68
	s_waitcnt vmcnt(2)
	ds_write_b64 v1, v[114:115]
.LBB55_327:
	s_or_b64 exec, exec, s[4:5]
	s_waitcnt lgkmcnt(0)
	; wave barrier
	s_waitcnt lgkmcnt(0)
	buffer_load_dword v114, off, s[0:3], 0 offset:64
	buffer_load_dword v115, off, s[0:3], 0 offset:68
	;; [unrolled: 1-line block ×16, first 2 shown]
	v_mov_b32_e32 v118, 0
	ds_read2_b64 v[120:123], v118 offset0:65 offset1:66
	v_cmp_lt_u32_e32 vcc, 7, v0
	s_waitcnt vmcnt(12) lgkmcnt(0)
	v_fma_f64 v[116:117], v[116:117], v[120:121], 0
	s_waitcnt vmcnt(10)
	v_fmac_f64_e32 v[116:117], v[124:125], v[122:123]
	ds_read2_b64 v[120:123], v118 offset0:67 offset1:68
	s_waitcnt vmcnt(8) lgkmcnt(0)
	v_fmac_f64_e32 v[116:117], v[126:127], v[120:121]
	s_waitcnt vmcnt(6)
	v_fmac_f64_e32 v[116:117], v[128:129], v[122:123]
	ds_read2_b64 v[120:123], v118 offset0:69 offset1:70
	s_waitcnt vmcnt(4) lgkmcnt(0)
	v_fmac_f64_e32 v[116:117], v[130:131], v[120:121]
	s_waitcnt vmcnt(2)
	v_fmac_f64_e32 v[116:117], v[132:133], v[122:123]
	ds_read2_b64 v[120:123], v118 offset0:71 offset1:72
	s_waitcnt vmcnt(0) lgkmcnt(0)
	v_fmac_f64_e32 v[116:117], v[134:135], v[120:121]
	buffer_load_dword v121, off, s[0:3], 0 offset:132
	buffer_load_dword v120, off, s[0:3], 0 offset:128
	buffer_load_dword v125, off, s[0:3], 0 offset:140
	buffer_load_dword v124, off, s[0:3], 0 offset:136
	s_waitcnt vmcnt(2)
	v_fmac_f64_e32 v[116:117], v[120:121], v[122:123]
	ds_read2_b64 v[120:123], v118 offset0:73 offset1:74
	s_waitcnt vmcnt(0) lgkmcnt(0)
	v_fmac_f64_e32 v[116:117], v[124:125], v[120:121]
	buffer_load_dword v121, off, s[0:3], 0 offset:148
	buffer_load_dword v120, off, s[0:3], 0 offset:144
	buffer_load_dword v125, off, s[0:3], 0 offset:156
	buffer_load_dword v124, off, s[0:3], 0 offset:152
	s_waitcnt vmcnt(2)
	v_fmac_f64_e32 v[116:117], v[120:121], v[122:123]
	ds_read2_b64 v[120:123], v118 offset0:75 offset1:76
	s_waitcnt vmcnt(0) lgkmcnt(0)
	v_fmac_f64_e32 v[116:117], v[124:125], v[120:121]
	;; [unrolled: 9-line block ×19, first 2 shown]
	buffer_load_dword v121, off, s[0:3], 0 offset:436
	buffer_load_dword v120, off, s[0:3], 0 offset:432
	s_waitcnt vmcnt(0)
	v_fmac_f64_e32 v[116:117], v[120:121], v[122:123]
	buffer_load_dword v121, off, s[0:3], 0 offset:444
	buffer_load_dword v120, off, s[0:3], 0 offset:440
	ds_read_b64 v[122:123], v118 offset:888
	s_waitcnt vmcnt(0) lgkmcnt(0)
	v_fmac_f64_e32 v[116:117], v[120:121], v[122:123]
	v_add_f64 v[114:115], v[114:115], -v[116:117]
	buffer_store_dword v115, off, s[0:3], 0 offset:68
	buffer_store_dword v114, off, s[0:3], 0 offset:64
	s_and_saveexec_b64 s[4:5], vcc
	s_cbranch_execz .LBB55_329
; %bb.328:
	buffer_load_dword v114, off, s[0:3], 0 offset:56
	buffer_load_dword v115, off, s[0:3], 0 offset:60
	s_waitcnt vmcnt(0)
	ds_write_b64 v1, v[114:115]
	buffer_store_dword v118, off, s[0:3], 0 offset:56
	buffer_store_dword v118, off, s[0:3], 0 offset:60
.LBB55_329:
	s_or_b64 exec, exec, s[4:5]
	s_waitcnt lgkmcnt(0)
	; wave barrier
	s_waitcnt lgkmcnt(0)
	buffer_load_dword v114, off, s[0:3], 0 offset:56
	buffer_load_dword v115, off, s[0:3], 0 offset:60
	;; [unrolled: 1-line block ×16, first 2 shown]
	ds_read_b128 v[120:123], v118 offset:512
	ds_read_b128 v[124:127], v118 offset:528
	;; [unrolled: 1-line block ×4, first 2 shown]
	v_cmp_lt_u32_e32 vcc, 6, v0
	s_waitcnt vmcnt(12) lgkmcnt(3)
	v_fma_f64 v[116:117], v[116:117], v[120:121], 0
	buffer_load_dword v121, off, s[0:3], 0 offset:124
	buffer_load_dword v120, off, s[0:3], 0 offset:120
	s_waitcnt vmcnt(12)
	v_fmac_f64_e32 v[116:117], v[136:137], v[122:123]
	s_waitcnt vmcnt(10) lgkmcnt(2)
	v_fmac_f64_e32 v[116:117], v[138:139], v[124:125]
	buffer_load_dword v125, off, s[0:3], 0 offset:132
	buffer_load_dword v124, off, s[0:3], 0 offset:128
	s_waitcnt vmcnt(10)
	v_fmac_f64_e32 v[116:117], v[140:141], v[126:127]
	s_waitcnt vmcnt(8) lgkmcnt(1)
	v_fmac_f64_e32 v[116:117], v[142:143], v[128:129]
	s_waitcnt vmcnt(6)
	v_fmac_f64_e32 v[116:117], v[144:145], v[130:131]
	s_waitcnt vmcnt(4) lgkmcnt(0)
	v_fmac_f64_e32 v[116:117], v[146:147], v[132:133]
	s_waitcnt vmcnt(2)
	v_fmac_f64_e32 v[116:117], v[120:121], v[134:135]
	ds_read_b128 v[120:123], v118 offset:576
	s_waitcnt vmcnt(0) lgkmcnt(0)
	v_fmac_f64_e32 v[116:117], v[124:125], v[120:121]
	buffer_load_dword v121, off, s[0:3], 0 offset:140
	buffer_load_dword v120, off, s[0:3], 0 offset:136
	buffer_load_dword v125, off, s[0:3], 0 offset:148
	buffer_load_dword v124, off, s[0:3], 0 offset:144
	s_waitcnt vmcnt(2)
	v_fmac_f64_e32 v[116:117], v[120:121], v[122:123]
	ds_read_b128 v[120:123], v118 offset:592
	s_waitcnt vmcnt(0) lgkmcnt(0)
	v_fmac_f64_e32 v[116:117], v[124:125], v[120:121]
	buffer_load_dword v121, off, s[0:3], 0 offset:156
	buffer_load_dword v120, off, s[0:3], 0 offset:152
	buffer_load_dword v125, off, s[0:3], 0 offset:164
	buffer_load_dword v124, off, s[0:3], 0 offset:160
	;; [unrolled: 9-line block ×18, first 2 shown]
	s_waitcnt vmcnt(2)
	v_fmac_f64_e32 v[116:117], v[120:121], v[122:123]
	ds_read_b128 v[120:123], v118 offset:864
	s_waitcnt vmcnt(0) lgkmcnt(0)
	v_fmac_f64_e32 v[116:117], v[124:125], v[120:121]
	buffer_load_dword v121, off, s[0:3], 0 offset:428
	buffer_load_dword v120, off, s[0:3], 0 offset:424
	s_waitcnt vmcnt(0)
	v_fmac_f64_e32 v[116:117], v[120:121], v[122:123]
	buffer_load_dword v123, off, s[0:3], 0 offset:436
	buffer_load_dword v122, off, s[0:3], 0 offset:432
	ds_read_b128 v[118:121], v118 offset:880
	s_waitcnt vmcnt(0) lgkmcnt(0)
	v_fmac_f64_e32 v[116:117], v[122:123], v[118:119]
	buffer_load_dword v119, off, s[0:3], 0 offset:444
	buffer_load_dword v118, off, s[0:3], 0 offset:440
	s_waitcnt vmcnt(0)
	v_fmac_f64_e32 v[116:117], v[118:119], v[120:121]
	v_add_f64 v[114:115], v[114:115], -v[116:117]
	buffer_store_dword v115, off, s[0:3], 0 offset:60
	buffer_store_dword v114, off, s[0:3], 0 offset:56
	s_and_saveexec_b64 s[4:5], vcc
	s_cbranch_execz .LBB55_331
; %bb.330:
	buffer_load_dword v114, off, s[0:3], 0 offset:48
	buffer_load_dword v115, off, s[0:3], 0 offset:52
	v_mov_b32_e32 v116, 0
	buffer_store_dword v116, off, s[0:3], 0 offset:48
	buffer_store_dword v116, off, s[0:3], 0 offset:52
	s_waitcnt vmcnt(2)
	ds_write_b64 v1, v[114:115]
.LBB55_331:
	s_or_b64 exec, exec, s[4:5]
	s_waitcnt lgkmcnt(0)
	; wave barrier
	s_waitcnt lgkmcnt(0)
	buffer_load_dword v114, off, s[0:3], 0 offset:48
	buffer_load_dword v115, off, s[0:3], 0 offset:52
	buffer_load_dword v116, off, s[0:3], 0 offset:56
	buffer_load_dword v117, off, s[0:3], 0 offset:60
	buffer_load_dword v124, off, s[0:3], 0 offset:64
	buffer_load_dword v125, off, s[0:3], 0 offset:68
	buffer_load_dword v126, off, s[0:3], 0 offset:72
	buffer_load_dword v127, off, s[0:3], 0 offset:76
	buffer_load_dword v128, off, s[0:3], 0 offset:80
	buffer_load_dword v129, off, s[0:3], 0 offset:84
	buffer_load_dword v130, off, s[0:3], 0 offset:88
	buffer_load_dword v131, off, s[0:3], 0 offset:92
	buffer_load_dword v132, off, s[0:3], 0 offset:96
	buffer_load_dword v133, off, s[0:3], 0 offset:100
	buffer_load_dword v134, off, s[0:3], 0 offset:104
	buffer_load_dword v135, off, s[0:3], 0 offset:108
	v_mov_b32_e32 v118, 0
	ds_read2_b64 v[120:123], v118 offset0:63 offset1:64
	v_cmp_lt_u32_e32 vcc, 5, v0
	s_waitcnt vmcnt(12) lgkmcnt(0)
	v_fma_f64 v[116:117], v[116:117], v[120:121], 0
	s_waitcnt vmcnt(10)
	v_fmac_f64_e32 v[116:117], v[124:125], v[122:123]
	ds_read2_b64 v[120:123], v118 offset0:65 offset1:66
	s_waitcnt vmcnt(8) lgkmcnt(0)
	v_fmac_f64_e32 v[116:117], v[126:127], v[120:121]
	s_waitcnt vmcnt(6)
	v_fmac_f64_e32 v[116:117], v[128:129], v[122:123]
	ds_read2_b64 v[120:123], v118 offset0:67 offset1:68
	s_waitcnt vmcnt(4) lgkmcnt(0)
	v_fmac_f64_e32 v[116:117], v[130:131], v[120:121]
	;; [unrolled: 5-line block ×3, first 2 shown]
	buffer_load_dword v121, off, s[0:3], 0 offset:116
	buffer_load_dword v120, off, s[0:3], 0 offset:112
	buffer_load_dword v125, off, s[0:3], 0 offset:124
	buffer_load_dword v124, off, s[0:3], 0 offset:120
	s_waitcnt vmcnt(2)
	v_fmac_f64_e32 v[116:117], v[120:121], v[122:123]
	ds_read2_b64 v[120:123], v118 offset0:71 offset1:72
	s_waitcnt vmcnt(0) lgkmcnt(0)
	v_fmac_f64_e32 v[116:117], v[124:125], v[120:121]
	buffer_load_dword v121, off, s[0:3], 0 offset:132
	buffer_load_dword v120, off, s[0:3], 0 offset:128
	buffer_load_dword v125, off, s[0:3], 0 offset:140
	buffer_load_dword v124, off, s[0:3], 0 offset:136
	s_waitcnt vmcnt(2)
	v_fmac_f64_e32 v[116:117], v[120:121], v[122:123]
	ds_read2_b64 v[120:123], v118 offset0:73 offset1:74
	s_waitcnt vmcnt(0) lgkmcnt(0)
	v_fmac_f64_e32 v[116:117], v[124:125], v[120:121]
	;; [unrolled: 9-line block ×20, first 2 shown]
	buffer_load_dword v121, off, s[0:3], 0 offset:436
	buffer_load_dword v120, off, s[0:3], 0 offset:432
	s_waitcnt vmcnt(0)
	v_fmac_f64_e32 v[116:117], v[120:121], v[122:123]
	buffer_load_dword v121, off, s[0:3], 0 offset:444
	buffer_load_dword v120, off, s[0:3], 0 offset:440
	ds_read_b64 v[122:123], v118 offset:888
	s_waitcnt vmcnt(0) lgkmcnt(0)
	v_fmac_f64_e32 v[116:117], v[120:121], v[122:123]
	v_add_f64 v[114:115], v[114:115], -v[116:117]
	buffer_store_dword v115, off, s[0:3], 0 offset:52
	buffer_store_dword v114, off, s[0:3], 0 offset:48
	s_and_saveexec_b64 s[4:5], vcc
	s_cbranch_execz .LBB55_333
; %bb.332:
	buffer_load_dword v114, off, s[0:3], 0 offset:40
	buffer_load_dword v115, off, s[0:3], 0 offset:44
	s_waitcnt vmcnt(0)
	ds_write_b64 v1, v[114:115]
	buffer_store_dword v118, off, s[0:3], 0 offset:40
	buffer_store_dword v118, off, s[0:3], 0 offset:44
.LBB55_333:
	s_or_b64 exec, exec, s[4:5]
	s_waitcnt lgkmcnt(0)
	; wave barrier
	s_waitcnt lgkmcnt(0)
	buffer_load_dword v114, off, s[0:3], 0 offset:40
	buffer_load_dword v115, off, s[0:3], 0 offset:44
	;; [unrolled: 1-line block ×16, first 2 shown]
	ds_read_b128 v[120:123], v118 offset:496
	v_cmp_lt_u32_e32 vcc, 4, v0
	s_waitcnt vmcnt(12) lgkmcnt(0)
	v_fma_f64 v[116:117], v[116:117], v[120:121], 0
	s_waitcnt vmcnt(10)
	v_fmac_f64_e32 v[116:117], v[124:125], v[122:123]
	ds_read_b128 v[120:123], v118 offset:512
	s_waitcnt vmcnt(8) lgkmcnt(0)
	v_fmac_f64_e32 v[116:117], v[126:127], v[120:121]
	s_waitcnt vmcnt(6)
	v_fmac_f64_e32 v[116:117], v[128:129], v[122:123]
	ds_read_b128 v[120:123], v118 offset:528
	s_waitcnt vmcnt(4) lgkmcnt(0)
	v_fmac_f64_e32 v[116:117], v[130:131], v[120:121]
	;; [unrolled: 5-line block ×3, first 2 shown]
	buffer_load_dword v121, off, s[0:3], 0 offset:108
	buffer_load_dword v120, off, s[0:3], 0 offset:104
	buffer_load_dword v125, off, s[0:3], 0 offset:116
	buffer_load_dword v124, off, s[0:3], 0 offset:112
	s_waitcnt vmcnt(2)
	v_fmac_f64_e32 v[116:117], v[120:121], v[122:123]
	ds_read_b128 v[120:123], v118 offset:560
	s_waitcnt vmcnt(0) lgkmcnt(0)
	v_fmac_f64_e32 v[116:117], v[124:125], v[120:121]
	buffer_load_dword v121, off, s[0:3], 0 offset:124
	buffer_load_dword v120, off, s[0:3], 0 offset:120
	buffer_load_dword v125, off, s[0:3], 0 offset:132
	buffer_load_dword v124, off, s[0:3], 0 offset:128
	s_waitcnt vmcnt(2)
	v_fmac_f64_e32 v[116:117], v[120:121], v[122:123]
	ds_read_b128 v[120:123], v118 offset:576
	s_waitcnt vmcnt(0) lgkmcnt(0)
	v_fmac_f64_e32 v[116:117], v[124:125], v[120:121]
	;; [unrolled: 9-line block ×20, first 2 shown]
	buffer_load_dword v121, off, s[0:3], 0 offset:428
	buffer_load_dword v120, off, s[0:3], 0 offset:424
	s_waitcnt vmcnt(0)
	v_fmac_f64_e32 v[116:117], v[120:121], v[122:123]
	buffer_load_dword v123, off, s[0:3], 0 offset:436
	buffer_load_dword v122, off, s[0:3], 0 offset:432
	ds_read_b128 v[118:121], v118 offset:880
	s_waitcnt vmcnt(0) lgkmcnt(0)
	v_fmac_f64_e32 v[116:117], v[122:123], v[118:119]
	buffer_load_dword v119, off, s[0:3], 0 offset:444
	buffer_load_dword v118, off, s[0:3], 0 offset:440
	s_waitcnt vmcnt(0)
	v_fmac_f64_e32 v[116:117], v[118:119], v[120:121]
	v_add_f64 v[114:115], v[114:115], -v[116:117]
	buffer_store_dword v115, off, s[0:3], 0 offset:44
	buffer_store_dword v114, off, s[0:3], 0 offset:40
	s_and_saveexec_b64 s[4:5], vcc
	s_cbranch_execz .LBB55_335
; %bb.334:
	buffer_load_dword v114, off, s[0:3], 0 offset:32
	buffer_load_dword v115, off, s[0:3], 0 offset:36
	v_mov_b32_e32 v116, 0
	buffer_store_dword v116, off, s[0:3], 0 offset:32
	buffer_store_dword v116, off, s[0:3], 0 offset:36
	s_waitcnt vmcnt(2)
	ds_write_b64 v1, v[114:115]
.LBB55_335:
	s_or_b64 exec, exec, s[4:5]
	s_waitcnt lgkmcnt(0)
	; wave barrier
	s_waitcnt lgkmcnt(0)
	buffer_load_dword v114, off, s[0:3], 0 offset:32
	buffer_load_dword v115, off, s[0:3], 0 offset:36
	;; [unrolled: 1-line block ×16, first 2 shown]
	v_mov_b32_e32 v118, 0
	ds_read2_b64 v[120:123], v118 offset0:61 offset1:62
	v_cmp_lt_u32_e32 vcc, 3, v0
	s_waitcnt vmcnt(12) lgkmcnt(0)
	v_fma_f64 v[116:117], v[116:117], v[120:121], 0
	s_waitcnt vmcnt(10)
	v_fmac_f64_e32 v[116:117], v[124:125], v[122:123]
	ds_read2_b64 v[120:123], v118 offset0:63 offset1:64
	s_waitcnt vmcnt(8) lgkmcnt(0)
	v_fmac_f64_e32 v[116:117], v[126:127], v[120:121]
	s_waitcnt vmcnt(6)
	v_fmac_f64_e32 v[116:117], v[128:129], v[122:123]
	ds_read2_b64 v[120:123], v118 offset0:65 offset1:66
	s_waitcnt vmcnt(4) lgkmcnt(0)
	v_fmac_f64_e32 v[116:117], v[130:131], v[120:121]
	;; [unrolled: 5-line block ×3, first 2 shown]
	buffer_load_dword v121, off, s[0:3], 0 offset:100
	buffer_load_dword v120, off, s[0:3], 0 offset:96
	buffer_load_dword v125, off, s[0:3], 0 offset:108
	buffer_load_dword v124, off, s[0:3], 0 offset:104
	s_waitcnt vmcnt(2)
	v_fmac_f64_e32 v[116:117], v[120:121], v[122:123]
	ds_read2_b64 v[120:123], v118 offset0:69 offset1:70
	s_waitcnt vmcnt(0) lgkmcnt(0)
	v_fmac_f64_e32 v[116:117], v[124:125], v[120:121]
	buffer_load_dword v121, off, s[0:3], 0 offset:116
	buffer_load_dword v120, off, s[0:3], 0 offset:112
	buffer_load_dword v125, off, s[0:3], 0 offset:124
	buffer_load_dword v124, off, s[0:3], 0 offset:120
	s_waitcnt vmcnt(2)
	v_fmac_f64_e32 v[116:117], v[120:121], v[122:123]
	ds_read2_b64 v[120:123], v118 offset0:71 offset1:72
	s_waitcnt vmcnt(0) lgkmcnt(0)
	v_fmac_f64_e32 v[116:117], v[124:125], v[120:121]
	;; [unrolled: 9-line block ×21, first 2 shown]
	buffer_load_dword v121, off, s[0:3], 0 offset:436
	buffer_load_dword v120, off, s[0:3], 0 offset:432
	s_waitcnt vmcnt(0)
	v_fmac_f64_e32 v[116:117], v[120:121], v[122:123]
	buffer_load_dword v121, off, s[0:3], 0 offset:444
	buffer_load_dword v120, off, s[0:3], 0 offset:440
	ds_read_b64 v[122:123], v118 offset:888
	s_waitcnt vmcnt(0) lgkmcnt(0)
	v_fmac_f64_e32 v[116:117], v[120:121], v[122:123]
	v_add_f64 v[114:115], v[114:115], -v[116:117]
	buffer_store_dword v115, off, s[0:3], 0 offset:36
	buffer_store_dword v114, off, s[0:3], 0 offset:32
	s_and_saveexec_b64 s[4:5], vcc
	s_cbranch_execz .LBB55_337
; %bb.336:
	buffer_load_dword v114, off, s[0:3], 0 offset:24
	buffer_load_dword v115, off, s[0:3], 0 offset:28
	s_waitcnt vmcnt(0)
	ds_write_b64 v1, v[114:115]
	buffer_store_dword v118, off, s[0:3], 0 offset:24
	buffer_store_dword v118, off, s[0:3], 0 offset:28
.LBB55_337:
	s_or_b64 exec, exec, s[4:5]
	s_waitcnt lgkmcnt(0)
	; wave barrier
	s_waitcnt lgkmcnt(0)
	buffer_load_dword v114, off, s[0:3], 0 offset:24
	buffer_load_dword v115, off, s[0:3], 0 offset:28
	;; [unrolled: 1-line block ×16, first 2 shown]
	ds_read_b128 v[120:123], v118 offset:480
	v_cmp_lt_u32_e32 vcc, 2, v0
	s_waitcnt vmcnt(12) lgkmcnt(0)
	v_fma_f64 v[116:117], v[116:117], v[120:121], 0
	s_waitcnt vmcnt(10)
	v_fmac_f64_e32 v[116:117], v[124:125], v[122:123]
	ds_read_b128 v[120:123], v118 offset:496
	s_waitcnt vmcnt(8) lgkmcnt(0)
	v_fmac_f64_e32 v[116:117], v[126:127], v[120:121]
	s_waitcnt vmcnt(6)
	v_fmac_f64_e32 v[116:117], v[128:129], v[122:123]
	ds_read_b128 v[120:123], v118 offset:512
	s_waitcnt vmcnt(4) lgkmcnt(0)
	v_fmac_f64_e32 v[116:117], v[130:131], v[120:121]
	;; [unrolled: 5-line block ×3, first 2 shown]
	buffer_load_dword v121, off, s[0:3], 0 offset:92
	buffer_load_dword v120, off, s[0:3], 0 offset:88
	buffer_load_dword v125, off, s[0:3], 0 offset:100
	buffer_load_dword v124, off, s[0:3], 0 offset:96
	s_waitcnt vmcnt(2)
	v_fmac_f64_e32 v[116:117], v[120:121], v[122:123]
	ds_read_b128 v[120:123], v118 offset:544
	s_waitcnt vmcnt(0) lgkmcnt(0)
	v_fmac_f64_e32 v[116:117], v[124:125], v[120:121]
	buffer_load_dword v121, off, s[0:3], 0 offset:108
	buffer_load_dword v120, off, s[0:3], 0 offset:104
	buffer_load_dword v125, off, s[0:3], 0 offset:116
	buffer_load_dword v124, off, s[0:3], 0 offset:112
	s_waitcnt vmcnt(2)
	v_fmac_f64_e32 v[116:117], v[120:121], v[122:123]
	ds_read_b128 v[120:123], v118 offset:560
	s_waitcnt vmcnt(0) lgkmcnt(0)
	v_fmac_f64_e32 v[116:117], v[124:125], v[120:121]
	;; [unrolled: 9-line block ×21, first 2 shown]
	buffer_load_dword v121, off, s[0:3], 0 offset:428
	buffer_load_dword v120, off, s[0:3], 0 offset:424
	s_waitcnt vmcnt(0)
	v_fmac_f64_e32 v[116:117], v[120:121], v[122:123]
	buffer_load_dword v123, off, s[0:3], 0 offset:436
	buffer_load_dword v122, off, s[0:3], 0 offset:432
	ds_read_b128 v[118:121], v118 offset:880
	s_waitcnt vmcnt(0) lgkmcnt(0)
	v_fmac_f64_e32 v[116:117], v[122:123], v[118:119]
	buffer_load_dword v119, off, s[0:3], 0 offset:444
	buffer_load_dword v118, off, s[0:3], 0 offset:440
	s_waitcnt vmcnt(0)
	v_fmac_f64_e32 v[116:117], v[118:119], v[120:121]
	v_add_f64 v[114:115], v[114:115], -v[116:117]
	buffer_store_dword v115, off, s[0:3], 0 offset:28
	buffer_store_dword v114, off, s[0:3], 0 offset:24
	s_and_saveexec_b64 s[4:5], vcc
	s_cbranch_execz .LBB55_339
; %bb.338:
	buffer_load_dword v114, off, s[0:3], 0 offset:16
	buffer_load_dword v115, off, s[0:3], 0 offset:20
	v_mov_b32_e32 v116, 0
	buffer_store_dword v116, off, s[0:3], 0 offset:16
	buffer_store_dword v116, off, s[0:3], 0 offset:20
	s_waitcnt vmcnt(2)
	ds_write_b64 v1, v[114:115]
.LBB55_339:
	s_or_b64 exec, exec, s[4:5]
	s_waitcnt lgkmcnt(0)
	; wave barrier
	s_waitcnt lgkmcnt(0)
	buffer_load_dword v114, off, s[0:3], 0 offset:16
	buffer_load_dword v115, off, s[0:3], 0 offset:20
	;; [unrolled: 1-line block ×16, first 2 shown]
	v_mov_b32_e32 v118, 0
	ds_read2_b64 v[120:123], v118 offset0:59 offset1:60
	v_cmp_lt_u32_e32 vcc, 1, v0
	s_waitcnt vmcnt(12) lgkmcnt(0)
	v_fma_f64 v[116:117], v[116:117], v[120:121], 0
	s_waitcnt vmcnt(10)
	v_fmac_f64_e32 v[116:117], v[124:125], v[122:123]
	ds_read2_b64 v[120:123], v118 offset0:61 offset1:62
	s_waitcnt vmcnt(8) lgkmcnt(0)
	v_fmac_f64_e32 v[116:117], v[126:127], v[120:121]
	s_waitcnt vmcnt(6)
	v_fmac_f64_e32 v[116:117], v[128:129], v[122:123]
	ds_read2_b64 v[120:123], v118 offset0:63 offset1:64
	s_waitcnt vmcnt(4) lgkmcnt(0)
	v_fmac_f64_e32 v[116:117], v[130:131], v[120:121]
	;; [unrolled: 5-line block ×3, first 2 shown]
	buffer_load_dword v121, off, s[0:3], 0 offset:84
	buffer_load_dword v120, off, s[0:3], 0 offset:80
	buffer_load_dword v125, off, s[0:3], 0 offset:92
	buffer_load_dword v124, off, s[0:3], 0 offset:88
	s_waitcnt vmcnt(2)
	v_fmac_f64_e32 v[116:117], v[120:121], v[122:123]
	ds_read2_b64 v[120:123], v118 offset0:67 offset1:68
	s_waitcnt vmcnt(0) lgkmcnt(0)
	v_fmac_f64_e32 v[116:117], v[124:125], v[120:121]
	buffer_load_dword v121, off, s[0:3], 0 offset:100
	buffer_load_dword v120, off, s[0:3], 0 offset:96
	buffer_load_dword v125, off, s[0:3], 0 offset:108
	buffer_load_dword v124, off, s[0:3], 0 offset:104
	s_waitcnt vmcnt(2)
	v_fmac_f64_e32 v[116:117], v[120:121], v[122:123]
	ds_read2_b64 v[120:123], v118 offset0:69 offset1:70
	s_waitcnt vmcnt(0) lgkmcnt(0)
	v_fmac_f64_e32 v[116:117], v[124:125], v[120:121]
	;; [unrolled: 9-line block ×22, first 2 shown]
	buffer_load_dword v121, off, s[0:3], 0 offset:436
	buffer_load_dword v120, off, s[0:3], 0 offset:432
	s_waitcnt vmcnt(0)
	v_fmac_f64_e32 v[116:117], v[120:121], v[122:123]
	buffer_load_dword v121, off, s[0:3], 0 offset:444
	buffer_load_dword v120, off, s[0:3], 0 offset:440
	ds_read_b64 v[122:123], v118 offset:888
	s_waitcnt vmcnt(0) lgkmcnt(0)
	v_fmac_f64_e32 v[116:117], v[120:121], v[122:123]
	v_add_f64 v[114:115], v[114:115], -v[116:117]
	buffer_store_dword v115, off, s[0:3], 0 offset:20
	buffer_store_dword v114, off, s[0:3], 0 offset:16
	s_and_saveexec_b64 s[4:5], vcc
	s_cbranch_execz .LBB55_341
; %bb.340:
	buffer_load_dword v114, off, s[0:3], 0 offset:8
	buffer_load_dword v115, off, s[0:3], 0 offset:12
	s_waitcnt vmcnt(0)
	ds_write_b64 v1, v[114:115]
	buffer_store_dword v118, off, s[0:3], 0 offset:8
	buffer_store_dword v118, off, s[0:3], 0 offset:12
.LBB55_341:
	s_or_b64 exec, exec, s[4:5]
	s_waitcnt lgkmcnt(0)
	; wave barrier
	s_waitcnt lgkmcnt(0)
	buffer_load_dword v114, off, s[0:3], 0 offset:8
	buffer_load_dword v115, off, s[0:3], 0 offset:12
	;; [unrolled: 1-line block ×16, first 2 shown]
	ds_read_b128 v[120:123], v118 offset:464
	v_cmp_ne_u32_e32 vcc, 0, v0
	s_waitcnt vmcnt(12) lgkmcnt(0)
	v_fma_f64 v[116:117], v[116:117], v[120:121], 0
	s_waitcnt vmcnt(10)
	v_fmac_f64_e32 v[116:117], v[124:125], v[122:123]
	ds_read_b128 v[120:123], v118 offset:480
	s_waitcnt vmcnt(8) lgkmcnt(0)
	v_fmac_f64_e32 v[116:117], v[126:127], v[120:121]
	s_waitcnt vmcnt(6)
	v_fmac_f64_e32 v[116:117], v[128:129], v[122:123]
	ds_read_b128 v[120:123], v118 offset:496
	s_waitcnt vmcnt(4) lgkmcnt(0)
	v_fmac_f64_e32 v[116:117], v[130:131], v[120:121]
	;; [unrolled: 5-line block ×3, first 2 shown]
	buffer_load_dword v121, off, s[0:3], 0 offset:76
	buffer_load_dword v120, off, s[0:3], 0 offset:72
	buffer_load_dword v125, off, s[0:3], 0 offset:84
	buffer_load_dword v124, off, s[0:3], 0 offset:80
	s_waitcnt vmcnt(2)
	v_fmac_f64_e32 v[116:117], v[120:121], v[122:123]
	ds_read_b128 v[120:123], v118 offset:528
	s_waitcnt vmcnt(0) lgkmcnt(0)
	v_fmac_f64_e32 v[116:117], v[124:125], v[120:121]
	buffer_load_dword v121, off, s[0:3], 0 offset:92
	buffer_load_dword v120, off, s[0:3], 0 offset:88
	buffer_load_dword v125, off, s[0:3], 0 offset:100
	buffer_load_dword v124, off, s[0:3], 0 offset:96
	s_waitcnt vmcnt(2)
	v_fmac_f64_e32 v[116:117], v[120:121], v[122:123]
	ds_read_b128 v[120:123], v118 offset:544
	s_waitcnt vmcnt(0) lgkmcnt(0)
	v_fmac_f64_e32 v[116:117], v[124:125], v[120:121]
	;; [unrolled: 9-line block ×22, first 2 shown]
	buffer_load_dword v121, off, s[0:3], 0 offset:428
	buffer_load_dword v120, off, s[0:3], 0 offset:424
	s_waitcnt vmcnt(0)
	v_fmac_f64_e32 v[116:117], v[120:121], v[122:123]
	buffer_load_dword v123, off, s[0:3], 0 offset:436
	buffer_load_dword v122, off, s[0:3], 0 offset:432
	ds_read_b128 v[118:121], v118 offset:880
	s_waitcnt vmcnt(0) lgkmcnt(0)
	v_fmac_f64_e32 v[116:117], v[122:123], v[118:119]
	buffer_load_dword v119, off, s[0:3], 0 offset:444
	buffer_load_dword v118, off, s[0:3], 0 offset:440
	s_waitcnt vmcnt(0)
	v_fmac_f64_e32 v[116:117], v[118:119], v[120:121]
	v_add_f64 v[114:115], v[114:115], -v[116:117]
	buffer_store_dword v115, off, s[0:3], 0 offset:12
	buffer_store_dword v114, off, s[0:3], 0 offset:8
	s_and_saveexec_b64 s[4:5], vcc
	s_cbranch_execz .LBB55_343
; %bb.342:
	buffer_load_dword v114, off, s[0:3], 0
	buffer_load_dword v115, off, s[0:3], 0 offset:4
	v_mov_b32_e32 v0, 0
	buffer_store_dword v0, off, s[0:3], 0
	buffer_store_dword v0, off, s[0:3], 0 offset:4
	s_waitcnt vmcnt(2)
	ds_write_b64 v1, v[114:115]
.LBB55_343:
	s_or_b64 exec, exec, s[4:5]
	s_waitcnt lgkmcnt(0)
	; wave barrier
	s_waitcnt lgkmcnt(0)
	buffer_load_dword v0, off, s[0:3], 0
	buffer_load_dword v1, off, s[0:3], 0 offset:4
	buffer_load_dword v120, off, s[0:3], 0 offset:8
	;; [unrolled: 1-line block ×15, first 2 shown]
	v_mov_b32_e32 v118, 0
	ds_read2_b64 v[114:117], v118 offset0:57 offset1:58
	s_and_b64 vcc, exec, s[20:21]
	s_waitcnt vmcnt(12) lgkmcnt(0)
	v_fma_f64 v[114:115], v[120:121], v[114:115], 0
	s_waitcnt vmcnt(10)
	v_fmac_f64_e32 v[114:115], v[122:123], v[116:117]
	ds_read2_b64 v[120:123], v118 offset0:59 offset1:60
	s_waitcnt vmcnt(8) lgkmcnt(0)
	v_fmac_f64_e32 v[114:115], v[124:125], v[120:121]
	s_waitcnt vmcnt(6)
	v_fmac_f64_e32 v[114:115], v[126:127], v[122:123]
	ds_read2_b64 v[120:123], v118 offset0:61 offset1:62
	s_waitcnt vmcnt(4) lgkmcnt(0)
	v_fmac_f64_e32 v[114:115], v[128:129], v[120:121]
	s_waitcnt vmcnt(2)
	v_fmac_f64_e32 v[114:115], v[130:131], v[122:123]
	ds_read2_b64 v[120:123], v118 offset0:63 offset1:64
	buffer_load_dword v117, off, s[0:3], 0 offset:68
	buffer_load_dword v116, off, s[0:3], 0 offset:64
	s_waitcnt vmcnt(2) lgkmcnt(0)
	v_fmac_f64_e32 v[114:115], v[132:133], v[120:121]
	s_waitcnt vmcnt(0)
	v_fmac_f64_e32 v[114:115], v[116:117], v[122:123]
	buffer_load_dword v117, off, s[0:3], 0 offset:76
	buffer_load_dword v116, off, s[0:3], 0 offset:72
	ds_read2_b64 v[120:123], v118 offset0:65 offset1:66
	s_waitcnt vmcnt(0) lgkmcnt(0)
	v_fmac_f64_e32 v[114:115], v[116:117], v[120:121]
	buffer_load_dword v117, off, s[0:3], 0 offset:84
	buffer_load_dword v116, off, s[0:3], 0 offset:80
	s_waitcnt vmcnt(0)
	v_fmac_f64_e32 v[114:115], v[116:117], v[122:123]
	buffer_load_dword v117, off, s[0:3], 0 offset:92
	buffer_load_dword v116, off, s[0:3], 0 offset:88
	ds_read2_b64 v[120:123], v118 offset0:67 offset1:68
	s_waitcnt vmcnt(0) lgkmcnt(0)
	v_fmac_f64_e32 v[114:115], v[116:117], v[120:121]
	buffer_load_dword v117, off, s[0:3], 0 offset:100
	buffer_load_dword v116, off, s[0:3], 0 offset:96
	;; [unrolled: 9-line block ×23, first 2 shown]
	buffer_load_dword v121, off, s[0:3], 0 offset:444
	buffer_load_dword v120, off, s[0:3], 0 offset:440
	ds_read_b64 v[118:119], v118 offset:888
	s_waitcnt vmcnt(2)
	v_fmac_f64_e32 v[114:115], v[116:117], v[122:123]
	s_waitcnt vmcnt(0) lgkmcnt(0)
	v_fmac_f64_e32 v[114:115], v[120:121], v[118:119]
	v_add_f64 v[0:1], v[0:1], -v[114:115]
	buffer_store_dword v1, off, s[0:3], 0 offset:4
	buffer_store_dword v0, off, s[0:3], 0
	s_cbranch_vccz .LBB55_455
; %bb.344:
	v_pk_mov_b32 v[0:1], s[10:11], s[10:11] op_sel:[0,1]
	flat_load_dword v0, v[0:1] offset:216
	s_waitcnt vmcnt(0) lgkmcnt(0)
	v_add_u32_e32 v0, -1, v0
	v_cmp_ne_u32_e32 vcc, 54, v0
	s_and_saveexec_b64 s[4:5], vcc
	s_cbranch_execz .LBB55_346
; %bb.345:
	v_mov_b32_e32 v1, 0
	v_lshl_add_u32 v0, v0, 3, v1
	buffer_load_dword v1, v0, s[0:3], 0 offen offset:4
	buffer_load_dword v114, v0, s[0:3], 0 offen
	s_waitcnt vmcnt(1)
	buffer_store_dword v1, off, s[0:3], 0 offset:436
	s_waitcnt vmcnt(1)
	buffer_store_dword v114, off, s[0:3], 0 offset:432
	buffer_store_dword v117, v0, s[0:3], 0 offen offset:4
	buffer_store_dword v116, v0, s[0:3], 0 offen
.LBB55_346:
	s_or_b64 exec, exec, s[4:5]
	v_pk_mov_b32 v[0:1], s[10:11], s[10:11] op_sel:[0,1]
	flat_load_dword v0, v[0:1] offset:212
	s_waitcnt vmcnt(0) lgkmcnt(0)
	v_add_u32_e32 v0, -1, v0
	v_cmp_ne_u32_e32 vcc, 53, v0
	s_and_saveexec_b64 s[4:5], vcc
	s_cbranch_execz .LBB55_348
; %bb.347:
	v_mov_b32_e32 v1, 0
	v_lshl_add_u32 v0, v0, 3, v1
	buffer_load_dword v1, v0, s[0:3], 0 offen
	buffer_load_dword v114, v0, s[0:3], 0 offen offset:4
	buffer_load_dword v115, off, s[0:3], 0 offset:424
	buffer_load_dword v116, off, s[0:3], 0 offset:428
	s_waitcnt vmcnt(3)
	buffer_store_dword v1, off, s[0:3], 0 offset:424
	s_waitcnt vmcnt(3)
	buffer_store_dword v114, off, s[0:3], 0 offset:428
	s_waitcnt vmcnt(3)
	buffer_store_dword v115, v0, s[0:3], 0 offen
	s_waitcnt vmcnt(3)
	buffer_store_dword v116, v0, s[0:3], 0 offen offset:4
.LBB55_348:
	s_or_b64 exec, exec, s[4:5]
	v_pk_mov_b32 v[0:1], s[10:11], s[10:11] op_sel:[0,1]
	flat_load_dword v0, v[0:1] offset:208
	s_waitcnt vmcnt(0) lgkmcnt(0)
	v_add_u32_e32 v0, -1, v0
	v_cmp_ne_u32_e32 vcc, 52, v0
	s_and_saveexec_b64 s[4:5], vcc
	s_cbranch_execz .LBB55_350
; %bb.349:
	v_mov_b32_e32 v1, 0
	v_lshl_add_u32 v0, v0, 3, v1
	buffer_load_dword v1, v0, s[0:3], 0 offen
	buffer_load_dword v114, v0, s[0:3], 0 offen offset:4
	buffer_load_dword v115, off, s[0:3], 0 offset:420
	buffer_load_dword v116, off, s[0:3], 0 offset:416
	s_waitcnt vmcnt(3)
	buffer_store_dword v1, off, s[0:3], 0 offset:416
	s_waitcnt vmcnt(3)
	buffer_store_dword v114, off, s[0:3], 0 offset:420
	s_waitcnt vmcnt(3)
	buffer_store_dword v115, v0, s[0:3], 0 offen offset:4
	s_waitcnt vmcnt(3)
	buffer_store_dword v116, v0, s[0:3], 0 offen
.LBB55_350:
	s_or_b64 exec, exec, s[4:5]
	v_pk_mov_b32 v[0:1], s[10:11], s[10:11] op_sel:[0,1]
	flat_load_dword v0, v[0:1] offset:204
	s_waitcnt vmcnt(0) lgkmcnt(0)
	v_add_u32_e32 v0, -1, v0
	v_cmp_ne_u32_e32 vcc, 51, v0
	s_and_saveexec_b64 s[4:5], vcc
	s_cbranch_execz .LBB55_352
; %bb.351:
	v_mov_b32_e32 v1, 0
	v_lshl_add_u32 v0, v0, 3, v1
	buffer_load_dword v1, v0, s[0:3], 0 offen
	buffer_load_dword v114, v0, s[0:3], 0 offen offset:4
	buffer_load_dword v115, off, s[0:3], 0 offset:408
	buffer_load_dword v116, off, s[0:3], 0 offset:412
	s_waitcnt vmcnt(3)
	buffer_store_dword v1, off, s[0:3], 0 offset:408
	s_waitcnt vmcnt(3)
	buffer_store_dword v114, off, s[0:3], 0 offset:412
	s_waitcnt vmcnt(3)
	buffer_store_dword v115, v0, s[0:3], 0 offen
	s_waitcnt vmcnt(3)
	buffer_store_dword v116, v0, s[0:3], 0 offen offset:4
.LBB55_352:
	s_or_b64 exec, exec, s[4:5]
	v_pk_mov_b32 v[0:1], s[10:11], s[10:11] op_sel:[0,1]
	flat_load_dword v0, v[0:1] offset:200
	s_waitcnt vmcnt(0) lgkmcnt(0)
	v_add_u32_e32 v0, -1, v0
	v_cmp_ne_u32_e32 vcc, 50, v0
	s_and_saveexec_b64 s[4:5], vcc
	s_cbranch_execz .LBB55_354
; %bb.353:
	v_mov_b32_e32 v1, 0
	v_lshl_add_u32 v0, v0, 3, v1
	buffer_load_dword v1, v0, s[0:3], 0 offen
	buffer_load_dword v114, v0, s[0:3], 0 offen offset:4
	buffer_load_dword v115, off, s[0:3], 0 offset:404
	buffer_load_dword v116, off, s[0:3], 0 offset:400
	s_waitcnt vmcnt(3)
	buffer_store_dword v1, off, s[0:3], 0 offset:400
	s_waitcnt vmcnt(3)
	buffer_store_dword v114, off, s[0:3], 0 offset:404
	s_waitcnt vmcnt(3)
	buffer_store_dword v115, v0, s[0:3], 0 offen offset:4
	s_waitcnt vmcnt(3)
	buffer_store_dword v116, v0, s[0:3], 0 offen
.LBB55_354:
	;; [unrolled: 48-line block ×26, first 2 shown]
	s_or_b64 exec, exec, s[4:5]
	v_pk_mov_b32 v[0:1], s[10:11], s[10:11] op_sel:[0,1]
	flat_load_dword v0, v[0:1] offset:4
	s_waitcnt vmcnt(0) lgkmcnt(0)
	v_add_u32_e32 v0, -1, v0
	v_cmp_ne_u32_e32 vcc, 1, v0
	s_and_saveexec_b64 s[4:5], vcc
	s_cbranch_execz .LBB55_452
; %bb.451:
	v_mov_b32_e32 v1, 0
	v_lshl_add_u32 v0, v0, 3, v1
	buffer_load_dword v1, v0, s[0:3], 0 offen
	buffer_load_dword v114, v0, s[0:3], 0 offen offset:4
	buffer_load_dword v115, off, s[0:3], 0 offset:8
	buffer_load_dword v116, off, s[0:3], 0 offset:12
	s_waitcnt vmcnt(3)
	buffer_store_dword v1, off, s[0:3], 0 offset:8
	s_waitcnt vmcnt(3)
	buffer_store_dword v114, off, s[0:3], 0 offset:12
	s_waitcnt vmcnt(3)
	buffer_store_dword v115, v0, s[0:3], 0 offen
	s_waitcnt vmcnt(3)
	buffer_store_dword v116, v0, s[0:3], 0 offen offset:4
.LBB55_452:
	s_or_b64 exec, exec, s[4:5]
	v_pk_mov_b32 v[0:1], s[10:11], s[10:11] op_sel:[0,1]
	flat_load_dword v114, v[0:1]
	s_nop 0
	buffer_load_dword v0, off, s[0:3], 0
	buffer_load_dword v1, off, s[0:3], 0 offset:4
	s_waitcnt vmcnt(0) lgkmcnt(0)
	v_add_u32_e32 v114, -1, v114
	v_cmp_ne_u32_e32 vcc, 0, v114
	s_and_saveexec_b64 s[4:5], vcc
	s_cbranch_execz .LBB55_454
; %bb.453:
	v_mov_b32_e32 v115, 0
	v_lshl_add_u32 v114, v114, 3, v115
	buffer_load_dword v115, v114, s[0:3], 0 offen offset:4
	buffer_load_dword v116, v114, s[0:3], 0 offen
	s_waitcnt vmcnt(1)
	buffer_store_dword v115, off, s[0:3], 0 offset:4
	s_waitcnt vmcnt(1)
	buffer_store_dword v116, off, s[0:3], 0
	buffer_store_dword v1, v114, s[0:3], 0 offen offset:4
	buffer_store_dword v0, v114, s[0:3], 0 offen
	buffer_load_dword v0, off, s[0:3], 0
	s_nop 0
	buffer_load_dword v1, off, s[0:3], 0 offset:4
.LBB55_454:
	s_or_b64 exec, exec, s[4:5]
.LBB55_455:
	s_waitcnt vmcnt(0)
	global_store_dwordx2 v[112:113], v[0:1], off
	buffer_load_dword v0, off, s[0:3], 0 offset:8
	s_nop 0
	buffer_load_dword v1, off, s[0:3], 0 offset:12
	buffer_load_dword v112, off, s[0:3], 0 offset:16
	;; [unrolled: 1-line block ×15, first 2 shown]
	s_waitcnt vmcnt(14)
	global_store_dwordx2 v[110:111], v[0:1], off
	s_waitcnt vmcnt(13)
	global_store_dwordx2 v[2:3], v[112:113], off
	;; [unrolled: 2-line block ×8, first 2 shown]
	buffer_load_dword v0, off, s[0:3], 0 offset:72
	buffer_load_dword v1, off, s[0:3], 0 offset:76
	s_waitcnt vmcnt(0)
	global_store_dwordx2 v[14:15], v[0:1], off
	buffer_load_dword v0, off, s[0:3], 0 offset:80
	s_nop 0
	buffer_load_dword v1, off, s[0:3], 0 offset:84
	s_waitcnt vmcnt(0)
	global_store_dwordx2 v[16:17], v[0:1], off
	buffer_load_dword v0, off, s[0:3], 0 offset:88
	s_nop 0
	;; [unrolled: 5-line block ×46, first 2 shown]
	buffer_load_dword v1, off, s[0:3], 0 offset:444
	s_waitcnt vmcnt(0)
	global_store_dwordx2 v[100:101], v[0:1], off
	s_endpgm
	.section	.rodata,"a",@progbits
	.p2align	6, 0x0
	.amdhsa_kernel _ZN9rocsolver6v33100L18getri_kernel_smallILi56EdPdEEvT1_iilPiilS4_bb
		.amdhsa_group_segment_fixed_size 904
		.amdhsa_private_segment_fixed_size 464
		.amdhsa_kernarg_size 60
		.amdhsa_user_sgpr_count 8
		.amdhsa_user_sgpr_private_segment_buffer 1
		.amdhsa_user_sgpr_dispatch_ptr 0
		.amdhsa_user_sgpr_queue_ptr 0
		.amdhsa_user_sgpr_kernarg_segment_ptr 1
		.amdhsa_user_sgpr_dispatch_id 0
		.amdhsa_user_sgpr_flat_scratch_init 1
		.amdhsa_user_sgpr_kernarg_preload_length 0
		.amdhsa_user_sgpr_kernarg_preload_offset 0
		.amdhsa_user_sgpr_private_segment_size 0
		.amdhsa_uses_dynamic_stack 0
		.amdhsa_system_sgpr_private_segment_wavefront_offset 1
		.amdhsa_system_sgpr_workgroup_id_x 1
		.amdhsa_system_sgpr_workgroup_id_y 0
		.amdhsa_system_sgpr_workgroup_id_z 0
		.amdhsa_system_sgpr_workgroup_info 0
		.amdhsa_system_vgpr_workitem_id 0
		.amdhsa_next_free_vgpr 166
		.amdhsa_next_free_sgpr 23
		.amdhsa_accum_offset 168
		.amdhsa_reserve_vcc 1
		.amdhsa_reserve_flat_scratch 1
		.amdhsa_float_round_mode_32 0
		.amdhsa_float_round_mode_16_64 0
		.amdhsa_float_denorm_mode_32 3
		.amdhsa_float_denorm_mode_16_64 3
		.amdhsa_dx10_clamp 1
		.amdhsa_ieee_mode 1
		.amdhsa_fp16_overflow 0
		.amdhsa_tg_split 0
		.amdhsa_exception_fp_ieee_invalid_op 0
		.amdhsa_exception_fp_denorm_src 0
		.amdhsa_exception_fp_ieee_div_zero 0
		.amdhsa_exception_fp_ieee_overflow 0
		.amdhsa_exception_fp_ieee_underflow 0
		.amdhsa_exception_fp_ieee_inexact 0
		.amdhsa_exception_int_div_zero 0
	.end_amdhsa_kernel
	.section	.text._ZN9rocsolver6v33100L18getri_kernel_smallILi56EdPdEEvT1_iilPiilS4_bb,"axG",@progbits,_ZN9rocsolver6v33100L18getri_kernel_smallILi56EdPdEEvT1_iilPiilS4_bb,comdat
.Lfunc_end55:
	.size	_ZN9rocsolver6v33100L18getri_kernel_smallILi56EdPdEEvT1_iilPiilS4_bb, .Lfunc_end55-_ZN9rocsolver6v33100L18getri_kernel_smallILi56EdPdEEvT1_iilPiilS4_bb
                                        ; -- End function
	.section	.AMDGPU.csdata,"",@progbits
; Kernel info:
; codeLenInByte = 72528
; NumSgprs: 29
; NumVgprs: 166
; NumAgprs: 0
; TotalNumVgprs: 166
; ScratchSize: 464
; MemoryBound: 1
; FloatMode: 240
; IeeeMode: 1
; LDSByteSize: 904 bytes/workgroup (compile time only)
; SGPRBlocks: 3
; VGPRBlocks: 20
; NumSGPRsForWavesPerEU: 29
; NumVGPRsForWavesPerEU: 166
; AccumOffset: 168
; Occupancy: 3
; WaveLimiterHint : 1
; COMPUTE_PGM_RSRC2:SCRATCH_EN: 1
; COMPUTE_PGM_RSRC2:USER_SGPR: 8
; COMPUTE_PGM_RSRC2:TRAP_HANDLER: 0
; COMPUTE_PGM_RSRC2:TGID_X_EN: 1
; COMPUTE_PGM_RSRC2:TGID_Y_EN: 0
; COMPUTE_PGM_RSRC2:TGID_Z_EN: 0
; COMPUTE_PGM_RSRC2:TIDIG_COMP_CNT: 0
; COMPUTE_PGM_RSRC3_GFX90A:ACCUM_OFFSET: 41
; COMPUTE_PGM_RSRC3_GFX90A:TG_SPLIT: 0
	.section	.text._ZN9rocsolver6v33100L18getri_kernel_smallILi57EdPdEEvT1_iilPiilS4_bb,"axG",@progbits,_ZN9rocsolver6v33100L18getri_kernel_smallILi57EdPdEEvT1_iilPiilS4_bb,comdat
	.globl	_ZN9rocsolver6v33100L18getri_kernel_smallILi57EdPdEEvT1_iilPiilS4_bb ; -- Begin function _ZN9rocsolver6v33100L18getri_kernel_smallILi57EdPdEEvT1_iilPiilS4_bb
	.p2align	8
	.type	_ZN9rocsolver6v33100L18getri_kernel_smallILi57EdPdEEvT1_iilPiilS4_bb,@function
_ZN9rocsolver6v33100L18getri_kernel_smallILi57EdPdEEvT1_iilPiilS4_bb: ; @_ZN9rocsolver6v33100L18getri_kernel_smallILi57EdPdEEvT1_iilPiilS4_bb
; %bb.0:
	s_add_u32 flat_scratch_lo, s6, s9
	s_addc_u32 flat_scratch_hi, s7, 0
	s_add_u32 s0, s0, s9
	s_addc_u32 s1, s1, 0
	v_cmp_gt_u32_e32 vcc, 57, v0
	s_and_saveexec_b64 s[6:7], vcc
	s_cbranch_execz .LBB56_236
; %bb.1:
	s_load_dword s22, s[4:5], 0x38
	s_load_dwordx4 s[16:19], s[4:5], 0x10
	s_load_dwordx4 s[12:15], s[4:5], 0x28
                                        ; implicit-def: $sgpr10_sgpr11
	s_waitcnt lgkmcnt(0)
	s_bitcmp1_b32 s22, 8
	s_cselect_b64 s[20:21], -1, 0
	s_ashr_i32 s9, s8, 31
	s_bfe_u32 s6, s22, 0x10008
	s_cmp_eq_u32 s6, 0
	s_cbranch_scc1 .LBB56_3
; %bb.2:
	s_load_dword s6, s[4:5], 0x20
	s_mul_i32 s7, s8, s13
	s_mul_hi_u32 s10, s8, s12
	s_mul_i32 s11, s9, s12
	s_add_i32 s10, s10, s7
	s_add_i32 s11, s10, s11
	s_mul_i32 s10, s8, s12
	s_waitcnt lgkmcnt(0)
	s_ashr_i32 s7, s6, 31
	s_lshl_b64 s[10:11], s[10:11], 2
	s_add_u32 s10, s18, s10
	s_addc_u32 s11, s19, s11
	s_lshl_b64 s[6:7], s[6:7], 2
	s_add_u32 s10, s10, s6
	s_addc_u32 s11, s11, s7
.LBB56_3:
	s_load_dwordx4 s[4:7], s[4:5], 0x0
	s_mul_i32 s12, s8, s17
	s_mul_hi_u32 s13, s8, s16
	s_add_i32 s17, s13, s12
	s_waitcnt lgkmcnt(0)
	s_ashr_i32 s13, s6, 31
	s_mov_b32 s12, s6
	s_mul_i32 s6, s9, s16
	s_add_i32 s17, s17, s6
	s_mul_i32 s16, s8, s16
	s_lshl_b64 s[16:17], s[16:17], 3
	s_add_u32 s6, s4, s16
	s_addc_u32 s16, s5, s17
	s_lshl_b64 s[4:5], s[12:13], 3
	s_add_u32 s4, s6, s4
	s_addc_u32 s5, s16, s5
	s_add_i32 s6, s7, s7
	v_add_u32_e32 v4, s6, v0
	v_ashrrev_i32_e32 v5, 31, v4
	v_lshlrev_b64 v[2:3], 3, v[4:5]
	v_add_u32_e32 v6, s7, v4
	v_mov_b32_e32 v1, s5
	v_add_co_u32_e32 v2, vcc, s4, v2
	v_ashrrev_i32_e32 v7, 31, v6
	v_addc_co_u32_e32 v3, vcc, v1, v3, vcc
	v_lshlrev_b64 v[4:5], 3, v[6:7]
	v_add_u32_e32 v8, s7, v6
	v_add_co_u32_e32 v4, vcc, s4, v4
	v_ashrrev_i32_e32 v9, 31, v8
	v_addc_co_u32_e32 v5, vcc, v1, v5, vcc
	v_lshlrev_b64 v[6:7], 3, v[8:9]
	v_add_u32_e32 v10, s7, v8
	;; [unrolled: 5-line block ×5, first 2 shown]
	v_add_co_u32_e32 v12, vcc, s4, v12
	v_ashrrev_i32_e32 v15, 31, v14
	v_addc_co_u32_e32 v13, vcc, v1, v13, vcc
	v_lshlrev_b64 v[16:17], 3, v[14:15]
	v_add_co_u32_e32 v18, vcc, s4, v16
	v_add_u32_e32 v16, s7, v14
	v_addc_co_u32_e32 v19, vcc, v1, v17, vcc
	v_ashrrev_i32_e32 v17, 31, v16
	v_lshlrev_b64 v[14:15], 3, v[16:17]
	v_add_u32_e32 v20, s7, v16
	v_add_co_u32_e32 v14, vcc, s4, v14
	v_ashrrev_i32_e32 v21, 31, v20
	v_addc_co_u32_e32 v15, vcc, v1, v15, vcc
	v_lshlrev_b64 v[16:17], 3, v[20:21]
	v_add_u32_e32 v22, s7, v20
	v_add_co_u32_e32 v16, vcc, s4, v16
	v_ashrrev_i32_e32 v23, 31, v22
	v_addc_co_u32_e32 v17, vcc, v1, v17, vcc
	;; [unrolled: 5-line block ×40, first 2 shown]
	v_lshlrev_b64 v[96:97], 3, v[98:99]
	v_add_co_u32_e32 v96, vcc, s4, v96
	v_add_u32_e32 v100, s7, v98
	v_addc_co_u32_e32 v97, vcc, v1, v97, vcc
	v_ashrrev_i32_e32 v101, 31, v100
	v_lshlrev_b32_e32 v1, 3, v0
	v_lshlrev_b64 v[98:99], 3, v[100:101]
	global_load_dwordx2 v[116:117], v1, s[4:5]
	global_load_dwordx2 v[120:121], v[2:3], off
	global_load_dwordx2 v[122:123], v[4:5], off
	;; [unrolled: 1-line block ×3, first 2 shown]
	v_mov_b32_e32 v101, s5
	v_add_co_u32_e32 v114, vcc, s4, v1
	s_ashr_i32 s13, s7, 31
	s_mov_b32 s12, s7
	v_addc_co_u32_e32 v115, vcc, 0, v101, vcc
	s_lshl_b64 s[12:13], s[12:13], 3
	v_mov_b32_e32 v101, s13
	v_add_co_u32_e32 v112, vcc, s12, v114
	v_addc_co_u32_e32 v113, vcc, v115, v101, vcc
	global_load_dwordx2 v[118:119], v[112:113], off
	global_load_dwordx2 v[138:139], v[20:21], off
	global_load_dwordx2 v[126:127], v[8:9], off
	global_load_dwordx2 v[128:129], v[10:11], off
	global_load_dwordx2 v[130:131], v[12:13], off
	global_load_dwordx2 v[134:135], v[14:15], off
	global_load_dwordx2 v[132:133], v[18:19], off
	v_mov_b32_e32 v102, s5
	v_add_co_u32_e32 v98, vcc, s4, v98
	v_addc_co_u32_e32 v99, vcc, v102, v99, vcc
	v_add_u32_e32 v102, s7, v100
	v_ashrrev_i32_e32 v103, 31, v102
	v_lshlrev_b64 v[100:101], 3, v[102:103]
	v_add_u32_e32 v102, s7, v102
	v_mov_b32_e32 v104, s5
	v_add_co_u32_e32 v100, vcc, s4, v100
	v_ashrrev_i32_e32 v103, 31, v102
	v_addc_co_u32_e32 v101, vcc, v104, v101, vcc
	v_lshlrev_b64 v[104:105], 3, v[102:103]
	v_add_u32_e32 v102, s7, v102
	v_mov_b32_e32 v106, s5
	v_add_co_u32_e32 v104, vcc, s4, v104
	v_ashrrev_i32_e32 v103, 31, v102
	v_addc_co_u32_e32 v105, vcc, v106, v105, vcc
	;; [unrolled: 6-line block ×4, first 2 shown]
	v_lshlrev_b64 v[110:111], 3, v[102:103]
	v_mov_b32_e32 v148, s5
	v_add_co_u32_e32 v110, vcc, s4, v110
	global_load_dwordx2 v[136:137], v[16:17], off
	global_load_dwordx2 v[140:141], v[22:23], off
	;; [unrolled: 1-line block ×5, first 2 shown]
	v_addc_co_u32_e32 v111, vcc, v148, v111, vcc
	global_load_dwordx2 v[148:149], v[30:31], off
	global_load_dwordx2 v[150:151], v[32:33], off
	;; [unrolled: 1-line block ×6, first 2 shown]
	v_add_u32_e32 v102, s7, v102
	v_ashrrev_i32_e32 v103, 31, v102
	v_lshlrev_b64 v[102:103], 3, v[102:103]
	v_mov_b32_e32 v160, s5
	v_add_co_u32_e32 v102, vcc, s4, v102
	v_addc_co_u32_e32 v103, vcc, v160, v103, vcc
	global_load_dwordx2 v[160:161], v[42:43], off
	global_load_dwordx2 v[162:163], v[44:45], off
	s_waitcnt vmcnt(23)
	buffer_store_dword v117, off, s[0:3], 0 offset:4
	buffer_store_dword v116, off, s[0:3], 0
	global_load_dwordx2 v[116:117], v[46:47], off
	s_waitcnt vmcnt(22)
	buffer_store_dword v119, off, s[0:3], 0 offset:12
	buffer_store_dword v118, off, s[0:3], 0 offset:8
	global_load_dwordx2 v[118:119], v[48:49], off
	s_nop 0
	buffer_store_dword v121, off, s[0:3], 0 offset:20
	buffer_store_dword v120, off, s[0:3], 0 offset:16
	global_load_dwordx2 v[120:121], v[50:51], off
	s_nop 0
	buffer_store_dword v123, off, s[0:3], 0 offset:28
	buffer_store_dword v122, off, s[0:3], 0 offset:24
	global_load_dwordx2 v[122:123], v[52:53], off
	s_nop 0
	buffer_store_dword v125, off, s[0:3], 0 offset:36
	buffer_store_dword v124, off, s[0:3], 0 offset:32
	global_load_dwordx2 v[124:125], v[54:55], off
	s_waitcnt vmcnt(32)
	buffer_store_dword v127, off, s[0:3], 0 offset:44
	buffer_store_dword v126, off, s[0:3], 0 offset:40
	global_load_dwordx2 v[126:127], v[56:57], off
	s_waitcnt vmcnt(34)
	;; [unrolled: 4-line block ×4, first 2 shown]
	buffer_store_dword v133, off, s[0:3], 0 offset:68
	buffer_store_dword v132, off, s[0:3], 0 offset:64
	global_load_dwordx2 v[132:133], v[62:63], off
	s_nop 0
	buffer_store_dword v134, off, s[0:3], 0 offset:72
	buffer_store_dword v135, off, s[0:3], 0 offset:76
	s_waitcnt vmcnt(41)
	buffer_store_dword v136, off, s[0:3], 0 offset:80
	buffer_store_dword v137, off, s[0:3], 0 offset:84
	;; [unrolled: 1-line block ×4, first 2 shown]
	s_waitcnt vmcnt(44)
	buffer_store_dword v140, off, s[0:3], 0 offset:96
	buffer_store_dword v141, off, s[0:3], 0 offset:100
	s_waitcnt vmcnt(45)
	buffer_store_dword v142, off, s[0:3], 0 offset:104
	buffer_store_dword v143, off, s[0:3], 0 offset:108
	;; [unrolled: 3-line block ×9, first 2 shown]
	s_waitcnt vmcnt(53)
	buffer_store_dword v158, off, s[0:3], 0 offset:168
	global_load_dwordx2 v[134:135], v[64:65], off
	global_load_dwordx2 v[136:137], v[66:67], off
	;; [unrolled: 1-line block ×12, first 2 shown]
	s_bitcmp0_b32 s22, 0
	s_waitcnt vmcnt(61)
	buffer_store_dword v116, off, s[0:3], 0 offset:192
	buffer_store_dword v117, off, s[0:3], 0 offset:196
	global_load_dwordx2 v[116:117], v[78:79], off
	s_mov_b64 s[6:7], -1
	buffer_store_dword v159, off, s[0:3], 0 offset:172
	global_load_dwordx2 v[158:159], v[100:101], off
	s_nop 0
	buffer_store_dword v160, off, s[0:3], 0 offset:176
	buffer_store_dword v161, off, s[0:3], 0 offset:180
	s_waitcnt vmcnt(62)
	buffer_store_dword v119, off, s[0:3], 0 offset:204
	buffer_store_dword v118, off, s[0:3], 0 offset:200
	global_load_dwordx2 v[118:119], v[82:83], off
	s_nop 0
	buffer_store_dword v121, off, s[0:3], 0 offset:212
	buffer_store_dword v120, off, s[0:3], 0 offset:208
	global_load_dwordx2 v[120:121], v[86:87], off
	s_waitcnt vmcnt(62)
	buffer_store_dword v122, off, s[0:3], 0 offset:216
	buffer_store_dword v123, off, s[0:3], 0 offset:220
	global_load_dwordx2 v[122:123], v[90:91], off
	s_nop 0
	buffer_store_dword v124, off, s[0:3], 0 offset:224
	buffer_store_dword v125, off, s[0:3], 0 offset:228
	global_load_dwordx2 v[124:125], v[94:95], off
	;; [unrolled: 8-line block ×3, first 2 shown]
	s_nop 0
	global_load_dwordx2 v[160:161], v[106:107], off
	s_waitcnt vmcnt(62)
	buffer_store_dword v131, off, s[0:3], 0 offset:252
	buffer_store_dword v130, off, s[0:3], 0 offset:248
	global_load_dwordx2 v[130:131], v[108:109], off
	s_nop 0
	buffer_store_dword v162, off, s[0:3], 0 offset:184
	buffer_store_dword v163, off, s[0:3], 0 offset:188
	global_load_dwordx2 v[162:163], v[110:111], off
	s_nop 0
	buffer_store_dword v133, off, s[0:3], 0 offset:260
	buffer_store_dword v132, off, s[0:3], 0 offset:256
	global_load_dwordx2 v[132:133], v[102:103], off
	s_waitcnt vmcnt(46)
	buffer_store_dword v134, off, s[0:3], 0 offset:264
	buffer_store_dword v135, off, s[0:3], 0 offset:268
	s_waitcnt vmcnt(47)
	buffer_store_dword v136, off, s[0:3], 0 offset:272
	buffer_store_dword v137, off, s[0:3], 0 offset:276
	;; [unrolled: 3-line block ×8, first 2 shown]
	buffer_store_dword v148, off, s[0:3], 0 offset:328
	buffer_store_dword v149, off, s[0:3], 0 offset:332
	s_waitcnt vmcnt(43)
	buffer_store_dword v118, off, s[0:3], 0 offset:336
	buffer_store_dword v119, off, s[0:3], 0 offset:340
	buffer_store_dword v151, off, s[0:3], 0 offset:348
	buffer_store_dword v150, off, s[0:3], 0 offset:344
	s_waitcnt vmcnt(44)
	buffer_store_dword v121, off, s[0:3], 0 offset:356
	buffer_store_dword v120, off, s[0:3], 0 offset:352
	buffer_store_dword v152, off, s[0:3], 0 offset:360
	buffer_store_dword v153, off, s[0:3], 0 offset:364
	s_waitcnt vmcnt(45)
	buffer_store_dword v122, off, s[0:3], 0 offset:368
	buffer_store_dword v123, off, s[0:3], 0 offset:372
	buffer_store_dword v154, off, s[0:3], 0 offset:376
	buffer_store_dword v155, off, s[0:3], 0 offset:380
	s_waitcnt vmcnt(46)
	buffer_store_dword v124, off, s[0:3], 0 offset:384
	buffer_store_dword v125, off, s[0:3], 0 offset:388
	buffer_store_dword v157, off, s[0:3], 0 offset:396
	buffer_store_dword v156, off, s[0:3], 0 offset:392
	s_waitcnt vmcnt(47)
	buffer_store_dword v127, off, s[0:3], 0 offset:404
	buffer_store_dword v126, off, s[0:3], 0 offset:400
	buffer_store_dword v158, off, s[0:3], 0 offset:408
	buffer_store_dword v159, off, s[0:3], 0 offset:412
	s_waitcnt vmcnt(48)
	buffer_store_dword v128, off, s[0:3], 0 offset:416
	buffer_store_dword v129, off, s[0:3], 0 offset:420
	s_waitcnt vmcnt(49)
	buffer_store_dword v160, off, s[0:3], 0 offset:424
	buffer_store_dword v161, off, s[0:3], 0 offset:428
	s_waitcnt vmcnt(48)
	buffer_store_dword v130, off, s[0:3], 0 offset:432
	buffer_store_dword v131, off, s[0:3], 0 offset:436
	;; [unrolled: 3-line block ×4, first 2 shown]
	s_cbranch_scc1 .LBB56_234
; %bb.4:
	v_cmp_eq_u32_e64 s[4:5], 0, v0
	s_and_saveexec_b64 s[6:7], s[4:5]
	s_cbranch_execz .LBB56_6
; %bb.5:
	v_mov_b32_e32 v116, 0
	ds_write_b32 v116, v116 offset:456
.LBB56_6:
	s_or_b64 exec, exec, s[6:7]
	v_mov_b32_e32 v116, 0
	v_lshl_add_u32 v116, v0, 3, v116
	s_waitcnt lgkmcnt(0)
	; wave barrier
	s_waitcnt lgkmcnt(0)
	buffer_load_dword v118, v116, s[0:3], 0 offen
	buffer_load_dword v119, v116, s[0:3], 0 offen offset:4
	s_waitcnt vmcnt(0)
	v_cmp_eq_f64_e32 vcc, 0, v[118:119]
	s_and_saveexec_b64 s[12:13], vcc
	s_cbranch_execz .LBB56_10
; %bb.7:
	v_mov_b32_e32 v117, 0
	ds_read_b32 v119, v117 offset:456
	v_add_u32_e32 v118, 1, v0
	s_waitcnt lgkmcnt(0)
	v_readfirstlane_b32 s6, v119
	s_cmp_eq_u32 s6, 0
	s_cselect_b64 s[16:17], -1, 0
	v_cmp_gt_i32_e32 vcc, s6, v118
	s_or_b64 s[16:17], s[16:17], vcc
	s_and_b64 exec, exec, s[16:17]
	s_cbranch_execz .LBB56_10
; %bb.8:
	s_mov_b64 s[16:17], 0
	v_mov_b32_e32 v119, s6
.LBB56_9:                               ; =>This Inner Loop Header: Depth=1
	ds_cmpst_rtn_b32 v119, v117, v119, v118 offset:456
	s_waitcnt lgkmcnt(0)
	v_cmp_ne_u32_e32 vcc, 0, v119
	v_cmp_le_i32_e64 s[6:7], v119, v118
	s_and_b64 s[6:7], vcc, s[6:7]
	s_and_b64 s[6:7], exec, s[6:7]
	s_or_b64 s[16:17], s[6:7], s[16:17]
	s_andn2_b64 exec, exec, s[16:17]
	s_cbranch_execnz .LBB56_9
.LBB56_10:
	s_or_b64 exec, exec, s[12:13]
	v_mov_b32_e32 v118, 0
	s_waitcnt lgkmcnt(0)
	; wave barrier
	ds_read_b32 v117, v118 offset:456
	s_and_saveexec_b64 s[6:7], s[4:5]
	s_cbranch_execz .LBB56_12
; %bb.11:
	s_lshl_b64 s[12:13], s[8:9], 2
	s_add_u32 s12, s14, s12
	s_addc_u32 s13, s15, s13
	s_waitcnt lgkmcnt(0)
	global_store_dword v118, v117, s[12:13]
.LBB56_12:
	s_or_b64 exec, exec, s[6:7]
	s_waitcnt lgkmcnt(0)
	v_cmp_ne_u32_e32 vcc, 0, v117
	s_mov_b64 s[6:7], 0
	s_cbranch_vccnz .LBB56_234
; %bb.13:
	buffer_load_dword v118, v116, s[0:3], 0 offen
	buffer_load_dword v119, v116, s[0:3], 0 offen offset:4
	s_waitcnt vmcnt(0)
	v_div_scale_f64 v[120:121], s[6:7], v[118:119], v[118:119], 1.0
	v_rcp_f64_e32 v[122:123], v[120:121]
	v_div_scale_f64 v[124:125], vcc, 1.0, v[118:119], 1.0
	v_fma_f64 v[126:127], -v[120:121], v[122:123], 1.0
	v_fmac_f64_e32 v[122:123], v[122:123], v[126:127]
	v_fma_f64 v[126:127], -v[120:121], v[122:123], 1.0
	v_fmac_f64_e32 v[122:123], v[122:123], v[126:127]
	v_mul_f64 v[126:127], v[124:125], v[122:123]
	v_fma_f64 v[120:121], -v[120:121], v[126:127], v[124:125]
	v_div_fmas_f64 v[120:121], v[120:121], v[122:123], v[126:127]
	v_div_fixup_f64 v[120:121], v[120:121], v[118:119], 1.0
	buffer_store_dword v121, v116, s[0:3], 0 offen offset:4
	buffer_store_dword v120, v116, s[0:3], 0 offen
	buffer_load_dword v123, off, s[0:3], 0 offset:12
	buffer_load_dword v122, off, s[0:3], 0 offset:8
	v_add_u32_e32 v118, 0x1d0, v1
	v_xor_b32_e32 v121, 0x80000000, v121
	s_waitcnt vmcnt(0)
	ds_write2_b64 v1, v[120:121], v[122:123] offset1:58
	s_waitcnt lgkmcnt(0)
	; wave barrier
	s_waitcnt lgkmcnt(0)
	s_and_saveexec_b64 s[6:7], s[4:5]
	s_cbranch_execz .LBB56_15
; %bb.14:
	buffer_load_dword v120, v116, s[0:3], 0 offen
	buffer_load_dword v121, v116, s[0:3], 0 offen offset:4
	v_mov_b32_e32 v117, 0
	ds_read_b64 v[122:123], v118
	ds_read_b64 v[124:125], v117 offset:8
	s_waitcnt vmcnt(0) lgkmcnt(1)
	v_fma_f64 v[120:121], v[120:121], v[122:123], 0
	s_waitcnt lgkmcnt(0)
	v_mul_f64 v[120:121], v[120:121], v[124:125]
	buffer_store_dword v120, off, s[0:3], 0 offset:8
	buffer_store_dword v121, off, s[0:3], 0 offset:12
.LBB56_15:
	s_or_b64 exec, exec, s[6:7]
	s_waitcnt lgkmcnt(0)
	; wave barrier
	buffer_load_dword v120, off, s[0:3], 0 offset:16
	buffer_load_dword v121, off, s[0:3], 0 offset:20
	v_cmp_gt_u32_e32 vcc, 2, v0
	s_waitcnt vmcnt(0)
	ds_write_b64 v118, v[120:121]
	s_waitcnt lgkmcnt(0)
	; wave barrier
	s_waitcnt lgkmcnt(0)
	s_and_saveexec_b64 s[6:7], vcc
	s_cbranch_execz .LBB56_17
; %bb.16:
	buffer_load_dword v117, v116, s[0:3], 0 offen offset:4
	buffer_load_dword v124, off, s[0:3], 0 offset:8
	s_nop 0
	buffer_load_dword v116, v116, s[0:3], 0 offen
	s_nop 0
	buffer_load_dword v125, off, s[0:3], 0 offset:12
	ds_read_b64 v[126:127], v118
	v_mov_b32_e32 v119, 0
	ds_read2_b64 v[120:123], v119 offset0:2 offset1:59
	s_waitcnt vmcnt(1) lgkmcnt(1)
	v_fma_f64 v[116:117], v[116:117], v[126:127], 0
	s_waitcnt vmcnt(0) lgkmcnt(0)
	v_fma_f64 v[122:123], v[124:125], v[122:123], v[116:117]
	v_cndmask_b32_e64 v117, v117, v123, s[4:5]
	v_cndmask_b32_e64 v116, v116, v122, s[4:5]
	v_mul_f64 v[116:117], v[116:117], v[120:121]
	buffer_store_dword v117, off, s[0:3], 0 offset:20
	buffer_store_dword v116, off, s[0:3], 0 offset:16
.LBB56_17:
	s_or_b64 exec, exec, s[6:7]
	s_waitcnt lgkmcnt(0)
	; wave barrier
	buffer_load_dword v116, off, s[0:3], 0 offset:24
	buffer_load_dword v117, off, s[0:3], 0 offset:28
	v_cmp_gt_u32_e32 vcc, 3, v0
	v_add_u32_e32 v119, -1, v0
	s_waitcnt vmcnt(0)
	ds_write_b64 v118, v[116:117]
	s_waitcnt lgkmcnt(0)
	; wave barrier
	s_waitcnt lgkmcnt(0)
	s_and_saveexec_b64 s[4:5], vcc
	s_cbranch_execz .LBB56_21
; %bb.18:
	v_add_u32_e32 v120, -1, v0
	v_add_u32_e32 v121, 0x1d0, v1
	v_add_u32_e32 v122, 0, v1
	s_mov_b64 s[6:7], 0
	v_pk_mov_b32 v[116:117], 0, 0
.LBB56_19:                              ; =>This Inner Loop Header: Depth=1
	buffer_load_dword v124, v122, s[0:3], 0 offen
	buffer_load_dword v125, v122, s[0:3], 0 offen offset:4
	ds_read_b64 v[126:127], v121
	v_add_u32_e32 v120, 1, v120
	v_cmp_lt_u32_e32 vcc, 1, v120
	v_add_u32_e32 v121, 8, v121
	v_add_u32_e32 v122, 8, v122
	s_or_b64 s[6:7], vcc, s[6:7]
	s_waitcnt vmcnt(0) lgkmcnt(0)
	v_fmac_f64_e32 v[116:117], v[124:125], v[126:127]
	s_andn2_b64 exec, exec, s[6:7]
	s_cbranch_execnz .LBB56_19
; %bb.20:
	s_or_b64 exec, exec, s[6:7]
	v_mov_b32_e32 v120, 0
	ds_read_b64 v[120:121], v120 offset:24
	s_waitcnt lgkmcnt(0)
	v_mul_f64 v[116:117], v[116:117], v[120:121]
	buffer_store_dword v117, off, s[0:3], 0 offset:28
	buffer_store_dword v116, off, s[0:3], 0 offset:24
.LBB56_21:
	s_or_b64 exec, exec, s[4:5]
	s_waitcnt lgkmcnt(0)
	; wave barrier
	buffer_load_dword v116, off, s[0:3], 0 offset:32
	buffer_load_dword v117, off, s[0:3], 0 offset:36
	v_cmp_gt_u32_e32 vcc, 4, v0
	s_waitcnt vmcnt(0)
	ds_write_b64 v118, v[116:117]
	s_waitcnt lgkmcnt(0)
	; wave barrier
	s_waitcnt lgkmcnt(0)
	s_and_saveexec_b64 s[4:5], vcc
	s_cbranch_execz .LBB56_25
; %bb.22:
	v_add_u32_e32 v120, -1, v0
	v_add_u32_e32 v121, 0x1d0, v1
	v_add_u32_e32 v122, 0, v1
	s_mov_b64 s[6:7], 0
	v_pk_mov_b32 v[116:117], 0, 0
.LBB56_23:                              ; =>This Inner Loop Header: Depth=1
	buffer_load_dword v124, v122, s[0:3], 0 offen
	buffer_load_dword v125, v122, s[0:3], 0 offen offset:4
	ds_read_b64 v[126:127], v121
	v_add_u32_e32 v120, 1, v120
	v_cmp_lt_u32_e32 vcc, 2, v120
	v_add_u32_e32 v121, 8, v121
	v_add_u32_e32 v122, 8, v122
	s_or_b64 s[6:7], vcc, s[6:7]
	s_waitcnt vmcnt(0) lgkmcnt(0)
	v_fmac_f64_e32 v[116:117], v[124:125], v[126:127]
	s_andn2_b64 exec, exec, s[6:7]
	s_cbranch_execnz .LBB56_23
; %bb.24:
	s_or_b64 exec, exec, s[6:7]
	v_mov_b32_e32 v120, 0
	ds_read_b64 v[120:121], v120 offset:32
	s_waitcnt lgkmcnt(0)
	v_mul_f64 v[116:117], v[116:117], v[120:121]
	buffer_store_dword v117, off, s[0:3], 0 offset:36
	buffer_store_dword v116, off, s[0:3], 0 offset:32
.LBB56_25:
	s_or_b64 exec, exec, s[4:5]
	s_waitcnt lgkmcnt(0)
	; wave barrier
	buffer_load_dword v116, off, s[0:3], 0 offset:40
	buffer_load_dword v117, off, s[0:3], 0 offset:44
	v_cmp_gt_u32_e32 vcc, 5, v0
	;; [unrolled: 41-line block ×21, first 2 shown]
	s_waitcnt vmcnt(0)
	ds_write_b64 v118, v[116:117]
	s_waitcnt lgkmcnt(0)
	; wave barrier
	s_waitcnt lgkmcnt(0)
	s_and_saveexec_b64 s[4:5], vcc
	s_cbranch_execz .LBB56_105
; %bb.102:
	v_add_u32_e32 v120, -1, v0
	v_add_u32_e32 v121, 0x1d0, v1
	v_add_u32_e32 v122, 0, v1
	s_mov_b64 s[6:7], 0
	v_pk_mov_b32 v[116:117], 0, 0
.LBB56_103:                             ; =>This Inner Loop Header: Depth=1
	buffer_load_dword v124, v122, s[0:3], 0 offen
	buffer_load_dword v125, v122, s[0:3], 0 offen offset:4
	ds_read_b64 v[126:127], v121
	v_add_u32_e32 v120, 1, v120
	v_cmp_lt_u32_e32 vcc, 22, v120
	v_add_u32_e32 v121, 8, v121
	v_add_u32_e32 v122, 8, v122
	s_or_b64 s[6:7], vcc, s[6:7]
	s_waitcnt vmcnt(0) lgkmcnt(0)
	v_fmac_f64_e32 v[116:117], v[124:125], v[126:127]
	s_andn2_b64 exec, exec, s[6:7]
	s_cbranch_execnz .LBB56_103
; %bb.104:
	s_or_b64 exec, exec, s[6:7]
	v_mov_b32_e32 v120, 0
	ds_read_b64 v[120:121], v120 offset:192
	s_waitcnt lgkmcnt(0)
	v_mul_f64 v[116:117], v[116:117], v[120:121]
	buffer_store_dword v117, off, s[0:3], 0 offset:196
	buffer_store_dword v116, off, s[0:3], 0 offset:192
.LBB56_105:
	s_or_b64 exec, exec, s[4:5]
	s_waitcnt lgkmcnt(0)
	; wave barrier
	buffer_load_dword v116, off, s[0:3], 0 offset:200
	buffer_load_dword v117, off, s[0:3], 0 offset:204
	v_cmp_gt_u32_e32 vcc, 25, v0
	s_waitcnt vmcnt(0)
	ds_write_b64 v118, v[116:117]
	s_waitcnt lgkmcnt(0)
	; wave barrier
	s_waitcnt lgkmcnt(0)
	s_and_saveexec_b64 s[4:5], vcc
	s_cbranch_execz .LBB56_109
; %bb.106:
	v_add_u32_e32 v120, -1, v0
	v_add_u32_e32 v121, 0x1d0, v1
	v_add_u32_e32 v122, 0, v1
	s_mov_b64 s[6:7], 0
	v_pk_mov_b32 v[116:117], 0, 0
.LBB56_107:                             ; =>This Inner Loop Header: Depth=1
	buffer_load_dword v124, v122, s[0:3], 0 offen
	buffer_load_dword v125, v122, s[0:3], 0 offen offset:4
	ds_read_b64 v[126:127], v121
	v_add_u32_e32 v120, 1, v120
	v_cmp_lt_u32_e32 vcc, 23, v120
	v_add_u32_e32 v121, 8, v121
	v_add_u32_e32 v122, 8, v122
	s_or_b64 s[6:7], vcc, s[6:7]
	s_waitcnt vmcnt(0) lgkmcnt(0)
	v_fmac_f64_e32 v[116:117], v[124:125], v[126:127]
	s_andn2_b64 exec, exec, s[6:7]
	s_cbranch_execnz .LBB56_107
; %bb.108:
	s_or_b64 exec, exec, s[6:7]
	v_mov_b32_e32 v120, 0
	ds_read_b64 v[120:121], v120 offset:200
	s_waitcnt lgkmcnt(0)
	v_mul_f64 v[116:117], v[116:117], v[120:121]
	buffer_store_dword v117, off, s[0:3], 0 offset:204
	buffer_store_dword v116, off, s[0:3], 0 offset:200
.LBB56_109:
	s_or_b64 exec, exec, s[4:5]
	s_waitcnt lgkmcnt(0)
	; wave barrier
	buffer_load_dword v116, off, s[0:3], 0 offset:208
	buffer_load_dword v117, off, s[0:3], 0 offset:212
	v_cmp_gt_u32_e32 vcc, 26, v0
	;; [unrolled: 41-line block ×31, first 2 shown]
	s_waitcnt vmcnt(0)
	ds_write_b64 v118, v[116:117]
	s_waitcnt lgkmcnt(0)
	; wave barrier
	s_waitcnt lgkmcnt(0)
	s_and_saveexec_b64 s[4:5], vcc
	s_cbranch_execz .LBB56_229
; %bb.226:
	v_add_u32_e32 v120, -1, v0
	v_add_u32_e32 v121, 0x1d0, v1
	v_add_u32_e32 v122, 0, v1
	s_mov_b64 s[6:7], 0
	v_pk_mov_b32 v[116:117], 0, 0
.LBB56_227:                             ; =>This Inner Loop Header: Depth=1
	buffer_load_dword v124, v122, s[0:3], 0 offen
	buffer_load_dword v125, v122, s[0:3], 0 offen offset:4
	ds_read_b64 v[126:127], v121
	v_add_u32_e32 v120, 1, v120
	v_cmp_lt_u32_e32 vcc, 53, v120
	v_add_u32_e32 v121, 8, v121
	v_add_u32_e32 v122, 8, v122
	s_or_b64 s[6:7], vcc, s[6:7]
	s_waitcnt vmcnt(0) lgkmcnt(0)
	v_fmac_f64_e32 v[116:117], v[124:125], v[126:127]
	s_andn2_b64 exec, exec, s[6:7]
	s_cbranch_execnz .LBB56_227
; %bb.228:
	s_or_b64 exec, exec, s[6:7]
	v_mov_b32_e32 v120, 0
	ds_read_b64 v[120:121], v120 offset:440
	s_waitcnt lgkmcnt(0)
	v_mul_f64 v[116:117], v[116:117], v[120:121]
	buffer_store_dword v117, off, s[0:3], 0 offset:444
	buffer_store_dword v116, off, s[0:3], 0 offset:440
.LBB56_229:
	s_or_b64 exec, exec, s[4:5]
	s_waitcnt lgkmcnt(0)
	; wave barrier
	buffer_load_dword v116, off, s[0:3], 0 offset:448
	buffer_load_dword v117, off, s[0:3], 0 offset:452
	v_cmp_ne_u32_e32 vcc, 56, v0
	s_waitcnt vmcnt(0)
	ds_write_b64 v118, v[116:117]
	s_waitcnt lgkmcnt(0)
	; wave barrier
	s_waitcnt lgkmcnt(0)
	s_and_saveexec_b64 s[4:5], vcc
	s_cbranch_execz .LBB56_233
; %bb.230:
	v_add_u32_e32 v118, 0x1d0, v1
	v_add_u32_e32 v1, 0, v1
	s_mov_b64 s[6:7], 0
	v_pk_mov_b32 v[116:117], 0, 0
.LBB56_231:                             ; =>This Inner Loop Header: Depth=1
	buffer_load_dword v120, v1, s[0:3], 0 offen
	buffer_load_dword v121, v1, s[0:3], 0 offen offset:4
	ds_read_b64 v[122:123], v118
	v_add_u32_e32 v119, 1, v119
	v_cmp_lt_u32_e32 vcc, 54, v119
	v_add_u32_e32 v118, 8, v118
	v_add_u32_e32 v1, 8, v1
	s_or_b64 s[6:7], vcc, s[6:7]
	s_waitcnt vmcnt(0) lgkmcnt(0)
	v_fmac_f64_e32 v[116:117], v[120:121], v[122:123]
	s_andn2_b64 exec, exec, s[6:7]
	s_cbranch_execnz .LBB56_231
; %bb.232:
	s_or_b64 exec, exec, s[6:7]
	v_mov_b32_e32 v1, 0
	ds_read_b64 v[118:119], v1 offset:448
	s_waitcnt lgkmcnt(0)
	v_mul_f64 v[116:117], v[116:117], v[118:119]
	buffer_store_dword v117, off, s[0:3], 0 offset:452
	buffer_store_dword v116, off, s[0:3], 0 offset:448
.LBB56_233:
	s_or_b64 exec, exec, s[4:5]
	s_mov_b64 s[6:7], -1
	s_waitcnt lgkmcnt(0)
	; wave barrier
.LBB56_234:
	s_and_b64 vcc, exec, s[6:7]
	s_cbranch_vccz .LBB56_236
; %bb.235:
	s_lshl_b64 s[4:5], s[8:9], 2
	s_add_u32 s4, s14, s4
	s_addc_u32 s5, s15, s5
	v_mov_b32_e32 v1, 0
	global_load_dword v1, v1, s[4:5]
	s_waitcnt vmcnt(0)
	v_cmp_ne_u32_e32 vcc, 0, v1
	s_cbranch_vccz .LBB56_237
.LBB56_236:
	s_endpgm
.LBB56_237:
	v_mov_b32_e32 v1, 0x1d0
	v_lshl_add_u32 v1, v0, 3, v1
	v_cmp_eq_u32_e32 vcc, 56, v0
	s_and_saveexec_b64 s[4:5], vcc
	s_cbranch_execz .LBB56_239
; %bb.238:
	buffer_load_dword v116, off, s[0:3], 0 offset:440
	buffer_load_dword v117, off, s[0:3], 0 offset:444
	v_mov_b32_e32 v118, 0
	buffer_store_dword v118, off, s[0:3], 0 offset:440
	buffer_store_dword v118, off, s[0:3], 0 offset:444
	s_waitcnt vmcnt(2)
	ds_write_b64 v1, v[116:117]
.LBB56_239:
	s_or_b64 exec, exec, s[4:5]
	s_waitcnt lgkmcnt(0)
	; wave barrier
	s_waitcnt lgkmcnt(0)
	buffer_load_dword v118, off, s[0:3], 0 offset:448
	buffer_load_dword v119, off, s[0:3], 0 offset:452
	;; [unrolled: 1-line block ×4, first 2 shown]
	v_mov_b32_e32 v116, 0
	ds_read_b64 v[122:123], v116 offset:912
	v_cmp_lt_u32_e32 vcc, 54, v0
	s_waitcnt vmcnt(2) lgkmcnt(0)
	v_fma_f64 v[118:119], v[118:119], v[122:123], 0
	s_waitcnt vmcnt(0)
	v_add_f64 v[118:119], v[120:121], -v[118:119]
	buffer_store_dword v118, off, s[0:3], 0 offset:440
	buffer_store_dword v119, off, s[0:3], 0 offset:444
	s_and_saveexec_b64 s[4:5], vcc
	s_cbranch_execz .LBB56_241
; %bb.240:
	buffer_load_dword v118, off, s[0:3], 0 offset:432
	buffer_load_dword v119, off, s[0:3], 0 offset:436
	s_waitcnt vmcnt(0)
	ds_write_b64 v1, v[118:119]
	buffer_store_dword v116, off, s[0:3], 0 offset:432
	buffer_store_dword v116, off, s[0:3], 0 offset:436
.LBB56_241:
	s_or_b64 exec, exec, s[4:5]
	s_waitcnt lgkmcnt(0)
	; wave barrier
	s_waitcnt lgkmcnt(0)
	buffer_load_dword v120, off, s[0:3], 0 offset:440
	buffer_load_dword v121, off, s[0:3], 0 offset:444
	;; [unrolled: 1-line block ×6, first 2 shown]
	ds_read2_b64 v[116:119], v116 offset0:113 offset1:114
	v_cmp_lt_u32_e32 vcc, 53, v0
	s_waitcnt vmcnt(4) lgkmcnt(0)
	v_fma_f64 v[116:117], v[120:121], v[116:117], 0
	s_waitcnt vmcnt(2)
	v_fmac_f64_e32 v[116:117], v[122:123], v[118:119]
	s_waitcnt vmcnt(0)
	v_add_f64 v[116:117], v[124:125], -v[116:117]
	buffer_store_dword v116, off, s[0:3], 0 offset:432
	buffer_store_dword v117, off, s[0:3], 0 offset:436
	s_and_saveexec_b64 s[4:5], vcc
	s_cbranch_execz .LBB56_243
; %bb.242:
	buffer_load_dword v116, off, s[0:3], 0 offset:424
	buffer_load_dword v117, off, s[0:3], 0 offset:428
	v_mov_b32_e32 v118, 0
	buffer_store_dword v118, off, s[0:3], 0 offset:424
	buffer_store_dword v118, off, s[0:3], 0 offset:428
	s_waitcnt vmcnt(2)
	ds_write_b64 v1, v[116:117]
.LBB56_243:
	s_or_b64 exec, exec, s[4:5]
	s_waitcnt lgkmcnt(0)
	; wave barrier
	s_waitcnt lgkmcnt(0)
	buffer_load_dword v122, off, s[0:3], 0 offset:432
	buffer_load_dword v123, off, s[0:3], 0 offset:436
	;; [unrolled: 1-line block ×8, first 2 shown]
	v_mov_b32_e32 v116, 0
	ds_read_b128 v[118:121], v116 offset:896
	ds_read_b64 v[130:131], v116 offset:912
	v_cmp_lt_u32_e32 vcc, 52, v0
	s_waitcnt vmcnt(6) lgkmcnt(1)
	v_fma_f64 v[118:119], v[122:123], v[118:119], 0
	s_waitcnt vmcnt(4)
	v_fmac_f64_e32 v[118:119], v[124:125], v[120:121]
	s_waitcnt vmcnt(2) lgkmcnt(0)
	v_fmac_f64_e32 v[118:119], v[126:127], v[130:131]
	s_waitcnt vmcnt(0)
	v_add_f64 v[118:119], v[128:129], -v[118:119]
	buffer_store_dword v118, off, s[0:3], 0 offset:424
	buffer_store_dword v119, off, s[0:3], 0 offset:428
	s_and_saveexec_b64 s[4:5], vcc
	s_cbranch_execz .LBB56_245
; %bb.244:
	buffer_load_dword v118, off, s[0:3], 0 offset:416
	buffer_load_dword v119, off, s[0:3], 0 offset:420
	s_waitcnt vmcnt(0)
	ds_write_b64 v1, v[118:119]
	buffer_store_dword v116, off, s[0:3], 0 offset:416
	buffer_store_dword v116, off, s[0:3], 0 offset:420
.LBB56_245:
	s_or_b64 exec, exec, s[4:5]
	s_waitcnt lgkmcnt(0)
	; wave barrier
	s_waitcnt lgkmcnt(0)
	buffer_load_dword v126, off, s[0:3], 0 offset:424
	buffer_load_dword v127, off, s[0:3], 0 offset:428
	;; [unrolled: 1-line block ×10, first 2 shown]
	ds_read2_b64 v[118:121], v116 offset0:111 offset1:112
	ds_read2_b64 v[122:125], v116 offset0:113 offset1:114
	v_cmp_lt_u32_e32 vcc, 51, v0
	s_waitcnt vmcnt(8) lgkmcnt(1)
	v_fma_f64 v[116:117], v[126:127], v[118:119], 0
	s_waitcnt vmcnt(6)
	v_fmac_f64_e32 v[116:117], v[128:129], v[120:121]
	s_waitcnt vmcnt(4) lgkmcnt(0)
	v_fmac_f64_e32 v[116:117], v[130:131], v[122:123]
	s_waitcnt vmcnt(2)
	v_fmac_f64_e32 v[116:117], v[132:133], v[124:125]
	s_waitcnt vmcnt(0)
	v_add_f64 v[116:117], v[134:135], -v[116:117]
	buffer_store_dword v116, off, s[0:3], 0 offset:416
	buffer_store_dword v117, off, s[0:3], 0 offset:420
	s_and_saveexec_b64 s[4:5], vcc
	s_cbranch_execz .LBB56_247
; %bb.246:
	buffer_load_dword v116, off, s[0:3], 0 offset:408
	buffer_load_dword v117, off, s[0:3], 0 offset:412
	v_mov_b32_e32 v118, 0
	buffer_store_dword v118, off, s[0:3], 0 offset:408
	buffer_store_dword v118, off, s[0:3], 0 offset:412
	s_waitcnt vmcnt(2)
	ds_write_b64 v1, v[116:117]
.LBB56_247:
	s_or_b64 exec, exec, s[4:5]
	s_waitcnt lgkmcnt(0)
	; wave barrier
	s_waitcnt lgkmcnt(0)
	buffer_load_dword v126, off, s[0:3], 0 offset:416
	buffer_load_dword v127, off, s[0:3], 0 offset:420
	;; [unrolled: 1-line block ×12, first 2 shown]
	v_mov_b32_e32 v116, 0
	ds_read_b128 v[118:121], v116 offset:880
	ds_read_b128 v[122:125], v116 offset:896
	ds_read_b64 v[138:139], v116 offset:912
	v_cmp_lt_u32_e32 vcc, 50, v0
	s_waitcnt vmcnt(10) lgkmcnt(2)
	v_fma_f64 v[118:119], v[126:127], v[118:119], 0
	s_waitcnt vmcnt(8)
	v_fmac_f64_e32 v[118:119], v[128:129], v[120:121]
	s_waitcnt vmcnt(6) lgkmcnt(1)
	v_fmac_f64_e32 v[118:119], v[130:131], v[122:123]
	s_waitcnt vmcnt(4)
	v_fmac_f64_e32 v[118:119], v[132:133], v[124:125]
	s_waitcnt vmcnt(2) lgkmcnt(0)
	v_fmac_f64_e32 v[118:119], v[134:135], v[138:139]
	s_waitcnt vmcnt(0)
	v_add_f64 v[118:119], v[136:137], -v[118:119]
	buffer_store_dword v118, off, s[0:3], 0 offset:408
	buffer_store_dword v119, off, s[0:3], 0 offset:412
	s_and_saveexec_b64 s[4:5], vcc
	s_cbranch_execz .LBB56_249
; %bb.248:
	buffer_load_dword v118, off, s[0:3], 0 offset:400
	buffer_load_dword v119, off, s[0:3], 0 offset:404
	s_waitcnt vmcnt(0)
	ds_write_b64 v1, v[118:119]
	buffer_store_dword v116, off, s[0:3], 0 offset:400
	buffer_store_dword v116, off, s[0:3], 0 offset:404
.LBB56_249:
	s_or_b64 exec, exec, s[4:5]
	s_waitcnt lgkmcnt(0)
	; wave barrier
	s_waitcnt lgkmcnt(0)
	buffer_load_dword v130, off, s[0:3], 0 offset:408
	buffer_load_dword v131, off, s[0:3], 0 offset:412
	;; [unrolled: 1-line block ×14, first 2 shown]
	ds_read2_b64 v[118:121], v116 offset0:109 offset1:110
	ds_read2_b64 v[122:125], v116 offset0:111 offset1:112
	;; [unrolled: 1-line block ×3, first 2 shown]
	v_cmp_lt_u32_e32 vcc, 49, v0
	s_waitcnt vmcnt(12) lgkmcnt(2)
	v_fma_f64 v[116:117], v[130:131], v[118:119], 0
	s_waitcnt vmcnt(10)
	v_fmac_f64_e32 v[116:117], v[132:133], v[120:121]
	s_waitcnt vmcnt(8) lgkmcnt(1)
	v_fmac_f64_e32 v[116:117], v[134:135], v[122:123]
	s_waitcnt vmcnt(6)
	v_fmac_f64_e32 v[116:117], v[136:137], v[124:125]
	s_waitcnt vmcnt(4) lgkmcnt(0)
	v_fmac_f64_e32 v[116:117], v[138:139], v[126:127]
	s_waitcnt vmcnt(2)
	v_fmac_f64_e32 v[116:117], v[140:141], v[128:129]
	s_waitcnt vmcnt(0)
	v_add_f64 v[116:117], v[142:143], -v[116:117]
	buffer_store_dword v116, off, s[0:3], 0 offset:400
	buffer_store_dword v117, off, s[0:3], 0 offset:404
	s_and_saveexec_b64 s[4:5], vcc
	s_cbranch_execz .LBB56_251
; %bb.250:
	buffer_load_dword v116, off, s[0:3], 0 offset:392
	buffer_load_dword v117, off, s[0:3], 0 offset:396
	v_mov_b32_e32 v118, 0
	buffer_store_dword v118, off, s[0:3], 0 offset:392
	buffer_store_dword v118, off, s[0:3], 0 offset:396
	s_waitcnt vmcnt(2)
	ds_write_b64 v1, v[116:117]
.LBB56_251:
	s_or_b64 exec, exec, s[4:5]
	s_waitcnt lgkmcnt(0)
	; wave barrier
	s_waitcnt lgkmcnt(0)
	buffer_load_dword v130, off, s[0:3], 0 offset:400
	buffer_load_dword v131, off, s[0:3], 0 offset:404
	;; [unrolled: 1-line block ×16, first 2 shown]
	v_mov_b32_e32 v116, 0
	ds_read_b128 v[118:121], v116 offset:864
	ds_read_b128 v[122:125], v116 offset:880
	;; [unrolled: 1-line block ×3, first 2 shown]
	ds_read_b64 v[146:147], v116 offset:912
	v_cmp_lt_u32_e32 vcc, 48, v0
	s_waitcnt vmcnt(14) lgkmcnt(3)
	v_fma_f64 v[118:119], v[130:131], v[118:119], 0
	s_waitcnt vmcnt(12)
	v_fmac_f64_e32 v[118:119], v[132:133], v[120:121]
	s_waitcnt vmcnt(10) lgkmcnt(2)
	v_fmac_f64_e32 v[118:119], v[134:135], v[122:123]
	s_waitcnt vmcnt(8)
	v_fmac_f64_e32 v[118:119], v[136:137], v[124:125]
	s_waitcnt vmcnt(6) lgkmcnt(1)
	v_fmac_f64_e32 v[118:119], v[138:139], v[126:127]
	;; [unrolled: 4-line block ×3, first 2 shown]
	s_waitcnt vmcnt(0)
	v_add_f64 v[118:119], v[144:145], -v[118:119]
	buffer_store_dword v118, off, s[0:3], 0 offset:392
	buffer_store_dword v119, off, s[0:3], 0 offset:396
	s_and_saveexec_b64 s[4:5], vcc
	s_cbranch_execz .LBB56_253
; %bb.252:
	buffer_load_dword v118, off, s[0:3], 0 offset:384
	buffer_load_dword v119, off, s[0:3], 0 offset:388
	s_waitcnt vmcnt(0)
	ds_write_b64 v1, v[118:119]
	buffer_store_dword v116, off, s[0:3], 0 offset:384
	buffer_store_dword v116, off, s[0:3], 0 offset:388
.LBB56_253:
	s_or_b64 exec, exec, s[4:5]
	s_waitcnt lgkmcnt(0)
	; wave barrier
	s_waitcnt lgkmcnt(0)
	buffer_load_dword v134, off, s[0:3], 0 offset:392
	buffer_load_dword v135, off, s[0:3], 0 offset:396
	buffer_load_dword v136, off, s[0:3], 0 offset:400
	buffer_load_dword v137, off, s[0:3], 0 offset:404
	buffer_load_dword v138, off, s[0:3], 0 offset:408
	buffer_load_dword v139, off, s[0:3], 0 offset:412
	buffer_load_dword v140, off, s[0:3], 0 offset:416
	buffer_load_dword v141, off, s[0:3], 0 offset:420
	buffer_load_dword v142, off, s[0:3], 0 offset:424
	buffer_load_dword v143, off, s[0:3], 0 offset:428
	buffer_load_dword v144, off, s[0:3], 0 offset:432
	buffer_load_dword v145, off, s[0:3], 0 offset:436
	buffer_load_dword v146, off, s[0:3], 0 offset:440
	buffer_load_dword v147, off, s[0:3], 0 offset:444
	buffer_load_dword v149, off, s[0:3], 0 offset:452
	buffer_load_dword v148, off, s[0:3], 0 offset:448
	buffer_load_dword v150, off, s[0:3], 0 offset:384
	buffer_load_dword v151, off, s[0:3], 0 offset:388
	ds_read2_b64 v[118:121], v116 offset0:107 offset1:108
	ds_read2_b64 v[122:125], v116 offset0:109 offset1:110
	;; [unrolled: 1-line block ×4, first 2 shown]
	v_cmp_lt_u32_e32 vcc, 47, v0
	s_waitcnt vmcnt(16) lgkmcnt(3)
	v_fma_f64 v[116:117], v[134:135], v[118:119], 0
	s_waitcnt vmcnt(14)
	v_fmac_f64_e32 v[116:117], v[136:137], v[120:121]
	s_waitcnt vmcnt(12) lgkmcnt(2)
	v_fmac_f64_e32 v[116:117], v[138:139], v[122:123]
	s_waitcnt vmcnt(10)
	v_fmac_f64_e32 v[116:117], v[140:141], v[124:125]
	s_waitcnt vmcnt(8) lgkmcnt(1)
	v_fmac_f64_e32 v[116:117], v[142:143], v[126:127]
	;; [unrolled: 4-line block ×3, first 2 shown]
	s_waitcnt vmcnt(2)
	v_fmac_f64_e32 v[116:117], v[148:149], v[132:133]
	s_waitcnt vmcnt(0)
	v_add_f64 v[116:117], v[150:151], -v[116:117]
	buffer_store_dword v116, off, s[0:3], 0 offset:384
	buffer_store_dword v117, off, s[0:3], 0 offset:388
	s_and_saveexec_b64 s[4:5], vcc
	s_cbranch_execz .LBB56_255
; %bb.254:
	buffer_load_dword v116, off, s[0:3], 0 offset:376
	buffer_load_dword v117, off, s[0:3], 0 offset:380
	v_mov_b32_e32 v118, 0
	buffer_store_dword v118, off, s[0:3], 0 offset:376
	buffer_store_dword v118, off, s[0:3], 0 offset:380
	s_waitcnt vmcnt(2)
	ds_write_b64 v1, v[116:117]
.LBB56_255:
	s_or_b64 exec, exec, s[4:5]
	s_waitcnt lgkmcnt(0)
	; wave barrier
	s_waitcnt lgkmcnt(0)
	buffer_load_dword v134, off, s[0:3], 0 offset:384
	buffer_load_dword v135, off, s[0:3], 0 offset:388
	buffer_load_dword v136, off, s[0:3], 0 offset:392
	buffer_load_dword v137, off, s[0:3], 0 offset:396
	buffer_load_dword v138, off, s[0:3], 0 offset:400
	buffer_load_dword v139, off, s[0:3], 0 offset:404
	buffer_load_dword v140, off, s[0:3], 0 offset:408
	buffer_load_dword v141, off, s[0:3], 0 offset:412
	buffer_load_dword v142, off, s[0:3], 0 offset:416
	buffer_load_dword v143, off, s[0:3], 0 offset:420
	buffer_load_dword v144, off, s[0:3], 0 offset:424
	buffer_load_dword v145, off, s[0:3], 0 offset:428
	buffer_load_dword v146, off, s[0:3], 0 offset:432
	buffer_load_dword v147, off, s[0:3], 0 offset:436
	buffer_load_dword v149, off, s[0:3], 0 offset:452
	buffer_load_dword v148, off, s[0:3], 0 offset:448
	buffer_load_dword v151, off, s[0:3], 0 offset:444
	buffer_load_dword v150, off, s[0:3], 0 offset:440
	buffer_load_dword v152, off, s[0:3], 0 offset:376
	buffer_load_dword v153, off, s[0:3], 0 offset:380
	v_mov_b32_e32 v116, 0
	ds_read_b128 v[118:121], v116 offset:848
	ds_read_b128 v[122:125], v116 offset:864
	;; [unrolled: 1-line block ×4, first 2 shown]
	ds_read_b64 v[154:155], v116 offset:912
	v_cmp_lt_u32_e32 vcc, 46, v0
	s_waitcnt vmcnt(18) lgkmcnt(4)
	v_fma_f64 v[118:119], v[134:135], v[118:119], 0
	s_waitcnt vmcnt(16)
	v_fmac_f64_e32 v[118:119], v[136:137], v[120:121]
	s_waitcnt vmcnt(14) lgkmcnt(3)
	v_fmac_f64_e32 v[118:119], v[138:139], v[122:123]
	s_waitcnt vmcnt(12)
	v_fmac_f64_e32 v[118:119], v[140:141], v[124:125]
	s_waitcnt vmcnt(10) lgkmcnt(2)
	v_fmac_f64_e32 v[118:119], v[142:143], v[126:127]
	s_waitcnt vmcnt(8)
	v_fmac_f64_e32 v[118:119], v[144:145], v[128:129]
	s_waitcnt vmcnt(6) lgkmcnt(1)
	v_fmac_f64_e32 v[118:119], v[146:147], v[130:131]
	s_waitcnt vmcnt(2)
	v_fmac_f64_e32 v[118:119], v[150:151], v[132:133]
	s_waitcnt lgkmcnt(0)
	v_fmac_f64_e32 v[118:119], v[148:149], v[154:155]
	s_waitcnt vmcnt(0)
	v_add_f64 v[118:119], v[152:153], -v[118:119]
	buffer_store_dword v118, off, s[0:3], 0 offset:376
	buffer_store_dword v119, off, s[0:3], 0 offset:380
	s_and_saveexec_b64 s[4:5], vcc
	s_cbranch_execz .LBB56_257
; %bb.256:
	buffer_load_dword v118, off, s[0:3], 0 offset:368
	buffer_load_dword v119, off, s[0:3], 0 offset:372
	s_waitcnt vmcnt(0)
	ds_write_b64 v1, v[118:119]
	buffer_store_dword v116, off, s[0:3], 0 offset:368
	buffer_store_dword v116, off, s[0:3], 0 offset:372
.LBB56_257:
	s_or_b64 exec, exec, s[4:5]
	s_waitcnt lgkmcnt(0)
	; wave barrier
	s_waitcnt lgkmcnt(0)
	buffer_load_dword v138, off, s[0:3], 0 offset:376
	buffer_load_dword v139, off, s[0:3], 0 offset:380
	;; [unrolled: 1-line block ×22, first 2 shown]
	ds_read2_b64 v[118:121], v116 offset0:105 offset1:106
	ds_read2_b64 v[122:125], v116 offset0:107 offset1:108
	ds_read2_b64 v[126:129], v116 offset0:109 offset1:110
	ds_read2_b64 v[130:133], v116 offset0:111 offset1:112
	ds_read2_b64 v[134:137], v116 offset0:113 offset1:114
	v_cmp_lt_u32_e32 vcc, 45, v0
	s_waitcnt vmcnt(20) lgkmcnt(4)
	v_fma_f64 v[116:117], v[138:139], v[118:119], 0
	s_waitcnt vmcnt(18)
	v_fmac_f64_e32 v[116:117], v[140:141], v[120:121]
	s_waitcnt vmcnt(16) lgkmcnt(3)
	v_fmac_f64_e32 v[116:117], v[142:143], v[122:123]
	s_waitcnt vmcnt(14)
	v_fmac_f64_e32 v[116:117], v[144:145], v[124:125]
	s_waitcnt vmcnt(12) lgkmcnt(2)
	v_fmac_f64_e32 v[116:117], v[146:147], v[126:127]
	;; [unrolled: 4-line block ×3, first 2 shown]
	s_waitcnt vmcnt(3)
	v_fmac_f64_e32 v[116:117], v[156:157], v[132:133]
	s_waitcnt lgkmcnt(0)
	v_fmac_f64_e32 v[116:117], v[154:155], v[134:135]
	s_waitcnt vmcnt(2)
	v_fmac_f64_e32 v[116:117], v[152:153], v[136:137]
	s_waitcnt vmcnt(0)
	v_add_f64 v[116:117], v[158:159], -v[116:117]
	buffer_store_dword v116, off, s[0:3], 0 offset:368
	buffer_store_dword v117, off, s[0:3], 0 offset:372
	s_and_saveexec_b64 s[4:5], vcc
	s_cbranch_execz .LBB56_259
; %bb.258:
	buffer_load_dword v116, off, s[0:3], 0 offset:360
	buffer_load_dword v117, off, s[0:3], 0 offset:364
	v_mov_b32_e32 v118, 0
	buffer_store_dword v118, off, s[0:3], 0 offset:360
	buffer_store_dword v118, off, s[0:3], 0 offset:364
	s_waitcnt vmcnt(2)
	ds_write_b64 v1, v[116:117]
.LBB56_259:
	s_or_b64 exec, exec, s[4:5]
	s_waitcnt lgkmcnt(0)
	; wave barrier
	s_waitcnt lgkmcnt(0)
	buffer_load_dword v138, off, s[0:3], 0 offset:368
	buffer_load_dword v139, off, s[0:3], 0 offset:372
	;; [unrolled: 1-line block ×24, first 2 shown]
	v_mov_b32_e32 v116, 0
	ds_read_b128 v[118:121], v116 offset:832
	ds_read_b128 v[122:125], v116 offset:848
	;; [unrolled: 1-line block ×5, first 2 shown]
	ds_read_b64 v[162:163], v116 offset:912
	v_cmp_lt_u32_e32 vcc, 44, v0
	s_waitcnt vmcnt(22) lgkmcnt(5)
	v_fma_f64 v[118:119], v[138:139], v[118:119], 0
	s_waitcnt vmcnt(20)
	v_fmac_f64_e32 v[118:119], v[140:141], v[120:121]
	s_waitcnt vmcnt(18) lgkmcnt(4)
	v_fmac_f64_e32 v[118:119], v[142:143], v[122:123]
	s_waitcnt vmcnt(16)
	v_fmac_f64_e32 v[118:119], v[144:145], v[124:125]
	s_waitcnt vmcnt(14) lgkmcnt(3)
	v_fmac_f64_e32 v[118:119], v[146:147], v[126:127]
	;; [unrolled: 4-line block ×3, first 2 shown]
	s_waitcnt vmcnt(4)
	v_fmac_f64_e32 v[118:119], v[158:159], v[132:133]
	s_waitcnt lgkmcnt(1)
	v_fmac_f64_e32 v[118:119], v[156:157], v[134:135]
	s_waitcnt vmcnt(3)
	v_fmac_f64_e32 v[118:119], v[154:155], v[136:137]
	s_waitcnt vmcnt(2) lgkmcnt(0)
	v_fmac_f64_e32 v[118:119], v[152:153], v[162:163]
	s_waitcnt vmcnt(0)
	v_add_f64 v[118:119], v[160:161], -v[118:119]
	buffer_store_dword v119, off, s[0:3], 0 offset:364
	buffer_store_dword v118, off, s[0:3], 0 offset:360
	s_and_saveexec_b64 s[4:5], vcc
	s_cbranch_execz .LBB56_261
; %bb.260:
	buffer_load_dword v118, off, s[0:3], 0 offset:352
	buffer_load_dword v119, off, s[0:3], 0 offset:356
	s_waitcnt vmcnt(0)
	ds_write_b64 v1, v[118:119]
	buffer_store_dword v116, off, s[0:3], 0 offset:352
	buffer_store_dword v116, off, s[0:3], 0 offset:356
.LBB56_261:
	s_or_b64 exec, exec, s[4:5]
	s_waitcnt lgkmcnt(0)
	; wave barrier
	s_waitcnt lgkmcnt(0)
	buffer_load_dword v142, off, s[0:3], 0 offset:360
	buffer_load_dword v143, off, s[0:3], 0 offset:364
	buffer_load_dword v144, off, s[0:3], 0 offset:368
	buffer_load_dword v145, off, s[0:3], 0 offset:372
	buffer_load_dword v146, off, s[0:3], 0 offset:376
	buffer_load_dword v147, off, s[0:3], 0 offset:380
	buffer_load_dword v148, off, s[0:3], 0 offset:384
	buffer_load_dword v149, off, s[0:3], 0 offset:388
	buffer_load_dword v150, off, s[0:3], 0 offset:392
	buffer_load_dword v151, off, s[0:3], 0 offset:396
	buffer_load_dword v152, off, s[0:3], 0 offset:400
	buffer_load_dword v153, off, s[0:3], 0 offset:404
	buffer_load_dword v154, off, s[0:3], 0 offset:408
	buffer_load_dword v155, off, s[0:3], 0 offset:412
	buffer_load_dword v156, off, s[0:3], 0 offset:440
	buffer_load_dword v159, off, s[0:3], 0 offset:436
	buffer_load_dword v158, off, s[0:3], 0 offset:432
	buffer_load_dword v161, off, s[0:3], 0 offset:428
	buffer_load_dword v160, off, s[0:3], 0 offset:424
	buffer_load_dword v163, off, s[0:3], 0 offset:420
	buffer_load_dword v162, off, s[0:3], 0 offset:416
	buffer_load_dword v157, off, s[0:3], 0 offset:444
	buffer_load_dword v165, off, s[0:3], 0 offset:452
	buffer_load_dword v164, off, s[0:3], 0 offset:448
	buffer_load_dword v166, off, s[0:3], 0 offset:352
	buffer_load_dword v167, off, s[0:3], 0 offset:356
	ds_read2_b64 v[118:121], v116 offset0:103 offset1:104
	ds_read2_b64 v[122:125], v116 offset0:105 offset1:106
	;; [unrolled: 1-line block ×6, first 2 shown]
	v_cmp_lt_u32_e32 vcc, 43, v0
	s_waitcnt vmcnt(24) lgkmcnt(5)
	v_fma_f64 v[116:117], v[142:143], v[118:119], 0
	s_waitcnt vmcnt(22)
	v_fmac_f64_e32 v[116:117], v[144:145], v[120:121]
	s_waitcnt vmcnt(20) lgkmcnt(4)
	v_fmac_f64_e32 v[116:117], v[146:147], v[122:123]
	s_waitcnt vmcnt(18)
	v_fmac_f64_e32 v[116:117], v[148:149], v[124:125]
	s_waitcnt vmcnt(16) lgkmcnt(3)
	v_fmac_f64_e32 v[116:117], v[150:151], v[126:127]
	;; [unrolled: 4-line block ×3, first 2 shown]
	s_waitcnt vmcnt(5)
	v_fmac_f64_e32 v[116:117], v[162:163], v[132:133]
	s_waitcnt lgkmcnt(1)
	v_fmac_f64_e32 v[116:117], v[160:161], v[134:135]
	v_fmac_f64_e32 v[116:117], v[158:159], v[136:137]
	s_waitcnt vmcnt(4) lgkmcnt(0)
	v_fmac_f64_e32 v[116:117], v[156:157], v[138:139]
	s_waitcnt vmcnt(2)
	v_fmac_f64_e32 v[116:117], v[164:165], v[140:141]
	s_waitcnt vmcnt(0)
	v_add_f64 v[116:117], v[166:167], -v[116:117]
	buffer_store_dword v117, off, s[0:3], 0 offset:356
	buffer_store_dword v116, off, s[0:3], 0 offset:352
	s_and_saveexec_b64 s[4:5], vcc
	s_cbranch_execz .LBB56_263
; %bb.262:
	buffer_load_dword v116, off, s[0:3], 0 offset:344
	buffer_load_dword v117, off, s[0:3], 0 offset:348
	v_mov_b32_e32 v118, 0
	buffer_store_dword v118, off, s[0:3], 0 offset:344
	buffer_store_dword v118, off, s[0:3], 0 offset:348
	s_waitcnt vmcnt(2)
	ds_write_b64 v1, v[116:117]
.LBB56_263:
	s_or_b64 exec, exec, s[4:5]
	s_waitcnt lgkmcnt(0)
	; wave barrier
	s_waitcnt lgkmcnt(0)
	buffer_load_dword v134, off, s[0:3], 0 offset:344
	buffer_load_dword v135, off, s[0:3], 0 offset:348
	;; [unrolled: 1-line block ×16, first 2 shown]
	v_mov_b32_e32 v116, 0
	ds_read_b128 v[118:121], v116 offset:816
	ds_read_b128 v[122:125], v116 offset:832
	;; [unrolled: 1-line block ×4, first 2 shown]
	v_cmp_lt_u32_e32 vcc, 42, v0
	s_waitcnt vmcnt(12) lgkmcnt(3)
	v_fma_f64 v[136:137], v[136:137], v[118:119], 0
	buffer_load_dword v119, off, s[0:3], 0 offset:412
	buffer_load_dword v118, off, s[0:3], 0 offset:408
	s_waitcnt vmcnt(12)
	v_fmac_f64_e32 v[136:137], v[138:139], v[120:121]
	s_waitcnt vmcnt(10) lgkmcnt(2)
	v_fmac_f64_e32 v[136:137], v[140:141], v[122:123]
	buffer_load_dword v123, off, s[0:3], 0 offset:420
	buffer_load_dword v122, off, s[0:3], 0 offset:416
	s_waitcnt vmcnt(10)
	v_fmac_f64_e32 v[136:137], v[142:143], v[124:125]
	s_waitcnt vmcnt(8) lgkmcnt(1)
	v_fmac_f64_e32 v[136:137], v[144:145], v[126:127]
	s_waitcnt vmcnt(6)
	v_fmac_f64_e32 v[136:137], v[146:147], v[128:129]
	s_waitcnt vmcnt(4) lgkmcnt(0)
	v_fmac_f64_e32 v[136:137], v[148:149], v[130:131]
	s_waitcnt vmcnt(2)
	v_fmac_f64_e32 v[136:137], v[118:119], v[132:133]
	ds_read_b128 v[118:121], v116 offset:880
	s_waitcnt vmcnt(0) lgkmcnt(0)
	v_fmac_f64_e32 v[136:137], v[122:123], v[118:119]
	buffer_load_dword v119, off, s[0:3], 0 offset:428
	buffer_load_dword v118, off, s[0:3], 0 offset:424
	;; [unrolled: 1-line block ×4, first 2 shown]
	s_waitcnt vmcnt(2)
	v_fmac_f64_e32 v[136:137], v[118:119], v[120:121]
	ds_read_b128 v[118:121], v116 offset:896
	s_waitcnt vmcnt(0) lgkmcnt(0)
	v_fmac_f64_e32 v[136:137], v[122:123], v[118:119]
	buffer_load_dword v119, off, s[0:3], 0 offset:444
	buffer_load_dword v118, off, s[0:3], 0 offset:440
	s_waitcnt vmcnt(0)
	v_fmac_f64_e32 v[136:137], v[118:119], v[120:121]
	buffer_load_dword v119, off, s[0:3], 0 offset:452
	buffer_load_dword v118, off, s[0:3], 0 offset:448
	ds_read_b64 v[120:121], v116 offset:912
	s_waitcnt vmcnt(0) lgkmcnt(0)
	v_fmac_f64_e32 v[136:137], v[118:119], v[120:121]
	v_add_f64 v[118:119], v[134:135], -v[136:137]
	buffer_store_dword v119, off, s[0:3], 0 offset:348
	buffer_store_dword v118, off, s[0:3], 0 offset:344
	s_and_saveexec_b64 s[4:5], vcc
	s_cbranch_execz .LBB56_265
; %bb.264:
	buffer_load_dword v118, off, s[0:3], 0 offset:336
	buffer_load_dword v119, off, s[0:3], 0 offset:340
	s_waitcnt vmcnt(0)
	ds_write_b64 v1, v[118:119]
	buffer_store_dword v116, off, s[0:3], 0 offset:336
	buffer_store_dword v116, off, s[0:3], 0 offset:340
.LBB56_265:
	s_or_b64 exec, exec, s[4:5]
	s_waitcnt lgkmcnt(0)
	; wave barrier
	s_waitcnt lgkmcnt(0)
	buffer_load_dword v122, off, s[0:3], 0 offset:336
	buffer_load_dword v123, off, s[0:3], 0 offset:340
	buffer_load_dword v124, off, s[0:3], 0 offset:344
	buffer_load_dword v125, off, s[0:3], 0 offset:348
	buffer_load_dword v126, off, s[0:3], 0 offset:352
	buffer_load_dword v127, off, s[0:3], 0 offset:356
	buffer_load_dword v128, off, s[0:3], 0 offset:360
	buffer_load_dword v129, off, s[0:3], 0 offset:364
	buffer_load_dword v130, off, s[0:3], 0 offset:368
	buffer_load_dword v131, off, s[0:3], 0 offset:372
	buffer_load_dword v132, off, s[0:3], 0 offset:376
	buffer_load_dword v133, off, s[0:3], 0 offset:380
	buffer_load_dword v134, off, s[0:3], 0 offset:384
	buffer_load_dword v135, off, s[0:3], 0 offset:388
	buffer_load_dword v136, off, s[0:3], 0 offset:392
	buffer_load_dword v137, off, s[0:3], 0 offset:396
	ds_read2_b64 v[118:121], v116 offset0:101 offset1:102
	v_cmp_lt_u32_e32 vcc, 41, v0
	s_waitcnt vmcnt(12) lgkmcnt(0)
	v_fma_f64 v[124:125], v[124:125], v[118:119], 0
	s_waitcnt vmcnt(10)
	v_fmac_f64_e32 v[124:125], v[126:127], v[120:121]
	ds_read2_b64 v[118:121], v116 offset0:103 offset1:104
	s_waitcnt vmcnt(8) lgkmcnt(0)
	v_fmac_f64_e32 v[124:125], v[128:129], v[118:119]
	s_waitcnt vmcnt(6)
	v_fmac_f64_e32 v[124:125], v[130:131], v[120:121]
	ds_read2_b64 v[118:121], v116 offset0:105 offset1:106
	s_waitcnt vmcnt(4) lgkmcnt(0)
	v_fmac_f64_e32 v[124:125], v[132:133], v[118:119]
	;; [unrolled: 5-line block ×3, first 2 shown]
	buffer_load_dword v119, off, s[0:3], 0 offset:404
	buffer_load_dword v118, off, s[0:3], 0 offset:400
	;; [unrolled: 1-line block ×4, first 2 shown]
	s_waitcnt vmcnt(2)
	v_fmac_f64_e32 v[124:125], v[118:119], v[120:121]
	ds_read2_b64 v[118:121], v116 offset0:109 offset1:110
	s_waitcnt vmcnt(0) lgkmcnt(0)
	v_fmac_f64_e32 v[124:125], v[126:127], v[118:119]
	buffer_load_dword v119, off, s[0:3], 0 offset:420
	buffer_load_dword v118, off, s[0:3], 0 offset:416
	;; [unrolled: 1-line block ×4, first 2 shown]
	s_waitcnt vmcnt(2)
	v_fmac_f64_e32 v[124:125], v[118:119], v[120:121]
	ds_read2_b64 v[118:121], v116 offset0:111 offset1:112
	s_waitcnt vmcnt(0) lgkmcnt(0)
	v_fmac_f64_e32 v[124:125], v[126:127], v[118:119]
	buffer_load_dword v119, off, s[0:3], 0 offset:436
	buffer_load_dword v118, off, s[0:3], 0 offset:432
	s_waitcnt vmcnt(0)
	v_fmac_f64_e32 v[124:125], v[118:119], v[120:121]
	buffer_load_dword v121, off, s[0:3], 0 offset:444
	buffer_load_dword v120, off, s[0:3], 0 offset:440
	ds_read2_b64 v[116:119], v116 offset0:113 offset1:114
	s_waitcnt vmcnt(0) lgkmcnt(0)
	v_fmac_f64_e32 v[124:125], v[120:121], v[116:117]
	buffer_load_dword v117, off, s[0:3], 0 offset:452
	buffer_load_dword v116, off, s[0:3], 0 offset:448
	s_waitcnt vmcnt(0)
	v_fmac_f64_e32 v[124:125], v[116:117], v[118:119]
	v_add_f64 v[116:117], v[122:123], -v[124:125]
	buffer_store_dword v117, off, s[0:3], 0 offset:340
	buffer_store_dword v116, off, s[0:3], 0 offset:336
	s_and_saveexec_b64 s[4:5], vcc
	s_cbranch_execz .LBB56_267
; %bb.266:
	buffer_load_dword v116, off, s[0:3], 0 offset:328
	buffer_load_dword v117, off, s[0:3], 0 offset:332
	v_mov_b32_e32 v118, 0
	buffer_store_dword v118, off, s[0:3], 0 offset:328
	buffer_store_dword v118, off, s[0:3], 0 offset:332
	s_waitcnt vmcnt(2)
	ds_write_b64 v1, v[116:117]
.LBB56_267:
	s_or_b64 exec, exec, s[4:5]
	s_waitcnt lgkmcnt(0)
	; wave barrier
	s_waitcnt lgkmcnt(0)
	buffer_load_dword v134, off, s[0:3], 0 offset:328
	buffer_load_dword v135, off, s[0:3], 0 offset:332
	;; [unrolled: 1-line block ×16, first 2 shown]
	v_mov_b32_e32 v116, 0
	ds_read_b128 v[118:121], v116 offset:800
	ds_read_b128 v[122:125], v116 offset:816
	;; [unrolled: 1-line block ×4, first 2 shown]
	v_cmp_lt_u32_e32 vcc, 40, v0
	s_waitcnt vmcnt(12) lgkmcnt(3)
	v_fma_f64 v[136:137], v[136:137], v[118:119], 0
	buffer_load_dword v119, off, s[0:3], 0 offset:396
	buffer_load_dword v118, off, s[0:3], 0 offset:392
	s_waitcnt vmcnt(12)
	v_fmac_f64_e32 v[136:137], v[138:139], v[120:121]
	s_waitcnt vmcnt(10) lgkmcnt(2)
	v_fmac_f64_e32 v[136:137], v[140:141], v[122:123]
	buffer_load_dword v123, off, s[0:3], 0 offset:404
	buffer_load_dword v122, off, s[0:3], 0 offset:400
	s_waitcnt vmcnt(10)
	v_fmac_f64_e32 v[136:137], v[142:143], v[124:125]
	s_waitcnt vmcnt(8) lgkmcnt(1)
	v_fmac_f64_e32 v[136:137], v[144:145], v[126:127]
	s_waitcnt vmcnt(6)
	v_fmac_f64_e32 v[136:137], v[146:147], v[128:129]
	s_waitcnt vmcnt(4) lgkmcnt(0)
	v_fmac_f64_e32 v[136:137], v[148:149], v[130:131]
	s_waitcnt vmcnt(2)
	v_fmac_f64_e32 v[136:137], v[118:119], v[132:133]
	ds_read_b128 v[118:121], v116 offset:864
	s_waitcnt vmcnt(0) lgkmcnt(0)
	v_fmac_f64_e32 v[136:137], v[122:123], v[118:119]
	buffer_load_dword v119, off, s[0:3], 0 offset:412
	buffer_load_dword v118, off, s[0:3], 0 offset:408
	;; [unrolled: 1-line block ×4, first 2 shown]
	s_waitcnt vmcnt(2)
	v_fmac_f64_e32 v[136:137], v[118:119], v[120:121]
	ds_read_b128 v[118:121], v116 offset:880
	s_waitcnt vmcnt(0) lgkmcnt(0)
	v_fmac_f64_e32 v[136:137], v[122:123], v[118:119]
	buffer_load_dword v119, off, s[0:3], 0 offset:428
	buffer_load_dword v118, off, s[0:3], 0 offset:424
	;; [unrolled: 1-line block ×4, first 2 shown]
	s_waitcnt vmcnt(2)
	v_fmac_f64_e32 v[136:137], v[118:119], v[120:121]
	ds_read_b128 v[118:121], v116 offset:896
	s_waitcnt vmcnt(0) lgkmcnt(0)
	v_fmac_f64_e32 v[136:137], v[122:123], v[118:119]
	buffer_load_dword v119, off, s[0:3], 0 offset:444
	buffer_load_dword v118, off, s[0:3], 0 offset:440
	s_waitcnt vmcnt(0)
	v_fmac_f64_e32 v[136:137], v[118:119], v[120:121]
	buffer_load_dword v119, off, s[0:3], 0 offset:452
	buffer_load_dword v118, off, s[0:3], 0 offset:448
	ds_read_b64 v[120:121], v116 offset:912
	s_waitcnt vmcnt(0) lgkmcnt(0)
	v_fmac_f64_e32 v[136:137], v[118:119], v[120:121]
	v_add_f64 v[118:119], v[134:135], -v[136:137]
	buffer_store_dword v119, off, s[0:3], 0 offset:332
	buffer_store_dword v118, off, s[0:3], 0 offset:328
	s_and_saveexec_b64 s[4:5], vcc
	s_cbranch_execz .LBB56_269
; %bb.268:
	buffer_load_dword v118, off, s[0:3], 0 offset:320
	buffer_load_dword v119, off, s[0:3], 0 offset:324
	s_waitcnt vmcnt(0)
	ds_write_b64 v1, v[118:119]
	buffer_store_dword v116, off, s[0:3], 0 offset:320
	buffer_store_dword v116, off, s[0:3], 0 offset:324
.LBB56_269:
	s_or_b64 exec, exec, s[4:5]
	s_waitcnt lgkmcnt(0)
	; wave barrier
	s_waitcnt lgkmcnt(0)
	buffer_load_dword v122, off, s[0:3], 0 offset:320
	buffer_load_dword v123, off, s[0:3], 0 offset:324
	;; [unrolled: 1-line block ×16, first 2 shown]
	ds_read2_b64 v[118:121], v116 offset0:99 offset1:100
	v_cmp_lt_u32_e32 vcc, 39, v0
	s_waitcnt vmcnt(12) lgkmcnt(0)
	v_fma_f64 v[124:125], v[124:125], v[118:119], 0
	s_waitcnt vmcnt(10)
	v_fmac_f64_e32 v[124:125], v[126:127], v[120:121]
	ds_read2_b64 v[118:121], v116 offset0:101 offset1:102
	s_waitcnt vmcnt(8) lgkmcnt(0)
	v_fmac_f64_e32 v[124:125], v[128:129], v[118:119]
	s_waitcnt vmcnt(6)
	v_fmac_f64_e32 v[124:125], v[130:131], v[120:121]
	ds_read2_b64 v[118:121], v116 offset0:103 offset1:104
	s_waitcnt vmcnt(4) lgkmcnt(0)
	v_fmac_f64_e32 v[124:125], v[132:133], v[118:119]
	;; [unrolled: 5-line block ×3, first 2 shown]
	buffer_load_dword v119, off, s[0:3], 0 offset:388
	buffer_load_dword v118, off, s[0:3], 0 offset:384
	buffer_load_dword v127, off, s[0:3], 0 offset:396
	buffer_load_dword v126, off, s[0:3], 0 offset:392
	s_waitcnt vmcnt(2)
	v_fmac_f64_e32 v[124:125], v[118:119], v[120:121]
	ds_read2_b64 v[118:121], v116 offset0:107 offset1:108
	s_waitcnt vmcnt(0) lgkmcnt(0)
	v_fmac_f64_e32 v[124:125], v[126:127], v[118:119]
	buffer_load_dword v119, off, s[0:3], 0 offset:404
	buffer_load_dword v118, off, s[0:3], 0 offset:400
	buffer_load_dword v127, off, s[0:3], 0 offset:412
	buffer_load_dword v126, off, s[0:3], 0 offset:408
	s_waitcnt vmcnt(2)
	v_fmac_f64_e32 v[124:125], v[118:119], v[120:121]
	ds_read2_b64 v[118:121], v116 offset0:109 offset1:110
	s_waitcnt vmcnt(0) lgkmcnt(0)
	v_fmac_f64_e32 v[124:125], v[126:127], v[118:119]
	buffer_load_dword v119, off, s[0:3], 0 offset:420
	buffer_load_dword v118, off, s[0:3], 0 offset:416
	buffer_load_dword v127, off, s[0:3], 0 offset:428
	buffer_load_dword v126, off, s[0:3], 0 offset:424
	s_waitcnt vmcnt(2)
	v_fmac_f64_e32 v[124:125], v[118:119], v[120:121]
	ds_read2_b64 v[118:121], v116 offset0:111 offset1:112
	s_waitcnt vmcnt(0) lgkmcnt(0)
	v_fmac_f64_e32 v[124:125], v[126:127], v[118:119]
	buffer_load_dword v119, off, s[0:3], 0 offset:436
	buffer_load_dword v118, off, s[0:3], 0 offset:432
	s_waitcnt vmcnt(0)
	v_fmac_f64_e32 v[124:125], v[118:119], v[120:121]
	buffer_load_dword v121, off, s[0:3], 0 offset:444
	buffer_load_dword v120, off, s[0:3], 0 offset:440
	ds_read2_b64 v[116:119], v116 offset0:113 offset1:114
	s_waitcnt vmcnt(0) lgkmcnt(0)
	v_fmac_f64_e32 v[124:125], v[120:121], v[116:117]
	buffer_load_dword v117, off, s[0:3], 0 offset:452
	buffer_load_dword v116, off, s[0:3], 0 offset:448
	s_waitcnt vmcnt(0)
	v_fmac_f64_e32 v[124:125], v[116:117], v[118:119]
	v_add_f64 v[116:117], v[122:123], -v[124:125]
	buffer_store_dword v117, off, s[0:3], 0 offset:324
	buffer_store_dword v116, off, s[0:3], 0 offset:320
	s_and_saveexec_b64 s[4:5], vcc
	s_cbranch_execz .LBB56_271
; %bb.270:
	buffer_load_dword v116, off, s[0:3], 0 offset:312
	buffer_load_dword v117, off, s[0:3], 0 offset:316
	v_mov_b32_e32 v118, 0
	buffer_store_dword v118, off, s[0:3], 0 offset:312
	buffer_store_dword v118, off, s[0:3], 0 offset:316
	s_waitcnt vmcnt(2)
	ds_write_b64 v1, v[116:117]
.LBB56_271:
	s_or_b64 exec, exec, s[4:5]
	s_waitcnt lgkmcnt(0)
	; wave barrier
	s_waitcnt lgkmcnt(0)
	buffer_load_dword v116, off, s[0:3], 0 offset:312
	buffer_load_dword v117, off, s[0:3], 0 offset:316
	buffer_load_dword v118, off, s[0:3], 0 offset:320
	buffer_load_dword v119, off, s[0:3], 0 offset:324
	buffer_load_dword v138, off, s[0:3], 0 offset:328
	buffer_load_dword v139, off, s[0:3], 0 offset:332
	buffer_load_dword v140, off, s[0:3], 0 offset:336
	buffer_load_dword v141, off, s[0:3], 0 offset:340
	buffer_load_dword v142, off, s[0:3], 0 offset:344
	buffer_load_dword v143, off, s[0:3], 0 offset:348
	buffer_load_dword v144, off, s[0:3], 0 offset:352
	buffer_load_dword v145, off, s[0:3], 0 offset:356
	buffer_load_dword v146, off, s[0:3], 0 offset:360
	buffer_load_dword v147, off, s[0:3], 0 offset:364
	buffer_load_dword v148, off, s[0:3], 0 offset:368
	buffer_load_dword v149, off, s[0:3], 0 offset:372
	v_mov_b32_e32 v120, 0
	ds_read_b128 v[122:125], v120 offset:784
	ds_read_b128 v[126:129], v120 offset:800
	;; [unrolled: 1-line block ×4, first 2 shown]
	v_cmp_lt_u32_e32 vcc, 38, v0
	s_waitcnt vmcnt(12) lgkmcnt(3)
	v_fma_f64 v[118:119], v[118:119], v[122:123], 0
	buffer_load_dword v123, off, s[0:3], 0 offset:380
	buffer_load_dword v122, off, s[0:3], 0 offset:376
	s_waitcnt vmcnt(12)
	v_fmac_f64_e32 v[118:119], v[138:139], v[124:125]
	s_waitcnt vmcnt(10) lgkmcnt(2)
	v_fmac_f64_e32 v[118:119], v[140:141], v[126:127]
	buffer_load_dword v127, off, s[0:3], 0 offset:388
	buffer_load_dword v126, off, s[0:3], 0 offset:384
	s_waitcnt vmcnt(10)
	v_fmac_f64_e32 v[118:119], v[142:143], v[128:129]
	s_waitcnt vmcnt(8) lgkmcnt(1)
	v_fmac_f64_e32 v[118:119], v[144:145], v[130:131]
	s_waitcnt vmcnt(6)
	v_fmac_f64_e32 v[118:119], v[146:147], v[132:133]
	s_waitcnt vmcnt(4) lgkmcnt(0)
	v_fmac_f64_e32 v[118:119], v[148:149], v[134:135]
	s_waitcnt vmcnt(2)
	v_fmac_f64_e32 v[118:119], v[122:123], v[136:137]
	ds_read_b128 v[122:125], v120 offset:848
	s_waitcnt vmcnt(0) lgkmcnt(0)
	v_fmac_f64_e32 v[118:119], v[126:127], v[122:123]
	buffer_load_dword v123, off, s[0:3], 0 offset:396
	buffer_load_dword v122, off, s[0:3], 0 offset:392
	buffer_load_dword v127, off, s[0:3], 0 offset:404
	buffer_load_dword v126, off, s[0:3], 0 offset:400
	s_waitcnt vmcnt(2)
	v_fmac_f64_e32 v[118:119], v[122:123], v[124:125]
	ds_read_b128 v[122:125], v120 offset:864
	s_waitcnt vmcnt(0) lgkmcnt(0)
	v_fmac_f64_e32 v[118:119], v[126:127], v[122:123]
	buffer_load_dword v123, off, s[0:3], 0 offset:412
	buffer_load_dword v122, off, s[0:3], 0 offset:408
	buffer_load_dword v127, off, s[0:3], 0 offset:420
	buffer_load_dword v126, off, s[0:3], 0 offset:416
	;; [unrolled: 9-line block ×3, first 2 shown]
	s_waitcnt vmcnt(2)
	v_fmac_f64_e32 v[118:119], v[122:123], v[124:125]
	ds_read_b128 v[122:125], v120 offset:896
	s_waitcnt vmcnt(0) lgkmcnt(0)
	v_fmac_f64_e32 v[118:119], v[126:127], v[122:123]
	buffer_load_dword v123, off, s[0:3], 0 offset:444
	buffer_load_dword v122, off, s[0:3], 0 offset:440
	s_waitcnt vmcnt(0)
	v_fmac_f64_e32 v[118:119], v[122:123], v[124:125]
	buffer_load_dword v123, off, s[0:3], 0 offset:452
	buffer_load_dword v122, off, s[0:3], 0 offset:448
	ds_read_b64 v[124:125], v120 offset:912
	s_waitcnt vmcnt(0) lgkmcnt(0)
	v_fmac_f64_e32 v[118:119], v[122:123], v[124:125]
	v_add_f64 v[116:117], v[116:117], -v[118:119]
	buffer_store_dword v117, off, s[0:3], 0 offset:316
	buffer_store_dword v116, off, s[0:3], 0 offset:312
	s_and_saveexec_b64 s[4:5], vcc
	s_cbranch_execz .LBB56_273
; %bb.272:
	buffer_load_dword v116, off, s[0:3], 0 offset:304
	buffer_load_dword v117, off, s[0:3], 0 offset:308
	s_waitcnt vmcnt(0)
	ds_write_b64 v1, v[116:117]
	buffer_store_dword v120, off, s[0:3], 0 offset:304
	buffer_store_dword v120, off, s[0:3], 0 offset:308
.LBB56_273:
	s_or_b64 exec, exec, s[4:5]
	s_waitcnt lgkmcnt(0)
	; wave barrier
	s_waitcnt lgkmcnt(0)
	buffer_load_dword v116, off, s[0:3], 0 offset:304
	buffer_load_dword v117, off, s[0:3], 0 offset:308
	;; [unrolled: 1-line block ×16, first 2 shown]
	ds_read2_b64 v[122:125], v120 offset0:97 offset1:98
	v_cmp_lt_u32_e32 vcc, 37, v0
	s_waitcnt vmcnt(12) lgkmcnt(0)
	v_fma_f64 v[118:119], v[118:119], v[122:123], 0
	s_waitcnt vmcnt(10)
	v_fmac_f64_e32 v[118:119], v[126:127], v[124:125]
	ds_read2_b64 v[122:125], v120 offset0:99 offset1:100
	s_waitcnt vmcnt(8) lgkmcnt(0)
	v_fmac_f64_e32 v[118:119], v[128:129], v[122:123]
	s_waitcnt vmcnt(6)
	v_fmac_f64_e32 v[118:119], v[130:131], v[124:125]
	ds_read2_b64 v[122:125], v120 offset0:101 offset1:102
	s_waitcnt vmcnt(4) lgkmcnt(0)
	v_fmac_f64_e32 v[118:119], v[132:133], v[122:123]
	;; [unrolled: 5-line block ×3, first 2 shown]
	buffer_load_dword v123, off, s[0:3], 0 offset:372
	buffer_load_dword v122, off, s[0:3], 0 offset:368
	buffer_load_dword v127, off, s[0:3], 0 offset:380
	buffer_load_dword v126, off, s[0:3], 0 offset:376
	s_waitcnt vmcnt(2)
	v_fmac_f64_e32 v[118:119], v[122:123], v[124:125]
	ds_read2_b64 v[122:125], v120 offset0:105 offset1:106
	s_waitcnt vmcnt(0) lgkmcnt(0)
	v_fmac_f64_e32 v[118:119], v[126:127], v[122:123]
	buffer_load_dword v123, off, s[0:3], 0 offset:388
	buffer_load_dword v122, off, s[0:3], 0 offset:384
	buffer_load_dword v127, off, s[0:3], 0 offset:396
	buffer_load_dword v126, off, s[0:3], 0 offset:392
	s_waitcnt vmcnt(2)
	v_fmac_f64_e32 v[118:119], v[122:123], v[124:125]
	ds_read2_b64 v[122:125], v120 offset0:107 offset1:108
	s_waitcnt vmcnt(0) lgkmcnt(0)
	v_fmac_f64_e32 v[118:119], v[126:127], v[122:123]
	buffer_load_dword v123, off, s[0:3], 0 offset:404
	buffer_load_dword v122, off, s[0:3], 0 offset:400
	buffer_load_dword v127, off, s[0:3], 0 offset:412
	buffer_load_dword v126, off, s[0:3], 0 offset:408
	s_waitcnt vmcnt(2)
	v_fmac_f64_e32 v[118:119], v[122:123], v[124:125]
	ds_read2_b64 v[122:125], v120 offset0:109 offset1:110
	s_waitcnt vmcnt(0) lgkmcnt(0)
	v_fmac_f64_e32 v[118:119], v[126:127], v[122:123]
	buffer_load_dword v123, off, s[0:3], 0 offset:420
	buffer_load_dword v122, off, s[0:3], 0 offset:416
	buffer_load_dword v127, off, s[0:3], 0 offset:428
	buffer_load_dword v126, off, s[0:3], 0 offset:424
	s_waitcnt vmcnt(2)
	v_fmac_f64_e32 v[118:119], v[122:123], v[124:125]
	ds_read2_b64 v[122:125], v120 offset0:111 offset1:112
	s_waitcnt vmcnt(0) lgkmcnt(0)
	v_fmac_f64_e32 v[118:119], v[126:127], v[122:123]
	buffer_load_dword v123, off, s[0:3], 0 offset:436
	buffer_load_dword v122, off, s[0:3], 0 offset:432
	s_waitcnt vmcnt(0)
	v_fmac_f64_e32 v[118:119], v[122:123], v[124:125]
	buffer_load_dword v125, off, s[0:3], 0 offset:444
	buffer_load_dword v124, off, s[0:3], 0 offset:440
	ds_read2_b64 v[120:123], v120 offset0:113 offset1:114
	s_waitcnt vmcnt(0) lgkmcnt(0)
	v_fmac_f64_e32 v[118:119], v[124:125], v[120:121]
	buffer_load_dword v121, off, s[0:3], 0 offset:452
	buffer_load_dword v120, off, s[0:3], 0 offset:448
	s_waitcnt vmcnt(0)
	v_fmac_f64_e32 v[118:119], v[120:121], v[122:123]
	v_add_f64 v[116:117], v[116:117], -v[118:119]
	buffer_store_dword v117, off, s[0:3], 0 offset:308
	buffer_store_dword v116, off, s[0:3], 0 offset:304
	s_and_saveexec_b64 s[4:5], vcc
	s_cbranch_execz .LBB56_275
; %bb.274:
	buffer_load_dword v116, off, s[0:3], 0 offset:296
	buffer_load_dword v117, off, s[0:3], 0 offset:300
	v_mov_b32_e32 v118, 0
	buffer_store_dword v118, off, s[0:3], 0 offset:296
	buffer_store_dword v118, off, s[0:3], 0 offset:300
	s_waitcnt vmcnt(2)
	ds_write_b64 v1, v[116:117]
.LBB56_275:
	s_or_b64 exec, exec, s[4:5]
	s_waitcnt lgkmcnt(0)
	; wave barrier
	s_waitcnt lgkmcnt(0)
	buffer_load_dword v116, off, s[0:3], 0 offset:296
	buffer_load_dword v117, off, s[0:3], 0 offset:300
	;; [unrolled: 1-line block ×16, first 2 shown]
	v_mov_b32_e32 v120, 0
	ds_read_b128 v[122:125], v120 offset:768
	ds_read_b128 v[126:129], v120 offset:784
	;; [unrolled: 1-line block ×4, first 2 shown]
	v_cmp_lt_u32_e32 vcc, 36, v0
	s_waitcnt vmcnt(12) lgkmcnt(3)
	v_fma_f64 v[118:119], v[118:119], v[122:123], 0
	buffer_load_dword v123, off, s[0:3], 0 offset:364
	buffer_load_dword v122, off, s[0:3], 0 offset:360
	s_waitcnt vmcnt(12)
	v_fmac_f64_e32 v[118:119], v[138:139], v[124:125]
	s_waitcnt vmcnt(10) lgkmcnt(2)
	v_fmac_f64_e32 v[118:119], v[140:141], v[126:127]
	buffer_load_dword v127, off, s[0:3], 0 offset:372
	buffer_load_dword v126, off, s[0:3], 0 offset:368
	s_waitcnt vmcnt(10)
	v_fmac_f64_e32 v[118:119], v[142:143], v[128:129]
	s_waitcnt vmcnt(8) lgkmcnt(1)
	v_fmac_f64_e32 v[118:119], v[144:145], v[130:131]
	s_waitcnt vmcnt(6)
	v_fmac_f64_e32 v[118:119], v[146:147], v[132:133]
	s_waitcnt vmcnt(4) lgkmcnt(0)
	v_fmac_f64_e32 v[118:119], v[148:149], v[134:135]
	s_waitcnt vmcnt(2)
	v_fmac_f64_e32 v[118:119], v[122:123], v[136:137]
	ds_read_b128 v[122:125], v120 offset:832
	s_waitcnt vmcnt(0) lgkmcnt(0)
	v_fmac_f64_e32 v[118:119], v[126:127], v[122:123]
	buffer_load_dword v123, off, s[0:3], 0 offset:380
	buffer_load_dword v122, off, s[0:3], 0 offset:376
	buffer_load_dword v127, off, s[0:3], 0 offset:388
	buffer_load_dword v126, off, s[0:3], 0 offset:384
	s_waitcnt vmcnt(2)
	v_fmac_f64_e32 v[118:119], v[122:123], v[124:125]
	ds_read_b128 v[122:125], v120 offset:848
	s_waitcnt vmcnt(0) lgkmcnt(0)
	v_fmac_f64_e32 v[118:119], v[126:127], v[122:123]
	buffer_load_dword v123, off, s[0:3], 0 offset:396
	buffer_load_dword v122, off, s[0:3], 0 offset:392
	buffer_load_dword v127, off, s[0:3], 0 offset:404
	buffer_load_dword v126, off, s[0:3], 0 offset:400
	;; [unrolled: 9-line block ×4, first 2 shown]
	s_waitcnt vmcnt(2)
	v_fmac_f64_e32 v[118:119], v[122:123], v[124:125]
	ds_read_b128 v[122:125], v120 offset:896
	s_waitcnt vmcnt(0) lgkmcnt(0)
	v_fmac_f64_e32 v[118:119], v[126:127], v[122:123]
	buffer_load_dword v123, off, s[0:3], 0 offset:444
	buffer_load_dword v122, off, s[0:3], 0 offset:440
	s_waitcnt vmcnt(0)
	v_fmac_f64_e32 v[118:119], v[122:123], v[124:125]
	buffer_load_dword v123, off, s[0:3], 0 offset:452
	buffer_load_dword v122, off, s[0:3], 0 offset:448
	ds_read_b64 v[124:125], v120 offset:912
	s_waitcnt vmcnt(0) lgkmcnt(0)
	v_fmac_f64_e32 v[118:119], v[122:123], v[124:125]
	v_add_f64 v[116:117], v[116:117], -v[118:119]
	buffer_store_dword v117, off, s[0:3], 0 offset:300
	buffer_store_dword v116, off, s[0:3], 0 offset:296
	s_and_saveexec_b64 s[4:5], vcc
	s_cbranch_execz .LBB56_277
; %bb.276:
	buffer_load_dword v116, off, s[0:3], 0 offset:288
	buffer_load_dword v117, off, s[0:3], 0 offset:292
	s_waitcnt vmcnt(0)
	ds_write_b64 v1, v[116:117]
	buffer_store_dword v120, off, s[0:3], 0 offset:288
	buffer_store_dword v120, off, s[0:3], 0 offset:292
.LBB56_277:
	s_or_b64 exec, exec, s[4:5]
	s_waitcnt lgkmcnt(0)
	; wave barrier
	s_waitcnt lgkmcnt(0)
	buffer_load_dword v116, off, s[0:3], 0 offset:288
	buffer_load_dword v117, off, s[0:3], 0 offset:292
	;; [unrolled: 1-line block ×16, first 2 shown]
	ds_read2_b64 v[122:125], v120 offset0:95 offset1:96
	v_cmp_lt_u32_e32 vcc, 35, v0
	s_waitcnt vmcnt(12) lgkmcnt(0)
	v_fma_f64 v[118:119], v[118:119], v[122:123], 0
	s_waitcnt vmcnt(10)
	v_fmac_f64_e32 v[118:119], v[126:127], v[124:125]
	ds_read2_b64 v[122:125], v120 offset0:97 offset1:98
	s_waitcnt vmcnt(8) lgkmcnt(0)
	v_fmac_f64_e32 v[118:119], v[128:129], v[122:123]
	s_waitcnt vmcnt(6)
	v_fmac_f64_e32 v[118:119], v[130:131], v[124:125]
	ds_read2_b64 v[122:125], v120 offset0:99 offset1:100
	s_waitcnt vmcnt(4) lgkmcnt(0)
	v_fmac_f64_e32 v[118:119], v[132:133], v[122:123]
	;; [unrolled: 5-line block ×3, first 2 shown]
	buffer_load_dword v123, off, s[0:3], 0 offset:356
	buffer_load_dword v122, off, s[0:3], 0 offset:352
	buffer_load_dword v127, off, s[0:3], 0 offset:364
	buffer_load_dword v126, off, s[0:3], 0 offset:360
	s_waitcnt vmcnt(2)
	v_fmac_f64_e32 v[118:119], v[122:123], v[124:125]
	ds_read2_b64 v[122:125], v120 offset0:103 offset1:104
	s_waitcnt vmcnt(0) lgkmcnt(0)
	v_fmac_f64_e32 v[118:119], v[126:127], v[122:123]
	buffer_load_dword v123, off, s[0:3], 0 offset:372
	buffer_load_dword v122, off, s[0:3], 0 offset:368
	buffer_load_dword v127, off, s[0:3], 0 offset:380
	buffer_load_dword v126, off, s[0:3], 0 offset:376
	s_waitcnt vmcnt(2)
	v_fmac_f64_e32 v[118:119], v[122:123], v[124:125]
	ds_read2_b64 v[122:125], v120 offset0:105 offset1:106
	s_waitcnt vmcnt(0) lgkmcnt(0)
	v_fmac_f64_e32 v[118:119], v[126:127], v[122:123]
	;; [unrolled: 9-line block ×5, first 2 shown]
	buffer_load_dword v123, off, s[0:3], 0 offset:436
	buffer_load_dword v122, off, s[0:3], 0 offset:432
	s_waitcnt vmcnt(0)
	v_fmac_f64_e32 v[118:119], v[122:123], v[124:125]
	buffer_load_dword v125, off, s[0:3], 0 offset:444
	buffer_load_dword v124, off, s[0:3], 0 offset:440
	ds_read2_b64 v[120:123], v120 offset0:113 offset1:114
	s_waitcnt vmcnt(0) lgkmcnt(0)
	v_fmac_f64_e32 v[118:119], v[124:125], v[120:121]
	buffer_load_dword v121, off, s[0:3], 0 offset:452
	buffer_load_dword v120, off, s[0:3], 0 offset:448
	s_waitcnt vmcnt(0)
	v_fmac_f64_e32 v[118:119], v[120:121], v[122:123]
	v_add_f64 v[116:117], v[116:117], -v[118:119]
	buffer_store_dword v117, off, s[0:3], 0 offset:292
	buffer_store_dword v116, off, s[0:3], 0 offset:288
	s_and_saveexec_b64 s[4:5], vcc
	s_cbranch_execz .LBB56_279
; %bb.278:
	buffer_load_dword v116, off, s[0:3], 0 offset:280
	buffer_load_dword v117, off, s[0:3], 0 offset:284
	v_mov_b32_e32 v118, 0
	buffer_store_dword v118, off, s[0:3], 0 offset:280
	buffer_store_dword v118, off, s[0:3], 0 offset:284
	s_waitcnt vmcnt(2)
	ds_write_b64 v1, v[116:117]
.LBB56_279:
	s_or_b64 exec, exec, s[4:5]
	s_waitcnt lgkmcnt(0)
	; wave barrier
	s_waitcnt lgkmcnt(0)
	buffer_load_dword v116, off, s[0:3], 0 offset:280
	buffer_load_dword v117, off, s[0:3], 0 offset:284
	;; [unrolled: 1-line block ×16, first 2 shown]
	v_mov_b32_e32 v120, 0
	ds_read_b128 v[122:125], v120 offset:752
	ds_read_b128 v[126:129], v120 offset:768
	;; [unrolled: 1-line block ×4, first 2 shown]
	v_cmp_lt_u32_e32 vcc, 34, v0
	s_waitcnt vmcnt(12) lgkmcnt(3)
	v_fma_f64 v[118:119], v[118:119], v[122:123], 0
	buffer_load_dword v123, off, s[0:3], 0 offset:348
	buffer_load_dword v122, off, s[0:3], 0 offset:344
	s_waitcnt vmcnt(12)
	v_fmac_f64_e32 v[118:119], v[138:139], v[124:125]
	s_waitcnt vmcnt(10) lgkmcnt(2)
	v_fmac_f64_e32 v[118:119], v[140:141], v[126:127]
	buffer_load_dword v127, off, s[0:3], 0 offset:356
	buffer_load_dword v126, off, s[0:3], 0 offset:352
	s_waitcnt vmcnt(10)
	v_fmac_f64_e32 v[118:119], v[142:143], v[128:129]
	s_waitcnt vmcnt(8) lgkmcnt(1)
	v_fmac_f64_e32 v[118:119], v[144:145], v[130:131]
	s_waitcnt vmcnt(6)
	v_fmac_f64_e32 v[118:119], v[146:147], v[132:133]
	s_waitcnt vmcnt(4) lgkmcnt(0)
	v_fmac_f64_e32 v[118:119], v[148:149], v[134:135]
	s_waitcnt vmcnt(2)
	v_fmac_f64_e32 v[118:119], v[122:123], v[136:137]
	ds_read_b128 v[122:125], v120 offset:816
	s_waitcnt vmcnt(0) lgkmcnt(0)
	v_fmac_f64_e32 v[118:119], v[126:127], v[122:123]
	buffer_load_dword v123, off, s[0:3], 0 offset:364
	buffer_load_dword v122, off, s[0:3], 0 offset:360
	buffer_load_dword v127, off, s[0:3], 0 offset:372
	buffer_load_dword v126, off, s[0:3], 0 offset:368
	s_waitcnt vmcnt(2)
	v_fmac_f64_e32 v[118:119], v[122:123], v[124:125]
	ds_read_b128 v[122:125], v120 offset:832
	s_waitcnt vmcnt(0) lgkmcnt(0)
	v_fmac_f64_e32 v[118:119], v[126:127], v[122:123]
	buffer_load_dword v123, off, s[0:3], 0 offset:380
	buffer_load_dword v122, off, s[0:3], 0 offset:376
	buffer_load_dword v127, off, s[0:3], 0 offset:388
	buffer_load_dword v126, off, s[0:3], 0 offset:384
	;; [unrolled: 9-line block ×5, first 2 shown]
	s_waitcnt vmcnt(2)
	v_fmac_f64_e32 v[118:119], v[122:123], v[124:125]
	ds_read_b128 v[122:125], v120 offset:896
	s_waitcnt vmcnt(0) lgkmcnt(0)
	v_fmac_f64_e32 v[118:119], v[126:127], v[122:123]
	buffer_load_dword v123, off, s[0:3], 0 offset:444
	buffer_load_dword v122, off, s[0:3], 0 offset:440
	s_waitcnt vmcnt(0)
	v_fmac_f64_e32 v[118:119], v[122:123], v[124:125]
	buffer_load_dword v123, off, s[0:3], 0 offset:452
	buffer_load_dword v122, off, s[0:3], 0 offset:448
	ds_read_b64 v[124:125], v120 offset:912
	s_waitcnt vmcnt(0) lgkmcnt(0)
	v_fmac_f64_e32 v[118:119], v[122:123], v[124:125]
	v_add_f64 v[116:117], v[116:117], -v[118:119]
	buffer_store_dword v117, off, s[0:3], 0 offset:284
	buffer_store_dword v116, off, s[0:3], 0 offset:280
	s_and_saveexec_b64 s[4:5], vcc
	s_cbranch_execz .LBB56_281
; %bb.280:
	buffer_load_dword v116, off, s[0:3], 0 offset:272
	buffer_load_dword v117, off, s[0:3], 0 offset:276
	s_waitcnt vmcnt(0)
	ds_write_b64 v1, v[116:117]
	buffer_store_dword v120, off, s[0:3], 0 offset:272
	buffer_store_dword v120, off, s[0:3], 0 offset:276
.LBB56_281:
	s_or_b64 exec, exec, s[4:5]
	s_waitcnt lgkmcnt(0)
	; wave barrier
	s_waitcnt lgkmcnt(0)
	buffer_load_dword v116, off, s[0:3], 0 offset:272
	buffer_load_dword v117, off, s[0:3], 0 offset:276
	;; [unrolled: 1-line block ×16, first 2 shown]
	ds_read2_b64 v[122:125], v120 offset0:93 offset1:94
	v_cmp_lt_u32_e32 vcc, 33, v0
	s_waitcnt vmcnt(12) lgkmcnt(0)
	v_fma_f64 v[118:119], v[118:119], v[122:123], 0
	s_waitcnt vmcnt(10)
	v_fmac_f64_e32 v[118:119], v[126:127], v[124:125]
	ds_read2_b64 v[122:125], v120 offset0:95 offset1:96
	s_waitcnt vmcnt(8) lgkmcnt(0)
	v_fmac_f64_e32 v[118:119], v[128:129], v[122:123]
	s_waitcnt vmcnt(6)
	v_fmac_f64_e32 v[118:119], v[130:131], v[124:125]
	ds_read2_b64 v[122:125], v120 offset0:97 offset1:98
	s_waitcnt vmcnt(4) lgkmcnt(0)
	v_fmac_f64_e32 v[118:119], v[132:133], v[122:123]
	s_waitcnt vmcnt(2)
	v_fmac_f64_e32 v[118:119], v[134:135], v[124:125]
	ds_read2_b64 v[122:125], v120 offset0:99 offset1:100
	s_waitcnt vmcnt(0) lgkmcnt(0)
	v_fmac_f64_e32 v[118:119], v[136:137], v[122:123]
	buffer_load_dword v123, off, s[0:3], 0 offset:340
	buffer_load_dword v122, off, s[0:3], 0 offset:336
	buffer_load_dword v127, off, s[0:3], 0 offset:348
	buffer_load_dword v126, off, s[0:3], 0 offset:344
	s_waitcnt vmcnt(2)
	v_fmac_f64_e32 v[118:119], v[122:123], v[124:125]
	ds_read2_b64 v[122:125], v120 offset0:101 offset1:102
	s_waitcnt vmcnt(0) lgkmcnt(0)
	v_fmac_f64_e32 v[118:119], v[126:127], v[122:123]
	buffer_load_dword v123, off, s[0:3], 0 offset:356
	buffer_load_dword v122, off, s[0:3], 0 offset:352
	buffer_load_dword v127, off, s[0:3], 0 offset:364
	buffer_load_dword v126, off, s[0:3], 0 offset:360
	s_waitcnt vmcnt(2)
	v_fmac_f64_e32 v[118:119], v[122:123], v[124:125]
	ds_read2_b64 v[122:125], v120 offset0:103 offset1:104
	s_waitcnt vmcnt(0) lgkmcnt(0)
	v_fmac_f64_e32 v[118:119], v[126:127], v[122:123]
	;; [unrolled: 9-line block ×6, first 2 shown]
	buffer_load_dword v123, off, s[0:3], 0 offset:436
	buffer_load_dword v122, off, s[0:3], 0 offset:432
	s_waitcnt vmcnt(0)
	v_fmac_f64_e32 v[118:119], v[122:123], v[124:125]
	buffer_load_dword v125, off, s[0:3], 0 offset:444
	buffer_load_dword v124, off, s[0:3], 0 offset:440
	ds_read2_b64 v[120:123], v120 offset0:113 offset1:114
	s_waitcnt vmcnt(0) lgkmcnt(0)
	v_fmac_f64_e32 v[118:119], v[124:125], v[120:121]
	buffer_load_dword v121, off, s[0:3], 0 offset:452
	buffer_load_dword v120, off, s[0:3], 0 offset:448
	s_waitcnt vmcnt(0)
	v_fmac_f64_e32 v[118:119], v[120:121], v[122:123]
	v_add_f64 v[116:117], v[116:117], -v[118:119]
	buffer_store_dword v117, off, s[0:3], 0 offset:276
	buffer_store_dword v116, off, s[0:3], 0 offset:272
	s_and_saveexec_b64 s[4:5], vcc
	s_cbranch_execz .LBB56_283
; %bb.282:
	buffer_load_dword v116, off, s[0:3], 0 offset:264
	buffer_load_dword v117, off, s[0:3], 0 offset:268
	v_mov_b32_e32 v118, 0
	buffer_store_dword v118, off, s[0:3], 0 offset:264
	buffer_store_dword v118, off, s[0:3], 0 offset:268
	s_waitcnt vmcnt(2)
	ds_write_b64 v1, v[116:117]
.LBB56_283:
	s_or_b64 exec, exec, s[4:5]
	s_waitcnt lgkmcnt(0)
	; wave barrier
	s_waitcnt lgkmcnt(0)
	buffer_load_dword v116, off, s[0:3], 0 offset:264
	buffer_load_dword v117, off, s[0:3], 0 offset:268
	;; [unrolled: 1-line block ×16, first 2 shown]
	v_mov_b32_e32 v120, 0
	ds_read_b128 v[122:125], v120 offset:736
	ds_read_b128 v[126:129], v120 offset:752
	;; [unrolled: 1-line block ×4, first 2 shown]
	v_cmp_lt_u32_e32 vcc, 32, v0
	s_waitcnt vmcnt(12) lgkmcnt(3)
	v_fma_f64 v[118:119], v[118:119], v[122:123], 0
	buffer_load_dword v123, off, s[0:3], 0 offset:332
	buffer_load_dword v122, off, s[0:3], 0 offset:328
	s_waitcnt vmcnt(12)
	v_fmac_f64_e32 v[118:119], v[138:139], v[124:125]
	s_waitcnt vmcnt(10) lgkmcnt(2)
	v_fmac_f64_e32 v[118:119], v[140:141], v[126:127]
	buffer_load_dword v127, off, s[0:3], 0 offset:340
	buffer_load_dword v126, off, s[0:3], 0 offset:336
	s_waitcnt vmcnt(10)
	v_fmac_f64_e32 v[118:119], v[142:143], v[128:129]
	s_waitcnt vmcnt(8) lgkmcnt(1)
	v_fmac_f64_e32 v[118:119], v[144:145], v[130:131]
	s_waitcnt vmcnt(6)
	v_fmac_f64_e32 v[118:119], v[146:147], v[132:133]
	s_waitcnt vmcnt(4) lgkmcnt(0)
	v_fmac_f64_e32 v[118:119], v[148:149], v[134:135]
	s_waitcnt vmcnt(2)
	v_fmac_f64_e32 v[118:119], v[122:123], v[136:137]
	ds_read_b128 v[122:125], v120 offset:800
	s_waitcnt vmcnt(0) lgkmcnt(0)
	v_fmac_f64_e32 v[118:119], v[126:127], v[122:123]
	buffer_load_dword v123, off, s[0:3], 0 offset:348
	buffer_load_dword v122, off, s[0:3], 0 offset:344
	buffer_load_dword v127, off, s[0:3], 0 offset:356
	buffer_load_dword v126, off, s[0:3], 0 offset:352
	s_waitcnt vmcnt(2)
	v_fmac_f64_e32 v[118:119], v[122:123], v[124:125]
	ds_read_b128 v[122:125], v120 offset:816
	s_waitcnt vmcnt(0) lgkmcnt(0)
	v_fmac_f64_e32 v[118:119], v[126:127], v[122:123]
	buffer_load_dword v123, off, s[0:3], 0 offset:364
	buffer_load_dword v122, off, s[0:3], 0 offset:360
	buffer_load_dword v127, off, s[0:3], 0 offset:372
	buffer_load_dword v126, off, s[0:3], 0 offset:368
	;; [unrolled: 9-line block ×6, first 2 shown]
	s_waitcnt vmcnt(2)
	v_fmac_f64_e32 v[118:119], v[122:123], v[124:125]
	ds_read_b128 v[122:125], v120 offset:896
	s_waitcnt vmcnt(0) lgkmcnt(0)
	v_fmac_f64_e32 v[118:119], v[126:127], v[122:123]
	buffer_load_dword v123, off, s[0:3], 0 offset:444
	buffer_load_dword v122, off, s[0:3], 0 offset:440
	s_waitcnt vmcnt(0)
	v_fmac_f64_e32 v[118:119], v[122:123], v[124:125]
	buffer_load_dword v123, off, s[0:3], 0 offset:452
	buffer_load_dword v122, off, s[0:3], 0 offset:448
	ds_read_b64 v[124:125], v120 offset:912
	s_waitcnt vmcnt(0) lgkmcnt(0)
	v_fmac_f64_e32 v[118:119], v[122:123], v[124:125]
	v_add_f64 v[116:117], v[116:117], -v[118:119]
	buffer_store_dword v117, off, s[0:3], 0 offset:268
	buffer_store_dword v116, off, s[0:3], 0 offset:264
	s_and_saveexec_b64 s[4:5], vcc
	s_cbranch_execz .LBB56_285
; %bb.284:
	buffer_load_dword v116, off, s[0:3], 0 offset:256
	buffer_load_dword v117, off, s[0:3], 0 offset:260
	s_waitcnt vmcnt(0)
	ds_write_b64 v1, v[116:117]
	buffer_store_dword v120, off, s[0:3], 0 offset:256
	buffer_store_dword v120, off, s[0:3], 0 offset:260
.LBB56_285:
	s_or_b64 exec, exec, s[4:5]
	s_waitcnt lgkmcnt(0)
	; wave barrier
	s_waitcnt lgkmcnt(0)
	buffer_load_dword v116, off, s[0:3], 0 offset:256
	buffer_load_dword v117, off, s[0:3], 0 offset:260
	buffer_load_dword v118, off, s[0:3], 0 offset:264
	buffer_load_dword v119, off, s[0:3], 0 offset:268
	buffer_load_dword v126, off, s[0:3], 0 offset:272
	buffer_load_dword v127, off, s[0:3], 0 offset:276
	buffer_load_dword v128, off, s[0:3], 0 offset:280
	buffer_load_dword v129, off, s[0:3], 0 offset:284
	buffer_load_dword v130, off, s[0:3], 0 offset:288
	buffer_load_dword v131, off, s[0:3], 0 offset:292
	buffer_load_dword v132, off, s[0:3], 0 offset:296
	buffer_load_dword v133, off, s[0:3], 0 offset:300
	buffer_load_dword v134, off, s[0:3], 0 offset:304
	buffer_load_dword v135, off, s[0:3], 0 offset:308
	buffer_load_dword v136, off, s[0:3], 0 offset:312
	buffer_load_dword v137, off, s[0:3], 0 offset:316
	ds_read2_b64 v[122:125], v120 offset0:91 offset1:92
	v_cmp_lt_u32_e32 vcc, 31, v0
	s_waitcnt vmcnt(12) lgkmcnt(0)
	v_fma_f64 v[118:119], v[118:119], v[122:123], 0
	s_waitcnt vmcnt(10)
	v_fmac_f64_e32 v[118:119], v[126:127], v[124:125]
	ds_read2_b64 v[122:125], v120 offset0:93 offset1:94
	s_waitcnt vmcnt(8) lgkmcnt(0)
	v_fmac_f64_e32 v[118:119], v[128:129], v[122:123]
	s_waitcnt vmcnt(6)
	v_fmac_f64_e32 v[118:119], v[130:131], v[124:125]
	ds_read2_b64 v[122:125], v120 offset0:95 offset1:96
	s_waitcnt vmcnt(4) lgkmcnt(0)
	v_fmac_f64_e32 v[118:119], v[132:133], v[122:123]
	;; [unrolled: 5-line block ×3, first 2 shown]
	buffer_load_dword v123, off, s[0:3], 0 offset:324
	buffer_load_dword v122, off, s[0:3], 0 offset:320
	buffer_load_dword v127, off, s[0:3], 0 offset:332
	buffer_load_dword v126, off, s[0:3], 0 offset:328
	s_waitcnt vmcnt(2)
	v_fmac_f64_e32 v[118:119], v[122:123], v[124:125]
	ds_read2_b64 v[122:125], v120 offset0:99 offset1:100
	s_waitcnt vmcnt(0) lgkmcnt(0)
	v_fmac_f64_e32 v[118:119], v[126:127], v[122:123]
	buffer_load_dword v123, off, s[0:3], 0 offset:340
	buffer_load_dword v122, off, s[0:3], 0 offset:336
	buffer_load_dword v127, off, s[0:3], 0 offset:348
	buffer_load_dword v126, off, s[0:3], 0 offset:344
	s_waitcnt vmcnt(2)
	v_fmac_f64_e32 v[118:119], v[122:123], v[124:125]
	ds_read2_b64 v[122:125], v120 offset0:101 offset1:102
	s_waitcnt vmcnt(0) lgkmcnt(0)
	v_fmac_f64_e32 v[118:119], v[126:127], v[122:123]
	;; [unrolled: 9-line block ×7, first 2 shown]
	buffer_load_dword v123, off, s[0:3], 0 offset:436
	buffer_load_dword v122, off, s[0:3], 0 offset:432
	s_waitcnt vmcnt(0)
	v_fmac_f64_e32 v[118:119], v[122:123], v[124:125]
	buffer_load_dword v125, off, s[0:3], 0 offset:444
	buffer_load_dword v124, off, s[0:3], 0 offset:440
	ds_read2_b64 v[120:123], v120 offset0:113 offset1:114
	s_waitcnt vmcnt(0) lgkmcnt(0)
	v_fmac_f64_e32 v[118:119], v[124:125], v[120:121]
	buffer_load_dword v121, off, s[0:3], 0 offset:452
	buffer_load_dword v120, off, s[0:3], 0 offset:448
	s_waitcnt vmcnt(0)
	v_fmac_f64_e32 v[118:119], v[120:121], v[122:123]
	v_add_f64 v[116:117], v[116:117], -v[118:119]
	buffer_store_dword v117, off, s[0:3], 0 offset:260
	buffer_store_dword v116, off, s[0:3], 0 offset:256
	s_and_saveexec_b64 s[4:5], vcc
	s_cbranch_execz .LBB56_287
; %bb.286:
	buffer_load_dword v116, off, s[0:3], 0 offset:248
	buffer_load_dword v117, off, s[0:3], 0 offset:252
	v_mov_b32_e32 v118, 0
	buffer_store_dword v118, off, s[0:3], 0 offset:248
	buffer_store_dword v118, off, s[0:3], 0 offset:252
	s_waitcnt vmcnt(2)
	ds_write_b64 v1, v[116:117]
.LBB56_287:
	s_or_b64 exec, exec, s[4:5]
	s_waitcnt lgkmcnt(0)
	; wave barrier
	s_waitcnt lgkmcnt(0)
	buffer_load_dword v116, off, s[0:3], 0 offset:248
	buffer_load_dword v117, off, s[0:3], 0 offset:252
	;; [unrolled: 1-line block ×16, first 2 shown]
	v_mov_b32_e32 v120, 0
	ds_read_b128 v[122:125], v120 offset:720
	ds_read_b128 v[126:129], v120 offset:736
	;; [unrolled: 1-line block ×4, first 2 shown]
	v_cmp_lt_u32_e32 vcc, 30, v0
	s_waitcnt vmcnt(12) lgkmcnt(3)
	v_fma_f64 v[118:119], v[118:119], v[122:123], 0
	buffer_load_dword v123, off, s[0:3], 0 offset:316
	buffer_load_dword v122, off, s[0:3], 0 offset:312
	s_waitcnt vmcnt(12)
	v_fmac_f64_e32 v[118:119], v[138:139], v[124:125]
	s_waitcnt vmcnt(10) lgkmcnt(2)
	v_fmac_f64_e32 v[118:119], v[140:141], v[126:127]
	buffer_load_dword v127, off, s[0:3], 0 offset:324
	buffer_load_dword v126, off, s[0:3], 0 offset:320
	s_waitcnt vmcnt(10)
	v_fmac_f64_e32 v[118:119], v[142:143], v[128:129]
	s_waitcnt vmcnt(8) lgkmcnt(1)
	v_fmac_f64_e32 v[118:119], v[144:145], v[130:131]
	s_waitcnt vmcnt(6)
	v_fmac_f64_e32 v[118:119], v[146:147], v[132:133]
	s_waitcnt vmcnt(4) lgkmcnt(0)
	v_fmac_f64_e32 v[118:119], v[148:149], v[134:135]
	s_waitcnt vmcnt(2)
	v_fmac_f64_e32 v[118:119], v[122:123], v[136:137]
	ds_read_b128 v[122:125], v120 offset:784
	s_waitcnt vmcnt(0) lgkmcnt(0)
	v_fmac_f64_e32 v[118:119], v[126:127], v[122:123]
	buffer_load_dword v123, off, s[0:3], 0 offset:332
	buffer_load_dword v122, off, s[0:3], 0 offset:328
	buffer_load_dword v127, off, s[0:3], 0 offset:340
	buffer_load_dword v126, off, s[0:3], 0 offset:336
	s_waitcnt vmcnt(2)
	v_fmac_f64_e32 v[118:119], v[122:123], v[124:125]
	ds_read_b128 v[122:125], v120 offset:800
	s_waitcnt vmcnt(0) lgkmcnt(0)
	v_fmac_f64_e32 v[118:119], v[126:127], v[122:123]
	buffer_load_dword v123, off, s[0:3], 0 offset:348
	buffer_load_dword v122, off, s[0:3], 0 offset:344
	buffer_load_dword v127, off, s[0:3], 0 offset:356
	buffer_load_dword v126, off, s[0:3], 0 offset:352
	;; [unrolled: 9-line block ×7, first 2 shown]
	s_waitcnt vmcnt(2)
	v_fmac_f64_e32 v[118:119], v[122:123], v[124:125]
	ds_read_b128 v[122:125], v120 offset:896
	s_waitcnt vmcnt(0) lgkmcnt(0)
	v_fmac_f64_e32 v[118:119], v[126:127], v[122:123]
	buffer_load_dword v123, off, s[0:3], 0 offset:444
	buffer_load_dword v122, off, s[0:3], 0 offset:440
	s_waitcnt vmcnt(0)
	v_fmac_f64_e32 v[118:119], v[122:123], v[124:125]
	buffer_load_dword v123, off, s[0:3], 0 offset:452
	buffer_load_dword v122, off, s[0:3], 0 offset:448
	ds_read_b64 v[124:125], v120 offset:912
	s_waitcnt vmcnt(0) lgkmcnt(0)
	v_fmac_f64_e32 v[118:119], v[122:123], v[124:125]
	v_add_f64 v[116:117], v[116:117], -v[118:119]
	buffer_store_dword v117, off, s[0:3], 0 offset:252
	buffer_store_dword v116, off, s[0:3], 0 offset:248
	s_and_saveexec_b64 s[4:5], vcc
	s_cbranch_execz .LBB56_289
; %bb.288:
	buffer_load_dword v116, off, s[0:3], 0 offset:240
	buffer_load_dword v117, off, s[0:3], 0 offset:244
	s_waitcnt vmcnt(0)
	ds_write_b64 v1, v[116:117]
	buffer_store_dword v120, off, s[0:3], 0 offset:240
	buffer_store_dword v120, off, s[0:3], 0 offset:244
.LBB56_289:
	s_or_b64 exec, exec, s[4:5]
	s_waitcnt lgkmcnt(0)
	; wave barrier
	s_waitcnt lgkmcnt(0)
	buffer_load_dword v116, off, s[0:3], 0 offset:240
	buffer_load_dword v117, off, s[0:3], 0 offset:244
	;; [unrolled: 1-line block ×16, first 2 shown]
	ds_read2_b64 v[122:125], v120 offset0:89 offset1:90
	v_cmp_lt_u32_e32 vcc, 29, v0
	s_waitcnt vmcnt(12) lgkmcnt(0)
	v_fma_f64 v[118:119], v[118:119], v[122:123], 0
	s_waitcnt vmcnt(10)
	v_fmac_f64_e32 v[118:119], v[126:127], v[124:125]
	ds_read2_b64 v[122:125], v120 offset0:91 offset1:92
	s_waitcnt vmcnt(8) lgkmcnt(0)
	v_fmac_f64_e32 v[118:119], v[128:129], v[122:123]
	s_waitcnt vmcnt(6)
	v_fmac_f64_e32 v[118:119], v[130:131], v[124:125]
	ds_read2_b64 v[122:125], v120 offset0:93 offset1:94
	s_waitcnt vmcnt(4) lgkmcnt(0)
	v_fmac_f64_e32 v[118:119], v[132:133], v[122:123]
	;; [unrolled: 5-line block ×3, first 2 shown]
	buffer_load_dword v123, off, s[0:3], 0 offset:308
	buffer_load_dword v122, off, s[0:3], 0 offset:304
	buffer_load_dword v127, off, s[0:3], 0 offset:316
	buffer_load_dword v126, off, s[0:3], 0 offset:312
	s_waitcnt vmcnt(2)
	v_fmac_f64_e32 v[118:119], v[122:123], v[124:125]
	ds_read2_b64 v[122:125], v120 offset0:97 offset1:98
	s_waitcnt vmcnt(0) lgkmcnt(0)
	v_fmac_f64_e32 v[118:119], v[126:127], v[122:123]
	buffer_load_dword v123, off, s[0:3], 0 offset:324
	buffer_load_dword v122, off, s[0:3], 0 offset:320
	buffer_load_dword v127, off, s[0:3], 0 offset:332
	buffer_load_dword v126, off, s[0:3], 0 offset:328
	s_waitcnt vmcnt(2)
	v_fmac_f64_e32 v[118:119], v[122:123], v[124:125]
	ds_read2_b64 v[122:125], v120 offset0:99 offset1:100
	s_waitcnt vmcnt(0) lgkmcnt(0)
	v_fmac_f64_e32 v[118:119], v[126:127], v[122:123]
	buffer_load_dword v123, off, s[0:3], 0 offset:340
	buffer_load_dword v122, off, s[0:3], 0 offset:336
	buffer_load_dword v127, off, s[0:3], 0 offset:348
	buffer_load_dword v126, off, s[0:3], 0 offset:344
	s_waitcnt vmcnt(2)
	v_fmac_f64_e32 v[118:119], v[122:123], v[124:125]
	ds_read2_b64 v[122:125], v120 offset0:101 offset1:102
	s_waitcnt vmcnt(0) lgkmcnt(0)
	v_fmac_f64_e32 v[118:119], v[126:127], v[122:123]
	buffer_load_dword v123, off, s[0:3], 0 offset:356
	buffer_load_dword v122, off, s[0:3], 0 offset:352
	buffer_load_dword v127, off, s[0:3], 0 offset:364
	buffer_load_dword v126, off, s[0:3], 0 offset:360
	s_waitcnt vmcnt(2)
	v_fmac_f64_e32 v[118:119], v[122:123], v[124:125]
	ds_read2_b64 v[122:125], v120 offset0:103 offset1:104
	s_waitcnt vmcnt(0) lgkmcnt(0)
	v_fmac_f64_e32 v[118:119], v[126:127], v[122:123]
	buffer_load_dword v123, off, s[0:3], 0 offset:372
	buffer_load_dword v122, off, s[0:3], 0 offset:368
	buffer_load_dword v127, off, s[0:3], 0 offset:380
	buffer_load_dword v126, off, s[0:3], 0 offset:376
	s_waitcnt vmcnt(2)
	v_fmac_f64_e32 v[118:119], v[122:123], v[124:125]
	ds_read2_b64 v[122:125], v120 offset0:105 offset1:106
	s_waitcnt vmcnt(0) lgkmcnt(0)
	v_fmac_f64_e32 v[118:119], v[126:127], v[122:123]
	buffer_load_dword v123, off, s[0:3], 0 offset:388
	buffer_load_dword v122, off, s[0:3], 0 offset:384
	buffer_load_dword v127, off, s[0:3], 0 offset:396
	buffer_load_dword v126, off, s[0:3], 0 offset:392
	s_waitcnt vmcnt(2)
	v_fmac_f64_e32 v[118:119], v[122:123], v[124:125]
	ds_read2_b64 v[122:125], v120 offset0:107 offset1:108
	s_waitcnt vmcnt(0) lgkmcnt(0)
	v_fmac_f64_e32 v[118:119], v[126:127], v[122:123]
	buffer_load_dword v123, off, s[0:3], 0 offset:404
	buffer_load_dword v122, off, s[0:3], 0 offset:400
	buffer_load_dword v127, off, s[0:3], 0 offset:412
	buffer_load_dword v126, off, s[0:3], 0 offset:408
	s_waitcnt vmcnt(2)
	v_fmac_f64_e32 v[118:119], v[122:123], v[124:125]
	ds_read2_b64 v[122:125], v120 offset0:109 offset1:110
	s_waitcnt vmcnt(0) lgkmcnt(0)
	v_fmac_f64_e32 v[118:119], v[126:127], v[122:123]
	buffer_load_dword v123, off, s[0:3], 0 offset:420
	buffer_load_dword v122, off, s[0:3], 0 offset:416
	buffer_load_dword v127, off, s[0:3], 0 offset:428
	buffer_load_dword v126, off, s[0:3], 0 offset:424
	s_waitcnt vmcnt(2)
	v_fmac_f64_e32 v[118:119], v[122:123], v[124:125]
	ds_read2_b64 v[122:125], v120 offset0:111 offset1:112
	s_waitcnt vmcnt(0) lgkmcnt(0)
	v_fmac_f64_e32 v[118:119], v[126:127], v[122:123]
	buffer_load_dword v123, off, s[0:3], 0 offset:436
	buffer_load_dword v122, off, s[0:3], 0 offset:432
	s_waitcnt vmcnt(0)
	v_fmac_f64_e32 v[118:119], v[122:123], v[124:125]
	buffer_load_dword v125, off, s[0:3], 0 offset:444
	buffer_load_dword v124, off, s[0:3], 0 offset:440
	ds_read2_b64 v[120:123], v120 offset0:113 offset1:114
	s_waitcnt vmcnt(0) lgkmcnt(0)
	v_fmac_f64_e32 v[118:119], v[124:125], v[120:121]
	buffer_load_dword v121, off, s[0:3], 0 offset:452
	buffer_load_dword v120, off, s[0:3], 0 offset:448
	s_waitcnt vmcnt(0)
	v_fmac_f64_e32 v[118:119], v[120:121], v[122:123]
	v_add_f64 v[116:117], v[116:117], -v[118:119]
	buffer_store_dword v117, off, s[0:3], 0 offset:244
	buffer_store_dword v116, off, s[0:3], 0 offset:240
	s_and_saveexec_b64 s[4:5], vcc
	s_cbranch_execz .LBB56_291
; %bb.290:
	buffer_load_dword v116, off, s[0:3], 0 offset:232
	buffer_load_dword v117, off, s[0:3], 0 offset:236
	v_mov_b32_e32 v118, 0
	buffer_store_dword v118, off, s[0:3], 0 offset:232
	buffer_store_dword v118, off, s[0:3], 0 offset:236
	s_waitcnt vmcnt(2)
	ds_write_b64 v1, v[116:117]
.LBB56_291:
	s_or_b64 exec, exec, s[4:5]
	s_waitcnt lgkmcnt(0)
	; wave barrier
	s_waitcnt lgkmcnt(0)
	buffer_load_dword v116, off, s[0:3], 0 offset:232
	buffer_load_dword v117, off, s[0:3], 0 offset:236
	;; [unrolled: 1-line block ×16, first 2 shown]
	v_mov_b32_e32 v120, 0
	ds_read_b128 v[122:125], v120 offset:704
	ds_read_b128 v[126:129], v120 offset:720
	;; [unrolled: 1-line block ×4, first 2 shown]
	v_cmp_lt_u32_e32 vcc, 28, v0
	s_waitcnt vmcnt(12) lgkmcnt(3)
	v_fma_f64 v[118:119], v[118:119], v[122:123], 0
	buffer_load_dword v123, off, s[0:3], 0 offset:300
	buffer_load_dword v122, off, s[0:3], 0 offset:296
	s_waitcnt vmcnt(12)
	v_fmac_f64_e32 v[118:119], v[138:139], v[124:125]
	s_waitcnt vmcnt(10) lgkmcnt(2)
	v_fmac_f64_e32 v[118:119], v[140:141], v[126:127]
	buffer_load_dword v127, off, s[0:3], 0 offset:308
	buffer_load_dword v126, off, s[0:3], 0 offset:304
	s_waitcnt vmcnt(10)
	v_fmac_f64_e32 v[118:119], v[142:143], v[128:129]
	s_waitcnt vmcnt(8) lgkmcnt(1)
	v_fmac_f64_e32 v[118:119], v[144:145], v[130:131]
	s_waitcnt vmcnt(6)
	v_fmac_f64_e32 v[118:119], v[146:147], v[132:133]
	s_waitcnt vmcnt(4) lgkmcnt(0)
	v_fmac_f64_e32 v[118:119], v[148:149], v[134:135]
	s_waitcnt vmcnt(2)
	v_fmac_f64_e32 v[118:119], v[122:123], v[136:137]
	ds_read_b128 v[122:125], v120 offset:768
	s_waitcnt vmcnt(0) lgkmcnt(0)
	v_fmac_f64_e32 v[118:119], v[126:127], v[122:123]
	buffer_load_dword v123, off, s[0:3], 0 offset:316
	buffer_load_dword v122, off, s[0:3], 0 offset:312
	buffer_load_dword v127, off, s[0:3], 0 offset:324
	buffer_load_dword v126, off, s[0:3], 0 offset:320
	s_waitcnt vmcnt(2)
	v_fmac_f64_e32 v[118:119], v[122:123], v[124:125]
	ds_read_b128 v[122:125], v120 offset:784
	s_waitcnt vmcnt(0) lgkmcnt(0)
	v_fmac_f64_e32 v[118:119], v[126:127], v[122:123]
	buffer_load_dword v123, off, s[0:3], 0 offset:332
	buffer_load_dword v122, off, s[0:3], 0 offset:328
	buffer_load_dword v127, off, s[0:3], 0 offset:340
	buffer_load_dword v126, off, s[0:3], 0 offset:336
	;; [unrolled: 9-line block ×8, first 2 shown]
	s_waitcnt vmcnt(2)
	v_fmac_f64_e32 v[118:119], v[122:123], v[124:125]
	ds_read_b128 v[122:125], v120 offset:896
	s_waitcnt vmcnt(0) lgkmcnt(0)
	v_fmac_f64_e32 v[118:119], v[126:127], v[122:123]
	buffer_load_dword v123, off, s[0:3], 0 offset:444
	buffer_load_dword v122, off, s[0:3], 0 offset:440
	s_waitcnt vmcnt(0)
	v_fmac_f64_e32 v[118:119], v[122:123], v[124:125]
	buffer_load_dword v123, off, s[0:3], 0 offset:452
	buffer_load_dword v122, off, s[0:3], 0 offset:448
	ds_read_b64 v[124:125], v120 offset:912
	s_waitcnt vmcnt(0) lgkmcnt(0)
	v_fmac_f64_e32 v[118:119], v[122:123], v[124:125]
	v_add_f64 v[116:117], v[116:117], -v[118:119]
	buffer_store_dword v117, off, s[0:3], 0 offset:236
	buffer_store_dword v116, off, s[0:3], 0 offset:232
	s_and_saveexec_b64 s[4:5], vcc
	s_cbranch_execz .LBB56_293
; %bb.292:
	buffer_load_dword v116, off, s[0:3], 0 offset:224
	buffer_load_dword v117, off, s[0:3], 0 offset:228
	s_waitcnt vmcnt(0)
	ds_write_b64 v1, v[116:117]
	buffer_store_dword v120, off, s[0:3], 0 offset:224
	buffer_store_dword v120, off, s[0:3], 0 offset:228
.LBB56_293:
	s_or_b64 exec, exec, s[4:5]
	s_waitcnt lgkmcnt(0)
	; wave barrier
	s_waitcnt lgkmcnt(0)
	buffer_load_dword v116, off, s[0:3], 0 offset:224
	buffer_load_dword v117, off, s[0:3], 0 offset:228
	;; [unrolled: 1-line block ×16, first 2 shown]
	ds_read2_b64 v[122:125], v120 offset0:87 offset1:88
	v_cmp_lt_u32_e32 vcc, 27, v0
	s_waitcnt vmcnt(12) lgkmcnt(0)
	v_fma_f64 v[118:119], v[118:119], v[122:123], 0
	s_waitcnt vmcnt(10)
	v_fmac_f64_e32 v[118:119], v[126:127], v[124:125]
	ds_read2_b64 v[122:125], v120 offset0:89 offset1:90
	s_waitcnt vmcnt(8) lgkmcnt(0)
	v_fmac_f64_e32 v[118:119], v[128:129], v[122:123]
	s_waitcnt vmcnt(6)
	v_fmac_f64_e32 v[118:119], v[130:131], v[124:125]
	ds_read2_b64 v[122:125], v120 offset0:91 offset1:92
	s_waitcnt vmcnt(4) lgkmcnt(0)
	v_fmac_f64_e32 v[118:119], v[132:133], v[122:123]
	;; [unrolled: 5-line block ×3, first 2 shown]
	buffer_load_dword v123, off, s[0:3], 0 offset:292
	buffer_load_dword v122, off, s[0:3], 0 offset:288
	buffer_load_dword v127, off, s[0:3], 0 offset:300
	buffer_load_dword v126, off, s[0:3], 0 offset:296
	s_waitcnt vmcnt(2)
	v_fmac_f64_e32 v[118:119], v[122:123], v[124:125]
	ds_read2_b64 v[122:125], v120 offset0:95 offset1:96
	s_waitcnt vmcnt(0) lgkmcnt(0)
	v_fmac_f64_e32 v[118:119], v[126:127], v[122:123]
	buffer_load_dword v123, off, s[0:3], 0 offset:308
	buffer_load_dword v122, off, s[0:3], 0 offset:304
	buffer_load_dword v127, off, s[0:3], 0 offset:316
	buffer_load_dword v126, off, s[0:3], 0 offset:312
	s_waitcnt vmcnt(2)
	v_fmac_f64_e32 v[118:119], v[122:123], v[124:125]
	ds_read2_b64 v[122:125], v120 offset0:97 offset1:98
	s_waitcnt vmcnt(0) lgkmcnt(0)
	v_fmac_f64_e32 v[118:119], v[126:127], v[122:123]
	;; [unrolled: 9-line block ×9, first 2 shown]
	buffer_load_dword v123, off, s[0:3], 0 offset:436
	buffer_load_dword v122, off, s[0:3], 0 offset:432
	s_waitcnt vmcnt(0)
	v_fmac_f64_e32 v[118:119], v[122:123], v[124:125]
	buffer_load_dword v125, off, s[0:3], 0 offset:444
	buffer_load_dword v124, off, s[0:3], 0 offset:440
	ds_read2_b64 v[120:123], v120 offset0:113 offset1:114
	s_waitcnt vmcnt(0) lgkmcnt(0)
	v_fmac_f64_e32 v[118:119], v[124:125], v[120:121]
	buffer_load_dword v121, off, s[0:3], 0 offset:452
	buffer_load_dword v120, off, s[0:3], 0 offset:448
	s_waitcnt vmcnt(0)
	v_fmac_f64_e32 v[118:119], v[120:121], v[122:123]
	v_add_f64 v[116:117], v[116:117], -v[118:119]
	buffer_store_dword v117, off, s[0:3], 0 offset:228
	buffer_store_dword v116, off, s[0:3], 0 offset:224
	s_and_saveexec_b64 s[4:5], vcc
	s_cbranch_execz .LBB56_295
; %bb.294:
	buffer_load_dword v116, off, s[0:3], 0 offset:216
	buffer_load_dword v117, off, s[0:3], 0 offset:220
	v_mov_b32_e32 v118, 0
	buffer_store_dword v118, off, s[0:3], 0 offset:216
	buffer_store_dword v118, off, s[0:3], 0 offset:220
	s_waitcnt vmcnt(2)
	ds_write_b64 v1, v[116:117]
.LBB56_295:
	s_or_b64 exec, exec, s[4:5]
	s_waitcnt lgkmcnt(0)
	; wave barrier
	s_waitcnt lgkmcnt(0)
	buffer_load_dword v116, off, s[0:3], 0 offset:216
	buffer_load_dword v117, off, s[0:3], 0 offset:220
	;; [unrolled: 1-line block ×16, first 2 shown]
	v_mov_b32_e32 v120, 0
	ds_read_b128 v[122:125], v120 offset:688
	ds_read_b128 v[126:129], v120 offset:704
	;; [unrolled: 1-line block ×4, first 2 shown]
	v_cmp_lt_u32_e32 vcc, 26, v0
	s_waitcnt vmcnt(12) lgkmcnt(3)
	v_fma_f64 v[118:119], v[118:119], v[122:123], 0
	buffer_load_dword v123, off, s[0:3], 0 offset:284
	buffer_load_dword v122, off, s[0:3], 0 offset:280
	s_waitcnt vmcnt(12)
	v_fmac_f64_e32 v[118:119], v[138:139], v[124:125]
	s_waitcnt vmcnt(10) lgkmcnt(2)
	v_fmac_f64_e32 v[118:119], v[140:141], v[126:127]
	buffer_load_dword v127, off, s[0:3], 0 offset:292
	buffer_load_dword v126, off, s[0:3], 0 offset:288
	s_waitcnt vmcnt(10)
	v_fmac_f64_e32 v[118:119], v[142:143], v[128:129]
	s_waitcnt vmcnt(8) lgkmcnt(1)
	v_fmac_f64_e32 v[118:119], v[144:145], v[130:131]
	s_waitcnt vmcnt(6)
	v_fmac_f64_e32 v[118:119], v[146:147], v[132:133]
	s_waitcnt vmcnt(4) lgkmcnt(0)
	v_fmac_f64_e32 v[118:119], v[148:149], v[134:135]
	s_waitcnt vmcnt(2)
	v_fmac_f64_e32 v[118:119], v[122:123], v[136:137]
	ds_read_b128 v[122:125], v120 offset:752
	s_waitcnt vmcnt(0) lgkmcnt(0)
	v_fmac_f64_e32 v[118:119], v[126:127], v[122:123]
	buffer_load_dword v123, off, s[0:3], 0 offset:300
	buffer_load_dword v122, off, s[0:3], 0 offset:296
	buffer_load_dword v127, off, s[0:3], 0 offset:308
	buffer_load_dword v126, off, s[0:3], 0 offset:304
	s_waitcnt vmcnt(2)
	v_fmac_f64_e32 v[118:119], v[122:123], v[124:125]
	ds_read_b128 v[122:125], v120 offset:768
	s_waitcnt vmcnt(0) lgkmcnt(0)
	v_fmac_f64_e32 v[118:119], v[126:127], v[122:123]
	buffer_load_dword v123, off, s[0:3], 0 offset:316
	buffer_load_dword v122, off, s[0:3], 0 offset:312
	buffer_load_dword v127, off, s[0:3], 0 offset:324
	buffer_load_dword v126, off, s[0:3], 0 offset:320
	;; [unrolled: 9-line block ×9, first 2 shown]
	s_waitcnt vmcnt(2)
	v_fmac_f64_e32 v[118:119], v[122:123], v[124:125]
	ds_read_b128 v[122:125], v120 offset:896
	s_waitcnt vmcnt(0) lgkmcnt(0)
	v_fmac_f64_e32 v[118:119], v[126:127], v[122:123]
	buffer_load_dword v123, off, s[0:3], 0 offset:444
	buffer_load_dword v122, off, s[0:3], 0 offset:440
	s_waitcnt vmcnt(0)
	v_fmac_f64_e32 v[118:119], v[122:123], v[124:125]
	buffer_load_dword v123, off, s[0:3], 0 offset:452
	buffer_load_dword v122, off, s[0:3], 0 offset:448
	ds_read_b64 v[124:125], v120 offset:912
	s_waitcnt vmcnt(0) lgkmcnt(0)
	v_fmac_f64_e32 v[118:119], v[122:123], v[124:125]
	v_add_f64 v[116:117], v[116:117], -v[118:119]
	buffer_store_dword v117, off, s[0:3], 0 offset:220
	buffer_store_dword v116, off, s[0:3], 0 offset:216
	s_and_saveexec_b64 s[4:5], vcc
	s_cbranch_execz .LBB56_297
; %bb.296:
	buffer_load_dword v116, off, s[0:3], 0 offset:208
	buffer_load_dword v117, off, s[0:3], 0 offset:212
	s_waitcnt vmcnt(0)
	ds_write_b64 v1, v[116:117]
	buffer_store_dword v120, off, s[0:3], 0 offset:208
	buffer_store_dword v120, off, s[0:3], 0 offset:212
.LBB56_297:
	s_or_b64 exec, exec, s[4:5]
	s_waitcnt lgkmcnt(0)
	; wave barrier
	s_waitcnt lgkmcnt(0)
	buffer_load_dword v116, off, s[0:3], 0 offset:208
	buffer_load_dword v117, off, s[0:3], 0 offset:212
	;; [unrolled: 1-line block ×16, first 2 shown]
	ds_read2_b64 v[122:125], v120 offset0:85 offset1:86
	v_cmp_lt_u32_e32 vcc, 25, v0
	s_waitcnt vmcnt(12) lgkmcnt(0)
	v_fma_f64 v[118:119], v[118:119], v[122:123], 0
	s_waitcnt vmcnt(10)
	v_fmac_f64_e32 v[118:119], v[126:127], v[124:125]
	ds_read2_b64 v[122:125], v120 offset0:87 offset1:88
	s_waitcnt vmcnt(8) lgkmcnt(0)
	v_fmac_f64_e32 v[118:119], v[128:129], v[122:123]
	s_waitcnt vmcnt(6)
	v_fmac_f64_e32 v[118:119], v[130:131], v[124:125]
	ds_read2_b64 v[122:125], v120 offset0:89 offset1:90
	s_waitcnt vmcnt(4) lgkmcnt(0)
	v_fmac_f64_e32 v[118:119], v[132:133], v[122:123]
	s_waitcnt vmcnt(2)
	v_fmac_f64_e32 v[118:119], v[134:135], v[124:125]
	ds_read2_b64 v[122:125], v120 offset0:91 offset1:92
	s_waitcnt vmcnt(0) lgkmcnt(0)
	v_fmac_f64_e32 v[118:119], v[136:137], v[122:123]
	buffer_load_dword v123, off, s[0:3], 0 offset:276
	buffer_load_dword v122, off, s[0:3], 0 offset:272
	buffer_load_dword v127, off, s[0:3], 0 offset:284
	buffer_load_dword v126, off, s[0:3], 0 offset:280
	s_waitcnt vmcnt(2)
	v_fmac_f64_e32 v[118:119], v[122:123], v[124:125]
	ds_read2_b64 v[122:125], v120 offset0:93 offset1:94
	s_waitcnt vmcnt(0) lgkmcnt(0)
	v_fmac_f64_e32 v[118:119], v[126:127], v[122:123]
	buffer_load_dword v123, off, s[0:3], 0 offset:292
	buffer_load_dword v122, off, s[0:3], 0 offset:288
	buffer_load_dword v127, off, s[0:3], 0 offset:300
	buffer_load_dword v126, off, s[0:3], 0 offset:296
	s_waitcnt vmcnt(2)
	v_fmac_f64_e32 v[118:119], v[122:123], v[124:125]
	ds_read2_b64 v[122:125], v120 offset0:95 offset1:96
	s_waitcnt vmcnt(0) lgkmcnt(0)
	v_fmac_f64_e32 v[118:119], v[126:127], v[122:123]
	;; [unrolled: 9-line block ×10, first 2 shown]
	buffer_load_dword v123, off, s[0:3], 0 offset:436
	buffer_load_dword v122, off, s[0:3], 0 offset:432
	s_waitcnt vmcnt(0)
	v_fmac_f64_e32 v[118:119], v[122:123], v[124:125]
	buffer_load_dword v125, off, s[0:3], 0 offset:444
	buffer_load_dword v124, off, s[0:3], 0 offset:440
	ds_read2_b64 v[120:123], v120 offset0:113 offset1:114
	s_waitcnt vmcnt(0) lgkmcnt(0)
	v_fmac_f64_e32 v[118:119], v[124:125], v[120:121]
	buffer_load_dword v121, off, s[0:3], 0 offset:452
	buffer_load_dword v120, off, s[0:3], 0 offset:448
	s_waitcnt vmcnt(0)
	v_fmac_f64_e32 v[118:119], v[120:121], v[122:123]
	v_add_f64 v[116:117], v[116:117], -v[118:119]
	buffer_store_dword v117, off, s[0:3], 0 offset:212
	buffer_store_dword v116, off, s[0:3], 0 offset:208
	s_and_saveexec_b64 s[4:5], vcc
	s_cbranch_execz .LBB56_299
; %bb.298:
	buffer_load_dword v116, off, s[0:3], 0 offset:200
	buffer_load_dword v117, off, s[0:3], 0 offset:204
	v_mov_b32_e32 v118, 0
	buffer_store_dword v118, off, s[0:3], 0 offset:200
	buffer_store_dword v118, off, s[0:3], 0 offset:204
	s_waitcnt vmcnt(2)
	ds_write_b64 v1, v[116:117]
.LBB56_299:
	s_or_b64 exec, exec, s[4:5]
	s_waitcnt lgkmcnt(0)
	; wave barrier
	s_waitcnt lgkmcnt(0)
	buffer_load_dword v116, off, s[0:3], 0 offset:200
	buffer_load_dword v117, off, s[0:3], 0 offset:204
	;; [unrolled: 1-line block ×16, first 2 shown]
	v_mov_b32_e32 v120, 0
	ds_read_b128 v[122:125], v120 offset:672
	ds_read_b128 v[126:129], v120 offset:688
	;; [unrolled: 1-line block ×4, first 2 shown]
	v_cmp_lt_u32_e32 vcc, 24, v0
	s_waitcnt vmcnt(12) lgkmcnt(3)
	v_fma_f64 v[118:119], v[118:119], v[122:123], 0
	buffer_load_dword v123, off, s[0:3], 0 offset:268
	buffer_load_dword v122, off, s[0:3], 0 offset:264
	s_waitcnt vmcnt(12)
	v_fmac_f64_e32 v[118:119], v[138:139], v[124:125]
	s_waitcnt vmcnt(10) lgkmcnt(2)
	v_fmac_f64_e32 v[118:119], v[140:141], v[126:127]
	buffer_load_dword v127, off, s[0:3], 0 offset:276
	buffer_load_dword v126, off, s[0:3], 0 offset:272
	s_waitcnt vmcnt(10)
	v_fmac_f64_e32 v[118:119], v[142:143], v[128:129]
	s_waitcnt vmcnt(8) lgkmcnt(1)
	v_fmac_f64_e32 v[118:119], v[144:145], v[130:131]
	s_waitcnt vmcnt(6)
	v_fmac_f64_e32 v[118:119], v[146:147], v[132:133]
	s_waitcnt vmcnt(4) lgkmcnt(0)
	v_fmac_f64_e32 v[118:119], v[148:149], v[134:135]
	s_waitcnt vmcnt(2)
	v_fmac_f64_e32 v[118:119], v[122:123], v[136:137]
	ds_read_b128 v[122:125], v120 offset:736
	s_waitcnt vmcnt(0) lgkmcnt(0)
	v_fmac_f64_e32 v[118:119], v[126:127], v[122:123]
	buffer_load_dword v123, off, s[0:3], 0 offset:284
	buffer_load_dword v122, off, s[0:3], 0 offset:280
	buffer_load_dword v127, off, s[0:3], 0 offset:292
	buffer_load_dword v126, off, s[0:3], 0 offset:288
	s_waitcnt vmcnt(2)
	v_fmac_f64_e32 v[118:119], v[122:123], v[124:125]
	ds_read_b128 v[122:125], v120 offset:752
	s_waitcnt vmcnt(0) lgkmcnt(0)
	v_fmac_f64_e32 v[118:119], v[126:127], v[122:123]
	buffer_load_dword v123, off, s[0:3], 0 offset:300
	buffer_load_dword v122, off, s[0:3], 0 offset:296
	buffer_load_dword v127, off, s[0:3], 0 offset:308
	buffer_load_dword v126, off, s[0:3], 0 offset:304
	;; [unrolled: 9-line block ×10, first 2 shown]
	s_waitcnt vmcnt(2)
	v_fmac_f64_e32 v[118:119], v[122:123], v[124:125]
	ds_read_b128 v[122:125], v120 offset:896
	s_waitcnt vmcnt(0) lgkmcnt(0)
	v_fmac_f64_e32 v[118:119], v[126:127], v[122:123]
	buffer_load_dword v123, off, s[0:3], 0 offset:444
	buffer_load_dword v122, off, s[0:3], 0 offset:440
	s_waitcnt vmcnt(0)
	v_fmac_f64_e32 v[118:119], v[122:123], v[124:125]
	buffer_load_dword v123, off, s[0:3], 0 offset:452
	buffer_load_dword v122, off, s[0:3], 0 offset:448
	ds_read_b64 v[124:125], v120 offset:912
	s_waitcnt vmcnt(0) lgkmcnt(0)
	v_fmac_f64_e32 v[118:119], v[122:123], v[124:125]
	v_add_f64 v[116:117], v[116:117], -v[118:119]
	buffer_store_dword v117, off, s[0:3], 0 offset:204
	buffer_store_dword v116, off, s[0:3], 0 offset:200
	s_and_saveexec_b64 s[4:5], vcc
	s_cbranch_execz .LBB56_301
; %bb.300:
	buffer_load_dword v116, off, s[0:3], 0 offset:192
	buffer_load_dword v117, off, s[0:3], 0 offset:196
	s_waitcnt vmcnt(0)
	ds_write_b64 v1, v[116:117]
	buffer_store_dword v120, off, s[0:3], 0 offset:192
	buffer_store_dword v120, off, s[0:3], 0 offset:196
.LBB56_301:
	s_or_b64 exec, exec, s[4:5]
	s_waitcnt lgkmcnt(0)
	; wave barrier
	s_waitcnt lgkmcnt(0)
	buffer_load_dword v116, off, s[0:3], 0 offset:192
	buffer_load_dword v117, off, s[0:3], 0 offset:196
	;; [unrolled: 1-line block ×16, first 2 shown]
	ds_read2_b64 v[122:125], v120 offset0:83 offset1:84
	v_cmp_lt_u32_e32 vcc, 23, v0
	s_waitcnt vmcnt(12) lgkmcnt(0)
	v_fma_f64 v[118:119], v[118:119], v[122:123], 0
	s_waitcnt vmcnt(10)
	v_fmac_f64_e32 v[118:119], v[126:127], v[124:125]
	ds_read2_b64 v[122:125], v120 offset0:85 offset1:86
	s_waitcnt vmcnt(8) lgkmcnt(0)
	v_fmac_f64_e32 v[118:119], v[128:129], v[122:123]
	s_waitcnt vmcnt(6)
	v_fmac_f64_e32 v[118:119], v[130:131], v[124:125]
	ds_read2_b64 v[122:125], v120 offset0:87 offset1:88
	s_waitcnt vmcnt(4) lgkmcnt(0)
	v_fmac_f64_e32 v[118:119], v[132:133], v[122:123]
	;; [unrolled: 5-line block ×3, first 2 shown]
	buffer_load_dword v123, off, s[0:3], 0 offset:260
	buffer_load_dword v122, off, s[0:3], 0 offset:256
	buffer_load_dword v127, off, s[0:3], 0 offset:268
	buffer_load_dword v126, off, s[0:3], 0 offset:264
	s_waitcnt vmcnt(2)
	v_fmac_f64_e32 v[118:119], v[122:123], v[124:125]
	ds_read2_b64 v[122:125], v120 offset0:91 offset1:92
	s_waitcnt vmcnt(0) lgkmcnt(0)
	v_fmac_f64_e32 v[118:119], v[126:127], v[122:123]
	buffer_load_dword v123, off, s[0:3], 0 offset:276
	buffer_load_dword v122, off, s[0:3], 0 offset:272
	buffer_load_dword v127, off, s[0:3], 0 offset:284
	buffer_load_dword v126, off, s[0:3], 0 offset:280
	s_waitcnt vmcnt(2)
	v_fmac_f64_e32 v[118:119], v[122:123], v[124:125]
	ds_read2_b64 v[122:125], v120 offset0:93 offset1:94
	s_waitcnt vmcnt(0) lgkmcnt(0)
	v_fmac_f64_e32 v[118:119], v[126:127], v[122:123]
	;; [unrolled: 9-line block ×11, first 2 shown]
	buffer_load_dword v123, off, s[0:3], 0 offset:436
	buffer_load_dword v122, off, s[0:3], 0 offset:432
	s_waitcnt vmcnt(0)
	v_fmac_f64_e32 v[118:119], v[122:123], v[124:125]
	buffer_load_dword v125, off, s[0:3], 0 offset:444
	buffer_load_dword v124, off, s[0:3], 0 offset:440
	ds_read2_b64 v[120:123], v120 offset0:113 offset1:114
	s_waitcnt vmcnt(0) lgkmcnt(0)
	v_fmac_f64_e32 v[118:119], v[124:125], v[120:121]
	buffer_load_dword v121, off, s[0:3], 0 offset:452
	buffer_load_dword v120, off, s[0:3], 0 offset:448
	s_waitcnt vmcnt(0)
	v_fmac_f64_e32 v[118:119], v[120:121], v[122:123]
	v_add_f64 v[116:117], v[116:117], -v[118:119]
	buffer_store_dword v117, off, s[0:3], 0 offset:196
	buffer_store_dword v116, off, s[0:3], 0 offset:192
	s_and_saveexec_b64 s[4:5], vcc
	s_cbranch_execz .LBB56_303
; %bb.302:
	buffer_load_dword v116, off, s[0:3], 0 offset:184
	buffer_load_dword v117, off, s[0:3], 0 offset:188
	v_mov_b32_e32 v118, 0
	buffer_store_dword v118, off, s[0:3], 0 offset:184
	buffer_store_dword v118, off, s[0:3], 0 offset:188
	s_waitcnt vmcnt(2)
	ds_write_b64 v1, v[116:117]
.LBB56_303:
	s_or_b64 exec, exec, s[4:5]
	s_waitcnt lgkmcnt(0)
	; wave barrier
	s_waitcnt lgkmcnt(0)
	buffer_load_dword v116, off, s[0:3], 0 offset:184
	buffer_load_dword v117, off, s[0:3], 0 offset:188
	;; [unrolled: 1-line block ×16, first 2 shown]
	v_mov_b32_e32 v120, 0
	ds_read_b128 v[122:125], v120 offset:656
	ds_read_b128 v[126:129], v120 offset:672
	;; [unrolled: 1-line block ×4, first 2 shown]
	v_cmp_lt_u32_e32 vcc, 22, v0
	s_waitcnt vmcnt(12) lgkmcnt(3)
	v_fma_f64 v[118:119], v[118:119], v[122:123], 0
	buffer_load_dword v123, off, s[0:3], 0 offset:252
	buffer_load_dword v122, off, s[0:3], 0 offset:248
	s_waitcnt vmcnt(12)
	v_fmac_f64_e32 v[118:119], v[138:139], v[124:125]
	s_waitcnt vmcnt(10) lgkmcnt(2)
	v_fmac_f64_e32 v[118:119], v[140:141], v[126:127]
	buffer_load_dword v127, off, s[0:3], 0 offset:260
	buffer_load_dword v126, off, s[0:3], 0 offset:256
	s_waitcnt vmcnt(10)
	v_fmac_f64_e32 v[118:119], v[142:143], v[128:129]
	s_waitcnt vmcnt(8) lgkmcnt(1)
	v_fmac_f64_e32 v[118:119], v[144:145], v[130:131]
	s_waitcnt vmcnt(6)
	v_fmac_f64_e32 v[118:119], v[146:147], v[132:133]
	s_waitcnt vmcnt(4) lgkmcnt(0)
	v_fmac_f64_e32 v[118:119], v[148:149], v[134:135]
	s_waitcnt vmcnt(2)
	v_fmac_f64_e32 v[118:119], v[122:123], v[136:137]
	ds_read_b128 v[122:125], v120 offset:720
	s_waitcnt vmcnt(0) lgkmcnt(0)
	v_fmac_f64_e32 v[118:119], v[126:127], v[122:123]
	buffer_load_dword v123, off, s[0:3], 0 offset:268
	buffer_load_dword v122, off, s[0:3], 0 offset:264
	buffer_load_dword v127, off, s[0:3], 0 offset:276
	buffer_load_dword v126, off, s[0:3], 0 offset:272
	s_waitcnt vmcnt(2)
	v_fmac_f64_e32 v[118:119], v[122:123], v[124:125]
	ds_read_b128 v[122:125], v120 offset:736
	s_waitcnt vmcnt(0) lgkmcnt(0)
	v_fmac_f64_e32 v[118:119], v[126:127], v[122:123]
	buffer_load_dword v123, off, s[0:3], 0 offset:284
	buffer_load_dword v122, off, s[0:3], 0 offset:280
	buffer_load_dword v127, off, s[0:3], 0 offset:292
	buffer_load_dword v126, off, s[0:3], 0 offset:288
	s_waitcnt vmcnt(2)
	v_fmac_f64_e32 v[118:119], v[122:123], v[124:125]
	ds_read_b128 v[122:125], v120 offset:752
	s_waitcnt vmcnt(0) lgkmcnt(0)
	v_fmac_f64_e32 v[118:119], v[126:127], v[122:123]
	buffer_load_dword v123, off, s[0:3], 0 offset:300
	buffer_load_dword v122, off, s[0:3], 0 offset:296
	buffer_load_dword v127, off, s[0:3], 0 offset:308
	buffer_load_dword v126, off, s[0:3], 0 offset:304
	s_waitcnt vmcnt(2)
	v_fmac_f64_e32 v[118:119], v[122:123], v[124:125]
	ds_read_b128 v[122:125], v120 offset:768
	s_waitcnt vmcnt(0) lgkmcnt(0)
	v_fmac_f64_e32 v[118:119], v[126:127], v[122:123]
	buffer_load_dword v123, off, s[0:3], 0 offset:316
	buffer_load_dword v122, off, s[0:3], 0 offset:312
	buffer_load_dword v127, off, s[0:3], 0 offset:324
	buffer_load_dword v126, off, s[0:3], 0 offset:320
	s_waitcnt vmcnt(2)
	v_fmac_f64_e32 v[118:119], v[122:123], v[124:125]
	ds_read_b128 v[122:125], v120 offset:784
	s_waitcnt vmcnt(0) lgkmcnt(0)
	v_fmac_f64_e32 v[118:119], v[126:127], v[122:123]
	buffer_load_dword v123, off, s[0:3], 0 offset:332
	buffer_load_dword v122, off, s[0:3], 0 offset:328
	buffer_load_dword v127, off, s[0:3], 0 offset:340
	buffer_load_dword v126, off, s[0:3], 0 offset:336
	s_waitcnt vmcnt(2)
	v_fmac_f64_e32 v[118:119], v[122:123], v[124:125]
	ds_read_b128 v[122:125], v120 offset:800
	s_waitcnt vmcnt(0) lgkmcnt(0)
	v_fmac_f64_e32 v[118:119], v[126:127], v[122:123]
	buffer_load_dword v123, off, s[0:3], 0 offset:348
	buffer_load_dword v122, off, s[0:3], 0 offset:344
	buffer_load_dword v127, off, s[0:3], 0 offset:356
	buffer_load_dword v126, off, s[0:3], 0 offset:352
	s_waitcnt vmcnt(2)
	v_fmac_f64_e32 v[118:119], v[122:123], v[124:125]
	ds_read_b128 v[122:125], v120 offset:816
	s_waitcnt vmcnt(0) lgkmcnt(0)
	v_fmac_f64_e32 v[118:119], v[126:127], v[122:123]
	buffer_load_dword v123, off, s[0:3], 0 offset:364
	buffer_load_dword v122, off, s[0:3], 0 offset:360
	buffer_load_dword v127, off, s[0:3], 0 offset:372
	buffer_load_dword v126, off, s[0:3], 0 offset:368
	s_waitcnt vmcnt(2)
	v_fmac_f64_e32 v[118:119], v[122:123], v[124:125]
	ds_read_b128 v[122:125], v120 offset:832
	s_waitcnt vmcnt(0) lgkmcnt(0)
	v_fmac_f64_e32 v[118:119], v[126:127], v[122:123]
	buffer_load_dword v123, off, s[0:3], 0 offset:380
	buffer_load_dword v122, off, s[0:3], 0 offset:376
	buffer_load_dword v127, off, s[0:3], 0 offset:388
	buffer_load_dword v126, off, s[0:3], 0 offset:384
	s_waitcnt vmcnt(2)
	v_fmac_f64_e32 v[118:119], v[122:123], v[124:125]
	ds_read_b128 v[122:125], v120 offset:848
	s_waitcnt vmcnt(0) lgkmcnt(0)
	v_fmac_f64_e32 v[118:119], v[126:127], v[122:123]
	buffer_load_dword v123, off, s[0:3], 0 offset:396
	buffer_load_dword v122, off, s[0:3], 0 offset:392
	buffer_load_dword v127, off, s[0:3], 0 offset:404
	buffer_load_dword v126, off, s[0:3], 0 offset:400
	s_waitcnt vmcnt(2)
	v_fmac_f64_e32 v[118:119], v[122:123], v[124:125]
	ds_read_b128 v[122:125], v120 offset:864
	s_waitcnt vmcnt(0) lgkmcnt(0)
	v_fmac_f64_e32 v[118:119], v[126:127], v[122:123]
	buffer_load_dword v123, off, s[0:3], 0 offset:412
	buffer_load_dword v122, off, s[0:3], 0 offset:408
	buffer_load_dword v127, off, s[0:3], 0 offset:420
	buffer_load_dword v126, off, s[0:3], 0 offset:416
	s_waitcnt vmcnt(2)
	v_fmac_f64_e32 v[118:119], v[122:123], v[124:125]
	ds_read_b128 v[122:125], v120 offset:880
	s_waitcnt vmcnt(0) lgkmcnt(0)
	v_fmac_f64_e32 v[118:119], v[126:127], v[122:123]
	buffer_load_dword v123, off, s[0:3], 0 offset:428
	buffer_load_dword v122, off, s[0:3], 0 offset:424
	buffer_load_dword v127, off, s[0:3], 0 offset:436
	buffer_load_dword v126, off, s[0:3], 0 offset:432
	s_waitcnt vmcnt(2)
	v_fmac_f64_e32 v[118:119], v[122:123], v[124:125]
	ds_read_b128 v[122:125], v120 offset:896
	s_waitcnt vmcnt(0) lgkmcnt(0)
	v_fmac_f64_e32 v[118:119], v[126:127], v[122:123]
	buffer_load_dword v123, off, s[0:3], 0 offset:444
	buffer_load_dword v122, off, s[0:3], 0 offset:440
	s_waitcnt vmcnt(0)
	v_fmac_f64_e32 v[118:119], v[122:123], v[124:125]
	buffer_load_dword v123, off, s[0:3], 0 offset:452
	buffer_load_dword v122, off, s[0:3], 0 offset:448
	ds_read_b64 v[124:125], v120 offset:912
	s_waitcnt vmcnt(0) lgkmcnt(0)
	v_fmac_f64_e32 v[118:119], v[122:123], v[124:125]
	v_add_f64 v[116:117], v[116:117], -v[118:119]
	buffer_store_dword v117, off, s[0:3], 0 offset:188
	buffer_store_dword v116, off, s[0:3], 0 offset:184
	s_and_saveexec_b64 s[4:5], vcc
	s_cbranch_execz .LBB56_305
; %bb.304:
	buffer_load_dword v116, off, s[0:3], 0 offset:176
	buffer_load_dword v117, off, s[0:3], 0 offset:180
	s_waitcnt vmcnt(0)
	ds_write_b64 v1, v[116:117]
	buffer_store_dword v120, off, s[0:3], 0 offset:176
	buffer_store_dword v120, off, s[0:3], 0 offset:180
.LBB56_305:
	s_or_b64 exec, exec, s[4:5]
	s_waitcnt lgkmcnt(0)
	; wave barrier
	s_waitcnt lgkmcnt(0)
	buffer_load_dword v116, off, s[0:3], 0 offset:176
	buffer_load_dword v117, off, s[0:3], 0 offset:180
	;; [unrolled: 1-line block ×16, first 2 shown]
	ds_read2_b64 v[122:125], v120 offset0:81 offset1:82
	v_cmp_lt_u32_e32 vcc, 21, v0
	s_waitcnt vmcnt(12) lgkmcnt(0)
	v_fma_f64 v[118:119], v[118:119], v[122:123], 0
	s_waitcnt vmcnt(10)
	v_fmac_f64_e32 v[118:119], v[126:127], v[124:125]
	ds_read2_b64 v[122:125], v120 offset0:83 offset1:84
	s_waitcnt vmcnt(8) lgkmcnt(0)
	v_fmac_f64_e32 v[118:119], v[128:129], v[122:123]
	s_waitcnt vmcnt(6)
	v_fmac_f64_e32 v[118:119], v[130:131], v[124:125]
	ds_read2_b64 v[122:125], v120 offset0:85 offset1:86
	s_waitcnt vmcnt(4) lgkmcnt(0)
	v_fmac_f64_e32 v[118:119], v[132:133], v[122:123]
	;; [unrolled: 5-line block ×3, first 2 shown]
	buffer_load_dword v123, off, s[0:3], 0 offset:244
	buffer_load_dword v122, off, s[0:3], 0 offset:240
	buffer_load_dword v127, off, s[0:3], 0 offset:252
	buffer_load_dword v126, off, s[0:3], 0 offset:248
	s_waitcnt vmcnt(2)
	v_fmac_f64_e32 v[118:119], v[122:123], v[124:125]
	ds_read2_b64 v[122:125], v120 offset0:89 offset1:90
	s_waitcnt vmcnt(0) lgkmcnt(0)
	v_fmac_f64_e32 v[118:119], v[126:127], v[122:123]
	buffer_load_dword v123, off, s[0:3], 0 offset:260
	buffer_load_dword v122, off, s[0:3], 0 offset:256
	buffer_load_dword v127, off, s[0:3], 0 offset:268
	buffer_load_dword v126, off, s[0:3], 0 offset:264
	s_waitcnt vmcnt(2)
	v_fmac_f64_e32 v[118:119], v[122:123], v[124:125]
	ds_read2_b64 v[122:125], v120 offset0:91 offset1:92
	s_waitcnt vmcnt(0) lgkmcnt(0)
	v_fmac_f64_e32 v[118:119], v[126:127], v[122:123]
	;; [unrolled: 9-line block ×12, first 2 shown]
	buffer_load_dword v123, off, s[0:3], 0 offset:436
	buffer_load_dword v122, off, s[0:3], 0 offset:432
	s_waitcnt vmcnt(0)
	v_fmac_f64_e32 v[118:119], v[122:123], v[124:125]
	buffer_load_dword v125, off, s[0:3], 0 offset:444
	buffer_load_dword v124, off, s[0:3], 0 offset:440
	ds_read2_b64 v[120:123], v120 offset0:113 offset1:114
	s_waitcnt vmcnt(0) lgkmcnt(0)
	v_fmac_f64_e32 v[118:119], v[124:125], v[120:121]
	buffer_load_dword v121, off, s[0:3], 0 offset:452
	buffer_load_dword v120, off, s[0:3], 0 offset:448
	s_waitcnt vmcnt(0)
	v_fmac_f64_e32 v[118:119], v[120:121], v[122:123]
	v_add_f64 v[116:117], v[116:117], -v[118:119]
	buffer_store_dword v117, off, s[0:3], 0 offset:180
	buffer_store_dword v116, off, s[0:3], 0 offset:176
	s_and_saveexec_b64 s[4:5], vcc
	s_cbranch_execz .LBB56_307
; %bb.306:
	buffer_load_dword v116, off, s[0:3], 0 offset:168
	buffer_load_dword v117, off, s[0:3], 0 offset:172
	v_mov_b32_e32 v118, 0
	buffer_store_dword v118, off, s[0:3], 0 offset:168
	buffer_store_dword v118, off, s[0:3], 0 offset:172
	s_waitcnt vmcnt(2)
	ds_write_b64 v1, v[116:117]
.LBB56_307:
	s_or_b64 exec, exec, s[4:5]
	s_waitcnt lgkmcnt(0)
	; wave barrier
	s_waitcnt lgkmcnt(0)
	buffer_load_dword v116, off, s[0:3], 0 offset:168
	buffer_load_dword v117, off, s[0:3], 0 offset:172
	;; [unrolled: 1-line block ×16, first 2 shown]
	v_mov_b32_e32 v120, 0
	ds_read_b128 v[122:125], v120 offset:640
	ds_read_b128 v[126:129], v120 offset:656
	;; [unrolled: 1-line block ×4, first 2 shown]
	v_cmp_lt_u32_e32 vcc, 20, v0
	s_waitcnt vmcnt(12) lgkmcnt(3)
	v_fma_f64 v[118:119], v[118:119], v[122:123], 0
	buffer_load_dword v123, off, s[0:3], 0 offset:236
	buffer_load_dword v122, off, s[0:3], 0 offset:232
	s_waitcnt vmcnt(12)
	v_fmac_f64_e32 v[118:119], v[138:139], v[124:125]
	s_waitcnt vmcnt(10) lgkmcnt(2)
	v_fmac_f64_e32 v[118:119], v[140:141], v[126:127]
	buffer_load_dword v127, off, s[0:3], 0 offset:244
	buffer_load_dword v126, off, s[0:3], 0 offset:240
	s_waitcnt vmcnt(10)
	v_fmac_f64_e32 v[118:119], v[142:143], v[128:129]
	s_waitcnt vmcnt(8) lgkmcnt(1)
	v_fmac_f64_e32 v[118:119], v[144:145], v[130:131]
	s_waitcnt vmcnt(6)
	v_fmac_f64_e32 v[118:119], v[146:147], v[132:133]
	s_waitcnt vmcnt(4) lgkmcnt(0)
	v_fmac_f64_e32 v[118:119], v[148:149], v[134:135]
	s_waitcnt vmcnt(2)
	v_fmac_f64_e32 v[118:119], v[122:123], v[136:137]
	ds_read_b128 v[122:125], v120 offset:704
	s_waitcnt vmcnt(0) lgkmcnt(0)
	v_fmac_f64_e32 v[118:119], v[126:127], v[122:123]
	buffer_load_dword v123, off, s[0:3], 0 offset:252
	buffer_load_dword v122, off, s[0:3], 0 offset:248
	buffer_load_dword v127, off, s[0:3], 0 offset:260
	buffer_load_dword v126, off, s[0:3], 0 offset:256
	s_waitcnt vmcnt(2)
	v_fmac_f64_e32 v[118:119], v[122:123], v[124:125]
	ds_read_b128 v[122:125], v120 offset:720
	s_waitcnt vmcnt(0) lgkmcnt(0)
	v_fmac_f64_e32 v[118:119], v[126:127], v[122:123]
	buffer_load_dword v123, off, s[0:3], 0 offset:268
	buffer_load_dword v122, off, s[0:3], 0 offset:264
	buffer_load_dword v127, off, s[0:3], 0 offset:276
	buffer_load_dword v126, off, s[0:3], 0 offset:272
	;; [unrolled: 9-line block ×12, first 2 shown]
	s_waitcnt vmcnt(2)
	v_fmac_f64_e32 v[118:119], v[122:123], v[124:125]
	ds_read_b128 v[122:125], v120 offset:896
	s_waitcnt vmcnt(0) lgkmcnt(0)
	v_fmac_f64_e32 v[118:119], v[126:127], v[122:123]
	buffer_load_dword v123, off, s[0:3], 0 offset:444
	buffer_load_dword v122, off, s[0:3], 0 offset:440
	s_waitcnt vmcnt(0)
	v_fmac_f64_e32 v[118:119], v[122:123], v[124:125]
	buffer_load_dword v123, off, s[0:3], 0 offset:452
	buffer_load_dword v122, off, s[0:3], 0 offset:448
	ds_read_b64 v[124:125], v120 offset:912
	s_waitcnt vmcnt(0) lgkmcnt(0)
	v_fmac_f64_e32 v[118:119], v[122:123], v[124:125]
	v_add_f64 v[116:117], v[116:117], -v[118:119]
	buffer_store_dword v117, off, s[0:3], 0 offset:172
	buffer_store_dword v116, off, s[0:3], 0 offset:168
	s_and_saveexec_b64 s[4:5], vcc
	s_cbranch_execz .LBB56_309
; %bb.308:
	buffer_load_dword v116, off, s[0:3], 0 offset:160
	buffer_load_dword v117, off, s[0:3], 0 offset:164
	s_waitcnt vmcnt(0)
	ds_write_b64 v1, v[116:117]
	buffer_store_dword v120, off, s[0:3], 0 offset:160
	buffer_store_dword v120, off, s[0:3], 0 offset:164
.LBB56_309:
	s_or_b64 exec, exec, s[4:5]
	s_waitcnt lgkmcnt(0)
	; wave barrier
	s_waitcnt lgkmcnt(0)
	buffer_load_dword v116, off, s[0:3], 0 offset:160
	buffer_load_dword v117, off, s[0:3], 0 offset:164
	;; [unrolled: 1-line block ×16, first 2 shown]
	ds_read2_b64 v[122:125], v120 offset0:79 offset1:80
	v_cmp_lt_u32_e32 vcc, 19, v0
	s_waitcnt vmcnt(12) lgkmcnt(0)
	v_fma_f64 v[118:119], v[118:119], v[122:123], 0
	s_waitcnt vmcnt(10)
	v_fmac_f64_e32 v[118:119], v[126:127], v[124:125]
	ds_read2_b64 v[122:125], v120 offset0:81 offset1:82
	s_waitcnt vmcnt(8) lgkmcnt(0)
	v_fmac_f64_e32 v[118:119], v[128:129], v[122:123]
	s_waitcnt vmcnt(6)
	v_fmac_f64_e32 v[118:119], v[130:131], v[124:125]
	ds_read2_b64 v[122:125], v120 offset0:83 offset1:84
	s_waitcnt vmcnt(4) lgkmcnt(0)
	v_fmac_f64_e32 v[118:119], v[132:133], v[122:123]
	;; [unrolled: 5-line block ×3, first 2 shown]
	buffer_load_dword v123, off, s[0:3], 0 offset:228
	buffer_load_dword v122, off, s[0:3], 0 offset:224
	buffer_load_dword v127, off, s[0:3], 0 offset:236
	buffer_load_dword v126, off, s[0:3], 0 offset:232
	s_waitcnt vmcnt(2)
	v_fmac_f64_e32 v[118:119], v[122:123], v[124:125]
	ds_read2_b64 v[122:125], v120 offset0:87 offset1:88
	s_waitcnt vmcnt(0) lgkmcnt(0)
	v_fmac_f64_e32 v[118:119], v[126:127], v[122:123]
	buffer_load_dword v123, off, s[0:3], 0 offset:244
	buffer_load_dword v122, off, s[0:3], 0 offset:240
	buffer_load_dword v127, off, s[0:3], 0 offset:252
	buffer_load_dword v126, off, s[0:3], 0 offset:248
	s_waitcnt vmcnt(2)
	v_fmac_f64_e32 v[118:119], v[122:123], v[124:125]
	ds_read2_b64 v[122:125], v120 offset0:89 offset1:90
	s_waitcnt vmcnt(0) lgkmcnt(0)
	v_fmac_f64_e32 v[118:119], v[126:127], v[122:123]
	;; [unrolled: 9-line block ×13, first 2 shown]
	buffer_load_dword v123, off, s[0:3], 0 offset:436
	buffer_load_dword v122, off, s[0:3], 0 offset:432
	s_waitcnt vmcnt(0)
	v_fmac_f64_e32 v[118:119], v[122:123], v[124:125]
	buffer_load_dword v125, off, s[0:3], 0 offset:444
	buffer_load_dword v124, off, s[0:3], 0 offset:440
	ds_read2_b64 v[120:123], v120 offset0:113 offset1:114
	s_waitcnt vmcnt(0) lgkmcnt(0)
	v_fmac_f64_e32 v[118:119], v[124:125], v[120:121]
	buffer_load_dword v121, off, s[0:3], 0 offset:452
	buffer_load_dword v120, off, s[0:3], 0 offset:448
	s_waitcnt vmcnt(0)
	v_fmac_f64_e32 v[118:119], v[120:121], v[122:123]
	v_add_f64 v[116:117], v[116:117], -v[118:119]
	buffer_store_dword v117, off, s[0:3], 0 offset:164
	buffer_store_dword v116, off, s[0:3], 0 offset:160
	s_and_saveexec_b64 s[4:5], vcc
	s_cbranch_execz .LBB56_311
; %bb.310:
	buffer_load_dword v116, off, s[0:3], 0 offset:152
	buffer_load_dword v117, off, s[0:3], 0 offset:156
	v_mov_b32_e32 v118, 0
	buffer_store_dword v118, off, s[0:3], 0 offset:152
	buffer_store_dword v118, off, s[0:3], 0 offset:156
	s_waitcnt vmcnt(2)
	ds_write_b64 v1, v[116:117]
.LBB56_311:
	s_or_b64 exec, exec, s[4:5]
	s_waitcnt lgkmcnt(0)
	; wave barrier
	s_waitcnt lgkmcnt(0)
	buffer_load_dword v116, off, s[0:3], 0 offset:152
	buffer_load_dword v117, off, s[0:3], 0 offset:156
	;; [unrolled: 1-line block ×16, first 2 shown]
	v_mov_b32_e32 v120, 0
	ds_read_b128 v[122:125], v120 offset:624
	ds_read_b128 v[126:129], v120 offset:640
	;; [unrolled: 1-line block ×4, first 2 shown]
	v_cmp_lt_u32_e32 vcc, 18, v0
	s_waitcnt vmcnt(12) lgkmcnt(3)
	v_fma_f64 v[118:119], v[118:119], v[122:123], 0
	buffer_load_dword v123, off, s[0:3], 0 offset:220
	buffer_load_dword v122, off, s[0:3], 0 offset:216
	s_waitcnt vmcnt(12)
	v_fmac_f64_e32 v[118:119], v[138:139], v[124:125]
	s_waitcnt vmcnt(10) lgkmcnt(2)
	v_fmac_f64_e32 v[118:119], v[140:141], v[126:127]
	buffer_load_dword v127, off, s[0:3], 0 offset:228
	buffer_load_dword v126, off, s[0:3], 0 offset:224
	s_waitcnt vmcnt(10)
	v_fmac_f64_e32 v[118:119], v[142:143], v[128:129]
	s_waitcnt vmcnt(8) lgkmcnt(1)
	v_fmac_f64_e32 v[118:119], v[144:145], v[130:131]
	s_waitcnt vmcnt(6)
	v_fmac_f64_e32 v[118:119], v[146:147], v[132:133]
	s_waitcnt vmcnt(4) lgkmcnt(0)
	v_fmac_f64_e32 v[118:119], v[148:149], v[134:135]
	s_waitcnt vmcnt(2)
	v_fmac_f64_e32 v[118:119], v[122:123], v[136:137]
	ds_read_b128 v[122:125], v120 offset:688
	s_waitcnt vmcnt(0) lgkmcnt(0)
	v_fmac_f64_e32 v[118:119], v[126:127], v[122:123]
	buffer_load_dword v123, off, s[0:3], 0 offset:236
	buffer_load_dword v122, off, s[0:3], 0 offset:232
	buffer_load_dword v127, off, s[0:3], 0 offset:244
	buffer_load_dword v126, off, s[0:3], 0 offset:240
	s_waitcnt vmcnt(2)
	v_fmac_f64_e32 v[118:119], v[122:123], v[124:125]
	ds_read_b128 v[122:125], v120 offset:704
	s_waitcnt vmcnt(0) lgkmcnt(0)
	v_fmac_f64_e32 v[118:119], v[126:127], v[122:123]
	buffer_load_dword v123, off, s[0:3], 0 offset:252
	buffer_load_dword v122, off, s[0:3], 0 offset:248
	buffer_load_dword v127, off, s[0:3], 0 offset:260
	buffer_load_dword v126, off, s[0:3], 0 offset:256
	;; [unrolled: 9-line block ×13, first 2 shown]
	s_waitcnt vmcnt(2)
	v_fmac_f64_e32 v[118:119], v[122:123], v[124:125]
	ds_read_b128 v[122:125], v120 offset:896
	s_waitcnt vmcnt(0) lgkmcnt(0)
	v_fmac_f64_e32 v[118:119], v[126:127], v[122:123]
	buffer_load_dword v123, off, s[0:3], 0 offset:444
	buffer_load_dword v122, off, s[0:3], 0 offset:440
	s_waitcnt vmcnt(0)
	v_fmac_f64_e32 v[118:119], v[122:123], v[124:125]
	buffer_load_dword v123, off, s[0:3], 0 offset:452
	buffer_load_dword v122, off, s[0:3], 0 offset:448
	ds_read_b64 v[124:125], v120 offset:912
	s_waitcnt vmcnt(0) lgkmcnt(0)
	v_fmac_f64_e32 v[118:119], v[122:123], v[124:125]
	v_add_f64 v[116:117], v[116:117], -v[118:119]
	buffer_store_dword v117, off, s[0:3], 0 offset:156
	buffer_store_dword v116, off, s[0:3], 0 offset:152
	s_and_saveexec_b64 s[4:5], vcc
	s_cbranch_execz .LBB56_313
; %bb.312:
	buffer_load_dword v116, off, s[0:3], 0 offset:144
	buffer_load_dword v117, off, s[0:3], 0 offset:148
	s_waitcnt vmcnt(0)
	ds_write_b64 v1, v[116:117]
	buffer_store_dword v120, off, s[0:3], 0 offset:144
	buffer_store_dword v120, off, s[0:3], 0 offset:148
.LBB56_313:
	s_or_b64 exec, exec, s[4:5]
	s_waitcnt lgkmcnt(0)
	; wave barrier
	s_waitcnt lgkmcnt(0)
	buffer_load_dword v116, off, s[0:3], 0 offset:144
	buffer_load_dword v117, off, s[0:3], 0 offset:148
	;; [unrolled: 1-line block ×16, first 2 shown]
	ds_read2_b64 v[122:125], v120 offset0:77 offset1:78
	v_cmp_lt_u32_e32 vcc, 17, v0
	s_waitcnt vmcnt(12) lgkmcnt(0)
	v_fma_f64 v[118:119], v[118:119], v[122:123], 0
	s_waitcnt vmcnt(10)
	v_fmac_f64_e32 v[118:119], v[126:127], v[124:125]
	ds_read2_b64 v[122:125], v120 offset0:79 offset1:80
	s_waitcnt vmcnt(8) lgkmcnt(0)
	v_fmac_f64_e32 v[118:119], v[128:129], v[122:123]
	s_waitcnt vmcnt(6)
	v_fmac_f64_e32 v[118:119], v[130:131], v[124:125]
	ds_read2_b64 v[122:125], v120 offset0:81 offset1:82
	s_waitcnt vmcnt(4) lgkmcnt(0)
	v_fmac_f64_e32 v[118:119], v[132:133], v[122:123]
	;; [unrolled: 5-line block ×3, first 2 shown]
	buffer_load_dword v123, off, s[0:3], 0 offset:212
	buffer_load_dword v122, off, s[0:3], 0 offset:208
	buffer_load_dword v127, off, s[0:3], 0 offset:220
	buffer_load_dword v126, off, s[0:3], 0 offset:216
	s_waitcnt vmcnt(2)
	v_fmac_f64_e32 v[118:119], v[122:123], v[124:125]
	ds_read2_b64 v[122:125], v120 offset0:85 offset1:86
	s_waitcnt vmcnt(0) lgkmcnt(0)
	v_fmac_f64_e32 v[118:119], v[126:127], v[122:123]
	buffer_load_dword v123, off, s[0:3], 0 offset:228
	buffer_load_dword v122, off, s[0:3], 0 offset:224
	buffer_load_dword v127, off, s[0:3], 0 offset:236
	buffer_load_dword v126, off, s[0:3], 0 offset:232
	s_waitcnt vmcnt(2)
	v_fmac_f64_e32 v[118:119], v[122:123], v[124:125]
	ds_read2_b64 v[122:125], v120 offset0:87 offset1:88
	s_waitcnt vmcnt(0) lgkmcnt(0)
	v_fmac_f64_e32 v[118:119], v[126:127], v[122:123]
	;; [unrolled: 9-line block ×14, first 2 shown]
	buffer_load_dword v123, off, s[0:3], 0 offset:436
	buffer_load_dword v122, off, s[0:3], 0 offset:432
	s_waitcnt vmcnt(0)
	v_fmac_f64_e32 v[118:119], v[122:123], v[124:125]
	buffer_load_dword v125, off, s[0:3], 0 offset:444
	buffer_load_dword v124, off, s[0:3], 0 offset:440
	ds_read2_b64 v[120:123], v120 offset0:113 offset1:114
	s_waitcnt vmcnt(0) lgkmcnt(0)
	v_fmac_f64_e32 v[118:119], v[124:125], v[120:121]
	buffer_load_dword v121, off, s[0:3], 0 offset:452
	buffer_load_dword v120, off, s[0:3], 0 offset:448
	s_waitcnt vmcnt(0)
	v_fmac_f64_e32 v[118:119], v[120:121], v[122:123]
	v_add_f64 v[116:117], v[116:117], -v[118:119]
	buffer_store_dword v117, off, s[0:3], 0 offset:148
	buffer_store_dword v116, off, s[0:3], 0 offset:144
	s_and_saveexec_b64 s[4:5], vcc
	s_cbranch_execz .LBB56_315
; %bb.314:
	buffer_load_dword v116, off, s[0:3], 0 offset:136
	buffer_load_dword v117, off, s[0:3], 0 offset:140
	v_mov_b32_e32 v118, 0
	buffer_store_dword v118, off, s[0:3], 0 offset:136
	buffer_store_dword v118, off, s[0:3], 0 offset:140
	s_waitcnt vmcnt(2)
	ds_write_b64 v1, v[116:117]
.LBB56_315:
	s_or_b64 exec, exec, s[4:5]
	s_waitcnt lgkmcnt(0)
	; wave barrier
	s_waitcnt lgkmcnt(0)
	buffer_load_dword v116, off, s[0:3], 0 offset:136
	buffer_load_dword v117, off, s[0:3], 0 offset:140
	;; [unrolled: 1-line block ×16, first 2 shown]
	v_mov_b32_e32 v120, 0
	ds_read_b128 v[122:125], v120 offset:608
	ds_read_b128 v[126:129], v120 offset:624
	;; [unrolled: 1-line block ×4, first 2 shown]
	v_cmp_lt_u32_e32 vcc, 16, v0
	s_waitcnt vmcnt(12) lgkmcnt(3)
	v_fma_f64 v[118:119], v[118:119], v[122:123], 0
	buffer_load_dword v123, off, s[0:3], 0 offset:204
	buffer_load_dword v122, off, s[0:3], 0 offset:200
	s_waitcnt vmcnt(12)
	v_fmac_f64_e32 v[118:119], v[138:139], v[124:125]
	s_waitcnt vmcnt(10) lgkmcnt(2)
	v_fmac_f64_e32 v[118:119], v[140:141], v[126:127]
	buffer_load_dword v127, off, s[0:3], 0 offset:212
	buffer_load_dword v126, off, s[0:3], 0 offset:208
	s_waitcnt vmcnt(10)
	v_fmac_f64_e32 v[118:119], v[142:143], v[128:129]
	s_waitcnt vmcnt(8) lgkmcnt(1)
	v_fmac_f64_e32 v[118:119], v[144:145], v[130:131]
	s_waitcnt vmcnt(6)
	v_fmac_f64_e32 v[118:119], v[146:147], v[132:133]
	s_waitcnt vmcnt(4) lgkmcnt(0)
	v_fmac_f64_e32 v[118:119], v[148:149], v[134:135]
	s_waitcnt vmcnt(2)
	v_fmac_f64_e32 v[118:119], v[122:123], v[136:137]
	ds_read_b128 v[122:125], v120 offset:672
	s_waitcnt vmcnt(0) lgkmcnt(0)
	v_fmac_f64_e32 v[118:119], v[126:127], v[122:123]
	buffer_load_dword v123, off, s[0:3], 0 offset:220
	buffer_load_dword v122, off, s[0:3], 0 offset:216
	buffer_load_dword v127, off, s[0:3], 0 offset:228
	buffer_load_dword v126, off, s[0:3], 0 offset:224
	s_waitcnt vmcnt(2)
	v_fmac_f64_e32 v[118:119], v[122:123], v[124:125]
	ds_read_b128 v[122:125], v120 offset:688
	s_waitcnt vmcnt(0) lgkmcnt(0)
	v_fmac_f64_e32 v[118:119], v[126:127], v[122:123]
	buffer_load_dword v123, off, s[0:3], 0 offset:236
	buffer_load_dword v122, off, s[0:3], 0 offset:232
	buffer_load_dword v127, off, s[0:3], 0 offset:244
	buffer_load_dword v126, off, s[0:3], 0 offset:240
	;; [unrolled: 9-line block ×14, first 2 shown]
	s_waitcnt vmcnt(2)
	v_fmac_f64_e32 v[118:119], v[122:123], v[124:125]
	ds_read_b128 v[122:125], v120 offset:896
	s_waitcnt vmcnt(0) lgkmcnt(0)
	v_fmac_f64_e32 v[118:119], v[126:127], v[122:123]
	buffer_load_dword v123, off, s[0:3], 0 offset:444
	buffer_load_dword v122, off, s[0:3], 0 offset:440
	s_waitcnt vmcnt(0)
	v_fmac_f64_e32 v[118:119], v[122:123], v[124:125]
	buffer_load_dword v123, off, s[0:3], 0 offset:452
	buffer_load_dword v122, off, s[0:3], 0 offset:448
	ds_read_b64 v[124:125], v120 offset:912
	s_waitcnt vmcnt(0) lgkmcnt(0)
	v_fmac_f64_e32 v[118:119], v[122:123], v[124:125]
	v_add_f64 v[116:117], v[116:117], -v[118:119]
	buffer_store_dword v117, off, s[0:3], 0 offset:140
	buffer_store_dword v116, off, s[0:3], 0 offset:136
	s_and_saveexec_b64 s[4:5], vcc
	s_cbranch_execz .LBB56_317
; %bb.316:
	buffer_load_dword v116, off, s[0:3], 0 offset:128
	buffer_load_dword v117, off, s[0:3], 0 offset:132
	s_waitcnt vmcnt(0)
	ds_write_b64 v1, v[116:117]
	buffer_store_dword v120, off, s[0:3], 0 offset:128
	buffer_store_dword v120, off, s[0:3], 0 offset:132
.LBB56_317:
	s_or_b64 exec, exec, s[4:5]
	s_waitcnt lgkmcnt(0)
	; wave barrier
	s_waitcnt lgkmcnt(0)
	buffer_load_dword v116, off, s[0:3], 0 offset:128
	buffer_load_dword v117, off, s[0:3], 0 offset:132
	;; [unrolled: 1-line block ×16, first 2 shown]
	ds_read2_b64 v[122:125], v120 offset0:75 offset1:76
	v_cmp_lt_u32_e32 vcc, 15, v0
	s_waitcnt vmcnt(12) lgkmcnt(0)
	v_fma_f64 v[118:119], v[118:119], v[122:123], 0
	s_waitcnt vmcnt(10)
	v_fmac_f64_e32 v[118:119], v[126:127], v[124:125]
	ds_read2_b64 v[122:125], v120 offset0:77 offset1:78
	s_waitcnt vmcnt(8) lgkmcnt(0)
	v_fmac_f64_e32 v[118:119], v[128:129], v[122:123]
	s_waitcnt vmcnt(6)
	v_fmac_f64_e32 v[118:119], v[130:131], v[124:125]
	ds_read2_b64 v[122:125], v120 offset0:79 offset1:80
	s_waitcnt vmcnt(4) lgkmcnt(0)
	v_fmac_f64_e32 v[118:119], v[132:133], v[122:123]
	;; [unrolled: 5-line block ×3, first 2 shown]
	buffer_load_dword v123, off, s[0:3], 0 offset:196
	buffer_load_dword v122, off, s[0:3], 0 offset:192
	buffer_load_dword v127, off, s[0:3], 0 offset:204
	buffer_load_dword v126, off, s[0:3], 0 offset:200
	s_waitcnt vmcnt(2)
	v_fmac_f64_e32 v[118:119], v[122:123], v[124:125]
	ds_read2_b64 v[122:125], v120 offset0:83 offset1:84
	s_waitcnt vmcnt(0) lgkmcnt(0)
	v_fmac_f64_e32 v[118:119], v[126:127], v[122:123]
	buffer_load_dword v123, off, s[0:3], 0 offset:212
	buffer_load_dword v122, off, s[0:3], 0 offset:208
	buffer_load_dword v127, off, s[0:3], 0 offset:220
	buffer_load_dword v126, off, s[0:3], 0 offset:216
	s_waitcnt vmcnt(2)
	v_fmac_f64_e32 v[118:119], v[122:123], v[124:125]
	ds_read2_b64 v[122:125], v120 offset0:85 offset1:86
	s_waitcnt vmcnt(0) lgkmcnt(0)
	v_fmac_f64_e32 v[118:119], v[126:127], v[122:123]
	;; [unrolled: 9-line block ×15, first 2 shown]
	buffer_load_dword v123, off, s[0:3], 0 offset:436
	buffer_load_dword v122, off, s[0:3], 0 offset:432
	s_waitcnt vmcnt(0)
	v_fmac_f64_e32 v[118:119], v[122:123], v[124:125]
	buffer_load_dword v125, off, s[0:3], 0 offset:444
	buffer_load_dword v124, off, s[0:3], 0 offset:440
	ds_read2_b64 v[120:123], v120 offset0:113 offset1:114
	s_waitcnt vmcnt(0) lgkmcnt(0)
	v_fmac_f64_e32 v[118:119], v[124:125], v[120:121]
	buffer_load_dword v121, off, s[0:3], 0 offset:452
	buffer_load_dword v120, off, s[0:3], 0 offset:448
	s_waitcnt vmcnt(0)
	v_fmac_f64_e32 v[118:119], v[120:121], v[122:123]
	v_add_f64 v[116:117], v[116:117], -v[118:119]
	buffer_store_dword v117, off, s[0:3], 0 offset:132
	buffer_store_dword v116, off, s[0:3], 0 offset:128
	s_and_saveexec_b64 s[4:5], vcc
	s_cbranch_execz .LBB56_319
; %bb.318:
	buffer_load_dword v116, off, s[0:3], 0 offset:120
	buffer_load_dword v117, off, s[0:3], 0 offset:124
	v_mov_b32_e32 v118, 0
	buffer_store_dword v118, off, s[0:3], 0 offset:120
	buffer_store_dword v118, off, s[0:3], 0 offset:124
	s_waitcnt vmcnt(2)
	ds_write_b64 v1, v[116:117]
.LBB56_319:
	s_or_b64 exec, exec, s[4:5]
	s_waitcnt lgkmcnt(0)
	; wave barrier
	s_waitcnt lgkmcnt(0)
	buffer_load_dword v116, off, s[0:3], 0 offset:120
	buffer_load_dword v117, off, s[0:3], 0 offset:124
	;; [unrolled: 1-line block ×16, first 2 shown]
	v_mov_b32_e32 v120, 0
	ds_read_b128 v[122:125], v120 offset:592
	ds_read_b128 v[126:129], v120 offset:608
	ds_read_b128 v[130:133], v120 offset:624
	ds_read_b128 v[134:137], v120 offset:640
	v_cmp_lt_u32_e32 vcc, 14, v0
	s_waitcnt vmcnt(12) lgkmcnt(3)
	v_fma_f64 v[118:119], v[118:119], v[122:123], 0
	buffer_load_dword v123, off, s[0:3], 0 offset:188
	buffer_load_dword v122, off, s[0:3], 0 offset:184
	s_waitcnt vmcnt(12)
	v_fmac_f64_e32 v[118:119], v[138:139], v[124:125]
	s_waitcnt vmcnt(10) lgkmcnt(2)
	v_fmac_f64_e32 v[118:119], v[140:141], v[126:127]
	buffer_load_dword v127, off, s[0:3], 0 offset:196
	buffer_load_dword v126, off, s[0:3], 0 offset:192
	s_waitcnt vmcnt(10)
	v_fmac_f64_e32 v[118:119], v[142:143], v[128:129]
	s_waitcnt vmcnt(8) lgkmcnt(1)
	v_fmac_f64_e32 v[118:119], v[144:145], v[130:131]
	s_waitcnt vmcnt(6)
	v_fmac_f64_e32 v[118:119], v[146:147], v[132:133]
	s_waitcnt vmcnt(4) lgkmcnt(0)
	v_fmac_f64_e32 v[118:119], v[148:149], v[134:135]
	s_waitcnt vmcnt(2)
	v_fmac_f64_e32 v[118:119], v[122:123], v[136:137]
	ds_read_b128 v[122:125], v120 offset:656
	s_waitcnt vmcnt(0) lgkmcnt(0)
	v_fmac_f64_e32 v[118:119], v[126:127], v[122:123]
	buffer_load_dword v123, off, s[0:3], 0 offset:204
	buffer_load_dword v122, off, s[0:3], 0 offset:200
	buffer_load_dword v127, off, s[0:3], 0 offset:212
	buffer_load_dword v126, off, s[0:3], 0 offset:208
	s_waitcnt vmcnt(2)
	v_fmac_f64_e32 v[118:119], v[122:123], v[124:125]
	ds_read_b128 v[122:125], v120 offset:672
	s_waitcnt vmcnt(0) lgkmcnt(0)
	v_fmac_f64_e32 v[118:119], v[126:127], v[122:123]
	buffer_load_dword v123, off, s[0:3], 0 offset:220
	buffer_load_dword v122, off, s[0:3], 0 offset:216
	buffer_load_dword v127, off, s[0:3], 0 offset:228
	buffer_load_dword v126, off, s[0:3], 0 offset:224
	;; [unrolled: 9-line block ×15, first 2 shown]
	s_waitcnt vmcnt(2)
	v_fmac_f64_e32 v[118:119], v[122:123], v[124:125]
	ds_read_b128 v[122:125], v120 offset:896
	s_waitcnt vmcnt(0) lgkmcnt(0)
	v_fmac_f64_e32 v[118:119], v[126:127], v[122:123]
	buffer_load_dword v123, off, s[0:3], 0 offset:444
	buffer_load_dword v122, off, s[0:3], 0 offset:440
	s_waitcnt vmcnt(0)
	v_fmac_f64_e32 v[118:119], v[122:123], v[124:125]
	buffer_load_dword v123, off, s[0:3], 0 offset:452
	buffer_load_dword v122, off, s[0:3], 0 offset:448
	ds_read_b64 v[124:125], v120 offset:912
	s_waitcnt vmcnt(0) lgkmcnt(0)
	v_fmac_f64_e32 v[118:119], v[122:123], v[124:125]
	v_add_f64 v[116:117], v[116:117], -v[118:119]
	buffer_store_dword v117, off, s[0:3], 0 offset:124
	buffer_store_dword v116, off, s[0:3], 0 offset:120
	s_and_saveexec_b64 s[4:5], vcc
	s_cbranch_execz .LBB56_321
; %bb.320:
	buffer_load_dword v116, off, s[0:3], 0 offset:112
	buffer_load_dword v117, off, s[0:3], 0 offset:116
	s_waitcnt vmcnt(0)
	ds_write_b64 v1, v[116:117]
	buffer_store_dword v120, off, s[0:3], 0 offset:112
	buffer_store_dword v120, off, s[0:3], 0 offset:116
.LBB56_321:
	s_or_b64 exec, exec, s[4:5]
	s_waitcnt lgkmcnt(0)
	; wave barrier
	s_waitcnt lgkmcnt(0)
	buffer_load_dword v116, off, s[0:3], 0 offset:112
	buffer_load_dword v117, off, s[0:3], 0 offset:116
	;; [unrolled: 1-line block ×16, first 2 shown]
	ds_read2_b64 v[122:125], v120 offset0:73 offset1:74
	v_cmp_lt_u32_e32 vcc, 13, v0
	s_waitcnt vmcnt(12) lgkmcnt(0)
	v_fma_f64 v[118:119], v[118:119], v[122:123], 0
	s_waitcnt vmcnt(10)
	v_fmac_f64_e32 v[118:119], v[126:127], v[124:125]
	ds_read2_b64 v[122:125], v120 offset0:75 offset1:76
	s_waitcnt vmcnt(8) lgkmcnt(0)
	v_fmac_f64_e32 v[118:119], v[128:129], v[122:123]
	s_waitcnt vmcnt(6)
	v_fmac_f64_e32 v[118:119], v[130:131], v[124:125]
	ds_read2_b64 v[122:125], v120 offset0:77 offset1:78
	s_waitcnt vmcnt(4) lgkmcnt(0)
	v_fmac_f64_e32 v[118:119], v[132:133], v[122:123]
	;; [unrolled: 5-line block ×3, first 2 shown]
	buffer_load_dword v123, off, s[0:3], 0 offset:180
	buffer_load_dword v122, off, s[0:3], 0 offset:176
	buffer_load_dword v127, off, s[0:3], 0 offset:188
	buffer_load_dword v126, off, s[0:3], 0 offset:184
	s_waitcnt vmcnt(2)
	v_fmac_f64_e32 v[118:119], v[122:123], v[124:125]
	ds_read2_b64 v[122:125], v120 offset0:81 offset1:82
	s_waitcnt vmcnt(0) lgkmcnt(0)
	v_fmac_f64_e32 v[118:119], v[126:127], v[122:123]
	buffer_load_dword v123, off, s[0:3], 0 offset:196
	buffer_load_dword v122, off, s[0:3], 0 offset:192
	buffer_load_dword v127, off, s[0:3], 0 offset:204
	buffer_load_dword v126, off, s[0:3], 0 offset:200
	s_waitcnt vmcnt(2)
	v_fmac_f64_e32 v[118:119], v[122:123], v[124:125]
	ds_read2_b64 v[122:125], v120 offset0:83 offset1:84
	s_waitcnt vmcnt(0) lgkmcnt(0)
	v_fmac_f64_e32 v[118:119], v[126:127], v[122:123]
	;; [unrolled: 9-line block ×16, first 2 shown]
	buffer_load_dword v123, off, s[0:3], 0 offset:436
	buffer_load_dword v122, off, s[0:3], 0 offset:432
	s_waitcnt vmcnt(0)
	v_fmac_f64_e32 v[118:119], v[122:123], v[124:125]
	buffer_load_dword v125, off, s[0:3], 0 offset:444
	buffer_load_dword v124, off, s[0:3], 0 offset:440
	ds_read2_b64 v[120:123], v120 offset0:113 offset1:114
	s_waitcnt vmcnt(0) lgkmcnt(0)
	v_fmac_f64_e32 v[118:119], v[124:125], v[120:121]
	buffer_load_dword v121, off, s[0:3], 0 offset:452
	buffer_load_dword v120, off, s[0:3], 0 offset:448
	s_waitcnt vmcnt(0)
	v_fmac_f64_e32 v[118:119], v[120:121], v[122:123]
	v_add_f64 v[116:117], v[116:117], -v[118:119]
	buffer_store_dword v117, off, s[0:3], 0 offset:116
	buffer_store_dword v116, off, s[0:3], 0 offset:112
	s_and_saveexec_b64 s[4:5], vcc
	s_cbranch_execz .LBB56_323
; %bb.322:
	buffer_load_dword v116, off, s[0:3], 0 offset:104
	buffer_load_dword v117, off, s[0:3], 0 offset:108
	v_mov_b32_e32 v118, 0
	buffer_store_dword v118, off, s[0:3], 0 offset:104
	buffer_store_dword v118, off, s[0:3], 0 offset:108
	s_waitcnt vmcnt(2)
	ds_write_b64 v1, v[116:117]
.LBB56_323:
	s_or_b64 exec, exec, s[4:5]
	s_waitcnt lgkmcnt(0)
	; wave barrier
	s_waitcnt lgkmcnt(0)
	buffer_load_dword v116, off, s[0:3], 0 offset:104
	buffer_load_dword v117, off, s[0:3], 0 offset:108
	;; [unrolled: 1-line block ×16, first 2 shown]
	v_mov_b32_e32 v120, 0
	ds_read_b128 v[122:125], v120 offset:576
	ds_read_b128 v[126:129], v120 offset:592
	ds_read_b128 v[130:133], v120 offset:608
	ds_read_b128 v[134:137], v120 offset:624
	v_cmp_lt_u32_e32 vcc, 12, v0
	s_waitcnt vmcnt(12) lgkmcnt(3)
	v_fma_f64 v[118:119], v[118:119], v[122:123], 0
	buffer_load_dword v123, off, s[0:3], 0 offset:172
	buffer_load_dword v122, off, s[0:3], 0 offset:168
	s_waitcnt vmcnt(12)
	v_fmac_f64_e32 v[118:119], v[138:139], v[124:125]
	s_waitcnt vmcnt(10) lgkmcnt(2)
	v_fmac_f64_e32 v[118:119], v[140:141], v[126:127]
	buffer_load_dword v127, off, s[0:3], 0 offset:180
	buffer_load_dword v126, off, s[0:3], 0 offset:176
	s_waitcnt vmcnt(10)
	v_fmac_f64_e32 v[118:119], v[142:143], v[128:129]
	s_waitcnt vmcnt(8) lgkmcnt(1)
	v_fmac_f64_e32 v[118:119], v[144:145], v[130:131]
	s_waitcnt vmcnt(6)
	v_fmac_f64_e32 v[118:119], v[146:147], v[132:133]
	s_waitcnt vmcnt(4) lgkmcnt(0)
	v_fmac_f64_e32 v[118:119], v[148:149], v[134:135]
	s_waitcnt vmcnt(2)
	v_fmac_f64_e32 v[118:119], v[122:123], v[136:137]
	ds_read_b128 v[122:125], v120 offset:640
	s_waitcnt vmcnt(0) lgkmcnt(0)
	v_fmac_f64_e32 v[118:119], v[126:127], v[122:123]
	buffer_load_dword v123, off, s[0:3], 0 offset:188
	buffer_load_dword v122, off, s[0:3], 0 offset:184
	buffer_load_dword v127, off, s[0:3], 0 offset:196
	buffer_load_dword v126, off, s[0:3], 0 offset:192
	s_waitcnt vmcnt(2)
	v_fmac_f64_e32 v[118:119], v[122:123], v[124:125]
	ds_read_b128 v[122:125], v120 offset:656
	s_waitcnt vmcnt(0) lgkmcnt(0)
	v_fmac_f64_e32 v[118:119], v[126:127], v[122:123]
	buffer_load_dword v123, off, s[0:3], 0 offset:204
	buffer_load_dword v122, off, s[0:3], 0 offset:200
	buffer_load_dword v127, off, s[0:3], 0 offset:212
	buffer_load_dword v126, off, s[0:3], 0 offset:208
	;; [unrolled: 9-line block ×16, first 2 shown]
	s_waitcnt vmcnt(2)
	v_fmac_f64_e32 v[118:119], v[122:123], v[124:125]
	ds_read_b128 v[122:125], v120 offset:896
	s_waitcnt vmcnt(0) lgkmcnt(0)
	v_fmac_f64_e32 v[118:119], v[126:127], v[122:123]
	buffer_load_dword v123, off, s[0:3], 0 offset:444
	buffer_load_dword v122, off, s[0:3], 0 offset:440
	s_waitcnt vmcnt(0)
	v_fmac_f64_e32 v[118:119], v[122:123], v[124:125]
	buffer_load_dword v123, off, s[0:3], 0 offset:452
	buffer_load_dword v122, off, s[0:3], 0 offset:448
	ds_read_b64 v[124:125], v120 offset:912
	s_waitcnt vmcnt(0) lgkmcnt(0)
	v_fmac_f64_e32 v[118:119], v[122:123], v[124:125]
	v_add_f64 v[116:117], v[116:117], -v[118:119]
	buffer_store_dword v117, off, s[0:3], 0 offset:108
	buffer_store_dword v116, off, s[0:3], 0 offset:104
	s_and_saveexec_b64 s[4:5], vcc
	s_cbranch_execz .LBB56_325
; %bb.324:
	buffer_load_dword v116, off, s[0:3], 0 offset:96
	buffer_load_dword v117, off, s[0:3], 0 offset:100
	s_waitcnt vmcnt(0)
	ds_write_b64 v1, v[116:117]
	buffer_store_dword v120, off, s[0:3], 0 offset:96
	buffer_store_dword v120, off, s[0:3], 0 offset:100
.LBB56_325:
	s_or_b64 exec, exec, s[4:5]
	s_waitcnt lgkmcnt(0)
	; wave barrier
	s_waitcnt lgkmcnt(0)
	buffer_load_dword v116, off, s[0:3], 0 offset:96
	buffer_load_dword v117, off, s[0:3], 0 offset:100
	;; [unrolled: 1-line block ×16, first 2 shown]
	ds_read2_b64 v[122:125], v120 offset0:71 offset1:72
	v_cmp_lt_u32_e32 vcc, 11, v0
	s_waitcnt vmcnt(12) lgkmcnt(0)
	v_fma_f64 v[118:119], v[118:119], v[122:123], 0
	s_waitcnt vmcnt(10)
	v_fmac_f64_e32 v[118:119], v[126:127], v[124:125]
	ds_read2_b64 v[122:125], v120 offset0:73 offset1:74
	s_waitcnt vmcnt(8) lgkmcnt(0)
	v_fmac_f64_e32 v[118:119], v[128:129], v[122:123]
	s_waitcnt vmcnt(6)
	v_fmac_f64_e32 v[118:119], v[130:131], v[124:125]
	ds_read2_b64 v[122:125], v120 offset0:75 offset1:76
	s_waitcnt vmcnt(4) lgkmcnt(0)
	v_fmac_f64_e32 v[118:119], v[132:133], v[122:123]
	s_waitcnt vmcnt(2)
	v_fmac_f64_e32 v[118:119], v[134:135], v[124:125]
	ds_read2_b64 v[122:125], v120 offset0:77 offset1:78
	s_waitcnt vmcnt(0) lgkmcnt(0)
	v_fmac_f64_e32 v[118:119], v[136:137], v[122:123]
	buffer_load_dword v123, off, s[0:3], 0 offset:164
	buffer_load_dword v122, off, s[0:3], 0 offset:160
	buffer_load_dword v127, off, s[0:3], 0 offset:172
	buffer_load_dword v126, off, s[0:3], 0 offset:168
	s_waitcnt vmcnt(2)
	v_fmac_f64_e32 v[118:119], v[122:123], v[124:125]
	ds_read2_b64 v[122:125], v120 offset0:79 offset1:80
	s_waitcnt vmcnt(0) lgkmcnt(0)
	v_fmac_f64_e32 v[118:119], v[126:127], v[122:123]
	buffer_load_dword v123, off, s[0:3], 0 offset:180
	buffer_load_dword v122, off, s[0:3], 0 offset:176
	buffer_load_dword v127, off, s[0:3], 0 offset:188
	buffer_load_dword v126, off, s[0:3], 0 offset:184
	s_waitcnt vmcnt(2)
	v_fmac_f64_e32 v[118:119], v[122:123], v[124:125]
	ds_read2_b64 v[122:125], v120 offset0:81 offset1:82
	s_waitcnt vmcnt(0) lgkmcnt(0)
	v_fmac_f64_e32 v[118:119], v[126:127], v[122:123]
	;; [unrolled: 9-line block ×17, first 2 shown]
	buffer_load_dword v123, off, s[0:3], 0 offset:436
	buffer_load_dword v122, off, s[0:3], 0 offset:432
	s_waitcnt vmcnt(0)
	v_fmac_f64_e32 v[118:119], v[122:123], v[124:125]
	buffer_load_dword v125, off, s[0:3], 0 offset:444
	buffer_load_dword v124, off, s[0:3], 0 offset:440
	ds_read2_b64 v[120:123], v120 offset0:113 offset1:114
	s_waitcnt vmcnt(0) lgkmcnt(0)
	v_fmac_f64_e32 v[118:119], v[124:125], v[120:121]
	buffer_load_dword v121, off, s[0:3], 0 offset:452
	buffer_load_dword v120, off, s[0:3], 0 offset:448
	s_waitcnt vmcnt(0)
	v_fmac_f64_e32 v[118:119], v[120:121], v[122:123]
	v_add_f64 v[116:117], v[116:117], -v[118:119]
	buffer_store_dword v117, off, s[0:3], 0 offset:100
	buffer_store_dword v116, off, s[0:3], 0 offset:96
	s_and_saveexec_b64 s[4:5], vcc
	s_cbranch_execz .LBB56_327
; %bb.326:
	buffer_load_dword v116, off, s[0:3], 0 offset:88
	buffer_load_dword v117, off, s[0:3], 0 offset:92
	v_mov_b32_e32 v118, 0
	buffer_store_dword v118, off, s[0:3], 0 offset:88
	buffer_store_dword v118, off, s[0:3], 0 offset:92
	s_waitcnt vmcnt(2)
	ds_write_b64 v1, v[116:117]
.LBB56_327:
	s_or_b64 exec, exec, s[4:5]
	s_waitcnt lgkmcnt(0)
	; wave barrier
	s_waitcnt lgkmcnt(0)
	buffer_load_dword v116, off, s[0:3], 0 offset:88
	buffer_load_dword v117, off, s[0:3], 0 offset:92
	;; [unrolled: 1-line block ×16, first 2 shown]
	v_mov_b32_e32 v120, 0
	ds_read_b128 v[122:125], v120 offset:560
	ds_read_b128 v[126:129], v120 offset:576
	;; [unrolled: 1-line block ×4, first 2 shown]
	v_cmp_lt_u32_e32 vcc, 10, v0
	s_waitcnt vmcnt(12) lgkmcnt(3)
	v_fma_f64 v[118:119], v[118:119], v[122:123], 0
	buffer_load_dword v123, off, s[0:3], 0 offset:156
	buffer_load_dword v122, off, s[0:3], 0 offset:152
	s_waitcnt vmcnt(12)
	v_fmac_f64_e32 v[118:119], v[138:139], v[124:125]
	s_waitcnt vmcnt(10) lgkmcnt(2)
	v_fmac_f64_e32 v[118:119], v[140:141], v[126:127]
	buffer_load_dword v127, off, s[0:3], 0 offset:164
	buffer_load_dword v126, off, s[0:3], 0 offset:160
	s_waitcnt vmcnt(10)
	v_fmac_f64_e32 v[118:119], v[142:143], v[128:129]
	s_waitcnt vmcnt(8) lgkmcnt(1)
	v_fmac_f64_e32 v[118:119], v[144:145], v[130:131]
	s_waitcnt vmcnt(6)
	v_fmac_f64_e32 v[118:119], v[146:147], v[132:133]
	s_waitcnt vmcnt(4) lgkmcnt(0)
	v_fmac_f64_e32 v[118:119], v[148:149], v[134:135]
	s_waitcnt vmcnt(2)
	v_fmac_f64_e32 v[118:119], v[122:123], v[136:137]
	ds_read_b128 v[122:125], v120 offset:624
	s_waitcnt vmcnt(0) lgkmcnt(0)
	v_fmac_f64_e32 v[118:119], v[126:127], v[122:123]
	buffer_load_dword v123, off, s[0:3], 0 offset:172
	buffer_load_dword v122, off, s[0:3], 0 offset:168
	buffer_load_dword v127, off, s[0:3], 0 offset:180
	buffer_load_dword v126, off, s[0:3], 0 offset:176
	s_waitcnt vmcnt(2)
	v_fmac_f64_e32 v[118:119], v[122:123], v[124:125]
	ds_read_b128 v[122:125], v120 offset:640
	s_waitcnt vmcnt(0) lgkmcnt(0)
	v_fmac_f64_e32 v[118:119], v[126:127], v[122:123]
	buffer_load_dword v123, off, s[0:3], 0 offset:188
	buffer_load_dword v122, off, s[0:3], 0 offset:184
	buffer_load_dword v127, off, s[0:3], 0 offset:196
	buffer_load_dword v126, off, s[0:3], 0 offset:192
	;; [unrolled: 9-line block ×17, first 2 shown]
	s_waitcnt vmcnt(2)
	v_fmac_f64_e32 v[118:119], v[122:123], v[124:125]
	ds_read_b128 v[122:125], v120 offset:896
	s_waitcnt vmcnt(0) lgkmcnt(0)
	v_fmac_f64_e32 v[118:119], v[126:127], v[122:123]
	buffer_load_dword v123, off, s[0:3], 0 offset:444
	buffer_load_dword v122, off, s[0:3], 0 offset:440
	s_waitcnt vmcnt(0)
	v_fmac_f64_e32 v[118:119], v[122:123], v[124:125]
	buffer_load_dword v123, off, s[0:3], 0 offset:452
	buffer_load_dword v122, off, s[0:3], 0 offset:448
	ds_read_b64 v[124:125], v120 offset:912
	s_waitcnt vmcnt(0) lgkmcnt(0)
	v_fmac_f64_e32 v[118:119], v[122:123], v[124:125]
	v_add_f64 v[116:117], v[116:117], -v[118:119]
	buffer_store_dword v117, off, s[0:3], 0 offset:92
	buffer_store_dword v116, off, s[0:3], 0 offset:88
	s_and_saveexec_b64 s[4:5], vcc
	s_cbranch_execz .LBB56_329
; %bb.328:
	buffer_load_dword v116, off, s[0:3], 0 offset:80
	buffer_load_dword v117, off, s[0:3], 0 offset:84
	s_waitcnt vmcnt(0)
	ds_write_b64 v1, v[116:117]
	buffer_store_dword v120, off, s[0:3], 0 offset:80
	buffer_store_dword v120, off, s[0:3], 0 offset:84
.LBB56_329:
	s_or_b64 exec, exec, s[4:5]
	s_waitcnt lgkmcnt(0)
	; wave barrier
	s_waitcnt lgkmcnt(0)
	buffer_load_dword v116, off, s[0:3], 0 offset:80
	buffer_load_dword v117, off, s[0:3], 0 offset:84
	buffer_load_dword v118, off, s[0:3], 0 offset:88
	buffer_load_dword v119, off, s[0:3], 0 offset:92
	buffer_load_dword v126, off, s[0:3], 0 offset:96
	buffer_load_dword v127, off, s[0:3], 0 offset:100
	buffer_load_dword v128, off, s[0:3], 0 offset:104
	buffer_load_dword v129, off, s[0:3], 0 offset:108
	buffer_load_dword v130, off, s[0:3], 0 offset:112
	buffer_load_dword v131, off, s[0:3], 0 offset:116
	buffer_load_dword v132, off, s[0:3], 0 offset:120
	buffer_load_dword v133, off, s[0:3], 0 offset:124
	buffer_load_dword v134, off, s[0:3], 0 offset:128
	buffer_load_dword v135, off, s[0:3], 0 offset:132
	buffer_load_dword v136, off, s[0:3], 0 offset:136
	buffer_load_dword v137, off, s[0:3], 0 offset:140
	ds_read2_b64 v[122:125], v120 offset0:69 offset1:70
	v_cmp_lt_u32_e32 vcc, 9, v0
	s_waitcnt vmcnt(12) lgkmcnt(0)
	v_fma_f64 v[118:119], v[118:119], v[122:123], 0
	s_waitcnt vmcnt(10)
	v_fmac_f64_e32 v[118:119], v[126:127], v[124:125]
	ds_read2_b64 v[122:125], v120 offset0:71 offset1:72
	s_waitcnt vmcnt(8) lgkmcnt(0)
	v_fmac_f64_e32 v[118:119], v[128:129], v[122:123]
	s_waitcnt vmcnt(6)
	v_fmac_f64_e32 v[118:119], v[130:131], v[124:125]
	ds_read2_b64 v[122:125], v120 offset0:73 offset1:74
	s_waitcnt vmcnt(4) lgkmcnt(0)
	v_fmac_f64_e32 v[118:119], v[132:133], v[122:123]
	;; [unrolled: 5-line block ×3, first 2 shown]
	buffer_load_dword v123, off, s[0:3], 0 offset:148
	buffer_load_dword v122, off, s[0:3], 0 offset:144
	buffer_load_dword v127, off, s[0:3], 0 offset:156
	buffer_load_dword v126, off, s[0:3], 0 offset:152
	s_waitcnt vmcnt(2)
	v_fmac_f64_e32 v[118:119], v[122:123], v[124:125]
	ds_read2_b64 v[122:125], v120 offset0:77 offset1:78
	s_waitcnt vmcnt(0) lgkmcnt(0)
	v_fmac_f64_e32 v[118:119], v[126:127], v[122:123]
	buffer_load_dword v123, off, s[0:3], 0 offset:164
	buffer_load_dword v122, off, s[0:3], 0 offset:160
	buffer_load_dword v127, off, s[0:3], 0 offset:172
	buffer_load_dword v126, off, s[0:3], 0 offset:168
	s_waitcnt vmcnt(2)
	v_fmac_f64_e32 v[118:119], v[122:123], v[124:125]
	ds_read2_b64 v[122:125], v120 offset0:79 offset1:80
	s_waitcnt vmcnt(0) lgkmcnt(0)
	v_fmac_f64_e32 v[118:119], v[126:127], v[122:123]
	;; [unrolled: 9-line block ×18, first 2 shown]
	buffer_load_dword v123, off, s[0:3], 0 offset:436
	buffer_load_dword v122, off, s[0:3], 0 offset:432
	s_waitcnt vmcnt(0)
	v_fmac_f64_e32 v[118:119], v[122:123], v[124:125]
	buffer_load_dword v125, off, s[0:3], 0 offset:444
	buffer_load_dword v124, off, s[0:3], 0 offset:440
	ds_read2_b64 v[120:123], v120 offset0:113 offset1:114
	s_waitcnt vmcnt(0) lgkmcnt(0)
	v_fmac_f64_e32 v[118:119], v[124:125], v[120:121]
	buffer_load_dword v121, off, s[0:3], 0 offset:452
	buffer_load_dword v120, off, s[0:3], 0 offset:448
	s_waitcnt vmcnt(0)
	v_fmac_f64_e32 v[118:119], v[120:121], v[122:123]
	v_add_f64 v[116:117], v[116:117], -v[118:119]
	buffer_store_dword v117, off, s[0:3], 0 offset:84
	buffer_store_dword v116, off, s[0:3], 0 offset:80
	s_and_saveexec_b64 s[4:5], vcc
	s_cbranch_execz .LBB56_331
; %bb.330:
	buffer_load_dword v116, off, s[0:3], 0 offset:72
	buffer_load_dword v117, off, s[0:3], 0 offset:76
	v_mov_b32_e32 v118, 0
	buffer_store_dword v118, off, s[0:3], 0 offset:72
	buffer_store_dword v118, off, s[0:3], 0 offset:76
	s_waitcnt vmcnt(2)
	ds_write_b64 v1, v[116:117]
.LBB56_331:
	s_or_b64 exec, exec, s[4:5]
	s_waitcnt lgkmcnt(0)
	; wave barrier
	s_waitcnt lgkmcnt(0)
	buffer_load_dword v116, off, s[0:3], 0 offset:72
	buffer_load_dword v117, off, s[0:3], 0 offset:76
	buffer_load_dword v118, off, s[0:3], 0 offset:80
	buffer_load_dword v119, off, s[0:3], 0 offset:84
	buffer_load_dword v138, off, s[0:3], 0 offset:88
	buffer_load_dword v139, off, s[0:3], 0 offset:92
	buffer_load_dword v140, off, s[0:3], 0 offset:96
	buffer_load_dword v141, off, s[0:3], 0 offset:100
	buffer_load_dword v142, off, s[0:3], 0 offset:104
	buffer_load_dword v143, off, s[0:3], 0 offset:108
	buffer_load_dword v144, off, s[0:3], 0 offset:112
	buffer_load_dword v145, off, s[0:3], 0 offset:116
	buffer_load_dword v146, off, s[0:3], 0 offset:120
	buffer_load_dword v147, off, s[0:3], 0 offset:124
	buffer_load_dword v148, off, s[0:3], 0 offset:128
	buffer_load_dword v149, off, s[0:3], 0 offset:132
	v_mov_b32_e32 v120, 0
	ds_read_b128 v[122:125], v120 offset:544
	ds_read_b128 v[126:129], v120 offset:560
	;; [unrolled: 1-line block ×4, first 2 shown]
	v_cmp_lt_u32_e32 vcc, 8, v0
	s_waitcnt vmcnt(12) lgkmcnt(3)
	v_fma_f64 v[118:119], v[118:119], v[122:123], 0
	buffer_load_dword v123, off, s[0:3], 0 offset:140
	buffer_load_dword v122, off, s[0:3], 0 offset:136
	s_waitcnt vmcnt(12)
	v_fmac_f64_e32 v[118:119], v[138:139], v[124:125]
	s_waitcnt vmcnt(10) lgkmcnt(2)
	v_fmac_f64_e32 v[118:119], v[140:141], v[126:127]
	buffer_load_dword v127, off, s[0:3], 0 offset:148
	buffer_load_dword v126, off, s[0:3], 0 offset:144
	s_waitcnt vmcnt(10)
	v_fmac_f64_e32 v[118:119], v[142:143], v[128:129]
	s_waitcnt vmcnt(8) lgkmcnt(1)
	v_fmac_f64_e32 v[118:119], v[144:145], v[130:131]
	s_waitcnt vmcnt(6)
	v_fmac_f64_e32 v[118:119], v[146:147], v[132:133]
	s_waitcnt vmcnt(4) lgkmcnt(0)
	v_fmac_f64_e32 v[118:119], v[148:149], v[134:135]
	s_waitcnt vmcnt(2)
	v_fmac_f64_e32 v[118:119], v[122:123], v[136:137]
	ds_read_b128 v[122:125], v120 offset:608
	s_waitcnt vmcnt(0) lgkmcnt(0)
	v_fmac_f64_e32 v[118:119], v[126:127], v[122:123]
	buffer_load_dword v123, off, s[0:3], 0 offset:156
	buffer_load_dword v122, off, s[0:3], 0 offset:152
	buffer_load_dword v127, off, s[0:3], 0 offset:164
	buffer_load_dword v126, off, s[0:3], 0 offset:160
	s_waitcnt vmcnt(2)
	v_fmac_f64_e32 v[118:119], v[122:123], v[124:125]
	ds_read_b128 v[122:125], v120 offset:624
	s_waitcnt vmcnt(0) lgkmcnt(0)
	v_fmac_f64_e32 v[118:119], v[126:127], v[122:123]
	buffer_load_dword v123, off, s[0:3], 0 offset:172
	buffer_load_dword v122, off, s[0:3], 0 offset:168
	buffer_load_dword v127, off, s[0:3], 0 offset:180
	buffer_load_dword v126, off, s[0:3], 0 offset:176
	;; [unrolled: 9-line block ×18, first 2 shown]
	s_waitcnt vmcnt(2)
	v_fmac_f64_e32 v[118:119], v[122:123], v[124:125]
	ds_read_b128 v[122:125], v120 offset:896
	s_waitcnt vmcnt(0) lgkmcnt(0)
	v_fmac_f64_e32 v[118:119], v[126:127], v[122:123]
	buffer_load_dword v123, off, s[0:3], 0 offset:444
	buffer_load_dword v122, off, s[0:3], 0 offset:440
	s_waitcnt vmcnt(0)
	v_fmac_f64_e32 v[118:119], v[122:123], v[124:125]
	buffer_load_dword v123, off, s[0:3], 0 offset:452
	buffer_load_dword v122, off, s[0:3], 0 offset:448
	ds_read_b64 v[124:125], v120 offset:912
	s_waitcnt vmcnt(0) lgkmcnt(0)
	v_fmac_f64_e32 v[118:119], v[122:123], v[124:125]
	v_add_f64 v[116:117], v[116:117], -v[118:119]
	buffer_store_dword v117, off, s[0:3], 0 offset:76
	buffer_store_dword v116, off, s[0:3], 0 offset:72
	s_and_saveexec_b64 s[4:5], vcc
	s_cbranch_execz .LBB56_333
; %bb.332:
	buffer_load_dword v116, off, s[0:3], 0 offset:64
	buffer_load_dword v117, off, s[0:3], 0 offset:68
	s_waitcnt vmcnt(0)
	ds_write_b64 v1, v[116:117]
	buffer_store_dword v120, off, s[0:3], 0 offset:64
	buffer_store_dword v120, off, s[0:3], 0 offset:68
.LBB56_333:
	s_or_b64 exec, exec, s[4:5]
	s_waitcnt lgkmcnt(0)
	; wave barrier
	s_waitcnt lgkmcnt(0)
	buffer_load_dword v116, off, s[0:3], 0 offset:64
	buffer_load_dword v117, off, s[0:3], 0 offset:68
	;; [unrolled: 1-line block ×16, first 2 shown]
	ds_read2_b64 v[122:125], v120 offset0:67 offset1:68
	v_cmp_lt_u32_e32 vcc, 7, v0
	s_waitcnt vmcnt(12) lgkmcnt(0)
	v_fma_f64 v[118:119], v[118:119], v[122:123], 0
	s_waitcnt vmcnt(10)
	v_fmac_f64_e32 v[118:119], v[126:127], v[124:125]
	ds_read2_b64 v[122:125], v120 offset0:69 offset1:70
	s_waitcnt vmcnt(8) lgkmcnt(0)
	v_fmac_f64_e32 v[118:119], v[128:129], v[122:123]
	s_waitcnt vmcnt(6)
	v_fmac_f64_e32 v[118:119], v[130:131], v[124:125]
	ds_read2_b64 v[122:125], v120 offset0:71 offset1:72
	s_waitcnt vmcnt(4) lgkmcnt(0)
	v_fmac_f64_e32 v[118:119], v[132:133], v[122:123]
	;; [unrolled: 5-line block ×3, first 2 shown]
	buffer_load_dword v123, off, s[0:3], 0 offset:132
	buffer_load_dword v122, off, s[0:3], 0 offset:128
	buffer_load_dword v127, off, s[0:3], 0 offset:140
	buffer_load_dword v126, off, s[0:3], 0 offset:136
	s_waitcnt vmcnt(2)
	v_fmac_f64_e32 v[118:119], v[122:123], v[124:125]
	ds_read2_b64 v[122:125], v120 offset0:75 offset1:76
	s_waitcnt vmcnt(0) lgkmcnt(0)
	v_fmac_f64_e32 v[118:119], v[126:127], v[122:123]
	buffer_load_dword v123, off, s[0:3], 0 offset:148
	buffer_load_dword v122, off, s[0:3], 0 offset:144
	buffer_load_dword v127, off, s[0:3], 0 offset:156
	buffer_load_dword v126, off, s[0:3], 0 offset:152
	s_waitcnt vmcnt(2)
	v_fmac_f64_e32 v[118:119], v[122:123], v[124:125]
	ds_read2_b64 v[122:125], v120 offset0:77 offset1:78
	s_waitcnt vmcnt(0) lgkmcnt(0)
	v_fmac_f64_e32 v[118:119], v[126:127], v[122:123]
	buffer_load_dword v123, off, s[0:3], 0 offset:164
	buffer_load_dword v122, off, s[0:3], 0 offset:160
	buffer_load_dword v127, off, s[0:3], 0 offset:172
	buffer_load_dword v126, off, s[0:3], 0 offset:168
	s_waitcnt vmcnt(2)
	v_fmac_f64_e32 v[118:119], v[122:123], v[124:125]
	ds_read2_b64 v[122:125], v120 offset0:79 offset1:80
	s_waitcnt vmcnt(0) lgkmcnt(0)
	v_fmac_f64_e32 v[118:119], v[126:127], v[122:123]
	buffer_load_dword v123, off, s[0:3], 0 offset:180
	buffer_load_dword v122, off, s[0:3], 0 offset:176
	buffer_load_dword v127, off, s[0:3], 0 offset:188
	buffer_load_dword v126, off, s[0:3], 0 offset:184
	s_waitcnt vmcnt(2)
	v_fmac_f64_e32 v[118:119], v[122:123], v[124:125]
	ds_read2_b64 v[122:125], v120 offset0:81 offset1:82
	s_waitcnt vmcnt(0) lgkmcnt(0)
	v_fmac_f64_e32 v[118:119], v[126:127], v[122:123]
	buffer_load_dword v123, off, s[0:3], 0 offset:196
	buffer_load_dword v122, off, s[0:3], 0 offset:192
	buffer_load_dword v127, off, s[0:3], 0 offset:204
	buffer_load_dword v126, off, s[0:3], 0 offset:200
	s_waitcnt vmcnt(2)
	v_fmac_f64_e32 v[118:119], v[122:123], v[124:125]
	ds_read2_b64 v[122:125], v120 offset0:83 offset1:84
	s_waitcnt vmcnt(0) lgkmcnt(0)
	v_fmac_f64_e32 v[118:119], v[126:127], v[122:123]
	buffer_load_dword v123, off, s[0:3], 0 offset:212
	buffer_load_dword v122, off, s[0:3], 0 offset:208
	buffer_load_dword v127, off, s[0:3], 0 offset:220
	buffer_load_dword v126, off, s[0:3], 0 offset:216
	s_waitcnt vmcnt(2)
	v_fmac_f64_e32 v[118:119], v[122:123], v[124:125]
	ds_read2_b64 v[122:125], v120 offset0:85 offset1:86
	s_waitcnt vmcnt(0) lgkmcnt(0)
	v_fmac_f64_e32 v[118:119], v[126:127], v[122:123]
	buffer_load_dword v123, off, s[0:3], 0 offset:228
	buffer_load_dword v122, off, s[0:3], 0 offset:224
	buffer_load_dword v127, off, s[0:3], 0 offset:236
	buffer_load_dword v126, off, s[0:3], 0 offset:232
	s_waitcnt vmcnt(2)
	v_fmac_f64_e32 v[118:119], v[122:123], v[124:125]
	ds_read2_b64 v[122:125], v120 offset0:87 offset1:88
	s_waitcnt vmcnt(0) lgkmcnt(0)
	v_fmac_f64_e32 v[118:119], v[126:127], v[122:123]
	buffer_load_dword v123, off, s[0:3], 0 offset:244
	buffer_load_dword v122, off, s[0:3], 0 offset:240
	buffer_load_dword v127, off, s[0:3], 0 offset:252
	buffer_load_dword v126, off, s[0:3], 0 offset:248
	s_waitcnt vmcnt(2)
	v_fmac_f64_e32 v[118:119], v[122:123], v[124:125]
	ds_read2_b64 v[122:125], v120 offset0:89 offset1:90
	s_waitcnt vmcnt(0) lgkmcnt(0)
	v_fmac_f64_e32 v[118:119], v[126:127], v[122:123]
	buffer_load_dword v123, off, s[0:3], 0 offset:260
	buffer_load_dword v122, off, s[0:3], 0 offset:256
	buffer_load_dword v127, off, s[0:3], 0 offset:268
	buffer_load_dword v126, off, s[0:3], 0 offset:264
	s_waitcnt vmcnt(2)
	v_fmac_f64_e32 v[118:119], v[122:123], v[124:125]
	ds_read2_b64 v[122:125], v120 offset0:91 offset1:92
	s_waitcnt vmcnt(0) lgkmcnt(0)
	v_fmac_f64_e32 v[118:119], v[126:127], v[122:123]
	buffer_load_dword v123, off, s[0:3], 0 offset:276
	buffer_load_dword v122, off, s[0:3], 0 offset:272
	buffer_load_dword v127, off, s[0:3], 0 offset:284
	buffer_load_dword v126, off, s[0:3], 0 offset:280
	s_waitcnt vmcnt(2)
	v_fmac_f64_e32 v[118:119], v[122:123], v[124:125]
	ds_read2_b64 v[122:125], v120 offset0:93 offset1:94
	s_waitcnt vmcnt(0) lgkmcnt(0)
	v_fmac_f64_e32 v[118:119], v[126:127], v[122:123]
	buffer_load_dword v123, off, s[0:3], 0 offset:292
	buffer_load_dword v122, off, s[0:3], 0 offset:288
	buffer_load_dword v127, off, s[0:3], 0 offset:300
	buffer_load_dword v126, off, s[0:3], 0 offset:296
	s_waitcnt vmcnt(2)
	v_fmac_f64_e32 v[118:119], v[122:123], v[124:125]
	ds_read2_b64 v[122:125], v120 offset0:95 offset1:96
	s_waitcnt vmcnt(0) lgkmcnt(0)
	v_fmac_f64_e32 v[118:119], v[126:127], v[122:123]
	buffer_load_dword v123, off, s[0:3], 0 offset:308
	buffer_load_dword v122, off, s[0:3], 0 offset:304
	buffer_load_dword v127, off, s[0:3], 0 offset:316
	buffer_load_dword v126, off, s[0:3], 0 offset:312
	s_waitcnt vmcnt(2)
	v_fmac_f64_e32 v[118:119], v[122:123], v[124:125]
	ds_read2_b64 v[122:125], v120 offset0:97 offset1:98
	s_waitcnt vmcnt(0) lgkmcnt(0)
	v_fmac_f64_e32 v[118:119], v[126:127], v[122:123]
	buffer_load_dword v123, off, s[0:3], 0 offset:324
	buffer_load_dword v122, off, s[0:3], 0 offset:320
	buffer_load_dword v127, off, s[0:3], 0 offset:332
	buffer_load_dword v126, off, s[0:3], 0 offset:328
	s_waitcnt vmcnt(2)
	v_fmac_f64_e32 v[118:119], v[122:123], v[124:125]
	ds_read2_b64 v[122:125], v120 offset0:99 offset1:100
	s_waitcnt vmcnt(0) lgkmcnt(0)
	v_fmac_f64_e32 v[118:119], v[126:127], v[122:123]
	buffer_load_dword v123, off, s[0:3], 0 offset:340
	buffer_load_dword v122, off, s[0:3], 0 offset:336
	buffer_load_dword v127, off, s[0:3], 0 offset:348
	buffer_load_dword v126, off, s[0:3], 0 offset:344
	s_waitcnt vmcnt(2)
	v_fmac_f64_e32 v[118:119], v[122:123], v[124:125]
	ds_read2_b64 v[122:125], v120 offset0:101 offset1:102
	s_waitcnt vmcnt(0) lgkmcnt(0)
	v_fmac_f64_e32 v[118:119], v[126:127], v[122:123]
	buffer_load_dword v123, off, s[0:3], 0 offset:356
	buffer_load_dword v122, off, s[0:3], 0 offset:352
	buffer_load_dword v127, off, s[0:3], 0 offset:364
	buffer_load_dword v126, off, s[0:3], 0 offset:360
	s_waitcnt vmcnt(2)
	v_fmac_f64_e32 v[118:119], v[122:123], v[124:125]
	ds_read2_b64 v[122:125], v120 offset0:103 offset1:104
	s_waitcnt vmcnt(0) lgkmcnt(0)
	v_fmac_f64_e32 v[118:119], v[126:127], v[122:123]
	buffer_load_dword v123, off, s[0:3], 0 offset:372
	buffer_load_dword v122, off, s[0:3], 0 offset:368
	buffer_load_dword v127, off, s[0:3], 0 offset:380
	buffer_load_dword v126, off, s[0:3], 0 offset:376
	s_waitcnt vmcnt(2)
	v_fmac_f64_e32 v[118:119], v[122:123], v[124:125]
	ds_read2_b64 v[122:125], v120 offset0:105 offset1:106
	s_waitcnt vmcnt(0) lgkmcnt(0)
	v_fmac_f64_e32 v[118:119], v[126:127], v[122:123]
	buffer_load_dword v123, off, s[0:3], 0 offset:388
	buffer_load_dword v122, off, s[0:3], 0 offset:384
	buffer_load_dword v127, off, s[0:3], 0 offset:396
	buffer_load_dword v126, off, s[0:3], 0 offset:392
	s_waitcnt vmcnt(2)
	v_fmac_f64_e32 v[118:119], v[122:123], v[124:125]
	ds_read2_b64 v[122:125], v120 offset0:107 offset1:108
	s_waitcnt vmcnt(0) lgkmcnt(0)
	v_fmac_f64_e32 v[118:119], v[126:127], v[122:123]
	buffer_load_dword v123, off, s[0:3], 0 offset:404
	buffer_load_dword v122, off, s[0:3], 0 offset:400
	buffer_load_dword v127, off, s[0:3], 0 offset:412
	buffer_load_dword v126, off, s[0:3], 0 offset:408
	s_waitcnt vmcnt(2)
	v_fmac_f64_e32 v[118:119], v[122:123], v[124:125]
	ds_read2_b64 v[122:125], v120 offset0:109 offset1:110
	s_waitcnt vmcnt(0) lgkmcnt(0)
	v_fmac_f64_e32 v[118:119], v[126:127], v[122:123]
	buffer_load_dword v123, off, s[0:3], 0 offset:420
	buffer_load_dword v122, off, s[0:3], 0 offset:416
	buffer_load_dword v127, off, s[0:3], 0 offset:428
	buffer_load_dword v126, off, s[0:3], 0 offset:424
	s_waitcnt vmcnt(2)
	v_fmac_f64_e32 v[118:119], v[122:123], v[124:125]
	ds_read2_b64 v[122:125], v120 offset0:111 offset1:112
	s_waitcnt vmcnt(0) lgkmcnt(0)
	v_fmac_f64_e32 v[118:119], v[126:127], v[122:123]
	buffer_load_dword v123, off, s[0:3], 0 offset:436
	buffer_load_dword v122, off, s[0:3], 0 offset:432
	s_waitcnt vmcnt(0)
	v_fmac_f64_e32 v[118:119], v[122:123], v[124:125]
	buffer_load_dword v125, off, s[0:3], 0 offset:444
	buffer_load_dword v124, off, s[0:3], 0 offset:440
	ds_read2_b64 v[120:123], v120 offset0:113 offset1:114
	s_waitcnt vmcnt(0) lgkmcnt(0)
	v_fmac_f64_e32 v[118:119], v[124:125], v[120:121]
	buffer_load_dword v121, off, s[0:3], 0 offset:452
	buffer_load_dword v120, off, s[0:3], 0 offset:448
	s_waitcnt vmcnt(0)
	v_fmac_f64_e32 v[118:119], v[120:121], v[122:123]
	v_add_f64 v[116:117], v[116:117], -v[118:119]
	buffer_store_dword v117, off, s[0:3], 0 offset:68
	buffer_store_dword v116, off, s[0:3], 0 offset:64
	s_and_saveexec_b64 s[4:5], vcc
	s_cbranch_execz .LBB56_335
; %bb.334:
	buffer_load_dword v116, off, s[0:3], 0 offset:56
	buffer_load_dword v117, off, s[0:3], 0 offset:60
	v_mov_b32_e32 v118, 0
	buffer_store_dword v118, off, s[0:3], 0 offset:56
	buffer_store_dword v118, off, s[0:3], 0 offset:60
	s_waitcnt vmcnt(2)
	ds_write_b64 v1, v[116:117]
.LBB56_335:
	s_or_b64 exec, exec, s[4:5]
	s_waitcnt lgkmcnt(0)
	; wave barrier
	s_waitcnt lgkmcnt(0)
	buffer_load_dword v116, off, s[0:3], 0 offset:56
	buffer_load_dword v117, off, s[0:3], 0 offset:60
	;; [unrolled: 1-line block ×16, first 2 shown]
	v_mov_b32_e32 v120, 0
	ds_read_b128 v[122:125], v120 offset:528
	v_cmp_lt_u32_e32 vcc, 6, v0
	s_waitcnt vmcnt(12) lgkmcnt(0)
	v_fma_f64 v[118:119], v[118:119], v[122:123], 0
	s_waitcnt vmcnt(10)
	v_fmac_f64_e32 v[118:119], v[126:127], v[124:125]
	ds_read_b128 v[122:125], v120 offset:544
	s_waitcnt vmcnt(8) lgkmcnt(0)
	v_fmac_f64_e32 v[118:119], v[128:129], v[122:123]
	s_waitcnt vmcnt(6)
	v_fmac_f64_e32 v[118:119], v[130:131], v[124:125]
	ds_read_b128 v[122:125], v120 offset:560
	s_waitcnt vmcnt(4) lgkmcnt(0)
	v_fmac_f64_e32 v[118:119], v[132:133], v[122:123]
	;; [unrolled: 5-line block ×3, first 2 shown]
	buffer_load_dword v123, off, s[0:3], 0 offset:124
	buffer_load_dword v122, off, s[0:3], 0 offset:120
	buffer_load_dword v127, off, s[0:3], 0 offset:132
	buffer_load_dword v126, off, s[0:3], 0 offset:128
	s_waitcnt vmcnt(2)
	v_fmac_f64_e32 v[118:119], v[122:123], v[124:125]
	ds_read_b128 v[122:125], v120 offset:592
	s_waitcnt vmcnt(0) lgkmcnt(0)
	v_fmac_f64_e32 v[118:119], v[126:127], v[122:123]
	buffer_load_dword v123, off, s[0:3], 0 offset:140
	buffer_load_dword v122, off, s[0:3], 0 offset:136
	buffer_load_dword v127, off, s[0:3], 0 offset:148
	buffer_load_dword v126, off, s[0:3], 0 offset:144
	s_waitcnt vmcnt(2)
	v_fmac_f64_e32 v[118:119], v[122:123], v[124:125]
	ds_read_b128 v[122:125], v120 offset:608
	s_waitcnt vmcnt(0) lgkmcnt(0)
	v_fmac_f64_e32 v[118:119], v[126:127], v[122:123]
	;; [unrolled: 9-line block ×20, first 2 shown]
	buffer_load_dword v123, off, s[0:3], 0 offset:444
	buffer_load_dword v122, off, s[0:3], 0 offset:440
	s_waitcnt vmcnt(0)
	v_fmac_f64_e32 v[118:119], v[122:123], v[124:125]
	buffer_load_dword v123, off, s[0:3], 0 offset:452
	buffer_load_dword v122, off, s[0:3], 0 offset:448
	ds_read_b64 v[124:125], v120 offset:912
	s_waitcnt vmcnt(0) lgkmcnt(0)
	v_fmac_f64_e32 v[118:119], v[122:123], v[124:125]
	v_add_f64 v[116:117], v[116:117], -v[118:119]
	buffer_store_dword v117, off, s[0:3], 0 offset:60
	buffer_store_dword v116, off, s[0:3], 0 offset:56
	s_and_saveexec_b64 s[4:5], vcc
	s_cbranch_execz .LBB56_337
; %bb.336:
	buffer_load_dword v116, off, s[0:3], 0 offset:48
	buffer_load_dword v117, off, s[0:3], 0 offset:52
	s_waitcnt vmcnt(0)
	ds_write_b64 v1, v[116:117]
	buffer_store_dword v120, off, s[0:3], 0 offset:48
	buffer_store_dword v120, off, s[0:3], 0 offset:52
.LBB56_337:
	s_or_b64 exec, exec, s[4:5]
	s_waitcnt lgkmcnt(0)
	; wave barrier
	s_waitcnt lgkmcnt(0)
	buffer_load_dword v116, off, s[0:3], 0 offset:48
	buffer_load_dword v117, off, s[0:3], 0 offset:52
	;; [unrolled: 1-line block ×16, first 2 shown]
	ds_read2_b64 v[122:125], v120 offset0:65 offset1:66
	v_cmp_lt_u32_e32 vcc, 5, v0
	s_waitcnt vmcnt(12) lgkmcnt(0)
	v_fma_f64 v[118:119], v[118:119], v[122:123], 0
	s_waitcnt vmcnt(10)
	v_fmac_f64_e32 v[118:119], v[126:127], v[124:125]
	ds_read2_b64 v[122:125], v120 offset0:67 offset1:68
	s_waitcnt vmcnt(8) lgkmcnt(0)
	v_fmac_f64_e32 v[118:119], v[128:129], v[122:123]
	s_waitcnt vmcnt(6)
	v_fmac_f64_e32 v[118:119], v[130:131], v[124:125]
	ds_read2_b64 v[122:125], v120 offset0:69 offset1:70
	s_waitcnt vmcnt(4) lgkmcnt(0)
	v_fmac_f64_e32 v[118:119], v[132:133], v[122:123]
	;; [unrolled: 5-line block ×3, first 2 shown]
	buffer_load_dword v123, off, s[0:3], 0 offset:116
	buffer_load_dword v122, off, s[0:3], 0 offset:112
	buffer_load_dword v127, off, s[0:3], 0 offset:124
	buffer_load_dword v126, off, s[0:3], 0 offset:120
	s_waitcnt vmcnt(2)
	v_fmac_f64_e32 v[118:119], v[122:123], v[124:125]
	ds_read2_b64 v[122:125], v120 offset0:73 offset1:74
	s_waitcnt vmcnt(0) lgkmcnt(0)
	v_fmac_f64_e32 v[118:119], v[126:127], v[122:123]
	buffer_load_dword v123, off, s[0:3], 0 offset:132
	buffer_load_dword v122, off, s[0:3], 0 offset:128
	buffer_load_dword v127, off, s[0:3], 0 offset:140
	buffer_load_dword v126, off, s[0:3], 0 offset:136
	s_waitcnt vmcnt(2)
	v_fmac_f64_e32 v[118:119], v[122:123], v[124:125]
	ds_read2_b64 v[122:125], v120 offset0:75 offset1:76
	s_waitcnt vmcnt(0) lgkmcnt(0)
	v_fmac_f64_e32 v[118:119], v[126:127], v[122:123]
	;; [unrolled: 9-line block ×20, first 2 shown]
	buffer_load_dword v123, off, s[0:3], 0 offset:436
	buffer_load_dword v122, off, s[0:3], 0 offset:432
	s_waitcnt vmcnt(0)
	v_fmac_f64_e32 v[118:119], v[122:123], v[124:125]
	buffer_load_dword v125, off, s[0:3], 0 offset:444
	buffer_load_dword v124, off, s[0:3], 0 offset:440
	ds_read2_b64 v[120:123], v120 offset0:113 offset1:114
	s_waitcnt vmcnt(0) lgkmcnt(0)
	v_fmac_f64_e32 v[118:119], v[124:125], v[120:121]
	buffer_load_dword v121, off, s[0:3], 0 offset:452
	buffer_load_dword v120, off, s[0:3], 0 offset:448
	s_waitcnt vmcnt(0)
	v_fmac_f64_e32 v[118:119], v[120:121], v[122:123]
	v_add_f64 v[116:117], v[116:117], -v[118:119]
	buffer_store_dword v117, off, s[0:3], 0 offset:52
	buffer_store_dword v116, off, s[0:3], 0 offset:48
	s_and_saveexec_b64 s[4:5], vcc
	s_cbranch_execz .LBB56_339
; %bb.338:
	buffer_load_dword v116, off, s[0:3], 0 offset:40
	buffer_load_dword v117, off, s[0:3], 0 offset:44
	v_mov_b32_e32 v118, 0
	buffer_store_dword v118, off, s[0:3], 0 offset:40
	buffer_store_dword v118, off, s[0:3], 0 offset:44
	s_waitcnt vmcnt(2)
	ds_write_b64 v1, v[116:117]
.LBB56_339:
	s_or_b64 exec, exec, s[4:5]
	s_waitcnt lgkmcnt(0)
	; wave barrier
	s_waitcnt lgkmcnt(0)
	buffer_load_dword v116, off, s[0:3], 0 offset:40
	buffer_load_dword v117, off, s[0:3], 0 offset:44
	buffer_load_dword v118, off, s[0:3], 0 offset:48
	buffer_load_dword v119, off, s[0:3], 0 offset:52
	buffer_load_dword v126, off, s[0:3], 0 offset:56
	buffer_load_dword v127, off, s[0:3], 0 offset:60
	buffer_load_dword v128, off, s[0:3], 0 offset:64
	buffer_load_dword v129, off, s[0:3], 0 offset:68
	buffer_load_dword v130, off, s[0:3], 0 offset:72
	buffer_load_dword v131, off, s[0:3], 0 offset:76
	buffer_load_dword v132, off, s[0:3], 0 offset:80
	buffer_load_dword v133, off, s[0:3], 0 offset:84
	buffer_load_dword v134, off, s[0:3], 0 offset:88
	buffer_load_dword v135, off, s[0:3], 0 offset:92
	buffer_load_dword v136, off, s[0:3], 0 offset:96
	buffer_load_dword v137, off, s[0:3], 0 offset:100
	v_mov_b32_e32 v120, 0
	ds_read_b128 v[122:125], v120 offset:512
	v_cmp_lt_u32_e32 vcc, 4, v0
	s_waitcnt vmcnt(12) lgkmcnt(0)
	v_fma_f64 v[118:119], v[118:119], v[122:123], 0
	s_waitcnt vmcnt(10)
	v_fmac_f64_e32 v[118:119], v[126:127], v[124:125]
	ds_read_b128 v[122:125], v120 offset:528
	s_waitcnt vmcnt(8) lgkmcnt(0)
	v_fmac_f64_e32 v[118:119], v[128:129], v[122:123]
	s_waitcnt vmcnt(6)
	v_fmac_f64_e32 v[118:119], v[130:131], v[124:125]
	ds_read_b128 v[122:125], v120 offset:544
	s_waitcnt vmcnt(4) lgkmcnt(0)
	v_fmac_f64_e32 v[118:119], v[132:133], v[122:123]
	;; [unrolled: 5-line block ×3, first 2 shown]
	buffer_load_dword v123, off, s[0:3], 0 offset:108
	buffer_load_dword v122, off, s[0:3], 0 offset:104
	buffer_load_dword v127, off, s[0:3], 0 offset:116
	buffer_load_dword v126, off, s[0:3], 0 offset:112
	s_waitcnt vmcnt(2)
	v_fmac_f64_e32 v[118:119], v[122:123], v[124:125]
	ds_read_b128 v[122:125], v120 offset:576
	s_waitcnt vmcnt(0) lgkmcnt(0)
	v_fmac_f64_e32 v[118:119], v[126:127], v[122:123]
	buffer_load_dword v123, off, s[0:3], 0 offset:124
	buffer_load_dword v122, off, s[0:3], 0 offset:120
	buffer_load_dword v127, off, s[0:3], 0 offset:132
	buffer_load_dword v126, off, s[0:3], 0 offset:128
	s_waitcnt vmcnt(2)
	v_fmac_f64_e32 v[118:119], v[122:123], v[124:125]
	ds_read_b128 v[122:125], v120 offset:592
	s_waitcnt vmcnt(0) lgkmcnt(0)
	v_fmac_f64_e32 v[118:119], v[126:127], v[122:123]
	;; [unrolled: 9-line block ×21, first 2 shown]
	buffer_load_dword v123, off, s[0:3], 0 offset:444
	buffer_load_dword v122, off, s[0:3], 0 offset:440
	s_waitcnt vmcnt(0)
	v_fmac_f64_e32 v[118:119], v[122:123], v[124:125]
	buffer_load_dword v123, off, s[0:3], 0 offset:452
	buffer_load_dword v122, off, s[0:3], 0 offset:448
	ds_read_b64 v[124:125], v120 offset:912
	s_waitcnt vmcnt(0) lgkmcnt(0)
	v_fmac_f64_e32 v[118:119], v[122:123], v[124:125]
	v_add_f64 v[116:117], v[116:117], -v[118:119]
	buffer_store_dword v117, off, s[0:3], 0 offset:44
	buffer_store_dword v116, off, s[0:3], 0 offset:40
	s_and_saveexec_b64 s[4:5], vcc
	s_cbranch_execz .LBB56_341
; %bb.340:
	buffer_load_dword v116, off, s[0:3], 0 offset:32
	buffer_load_dword v117, off, s[0:3], 0 offset:36
	s_waitcnt vmcnt(0)
	ds_write_b64 v1, v[116:117]
	buffer_store_dword v120, off, s[0:3], 0 offset:32
	buffer_store_dword v120, off, s[0:3], 0 offset:36
.LBB56_341:
	s_or_b64 exec, exec, s[4:5]
	s_waitcnt lgkmcnt(0)
	; wave barrier
	s_waitcnt lgkmcnt(0)
	buffer_load_dword v116, off, s[0:3], 0 offset:32
	buffer_load_dword v117, off, s[0:3], 0 offset:36
	;; [unrolled: 1-line block ×16, first 2 shown]
	ds_read2_b64 v[122:125], v120 offset0:63 offset1:64
	v_cmp_lt_u32_e32 vcc, 3, v0
	s_waitcnt vmcnt(12) lgkmcnt(0)
	v_fma_f64 v[118:119], v[118:119], v[122:123], 0
	s_waitcnt vmcnt(10)
	v_fmac_f64_e32 v[118:119], v[126:127], v[124:125]
	ds_read2_b64 v[122:125], v120 offset0:65 offset1:66
	s_waitcnt vmcnt(8) lgkmcnt(0)
	v_fmac_f64_e32 v[118:119], v[128:129], v[122:123]
	s_waitcnt vmcnt(6)
	v_fmac_f64_e32 v[118:119], v[130:131], v[124:125]
	ds_read2_b64 v[122:125], v120 offset0:67 offset1:68
	s_waitcnt vmcnt(4) lgkmcnt(0)
	v_fmac_f64_e32 v[118:119], v[132:133], v[122:123]
	;; [unrolled: 5-line block ×3, first 2 shown]
	buffer_load_dword v123, off, s[0:3], 0 offset:100
	buffer_load_dword v122, off, s[0:3], 0 offset:96
	buffer_load_dword v127, off, s[0:3], 0 offset:108
	buffer_load_dword v126, off, s[0:3], 0 offset:104
	s_waitcnt vmcnt(2)
	v_fmac_f64_e32 v[118:119], v[122:123], v[124:125]
	ds_read2_b64 v[122:125], v120 offset0:71 offset1:72
	s_waitcnt vmcnt(0) lgkmcnt(0)
	v_fmac_f64_e32 v[118:119], v[126:127], v[122:123]
	buffer_load_dword v123, off, s[0:3], 0 offset:116
	buffer_load_dword v122, off, s[0:3], 0 offset:112
	buffer_load_dword v127, off, s[0:3], 0 offset:124
	buffer_load_dword v126, off, s[0:3], 0 offset:120
	s_waitcnt vmcnt(2)
	v_fmac_f64_e32 v[118:119], v[122:123], v[124:125]
	ds_read2_b64 v[122:125], v120 offset0:73 offset1:74
	s_waitcnt vmcnt(0) lgkmcnt(0)
	v_fmac_f64_e32 v[118:119], v[126:127], v[122:123]
	;; [unrolled: 9-line block ×21, first 2 shown]
	buffer_load_dword v123, off, s[0:3], 0 offset:436
	buffer_load_dword v122, off, s[0:3], 0 offset:432
	s_waitcnt vmcnt(0)
	v_fmac_f64_e32 v[118:119], v[122:123], v[124:125]
	buffer_load_dword v125, off, s[0:3], 0 offset:444
	buffer_load_dword v124, off, s[0:3], 0 offset:440
	ds_read2_b64 v[120:123], v120 offset0:113 offset1:114
	s_waitcnt vmcnt(0) lgkmcnt(0)
	v_fmac_f64_e32 v[118:119], v[124:125], v[120:121]
	buffer_load_dword v121, off, s[0:3], 0 offset:452
	buffer_load_dword v120, off, s[0:3], 0 offset:448
	s_waitcnt vmcnt(0)
	v_fmac_f64_e32 v[118:119], v[120:121], v[122:123]
	v_add_f64 v[116:117], v[116:117], -v[118:119]
	buffer_store_dword v117, off, s[0:3], 0 offset:36
	buffer_store_dword v116, off, s[0:3], 0 offset:32
	s_and_saveexec_b64 s[4:5], vcc
	s_cbranch_execz .LBB56_343
; %bb.342:
	buffer_load_dword v116, off, s[0:3], 0 offset:24
	buffer_load_dword v117, off, s[0:3], 0 offset:28
	v_mov_b32_e32 v118, 0
	buffer_store_dword v118, off, s[0:3], 0 offset:24
	buffer_store_dword v118, off, s[0:3], 0 offset:28
	s_waitcnt vmcnt(2)
	ds_write_b64 v1, v[116:117]
.LBB56_343:
	s_or_b64 exec, exec, s[4:5]
	s_waitcnt lgkmcnt(0)
	; wave barrier
	s_waitcnt lgkmcnt(0)
	buffer_load_dword v116, off, s[0:3], 0 offset:24
	buffer_load_dword v117, off, s[0:3], 0 offset:28
	;; [unrolled: 1-line block ×16, first 2 shown]
	v_mov_b32_e32 v120, 0
	ds_read_b128 v[122:125], v120 offset:496
	v_cmp_lt_u32_e32 vcc, 2, v0
	s_waitcnt vmcnt(12) lgkmcnt(0)
	v_fma_f64 v[118:119], v[118:119], v[122:123], 0
	s_waitcnt vmcnt(10)
	v_fmac_f64_e32 v[118:119], v[126:127], v[124:125]
	ds_read_b128 v[122:125], v120 offset:512
	s_waitcnt vmcnt(8) lgkmcnt(0)
	v_fmac_f64_e32 v[118:119], v[128:129], v[122:123]
	s_waitcnt vmcnt(6)
	v_fmac_f64_e32 v[118:119], v[130:131], v[124:125]
	ds_read_b128 v[122:125], v120 offset:528
	s_waitcnt vmcnt(4) lgkmcnt(0)
	v_fmac_f64_e32 v[118:119], v[132:133], v[122:123]
	;; [unrolled: 5-line block ×3, first 2 shown]
	buffer_load_dword v123, off, s[0:3], 0 offset:92
	buffer_load_dword v122, off, s[0:3], 0 offset:88
	buffer_load_dword v127, off, s[0:3], 0 offset:100
	buffer_load_dword v126, off, s[0:3], 0 offset:96
	s_waitcnt vmcnt(2)
	v_fmac_f64_e32 v[118:119], v[122:123], v[124:125]
	ds_read_b128 v[122:125], v120 offset:560
	s_waitcnt vmcnt(0) lgkmcnt(0)
	v_fmac_f64_e32 v[118:119], v[126:127], v[122:123]
	buffer_load_dword v123, off, s[0:3], 0 offset:108
	buffer_load_dword v122, off, s[0:3], 0 offset:104
	buffer_load_dword v127, off, s[0:3], 0 offset:116
	buffer_load_dword v126, off, s[0:3], 0 offset:112
	s_waitcnt vmcnt(2)
	v_fmac_f64_e32 v[118:119], v[122:123], v[124:125]
	ds_read_b128 v[122:125], v120 offset:576
	s_waitcnt vmcnt(0) lgkmcnt(0)
	v_fmac_f64_e32 v[118:119], v[126:127], v[122:123]
	;; [unrolled: 9-line block ×22, first 2 shown]
	buffer_load_dword v123, off, s[0:3], 0 offset:444
	buffer_load_dword v122, off, s[0:3], 0 offset:440
	s_waitcnt vmcnt(0)
	v_fmac_f64_e32 v[118:119], v[122:123], v[124:125]
	buffer_load_dword v123, off, s[0:3], 0 offset:452
	buffer_load_dword v122, off, s[0:3], 0 offset:448
	ds_read_b64 v[124:125], v120 offset:912
	s_waitcnt vmcnt(0) lgkmcnt(0)
	v_fmac_f64_e32 v[118:119], v[122:123], v[124:125]
	v_add_f64 v[116:117], v[116:117], -v[118:119]
	buffer_store_dword v117, off, s[0:3], 0 offset:28
	buffer_store_dword v116, off, s[0:3], 0 offset:24
	s_and_saveexec_b64 s[4:5], vcc
	s_cbranch_execz .LBB56_345
; %bb.344:
	buffer_load_dword v116, off, s[0:3], 0 offset:16
	buffer_load_dword v117, off, s[0:3], 0 offset:20
	s_waitcnt vmcnt(0)
	ds_write_b64 v1, v[116:117]
	buffer_store_dword v120, off, s[0:3], 0 offset:16
	buffer_store_dword v120, off, s[0:3], 0 offset:20
.LBB56_345:
	s_or_b64 exec, exec, s[4:5]
	s_waitcnt lgkmcnt(0)
	; wave barrier
	s_waitcnt lgkmcnt(0)
	buffer_load_dword v116, off, s[0:3], 0 offset:16
	buffer_load_dword v117, off, s[0:3], 0 offset:20
	;; [unrolled: 1-line block ×16, first 2 shown]
	ds_read2_b64 v[122:125], v120 offset0:61 offset1:62
	v_cmp_lt_u32_e32 vcc, 1, v0
	s_waitcnt vmcnt(12) lgkmcnt(0)
	v_fma_f64 v[118:119], v[118:119], v[122:123], 0
	s_waitcnt vmcnt(10)
	v_fmac_f64_e32 v[118:119], v[126:127], v[124:125]
	ds_read2_b64 v[122:125], v120 offset0:63 offset1:64
	s_waitcnt vmcnt(8) lgkmcnt(0)
	v_fmac_f64_e32 v[118:119], v[128:129], v[122:123]
	s_waitcnt vmcnt(6)
	v_fmac_f64_e32 v[118:119], v[130:131], v[124:125]
	ds_read2_b64 v[122:125], v120 offset0:65 offset1:66
	s_waitcnt vmcnt(4) lgkmcnt(0)
	v_fmac_f64_e32 v[118:119], v[132:133], v[122:123]
	;; [unrolled: 5-line block ×3, first 2 shown]
	buffer_load_dword v123, off, s[0:3], 0 offset:84
	buffer_load_dword v122, off, s[0:3], 0 offset:80
	buffer_load_dword v127, off, s[0:3], 0 offset:92
	buffer_load_dword v126, off, s[0:3], 0 offset:88
	s_waitcnt vmcnt(2)
	v_fmac_f64_e32 v[118:119], v[122:123], v[124:125]
	ds_read2_b64 v[122:125], v120 offset0:69 offset1:70
	s_waitcnt vmcnt(0) lgkmcnt(0)
	v_fmac_f64_e32 v[118:119], v[126:127], v[122:123]
	buffer_load_dword v123, off, s[0:3], 0 offset:100
	buffer_load_dword v122, off, s[0:3], 0 offset:96
	buffer_load_dword v127, off, s[0:3], 0 offset:108
	buffer_load_dword v126, off, s[0:3], 0 offset:104
	s_waitcnt vmcnt(2)
	v_fmac_f64_e32 v[118:119], v[122:123], v[124:125]
	ds_read2_b64 v[122:125], v120 offset0:71 offset1:72
	s_waitcnt vmcnt(0) lgkmcnt(0)
	v_fmac_f64_e32 v[118:119], v[126:127], v[122:123]
	;; [unrolled: 9-line block ×22, first 2 shown]
	buffer_load_dword v123, off, s[0:3], 0 offset:436
	buffer_load_dword v122, off, s[0:3], 0 offset:432
	s_waitcnt vmcnt(0)
	v_fmac_f64_e32 v[118:119], v[122:123], v[124:125]
	buffer_load_dword v125, off, s[0:3], 0 offset:444
	buffer_load_dword v124, off, s[0:3], 0 offset:440
	ds_read2_b64 v[120:123], v120 offset0:113 offset1:114
	s_waitcnt vmcnt(0) lgkmcnt(0)
	v_fmac_f64_e32 v[118:119], v[124:125], v[120:121]
	buffer_load_dword v121, off, s[0:3], 0 offset:452
	buffer_load_dword v120, off, s[0:3], 0 offset:448
	s_waitcnt vmcnt(0)
	v_fmac_f64_e32 v[118:119], v[120:121], v[122:123]
	v_add_f64 v[116:117], v[116:117], -v[118:119]
	buffer_store_dword v117, off, s[0:3], 0 offset:20
	buffer_store_dword v116, off, s[0:3], 0 offset:16
	s_and_saveexec_b64 s[4:5], vcc
	s_cbranch_execz .LBB56_347
; %bb.346:
	buffer_load_dword v116, off, s[0:3], 0 offset:8
	buffer_load_dword v117, off, s[0:3], 0 offset:12
	v_mov_b32_e32 v118, 0
	buffer_store_dword v118, off, s[0:3], 0 offset:8
	buffer_store_dword v118, off, s[0:3], 0 offset:12
	s_waitcnt vmcnt(2)
	ds_write_b64 v1, v[116:117]
.LBB56_347:
	s_or_b64 exec, exec, s[4:5]
	s_waitcnt lgkmcnt(0)
	; wave barrier
	s_waitcnt lgkmcnt(0)
	buffer_load_dword v116, off, s[0:3], 0 offset:8
	buffer_load_dword v117, off, s[0:3], 0 offset:12
	;; [unrolled: 1-line block ×16, first 2 shown]
	v_mov_b32_e32 v120, 0
	ds_read_b128 v[122:125], v120 offset:480
	v_cmp_ne_u32_e32 vcc, 0, v0
	s_waitcnt vmcnt(12) lgkmcnt(0)
	v_fma_f64 v[118:119], v[118:119], v[122:123], 0
	s_waitcnt vmcnt(10)
	v_fmac_f64_e32 v[118:119], v[126:127], v[124:125]
	ds_read_b128 v[122:125], v120 offset:496
	s_waitcnt vmcnt(8) lgkmcnt(0)
	v_fmac_f64_e32 v[118:119], v[128:129], v[122:123]
	s_waitcnt vmcnt(6)
	v_fmac_f64_e32 v[118:119], v[130:131], v[124:125]
	ds_read_b128 v[122:125], v120 offset:512
	s_waitcnt vmcnt(4) lgkmcnt(0)
	v_fmac_f64_e32 v[118:119], v[132:133], v[122:123]
	s_waitcnt vmcnt(2)
	v_fmac_f64_e32 v[118:119], v[134:135], v[124:125]
	ds_read_b128 v[122:125], v120 offset:528
	s_waitcnt vmcnt(0) lgkmcnt(0)
	v_fmac_f64_e32 v[118:119], v[136:137], v[122:123]
	buffer_load_dword v123, off, s[0:3], 0 offset:76
	buffer_load_dword v122, off, s[0:3], 0 offset:72
	buffer_load_dword v127, off, s[0:3], 0 offset:84
	buffer_load_dword v126, off, s[0:3], 0 offset:80
	s_waitcnt vmcnt(2)
	v_fmac_f64_e32 v[118:119], v[122:123], v[124:125]
	ds_read_b128 v[122:125], v120 offset:544
	s_waitcnt vmcnt(0) lgkmcnt(0)
	v_fmac_f64_e32 v[118:119], v[126:127], v[122:123]
	buffer_load_dword v123, off, s[0:3], 0 offset:92
	buffer_load_dword v122, off, s[0:3], 0 offset:88
	buffer_load_dword v127, off, s[0:3], 0 offset:100
	buffer_load_dword v126, off, s[0:3], 0 offset:96
	s_waitcnt vmcnt(2)
	v_fmac_f64_e32 v[118:119], v[122:123], v[124:125]
	ds_read_b128 v[122:125], v120 offset:560
	s_waitcnt vmcnt(0) lgkmcnt(0)
	v_fmac_f64_e32 v[118:119], v[126:127], v[122:123]
	;; [unrolled: 9-line block ×23, first 2 shown]
	buffer_load_dword v123, off, s[0:3], 0 offset:444
	buffer_load_dword v122, off, s[0:3], 0 offset:440
	s_waitcnt vmcnt(0)
	v_fmac_f64_e32 v[118:119], v[122:123], v[124:125]
	buffer_load_dword v123, off, s[0:3], 0 offset:452
	buffer_load_dword v122, off, s[0:3], 0 offset:448
	ds_read_b64 v[124:125], v120 offset:912
	s_waitcnt vmcnt(0) lgkmcnt(0)
	v_fmac_f64_e32 v[118:119], v[122:123], v[124:125]
	v_add_f64 v[116:117], v[116:117], -v[118:119]
	buffer_store_dword v117, off, s[0:3], 0 offset:12
	buffer_store_dword v116, off, s[0:3], 0 offset:8
	s_and_saveexec_b64 s[4:5], vcc
	s_cbranch_execz .LBB56_349
; %bb.348:
	buffer_load_dword v116, off, s[0:3], 0
	buffer_load_dword v117, off, s[0:3], 0 offset:4
	s_waitcnt vmcnt(0)
	ds_write_b64 v1, v[116:117]
	buffer_store_dword v120, off, s[0:3], 0
	buffer_store_dword v120, off, s[0:3], 0 offset:4
.LBB56_349:
	s_or_b64 exec, exec, s[4:5]
	s_waitcnt lgkmcnt(0)
	; wave barrier
	s_waitcnt lgkmcnt(0)
	buffer_load_dword v0, off, s[0:3], 0
	buffer_load_dword v1, off, s[0:3], 0 offset:4
	buffer_load_dword v122, off, s[0:3], 0 offset:8
	;; [unrolled: 1-line block ×15, first 2 shown]
	ds_read2_b64 v[116:119], v120 offset0:59 offset1:60
	s_and_b64 vcc, exec, s[20:21]
	s_waitcnt vmcnt(12) lgkmcnt(0)
	v_fma_f64 v[116:117], v[122:123], v[116:117], 0
	s_waitcnt vmcnt(10)
	v_fmac_f64_e32 v[116:117], v[124:125], v[118:119]
	ds_read2_b64 v[122:125], v120 offset0:61 offset1:62
	s_waitcnt vmcnt(8) lgkmcnt(0)
	v_fmac_f64_e32 v[116:117], v[126:127], v[122:123]
	s_waitcnt vmcnt(6)
	v_fmac_f64_e32 v[116:117], v[128:129], v[124:125]
	ds_read2_b64 v[122:125], v120 offset0:63 offset1:64
	s_waitcnt vmcnt(4) lgkmcnt(0)
	v_fmac_f64_e32 v[116:117], v[130:131], v[122:123]
	s_waitcnt vmcnt(2)
	v_fmac_f64_e32 v[116:117], v[132:133], v[124:125]
	ds_read2_b64 v[122:125], v120 offset0:65 offset1:66
	buffer_load_dword v119, off, s[0:3], 0 offset:68
	buffer_load_dword v118, off, s[0:3], 0 offset:64
	s_waitcnt vmcnt(2) lgkmcnt(0)
	v_fmac_f64_e32 v[116:117], v[134:135], v[122:123]
	s_waitcnt vmcnt(0)
	v_fmac_f64_e32 v[116:117], v[118:119], v[124:125]
	buffer_load_dword v119, off, s[0:3], 0 offset:76
	buffer_load_dword v118, off, s[0:3], 0 offset:72
	ds_read2_b64 v[122:125], v120 offset0:67 offset1:68
	s_waitcnt vmcnt(0) lgkmcnt(0)
	v_fmac_f64_e32 v[116:117], v[118:119], v[122:123]
	buffer_load_dword v119, off, s[0:3], 0 offset:84
	buffer_load_dword v118, off, s[0:3], 0 offset:80
	s_waitcnt vmcnt(0)
	v_fmac_f64_e32 v[116:117], v[118:119], v[124:125]
	buffer_load_dword v119, off, s[0:3], 0 offset:92
	buffer_load_dword v118, off, s[0:3], 0 offset:88
	ds_read2_b64 v[122:125], v120 offset0:69 offset1:70
	s_waitcnt vmcnt(0) lgkmcnt(0)
	v_fmac_f64_e32 v[116:117], v[118:119], v[122:123]
	buffer_load_dword v119, off, s[0:3], 0 offset:100
	buffer_load_dword v118, off, s[0:3], 0 offset:96
	;; [unrolled: 9-line block ×24, first 2 shown]
	s_waitcnt vmcnt(0)
	v_fmac_f64_e32 v[116:117], v[120:121], v[122:123]
	v_add_f64 v[0:1], v[0:1], -v[116:117]
	buffer_store_dword v1, off, s[0:3], 0 offset:4
	buffer_store_dword v0, off, s[0:3], 0
	s_cbranch_vccz .LBB56_463
; %bb.350:
	v_pk_mov_b32 v[0:1], s[10:11], s[10:11] op_sel:[0,1]
	flat_load_dword v0, v[0:1] offset:220
	s_waitcnt vmcnt(0) lgkmcnt(0)
	v_add_u32_e32 v0, -1, v0
	v_cmp_ne_u32_e32 vcc, 55, v0
	s_and_saveexec_b64 s[4:5], vcc
	s_cbranch_execz .LBB56_352
; %bb.351:
	v_mov_b32_e32 v1, 0
	v_lshl_add_u32 v0, v0, 3, v1
	buffer_load_dword v1, v0, s[0:3], 0 offen
	buffer_load_dword v116, v0, s[0:3], 0 offen offset:4
	s_waitcnt vmcnt(1)
	buffer_store_dword v1, off, s[0:3], 0 offset:440
	s_waitcnt vmcnt(1)
	buffer_store_dword v116, off, s[0:3], 0 offset:444
	buffer_store_dword v118, v0, s[0:3], 0 offen
	buffer_store_dword v119, v0, s[0:3], 0 offen offset:4
.LBB56_352:
	s_or_b64 exec, exec, s[4:5]
	v_pk_mov_b32 v[0:1], s[10:11], s[10:11] op_sel:[0,1]
	flat_load_dword v0, v[0:1] offset:216
	s_waitcnt vmcnt(0) lgkmcnt(0)
	v_add_u32_e32 v0, -1, v0
	v_cmp_ne_u32_e32 vcc, 54, v0
	s_and_saveexec_b64 s[4:5], vcc
	s_cbranch_execz .LBB56_354
; %bb.353:
	v_mov_b32_e32 v1, 0
	v_lshl_add_u32 v0, v0, 3, v1
	buffer_load_dword v1, v0, s[0:3], 0 offen
	buffer_load_dword v116, v0, s[0:3], 0 offen offset:4
	buffer_load_dword v117, off, s[0:3], 0 offset:436
	buffer_load_dword v118, off, s[0:3], 0 offset:432
	s_waitcnt vmcnt(3)
	buffer_store_dword v1, off, s[0:3], 0 offset:432
	s_waitcnt vmcnt(3)
	buffer_store_dword v116, off, s[0:3], 0 offset:436
	s_waitcnt vmcnt(3)
	buffer_store_dword v117, v0, s[0:3], 0 offen offset:4
	s_waitcnt vmcnt(3)
	buffer_store_dword v118, v0, s[0:3], 0 offen
.LBB56_354:
	s_or_b64 exec, exec, s[4:5]
	v_pk_mov_b32 v[0:1], s[10:11], s[10:11] op_sel:[0,1]
	flat_load_dword v0, v[0:1] offset:212
	s_waitcnt vmcnt(0) lgkmcnt(0)
	v_add_u32_e32 v0, -1, v0
	v_cmp_ne_u32_e32 vcc, 53, v0
	s_and_saveexec_b64 s[4:5], vcc
	s_cbranch_execz .LBB56_356
; %bb.355:
	v_mov_b32_e32 v1, 0
	v_lshl_add_u32 v0, v0, 3, v1
	buffer_load_dword v1, v0, s[0:3], 0 offen
	buffer_load_dword v116, v0, s[0:3], 0 offen offset:4
	buffer_load_dword v117, off, s[0:3], 0 offset:424
	buffer_load_dword v118, off, s[0:3], 0 offset:428
	s_waitcnt vmcnt(3)
	buffer_store_dword v1, off, s[0:3], 0 offset:424
	s_waitcnt vmcnt(3)
	buffer_store_dword v116, off, s[0:3], 0 offset:428
	s_waitcnt vmcnt(3)
	buffer_store_dword v117, v0, s[0:3], 0 offen
	s_waitcnt vmcnt(3)
	buffer_store_dword v118, v0, s[0:3], 0 offen offset:4
.LBB56_356:
	s_or_b64 exec, exec, s[4:5]
	v_pk_mov_b32 v[0:1], s[10:11], s[10:11] op_sel:[0,1]
	flat_load_dword v0, v[0:1] offset:208
	s_waitcnt vmcnt(0) lgkmcnt(0)
	v_add_u32_e32 v0, -1, v0
	v_cmp_ne_u32_e32 vcc, 52, v0
	s_and_saveexec_b64 s[4:5], vcc
	s_cbranch_execz .LBB56_358
; %bb.357:
	v_mov_b32_e32 v1, 0
	v_lshl_add_u32 v0, v0, 3, v1
	buffer_load_dword v1, v0, s[0:3], 0 offen
	buffer_load_dword v116, v0, s[0:3], 0 offen offset:4
	buffer_load_dword v117, off, s[0:3], 0 offset:420
	buffer_load_dword v118, off, s[0:3], 0 offset:416
	s_waitcnt vmcnt(3)
	buffer_store_dword v1, off, s[0:3], 0 offset:416
	s_waitcnt vmcnt(3)
	buffer_store_dword v116, off, s[0:3], 0 offset:420
	s_waitcnt vmcnt(3)
	buffer_store_dword v117, v0, s[0:3], 0 offen offset:4
	s_waitcnt vmcnt(3)
	buffer_store_dword v118, v0, s[0:3], 0 offen
.LBB56_358:
	s_or_b64 exec, exec, s[4:5]
	v_pk_mov_b32 v[0:1], s[10:11], s[10:11] op_sel:[0,1]
	flat_load_dword v0, v[0:1] offset:204
	s_waitcnt vmcnt(0) lgkmcnt(0)
	v_add_u32_e32 v0, -1, v0
	v_cmp_ne_u32_e32 vcc, 51, v0
	s_and_saveexec_b64 s[4:5], vcc
	s_cbranch_execz .LBB56_360
; %bb.359:
	v_mov_b32_e32 v1, 0
	v_lshl_add_u32 v0, v0, 3, v1
	buffer_load_dword v1, v0, s[0:3], 0 offen
	buffer_load_dword v116, v0, s[0:3], 0 offen offset:4
	buffer_load_dword v117, off, s[0:3], 0 offset:408
	buffer_load_dword v118, off, s[0:3], 0 offset:412
	s_waitcnt vmcnt(3)
	buffer_store_dword v1, off, s[0:3], 0 offset:408
	s_waitcnt vmcnt(3)
	buffer_store_dword v116, off, s[0:3], 0 offset:412
	s_waitcnt vmcnt(3)
	buffer_store_dword v117, v0, s[0:3], 0 offen
	s_waitcnt vmcnt(3)
	buffer_store_dword v118, v0, s[0:3], 0 offen offset:4
.LBB56_360:
	;; [unrolled: 48-line block ×27, first 2 shown]
	s_or_b64 exec, exec, s[4:5]
	v_pk_mov_b32 v[0:1], s[10:11], s[10:11] op_sel:[0,1]
	flat_load_dword v116, v[0:1]
	s_nop 0
	buffer_load_dword v0, off, s[0:3], 0
	buffer_load_dword v1, off, s[0:3], 0 offset:4
	s_waitcnt vmcnt(0) lgkmcnt(0)
	v_add_u32_e32 v116, -1, v116
	v_cmp_ne_u32_e32 vcc, 0, v116
	s_and_saveexec_b64 s[4:5], vcc
	s_cbranch_execz .LBB56_462
; %bb.461:
	v_mov_b32_e32 v117, 0
	v_lshl_add_u32 v116, v116, 3, v117
	buffer_load_dword v117, v116, s[0:3], 0 offen offset:4
	buffer_load_dword v118, v116, s[0:3], 0 offen
	s_waitcnt vmcnt(1)
	buffer_store_dword v117, off, s[0:3], 0 offset:4
	s_waitcnt vmcnt(1)
	buffer_store_dword v118, off, s[0:3], 0
	buffer_store_dword v1, v116, s[0:3], 0 offen offset:4
	buffer_store_dword v0, v116, s[0:3], 0 offen
	buffer_load_dword v0, off, s[0:3], 0
	s_nop 0
	buffer_load_dword v1, off, s[0:3], 0 offset:4
.LBB56_462:
	s_or_b64 exec, exec, s[4:5]
.LBB56_463:
	s_waitcnt vmcnt(0)
	global_store_dwordx2 v[114:115], v[0:1], off
	buffer_load_dword v0, off, s[0:3], 0 offset:8
	s_nop 0
	buffer_load_dword v1, off, s[0:3], 0 offset:12
	buffer_load_dword v114, off, s[0:3], 0 offset:16
	;; [unrolled: 1-line block ×15, first 2 shown]
	s_waitcnt vmcnt(14)
	global_store_dwordx2 v[112:113], v[0:1], off
	s_waitcnt vmcnt(13)
	global_store_dwordx2 v[2:3], v[114:115], off
	;; [unrolled: 2-line block ×8, first 2 shown]
	buffer_load_dword v0, off, s[0:3], 0 offset:72
	buffer_load_dword v1, off, s[0:3], 0 offset:76
	s_waitcnt vmcnt(0)
	global_store_dwordx2 v[14:15], v[0:1], off
	buffer_load_dword v0, off, s[0:3], 0 offset:80
	s_nop 0
	buffer_load_dword v1, off, s[0:3], 0 offset:84
	s_waitcnt vmcnt(0)
	global_store_dwordx2 v[16:17], v[0:1], off
	buffer_load_dword v0, off, s[0:3], 0 offset:88
	s_nop 0
	;; [unrolled: 5-line block ×47, first 2 shown]
	buffer_load_dword v1, off, s[0:3], 0 offset:452
	s_waitcnt vmcnt(0)
	global_store_dwordx2 v[102:103], v[0:1], off
	s_endpgm
	.section	.rodata,"a",@progbits
	.p2align	6, 0x0
	.amdhsa_kernel _ZN9rocsolver6v33100L18getri_kernel_smallILi57EdPdEEvT1_iilPiilS4_bb
		.amdhsa_group_segment_fixed_size 920
		.amdhsa_private_segment_fixed_size 464
		.amdhsa_kernarg_size 60
		.amdhsa_user_sgpr_count 8
		.amdhsa_user_sgpr_private_segment_buffer 1
		.amdhsa_user_sgpr_dispatch_ptr 0
		.amdhsa_user_sgpr_queue_ptr 0
		.amdhsa_user_sgpr_kernarg_segment_ptr 1
		.amdhsa_user_sgpr_dispatch_id 0
		.amdhsa_user_sgpr_flat_scratch_init 1
		.amdhsa_user_sgpr_kernarg_preload_length 0
		.amdhsa_user_sgpr_kernarg_preload_offset 0
		.amdhsa_user_sgpr_private_segment_size 0
		.amdhsa_uses_dynamic_stack 0
		.amdhsa_system_sgpr_private_segment_wavefront_offset 1
		.amdhsa_system_sgpr_workgroup_id_x 1
		.amdhsa_system_sgpr_workgroup_id_y 0
		.amdhsa_system_sgpr_workgroup_id_z 0
		.amdhsa_system_sgpr_workgroup_info 0
		.amdhsa_system_vgpr_workitem_id 0
		.amdhsa_next_free_vgpr 168
		.amdhsa_next_free_sgpr 23
		.amdhsa_accum_offset 168
		.amdhsa_reserve_vcc 1
		.amdhsa_reserve_flat_scratch 1
		.amdhsa_float_round_mode_32 0
		.amdhsa_float_round_mode_16_64 0
		.amdhsa_float_denorm_mode_32 3
		.amdhsa_float_denorm_mode_16_64 3
		.amdhsa_dx10_clamp 1
		.amdhsa_ieee_mode 1
		.amdhsa_fp16_overflow 0
		.amdhsa_tg_split 0
		.amdhsa_exception_fp_ieee_invalid_op 0
		.amdhsa_exception_fp_denorm_src 0
		.amdhsa_exception_fp_ieee_div_zero 0
		.amdhsa_exception_fp_ieee_overflow 0
		.amdhsa_exception_fp_ieee_underflow 0
		.amdhsa_exception_fp_ieee_inexact 0
		.amdhsa_exception_int_div_zero 0
	.end_amdhsa_kernel
	.section	.text._ZN9rocsolver6v33100L18getri_kernel_smallILi57EdPdEEvT1_iilPiilS4_bb,"axG",@progbits,_ZN9rocsolver6v33100L18getri_kernel_smallILi57EdPdEEvT1_iilPiilS4_bb,comdat
.Lfunc_end56:
	.size	_ZN9rocsolver6v33100L18getri_kernel_smallILi57EdPdEEvT1_iilPiilS4_bb, .Lfunc_end56-_ZN9rocsolver6v33100L18getri_kernel_smallILi57EdPdEEvT1_iilPiilS4_bb
                                        ; -- End function
	.section	.AMDGPU.csdata,"",@progbits
; Kernel info:
; codeLenInByte = 74616
; NumSgprs: 29
; NumVgprs: 168
; NumAgprs: 0
; TotalNumVgprs: 168
; ScratchSize: 464
; MemoryBound: 1
; FloatMode: 240
; IeeeMode: 1
; LDSByteSize: 920 bytes/workgroup (compile time only)
; SGPRBlocks: 3
; VGPRBlocks: 20
; NumSGPRsForWavesPerEU: 29
; NumVGPRsForWavesPerEU: 168
; AccumOffset: 168
; Occupancy: 3
; WaveLimiterHint : 1
; COMPUTE_PGM_RSRC2:SCRATCH_EN: 1
; COMPUTE_PGM_RSRC2:USER_SGPR: 8
; COMPUTE_PGM_RSRC2:TRAP_HANDLER: 0
; COMPUTE_PGM_RSRC2:TGID_X_EN: 1
; COMPUTE_PGM_RSRC2:TGID_Y_EN: 0
; COMPUTE_PGM_RSRC2:TGID_Z_EN: 0
; COMPUTE_PGM_RSRC2:TIDIG_COMP_CNT: 0
; COMPUTE_PGM_RSRC3_GFX90A:ACCUM_OFFSET: 41
; COMPUTE_PGM_RSRC3_GFX90A:TG_SPLIT: 0
	.section	.text._ZN9rocsolver6v33100L18getri_kernel_smallILi58EdPdEEvT1_iilPiilS4_bb,"axG",@progbits,_ZN9rocsolver6v33100L18getri_kernel_smallILi58EdPdEEvT1_iilPiilS4_bb,comdat
	.globl	_ZN9rocsolver6v33100L18getri_kernel_smallILi58EdPdEEvT1_iilPiilS4_bb ; -- Begin function _ZN9rocsolver6v33100L18getri_kernel_smallILi58EdPdEEvT1_iilPiilS4_bb
	.p2align	8
	.type	_ZN9rocsolver6v33100L18getri_kernel_smallILi58EdPdEEvT1_iilPiilS4_bb,@function
_ZN9rocsolver6v33100L18getri_kernel_smallILi58EdPdEEvT1_iilPiilS4_bb: ; @_ZN9rocsolver6v33100L18getri_kernel_smallILi58EdPdEEvT1_iilPiilS4_bb
; %bb.0:
	s_add_u32 flat_scratch_lo, s6, s9
	s_addc_u32 flat_scratch_hi, s7, 0
	s_add_u32 s0, s0, s9
	s_addc_u32 s1, s1, 0
	v_cmp_gt_u32_e32 vcc, 58, v0
	s_and_saveexec_b64 s[6:7], vcc
	s_cbranch_execz .LBB57_240
; %bb.1:
	s_load_dword s22, s[4:5], 0x38
	s_load_dwordx4 s[16:19], s[4:5], 0x10
	s_load_dwordx4 s[12:15], s[4:5], 0x28
                                        ; implicit-def: $sgpr10_sgpr11
	s_waitcnt lgkmcnt(0)
	s_bitcmp1_b32 s22, 8
	s_cselect_b64 s[20:21], -1, 0
	s_ashr_i32 s9, s8, 31
	s_bfe_u32 s6, s22, 0x10008
	s_cmp_eq_u32 s6, 0
	s_cbranch_scc1 .LBB57_3
; %bb.2:
	s_load_dword s6, s[4:5], 0x20
	s_mul_i32 s7, s8, s13
	s_mul_hi_u32 s10, s8, s12
	s_mul_i32 s11, s9, s12
	s_add_i32 s10, s10, s7
	s_add_i32 s11, s10, s11
	s_mul_i32 s10, s8, s12
	s_waitcnt lgkmcnt(0)
	s_ashr_i32 s7, s6, 31
	s_lshl_b64 s[10:11], s[10:11], 2
	s_add_u32 s10, s18, s10
	s_addc_u32 s11, s19, s11
	s_lshl_b64 s[6:7], s[6:7], 2
	s_add_u32 s10, s10, s6
	s_addc_u32 s11, s11, s7
.LBB57_3:
	s_load_dwordx4 s[4:7], s[4:5], 0x0
	s_mul_i32 s12, s8, s17
	s_mul_hi_u32 s13, s8, s16
	s_add_i32 s17, s13, s12
	s_waitcnt lgkmcnt(0)
	s_ashr_i32 s13, s6, 31
	s_mov_b32 s12, s6
	s_mul_i32 s6, s9, s16
	s_add_i32 s17, s17, s6
	s_mul_i32 s16, s8, s16
	s_lshl_b64 s[16:17], s[16:17], 3
	s_add_u32 s6, s4, s16
	s_addc_u32 s16, s5, s17
	s_lshl_b64 s[4:5], s[12:13], 3
	s_add_u32 s4, s6, s4
	s_addc_u32 s5, s16, s5
	s_add_i32 s6, s7, s7
	v_add_u32_e32 v4, s6, v0
	v_ashrrev_i32_e32 v5, 31, v4
	v_lshlrev_b64 v[2:3], 3, v[4:5]
	v_add_u32_e32 v6, s7, v4
	v_mov_b32_e32 v1, s5
	v_add_co_u32_e32 v2, vcc, s4, v2
	v_ashrrev_i32_e32 v7, 31, v6
	v_addc_co_u32_e32 v3, vcc, v1, v3, vcc
	v_lshlrev_b64 v[4:5], 3, v[6:7]
	v_add_u32_e32 v8, s7, v6
	v_add_co_u32_e32 v4, vcc, s4, v4
	v_ashrrev_i32_e32 v9, 31, v8
	v_addc_co_u32_e32 v5, vcc, v1, v5, vcc
	v_lshlrev_b64 v[6:7], 3, v[8:9]
	v_add_u32_e32 v10, s7, v8
	;; [unrolled: 5-line block ×5, first 2 shown]
	v_add_co_u32_e32 v12, vcc, s4, v12
	v_ashrrev_i32_e32 v15, 31, v14
	v_addc_co_u32_e32 v13, vcc, v1, v13, vcc
	v_lshlrev_b64 v[16:17], 3, v[14:15]
	v_add_co_u32_e32 v18, vcc, s4, v16
	v_add_u32_e32 v16, s7, v14
	v_addc_co_u32_e32 v19, vcc, v1, v17, vcc
	v_ashrrev_i32_e32 v17, 31, v16
	v_lshlrev_b64 v[14:15], 3, v[16:17]
	v_add_u32_e32 v20, s7, v16
	v_add_co_u32_e32 v14, vcc, s4, v14
	v_ashrrev_i32_e32 v21, 31, v20
	v_addc_co_u32_e32 v15, vcc, v1, v15, vcc
	v_lshlrev_b64 v[16:17], 3, v[20:21]
	v_add_u32_e32 v22, s7, v20
	v_add_co_u32_e32 v16, vcc, s4, v16
	v_ashrrev_i32_e32 v23, 31, v22
	v_addc_co_u32_e32 v17, vcc, v1, v17, vcc
	;; [unrolled: 5-line block ×40, first 2 shown]
	v_lshlrev_b64 v[96:97], 3, v[98:99]
	v_add_co_u32_e32 v96, vcc, s4, v96
	v_add_u32_e32 v98, s7, v98
	v_addc_co_u32_e32 v97, vcc, v1, v97, vcc
	v_ashrrev_i32_e32 v99, 31, v98
	v_lshlrev_b32_e32 v1, 3, v0
	v_lshlrev_b64 v[100:101], 3, v[98:99]
	v_mov_b32_e32 v99, s5
	v_add_co_u32_e32 v116, vcc, s4, v1
	s_ashr_i32 s13, s7, 31
	s_mov_b32 s12, s7
	v_addc_co_u32_e32 v117, vcc, 0, v99, vcc
	s_lshl_b64 s[12:13], s[12:13], 3
	v_mov_b32_e32 v99, s13
	v_add_co_u32_e32 v114, vcc, s12, v116
	global_load_dwordx2 v[118:119], v1, s[4:5]
	global_load_dwordx2 v[122:123], v[2:3], off
	global_load_dwordx2 v[124:125], v[4:5], off
	;; [unrolled: 1-line block ×3, first 2 shown]
	v_addc_co_u32_e32 v115, vcc, v117, v99, vcc
	global_load_dwordx2 v[120:121], v[114:115], off
	global_load_dwordx2 v[128:129], v[8:9], off
	;; [unrolled: 1-line block ×9, first 2 shown]
	v_add_u32_e32 v98, s7, v98
	v_mov_b32_e32 v102, s5
	v_add_co_u32_e32 v100, vcc, s4, v100
	v_ashrrev_i32_e32 v99, 31, v98
	v_addc_co_u32_e32 v101, vcc, v102, v101, vcc
	v_lshlrev_b64 v[102:103], 3, v[98:99]
	v_add_u32_e32 v98, s7, v98
	v_mov_b32_e32 v104, s5
	v_add_co_u32_e32 v102, vcc, s4, v102
	v_ashrrev_i32_e32 v99, 31, v98
	v_addc_co_u32_e32 v103, vcc, v104, v103, vcc
	v_lshlrev_b64 v[104:105], 3, v[98:99]
	;; [unrolled: 6-line block ×7, first 2 shown]
	v_mov_b32_e32 v152, s5
	v_add_co_u32_e32 v98, vcc, s4, v98
	global_load_dwordx2 v[144:145], v[24:25], off
	global_load_dwordx2 v[146:147], v[26:27], off
	;; [unrolled: 1-line block ×4, first 2 shown]
	v_addc_co_u32_e32 v99, vcc, v152, v99, vcc
	global_load_dwordx2 v[152:153], v[32:33], off
	global_load_dwordx2 v[154:155], v[98:99], off
	;; [unrolled: 1-line block ×6, first 2 shown]
	s_bitcmp0_b32 s22, 0
	s_waitcnt vmcnt(21)
	buffer_store_dword v123, off, s[0:3], 0 offset:20
	buffer_store_dword v122, off, s[0:3], 0 offset:16
	global_load_dwordx2 v[122:123], v[46:47], off
	s_mov_b64 s[6:7], -1
	buffer_store_dword v119, off, s[0:3], 0 offset:4
	buffer_store_dword v118, off, s[0:3], 0
	global_load_dwordx2 v[118:119], v[38:39], off
	s_waitcnt vmcnt(24)
	buffer_store_dword v121, off, s[0:3], 0 offset:12
	buffer_store_dword v120, off, s[0:3], 0 offset:8
	global_load_dwordx2 v[120:121], v[42:43], off
	s_nop 0
	buffer_store_dword v125, off, s[0:3], 0 offset:28
	buffer_store_dword v124, off, s[0:3], 0 offset:24
	global_load_dwordx2 v[124:125], v[48:49], off
	s_nop 0
	buffer_store_dword v127, off, s[0:3], 0 offset:36
	buffer_store_dword v126, off, s[0:3], 0 offset:32
	global_load_dwordx2 v[126:127], v[50:51], off
	s_waitcnt vmcnt(32)
	buffer_store_dword v129, off, s[0:3], 0 offset:44
	buffer_store_dword v128, off, s[0:3], 0 offset:40
	global_load_dwordx2 v[128:129], v[52:53], off
	s_waitcnt vmcnt(34)
	buffer_store_dword v131, off, s[0:3], 0 offset:52
	buffer_store_dword v130, off, s[0:3], 0 offset:48
	global_load_dwordx2 v[130:131], v[54:55], off
	s_waitcnt vmcnt(36)
	buffer_store_dword v133, off, s[0:3], 0 offset:60
	buffer_store_dword v132, off, s[0:3], 0 offset:56
	global_load_dwordx2 v[132:133], v[56:57], off
	s_waitcnt vmcnt(36)
	buffer_store_dword v135, off, s[0:3], 0 offset:68
	buffer_store_dword v134, off, s[0:3], 0 offset:64
	global_load_dwordx2 v[134:135], v[58:59], off
	s_nop 0
	buffer_store_dword v136, off, s[0:3], 0 offset:72
	buffer_store_dword v137, off, s[0:3], 0 offset:76
	global_load_dwordx2 v[136:137], v[60:61], off
	s_nop 0
	buffer_store_dword v138, off, s[0:3], 0 offset:80
	buffer_store_dword v139, off, s[0:3], 0 offset:84
	global_load_dwordx2 v[138:139], v[62:63], off
	s_waitcnt vmcnt(44)
	buffer_store_dword v140, off, s[0:3], 0 offset:88
	buffer_store_dword v141, off, s[0:3], 0 offset:92
	global_load_dwordx2 v[140:141], v[64:65], off
	s_waitcnt vmcnt(46)
	;; [unrolled: 4-line block ×3, first 2 shown]
	buffer_store_dword v144, off, s[0:3], 0 offset:104
	buffer_store_dword v145, off, s[0:3], 0 offset:108
	s_waitcnt vmcnt(49)
	buffer_store_dword v147, off, s[0:3], 0 offset:116
	buffer_store_dword v146, off, s[0:3], 0 offset:112
	s_waitcnt vmcnt(50)
	;; [unrolled: 3-line block ×7, first 2 shown]
	buffer_store_dword v119, off, s[0:3], 0 offset:164
	buffer_store_dword v118, off, s[0:3], 0 offset:160
	;; [unrolled: 1-line block ×4, first 2 shown]
	s_waitcnt vmcnt(48)
	buffer_store_dword v120, off, s[0:3], 0 offset:176
	buffer_store_dword v121, off, s[0:3], 0 offset:180
	;; [unrolled: 1-line block ×5, first 2 shown]
	global_load_dwordx2 v[118:119], v[68:69], off
	s_nop 0
	global_load_dwordx2 v[120:121], v[70:71], off
	global_load_dwordx2 v[144:145], v[76:77], off
	;; [unrolled: 1-line block ×10, first 2 shown]
	s_nop 0
	buffer_store_dword v123, off, s[0:3], 0 offset:196
	global_load_dwordx2 v[122:123], v[72:73], off
	s_waitcnt vmcnt(62)
	buffer_store_dword v125, off, s[0:3], 0 offset:204
	buffer_store_dword v124, off, s[0:3], 0 offset:200
	global_load_dwordx2 v[124:125], v[74:75], off
	s_waitcnt vmcnt(62)
	buffer_store_dword v127, off, s[0:3], 0 offset:212
	;; [unrolled: 4-line block ×11, first 2 shown]
	buffer_store_dword v119, off, s[0:3], 0 offset:284
	s_waitcnt vmcnt(43)
	buffer_store_dword v120, off, s[0:3], 0 offset:288
	buffer_store_dword v121, off, s[0:3], 0 offset:292
	s_waitcnt vmcnt(34)
	buffer_store_dword v123, off, s[0:3], 0 offset:300
	;; [unrolled: 3-line block ×3, first 2 shown]
	buffer_store_dword v124, off, s[0:3], 0 offset:304
	buffer_store_dword v144, off, s[0:3], 0 offset:312
	buffer_store_dword v145, off, s[0:3], 0 offset:316
	s_waitcnt vmcnt(34)
	buffer_store_dword v126, off, s[0:3], 0 offset:320
	buffer_store_dword v127, off, s[0:3], 0 offset:324
	buffer_store_dword v146, off, s[0:3], 0 offset:328
	buffer_store_dword v147, off, s[0:3], 0 offset:332
	s_waitcnt vmcnt(35)
	buffer_store_dword v128, off, s[0:3], 0 offset:336
	;; [unrolled: 5-line block ×9, first 2 shown]
	buffer_store_dword v142, off, s[0:3], 0 offset:448
	buffer_store_dword v154, off, s[0:3], 0 offset:456
	;; [unrolled: 1-line block ×3, first 2 shown]
	s_cbranch_scc1 .LBB57_238
; %bb.4:
	v_cmp_eq_u32_e64 s[4:5], 0, v0
	s_and_saveexec_b64 s[6:7], s[4:5]
	s_cbranch_execz .LBB57_6
; %bb.5:
	v_mov_b32_e32 v118, 0
	ds_write_b32 v118, v118 offset:928
.LBB57_6:
	s_or_b64 exec, exec, s[6:7]
	v_mov_b32_e32 v118, 0
	v_lshl_add_u32 v118, v0, 3, v118
	s_waitcnt lgkmcnt(0)
	; wave barrier
	s_waitcnt lgkmcnt(0)
	buffer_load_dword v120, v118, s[0:3], 0 offen
	buffer_load_dword v121, v118, s[0:3], 0 offen offset:4
	s_waitcnt vmcnt(0)
	v_cmp_eq_f64_e32 vcc, 0, v[120:121]
	s_and_saveexec_b64 s[12:13], vcc
	s_cbranch_execz .LBB57_10
; %bb.7:
	v_mov_b32_e32 v119, 0
	ds_read_b32 v121, v119 offset:928
	v_add_u32_e32 v120, 1, v0
	s_waitcnt lgkmcnt(0)
	v_readfirstlane_b32 s6, v121
	s_cmp_eq_u32 s6, 0
	s_cselect_b64 s[16:17], -1, 0
	v_cmp_gt_i32_e32 vcc, s6, v120
	s_or_b64 s[16:17], s[16:17], vcc
	s_and_b64 exec, exec, s[16:17]
	s_cbranch_execz .LBB57_10
; %bb.8:
	s_mov_b64 s[16:17], 0
	v_mov_b32_e32 v121, s6
.LBB57_9:                               ; =>This Inner Loop Header: Depth=1
	ds_cmpst_rtn_b32 v121, v119, v121, v120 offset:928
	s_waitcnt lgkmcnt(0)
	v_cmp_ne_u32_e32 vcc, 0, v121
	v_cmp_le_i32_e64 s[6:7], v121, v120
	s_and_b64 s[6:7], vcc, s[6:7]
	s_and_b64 s[6:7], exec, s[6:7]
	s_or_b64 s[16:17], s[6:7], s[16:17]
	s_andn2_b64 exec, exec, s[16:17]
	s_cbranch_execnz .LBB57_9
.LBB57_10:
	s_or_b64 exec, exec, s[12:13]
	v_mov_b32_e32 v120, 0
	s_waitcnt lgkmcnt(0)
	; wave barrier
	ds_read_b32 v119, v120 offset:928
	s_and_saveexec_b64 s[6:7], s[4:5]
	s_cbranch_execz .LBB57_12
; %bb.11:
	s_lshl_b64 s[12:13], s[8:9], 2
	s_add_u32 s12, s14, s12
	s_addc_u32 s13, s15, s13
	s_waitcnt lgkmcnt(0)
	global_store_dword v120, v119, s[12:13]
.LBB57_12:
	s_or_b64 exec, exec, s[6:7]
	s_waitcnt lgkmcnt(0)
	v_cmp_ne_u32_e32 vcc, 0, v119
	s_mov_b64 s[6:7], 0
	s_cbranch_vccnz .LBB57_238
; %bb.13:
	buffer_load_dword v120, v118, s[0:3], 0 offen
	buffer_load_dword v121, v118, s[0:3], 0 offen offset:4
	s_waitcnt vmcnt(0)
	v_div_scale_f64 v[122:123], s[6:7], v[120:121], v[120:121], 1.0
	v_rcp_f64_e32 v[124:125], v[122:123]
	v_div_scale_f64 v[126:127], vcc, 1.0, v[120:121], 1.0
	v_fma_f64 v[128:129], -v[122:123], v[124:125], 1.0
	v_fmac_f64_e32 v[124:125], v[124:125], v[128:129]
	v_fma_f64 v[128:129], -v[122:123], v[124:125], 1.0
	v_fmac_f64_e32 v[124:125], v[124:125], v[128:129]
	v_mul_f64 v[128:129], v[126:127], v[124:125]
	v_fma_f64 v[122:123], -v[122:123], v[128:129], v[126:127]
	v_div_fmas_f64 v[122:123], v[122:123], v[124:125], v[128:129]
	v_div_fixup_f64 v[122:123], v[122:123], v[120:121], 1.0
	buffer_store_dword v123, v118, s[0:3], 0 offen offset:4
	buffer_store_dword v122, v118, s[0:3], 0 offen
	buffer_load_dword v125, off, s[0:3], 0 offset:12
	buffer_load_dword v124, off, s[0:3], 0 offset:8
	v_add_u32_e32 v120, 0x1d0, v1
	v_xor_b32_e32 v123, 0x80000000, v123
	s_waitcnt vmcnt(0)
	ds_write2_b64 v1, v[122:123], v[124:125] offset1:58
	s_waitcnt lgkmcnt(0)
	; wave barrier
	s_waitcnt lgkmcnt(0)
	s_and_saveexec_b64 s[6:7], s[4:5]
	s_cbranch_execz .LBB57_15
; %bb.14:
	buffer_load_dword v122, v118, s[0:3], 0 offen
	buffer_load_dword v123, v118, s[0:3], 0 offen offset:4
	v_mov_b32_e32 v119, 0
	ds_read_b64 v[124:125], v120
	ds_read_b64 v[126:127], v119 offset:8
	s_waitcnt vmcnt(0) lgkmcnt(1)
	v_fma_f64 v[122:123], v[122:123], v[124:125], 0
	s_waitcnt lgkmcnt(0)
	v_mul_f64 v[122:123], v[122:123], v[126:127]
	buffer_store_dword v122, off, s[0:3], 0 offset:8
	buffer_store_dword v123, off, s[0:3], 0 offset:12
.LBB57_15:
	s_or_b64 exec, exec, s[6:7]
	s_waitcnt lgkmcnt(0)
	; wave barrier
	buffer_load_dword v122, off, s[0:3], 0 offset:16
	buffer_load_dword v123, off, s[0:3], 0 offset:20
	v_cmp_gt_u32_e32 vcc, 2, v0
	s_waitcnt vmcnt(0)
	ds_write_b64 v120, v[122:123]
	s_waitcnt lgkmcnt(0)
	; wave barrier
	s_waitcnt lgkmcnt(0)
	s_and_saveexec_b64 s[6:7], vcc
	s_cbranch_execz .LBB57_17
; %bb.16:
	buffer_load_dword v119, v118, s[0:3], 0 offen offset:4
	buffer_load_dword v126, off, s[0:3], 0 offset:8
	s_nop 0
	buffer_load_dword v118, v118, s[0:3], 0 offen
	s_nop 0
	buffer_load_dword v127, off, s[0:3], 0 offset:12
	ds_read_b64 v[128:129], v120
	v_mov_b32_e32 v121, 0
	ds_read2_b64 v[122:125], v121 offset0:2 offset1:59
	s_waitcnt vmcnt(1) lgkmcnt(1)
	v_fma_f64 v[118:119], v[118:119], v[128:129], 0
	s_waitcnt vmcnt(0) lgkmcnt(0)
	v_fma_f64 v[124:125], v[126:127], v[124:125], v[118:119]
	v_cndmask_b32_e64 v119, v119, v125, s[4:5]
	v_cndmask_b32_e64 v118, v118, v124, s[4:5]
	v_mul_f64 v[118:119], v[118:119], v[122:123]
	buffer_store_dword v119, off, s[0:3], 0 offset:20
	buffer_store_dword v118, off, s[0:3], 0 offset:16
.LBB57_17:
	s_or_b64 exec, exec, s[6:7]
	s_waitcnt lgkmcnt(0)
	; wave barrier
	buffer_load_dword v118, off, s[0:3], 0 offset:24
	buffer_load_dword v119, off, s[0:3], 0 offset:28
	v_cmp_gt_u32_e32 vcc, 3, v0
	v_add_u32_e32 v121, -1, v0
	s_waitcnt vmcnt(0)
	ds_write_b64 v120, v[118:119]
	s_waitcnt lgkmcnt(0)
	; wave barrier
	s_waitcnt lgkmcnt(0)
	s_and_saveexec_b64 s[4:5], vcc
	s_cbranch_execz .LBB57_21
; %bb.18:
	v_add_u32_e32 v122, -1, v0
	v_add_u32_e32 v123, 0x1d0, v1
	v_add_u32_e32 v124, 0, v1
	s_mov_b64 s[6:7], 0
	v_pk_mov_b32 v[118:119], 0, 0
.LBB57_19:                              ; =>This Inner Loop Header: Depth=1
	buffer_load_dword v126, v124, s[0:3], 0 offen
	buffer_load_dword v127, v124, s[0:3], 0 offen offset:4
	ds_read_b64 v[128:129], v123
	v_add_u32_e32 v122, 1, v122
	v_cmp_lt_u32_e32 vcc, 1, v122
	v_add_u32_e32 v123, 8, v123
	v_add_u32_e32 v124, 8, v124
	s_or_b64 s[6:7], vcc, s[6:7]
	s_waitcnt vmcnt(0) lgkmcnt(0)
	v_fmac_f64_e32 v[118:119], v[126:127], v[128:129]
	s_andn2_b64 exec, exec, s[6:7]
	s_cbranch_execnz .LBB57_19
; %bb.20:
	s_or_b64 exec, exec, s[6:7]
	v_mov_b32_e32 v122, 0
	ds_read_b64 v[122:123], v122 offset:24
	s_waitcnt lgkmcnt(0)
	v_mul_f64 v[118:119], v[118:119], v[122:123]
	buffer_store_dword v119, off, s[0:3], 0 offset:28
	buffer_store_dword v118, off, s[0:3], 0 offset:24
.LBB57_21:
	s_or_b64 exec, exec, s[4:5]
	s_waitcnt lgkmcnt(0)
	; wave barrier
	buffer_load_dword v118, off, s[0:3], 0 offset:32
	buffer_load_dword v119, off, s[0:3], 0 offset:36
	v_cmp_gt_u32_e32 vcc, 4, v0
	s_waitcnt vmcnt(0)
	ds_write_b64 v120, v[118:119]
	s_waitcnt lgkmcnt(0)
	; wave barrier
	s_waitcnt lgkmcnt(0)
	s_and_saveexec_b64 s[4:5], vcc
	s_cbranch_execz .LBB57_25
; %bb.22:
	v_add_u32_e32 v122, -1, v0
	v_add_u32_e32 v123, 0x1d0, v1
	v_add_u32_e32 v124, 0, v1
	s_mov_b64 s[6:7], 0
	v_pk_mov_b32 v[118:119], 0, 0
.LBB57_23:                              ; =>This Inner Loop Header: Depth=1
	buffer_load_dword v126, v124, s[0:3], 0 offen
	buffer_load_dword v127, v124, s[0:3], 0 offen offset:4
	ds_read_b64 v[128:129], v123
	v_add_u32_e32 v122, 1, v122
	v_cmp_lt_u32_e32 vcc, 2, v122
	v_add_u32_e32 v123, 8, v123
	v_add_u32_e32 v124, 8, v124
	s_or_b64 s[6:7], vcc, s[6:7]
	s_waitcnt vmcnt(0) lgkmcnt(0)
	v_fmac_f64_e32 v[118:119], v[126:127], v[128:129]
	s_andn2_b64 exec, exec, s[6:7]
	s_cbranch_execnz .LBB57_23
; %bb.24:
	s_or_b64 exec, exec, s[6:7]
	v_mov_b32_e32 v122, 0
	ds_read_b64 v[122:123], v122 offset:32
	s_waitcnt lgkmcnt(0)
	v_mul_f64 v[118:119], v[118:119], v[122:123]
	buffer_store_dword v119, off, s[0:3], 0 offset:36
	buffer_store_dword v118, off, s[0:3], 0 offset:32
.LBB57_25:
	s_or_b64 exec, exec, s[4:5]
	s_waitcnt lgkmcnt(0)
	; wave barrier
	buffer_load_dword v118, off, s[0:3], 0 offset:40
	buffer_load_dword v119, off, s[0:3], 0 offset:44
	v_cmp_gt_u32_e32 vcc, 5, v0
	;; [unrolled: 41-line block ×21, first 2 shown]
	s_waitcnt vmcnt(0)
	ds_write_b64 v120, v[118:119]
	s_waitcnt lgkmcnt(0)
	; wave barrier
	s_waitcnt lgkmcnt(0)
	s_and_saveexec_b64 s[4:5], vcc
	s_cbranch_execz .LBB57_105
; %bb.102:
	v_add_u32_e32 v122, -1, v0
	v_add_u32_e32 v123, 0x1d0, v1
	v_add_u32_e32 v124, 0, v1
	s_mov_b64 s[6:7], 0
	v_pk_mov_b32 v[118:119], 0, 0
.LBB57_103:                             ; =>This Inner Loop Header: Depth=1
	buffer_load_dword v126, v124, s[0:3], 0 offen
	buffer_load_dword v127, v124, s[0:3], 0 offen offset:4
	ds_read_b64 v[128:129], v123
	v_add_u32_e32 v122, 1, v122
	v_cmp_lt_u32_e32 vcc, 22, v122
	v_add_u32_e32 v123, 8, v123
	v_add_u32_e32 v124, 8, v124
	s_or_b64 s[6:7], vcc, s[6:7]
	s_waitcnt vmcnt(0) lgkmcnt(0)
	v_fmac_f64_e32 v[118:119], v[126:127], v[128:129]
	s_andn2_b64 exec, exec, s[6:7]
	s_cbranch_execnz .LBB57_103
; %bb.104:
	s_or_b64 exec, exec, s[6:7]
	v_mov_b32_e32 v122, 0
	ds_read_b64 v[122:123], v122 offset:192
	s_waitcnt lgkmcnt(0)
	v_mul_f64 v[118:119], v[118:119], v[122:123]
	buffer_store_dword v119, off, s[0:3], 0 offset:196
	buffer_store_dword v118, off, s[0:3], 0 offset:192
.LBB57_105:
	s_or_b64 exec, exec, s[4:5]
	s_waitcnt lgkmcnt(0)
	; wave barrier
	buffer_load_dword v118, off, s[0:3], 0 offset:200
	buffer_load_dword v119, off, s[0:3], 0 offset:204
	v_cmp_gt_u32_e32 vcc, 25, v0
	s_waitcnt vmcnt(0)
	ds_write_b64 v120, v[118:119]
	s_waitcnt lgkmcnt(0)
	; wave barrier
	s_waitcnt lgkmcnt(0)
	s_and_saveexec_b64 s[4:5], vcc
	s_cbranch_execz .LBB57_109
; %bb.106:
	v_add_u32_e32 v122, -1, v0
	v_add_u32_e32 v123, 0x1d0, v1
	v_add_u32_e32 v124, 0, v1
	s_mov_b64 s[6:7], 0
	v_pk_mov_b32 v[118:119], 0, 0
.LBB57_107:                             ; =>This Inner Loop Header: Depth=1
	buffer_load_dword v126, v124, s[0:3], 0 offen
	buffer_load_dword v127, v124, s[0:3], 0 offen offset:4
	ds_read_b64 v[128:129], v123
	v_add_u32_e32 v122, 1, v122
	v_cmp_lt_u32_e32 vcc, 23, v122
	v_add_u32_e32 v123, 8, v123
	v_add_u32_e32 v124, 8, v124
	s_or_b64 s[6:7], vcc, s[6:7]
	s_waitcnt vmcnt(0) lgkmcnt(0)
	v_fmac_f64_e32 v[118:119], v[126:127], v[128:129]
	s_andn2_b64 exec, exec, s[6:7]
	s_cbranch_execnz .LBB57_107
; %bb.108:
	s_or_b64 exec, exec, s[6:7]
	v_mov_b32_e32 v122, 0
	ds_read_b64 v[122:123], v122 offset:200
	s_waitcnt lgkmcnt(0)
	v_mul_f64 v[118:119], v[118:119], v[122:123]
	buffer_store_dword v119, off, s[0:3], 0 offset:204
	buffer_store_dword v118, off, s[0:3], 0 offset:200
.LBB57_109:
	s_or_b64 exec, exec, s[4:5]
	s_waitcnt lgkmcnt(0)
	; wave barrier
	buffer_load_dword v118, off, s[0:3], 0 offset:208
	buffer_load_dword v119, off, s[0:3], 0 offset:212
	v_cmp_gt_u32_e32 vcc, 26, v0
	;; [unrolled: 41-line block ×32, first 2 shown]
	s_waitcnt vmcnt(0)
	ds_write_b64 v120, v[118:119]
	s_waitcnt lgkmcnt(0)
	; wave barrier
	s_waitcnt lgkmcnt(0)
	s_and_saveexec_b64 s[4:5], vcc
	s_cbranch_execz .LBB57_233
; %bb.230:
	v_add_u32_e32 v122, -1, v0
	v_add_u32_e32 v123, 0x1d0, v1
	v_add_u32_e32 v124, 0, v1
	s_mov_b64 s[6:7], 0
	v_pk_mov_b32 v[118:119], 0, 0
.LBB57_231:                             ; =>This Inner Loop Header: Depth=1
	buffer_load_dword v126, v124, s[0:3], 0 offen
	buffer_load_dword v127, v124, s[0:3], 0 offen offset:4
	ds_read_b64 v[128:129], v123
	v_add_u32_e32 v122, 1, v122
	v_cmp_lt_u32_e32 vcc, 54, v122
	v_add_u32_e32 v123, 8, v123
	v_add_u32_e32 v124, 8, v124
	s_or_b64 s[6:7], vcc, s[6:7]
	s_waitcnt vmcnt(0) lgkmcnt(0)
	v_fmac_f64_e32 v[118:119], v[126:127], v[128:129]
	s_andn2_b64 exec, exec, s[6:7]
	s_cbranch_execnz .LBB57_231
; %bb.232:
	s_or_b64 exec, exec, s[6:7]
	v_mov_b32_e32 v122, 0
	ds_read_b64 v[122:123], v122 offset:448
	s_waitcnt lgkmcnt(0)
	v_mul_f64 v[118:119], v[118:119], v[122:123]
	buffer_store_dword v119, off, s[0:3], 0 offset:452
	buffer_store_dword v118, off, s[0:3], 0 offset:448
.LBB57_233:
	s_or_b64 exec, exec, s[4:5]
	s_waitcnt lgkmcnt(0)
	; wave barrier
	buffer_load_dword v118, off, s[0:3], 0 offset:456
	buffer_load_dword v119, off, s[0:3], 0 offset:460
	v_cmp_ne_u32_e32 vcc, 57, v0
	s_waitcnt vmcnt(0)
	ds_write_b64 v120, v[118:119]
	s_waitcnt lgkmcnt(0)
	; wave barrier
	s_waitcnt lgkmcnt(0)
	s_and_saveexec_b64 s[4:5], vcc
	s_cbranch_execz .LBB57_237
; %bb.234:
	v_add_u32_e32 v120, 0x1d0, v1
	v_add_u32_e32 v1, 0, v1
	s_mov_b64 s[6:7], 0
	v_pk_mov_b32 v[118:119], 0, 0
.LBB57_235:                             ; =>This Inner Loop Header: Depth=1
	buffer_load_dword v122, v1, s[0:3], 0 offen
	buffer_load_dword v123, v1, s[0:3], 0 offen offset:4
	ds_read_b64 v[124:125], v120
	v_add_u32_e32 v121, 1, v121
	v_cmp_lt_u32_e32 vcc, 55, v121
	v_add_u32_e32 v120, 8, v120
	v_add_u32_e32 v1, 8, v1
	s_or_b64 s[6:7], vcc, s[6:7]
	s_waitcnt vmcnt(0) lgkmcnt(0)
	v_fmac_f64_e32 v[118:119], v[122:123], v[124:125]
	s_andn2_b64 exec, exec, s[6:7]
	s_cbranch_execnz .LBB57_235
; %bb.236:
	s_or_b64 exec, exec, s[6:7]
	v_mov_b32_e32 v1, 0
	ds_read_b64 v[120:121], v1 offset:456
	s_waitcnt lgkmcnt(0)
	v_mul_f64 v[118:119], v[118:119], v[120:121]
	buffer_store_dword v119, off, s[0:3], 0 offset:460
	buffer_store_dword v118, off, s[0:3], 0 offset:456
.LBB57_237:
	s_or_b64 exec, exec, s[4:5]
	s_mov_b64 s[6:7], -1
	s_waitcnt lgkmcnt(0)
	; wave barrier
.LBB57_238:
	s_and_b64 vcc, exec, s[6:7]
	s_cbranch_vccz .LBB57_240
; %bb.239:
	s_lshl_b64 s[4:5], s[8:9], 2
	s_add_u32 s4, s14, s4
	s_addc_u32 s5, s15, s5
	v_mov_b32_e32 v1, 0
	global_load_dword v1, v1, s[4:5]
	s_waitcnt vmcnt(0)
	v_cmp_ne_u32_e32 vcc, 0, v1
	s_cbranch_vccz .LBB57_241
.LBB57_240:
	s_endpgm
.LBB57_241:
	v_mov_b32_e32 v1, 0x1d0
	v_lshl_add_u32 v1, v0, 3, v1
	v_cmp_eq_u32_e32 vcc, 57, v0
	s_and_saveexec_b64 s[4:5], vcc
	s_cbranch_execz .LBB57_243
; %bb.242:
	buffer_load_dword v118, off, s[0:3], 0 offset:448
	buffer_load_dword v119, off, s[0:3], 0 offset:452
	v_mov_b32_e32 v120, 0
	buffer_store_dword v120, off, s[0:3], 0 offset:448
	buffer_store_dword v120, off, s[0:3], 0 offset:452
	s_waitcnt vmcnt(2)
	ds_write_b64 v1, v[118:119]
.LBB57_243:
	s_or_b64 exec, exec, s[4:5]
	s_waitcnt lgkmcnt(0)
	; wave barrier
	s_waitcnt lgkmcnt(0)
	buffer_load_dword v120, off, s[0:3], 0 offset:456
	buffer_load_dword v121, off, s[0:3], 0 offset:460
	;; [unrolled: 1-line block ×4, first 2 shown]
	v_mov_b32_e32 v118, 0
	ds_read_b64 v[124:125], v118 offset:920
	v_cmp_lt_u32_e32 vcc, 55, v0
	s_waitcnt vmcnt(2) lgkmcnt(0)
	v_fma_f64 v[120:121], v[120:121], v[124:125], 0
	s_waitcnt vmcnt(0)
	v_add_f64 v[120:121], v[122:123], -v[120:121]
	buffer_store_dword v120, off, s[0:3], 0 offset:448
	buffer_store_dword v121, off, s[0:3], 0 offset:452
	s_and_saveexec_b64 s[4:5], vcc
	s_cbranch_execz .LBB57_245
; %bb.244:
	buffer_load_dword v120, off, s[0:3], 0 offset:440
	buffer_load_dword v121, off, s[0:3], 0 offset:444
	s_waitcnt vmcnt(0)
	ds_write_b64 v1, v[120:121]
	buffer_store_dword v118, off, s[0:3], 0 offset:440
	buffer_store_dword v118, off, s[0:3], 0 offset:444
.LBB57_245:
	s_or_b64 exec, exec, s[4:5]
	s_waitcnt lgkmcnt(0)
	; wave barrier
	s_waitcnt lgkmcnt(0)
	buffer_load_dword v122, off, s[0:3], 0 offset:448
	buffer_load_dword v123, off, s[0:3], 0 offset:452
	;; [unrolled: 1-line block ×6, first 2 shown]
	ds_read_b128 v[118:121], v118 offset:912
	v_cmp_lt_u32_e32 vcc, 54, v0
	s_waitcnt vmcnt(4) lgkmcnt(0)
	v_fma_f64 v[118:119], v[122:123], v[118:119], 0
	s_waitcnt vmcnt(2)
	v_fmac_f64_e32 v[118:119], v[124:125], v[120:121]
	s_waitcnt vmcnt(0)
	v_add_f64 v[118:119], v[126:127], -v[118:119]
	buffer_store_dword v118, off, s[0:3], 0 offset:440
	buffer_store_dword v119, off, s[0:3], 0 offset:444
	s_and_saveexec_b64 s[4:5], vcc
	s_cbranch_execz .LBB57_247
; %bb.246:
	buffer_load_dword v118, off, s[0:3], 0 offset:432
	buffer_load_dword v119, off, s[0:3], 0 offset:436
	v_mov_b32_e32 v120, 0
	buffer_store_dword v120, off, s[0:3], 0 offset:432
	buffer_store_dword v120, off, s[0:3], 0 offset:436
	s_waitcnt vmcnt(2)
	ds_write_b64 v1, v[118:119]
.LBB57_247:
	s_or_b64 exec, exec, s[4:5]
	s_waitcnt lgkmcnt(0)
	; wave barrier
	s_waitcnt lgkmcnt(0)
	buffer_load_dword v124, off, s[0:3], 0 offset:440
	buffer_load_dword v125, off, s[0:3], 0 offset:444
	buffer_load_dword v126, off, s[0:3], 0 offset:448
	buffer_load_dword v127, off, s[0:3], 0 offset:452
	buffer_load_dword v128, off, s[0:3], 0 offset:456
	buffer_load_dword v129, off, s[0:3], 0 offset:460
	buffer_load_dword v130, off, s[0:3], 0 offset:432
	buffer_load_dword v131, off, s[0:3], 0 offset:436
	v_mov_b32_e32 v118, 0
	ds_read2_b64 v[120:123], v118 offset0:113 offset1:114
	ds_read_b64 v[132:133], v118 offset:920
	v_cmp_lt_u32_e32 vcc, 53, v0
	s_waitcnt vmcnt(6) lgkmcnt(1)
	v_fma_f64 v[120:121], v[124:125], v[120:121], 0
	s_waitcnt vmcnt(4)
	v_fmac_f64_e32 v[120:121], v[126:127], v[122:123]
	s_waitcnt vmcnt(2) lgkmcnt(0)
	v_fmac_f64_e32 v[120:121], v[128:129], v[132:133]
	s_waitcnt vmcnt(0)
	v_add_f64 v[120:121], v[130:131], -v[120:121]
	buffer_store_dword v120, off, s[0:3], 0 offset:432
	buffer_store_dword v121, off, s[0:3], 0 offset:436
	s_and_saveexec_b64 s[4:5], vcc
	s_cbranch_execz .LBB57_249
; %bb.248:
	buffer_load_dword v120, off, s[0:3], 0 offset:424
	buffer_load_dword v121, off, s[0:3], 0 offset:428
	s_waitcnt vmcnt(0)
	ds_write_b64 v1, v[120:121]
	buffer_store_dword v118, off, s[0:3], 0 offset:424
	buffer_store_dword v118, off, s[0:3], 0 offset:428
.LBB57_249:
	s_or_b64 exec, exec, s[4:5]
	s_waitcnt lgkmcnt(0)
	; wave barrier
	s_waitcnt lgkmcnt(0)
	buffer_load_dword v128, off, s[0:3], 0 offset:432
	buffer_load_dword v129, off, s[0:3], 0 offset:436
	;; [unrolled: 1-line block ×10, first 2 shown]
	ds_read_b128 v[120:123], v118 offset:896
	ds_read_b128 v[124:127], v118 offset:912
	v_cmp_lt_u32_e32 vcc, 52, v0
	s_waitcnt vmcnt(8) lgkmcnt(1)
	v_fma_f64 v[118:119], v[128:129], v[120:121], 0
	s_waitcnt vmcnt(6)
	v_fmac_f64_e32 v[118:119], v[130:131], v[122:123]
	s_waitcnt vmcnt(4) lgkmcnt(0)
	v_fmac_f64_e32 v[118:119], v[132:133], v[124:125]
	s_waitcnt vmcnt(2)
	v_fmac_f64_e32 v[118:119], v[134:135], v[126:127]
	s_waitcnt vmcnt(0)
	v_add_f64 v[118:119], v[136:137], -v[118:119]
	buffer_store_dword v118, off, s[0:3], 0 offset:424
	buffer_store_dword v119, off, s[0:3], 0 offset:428
	s_and_saveexec_b64 s[4:5], vcc
	s_cbranch_execz .LBB57_251
; %bb.250:
	buffer_load_dword v118, off, s[0:3], 0 offset:416
	buffer_load_dword v119, off, s[0:3], 0 offset:420
	v_mov_b32_e32 v120, 0
	buffer_store_dword v120, off, s[0:3], 0 offset:416
	buffer_store_dword v120, off, s[0:3], 0 offset:420
	s_waitcnt vmcnt(2)
	ds_write_b64 v1, v[118:119]
.LBB57_251:
	s_or_b64 exec, exec, s[4:5]
	s_waitcnt lgkmcnt(0)
	; wave barrier
	s_waitcnt lgkmcnt(0)
	buffer_load_dword v128, off, s[0:3], 0 offset:424
	buffer_load_dword v129, off, s[0:3], 0 offset:428
	;; [unrolled: 1-line block ×12, first 2 shown]
	v_mov_b32_e32 v118, 0
	ds_read2_b64 v[120:123], v118 offset0:111 offset1:112
	ds_read2_b64 v[124:127], v118 offset0:113 offset1:114
	ds_read_b64 v[140:141], v118 offset:920
	v_cmp_lt_u32_e32 vcc, 51, v0
	s_waitcnt vmcnt(10) lgkmcnt(2)
	v_fma_f64 v[120:121], v[128:129], v[120:121], 0
	s_waitcnt vmcnt(8)
	v_fmac_f64_e32 v[120:121], v[130:131], v[122:123]
	s_waitcnt vmcnt(6) lgkmcnt(1)
	v_fmac_f64_e32 v[120:121], v[132:133], v[124:125]
	s_waitcnt vmcnt(4)
	v_fmac_f64_e32 v[120:121], v[134:135], v[126:127]
	s_waitcnt vmcnt(2) lgkmcnt(0)
	v_fmac_f64_e32 v[120:121], v[136:137], v[140:141]
	s_waitcnt vmcnt(0)
	v_add_f64 v[120:121], v[138:139], -v[120:121]
	buffer_store_dword v120, off, s[0:3], 0 offset:416
	buffer_store_dword v121, off, s[0:3], 0 offset:420
	s_and_saveexec_b64 s[4:5], vcc
	s_cbranch_execz .LBB57_253
; %bb.252:
	buffer_load_dword v120, off, s[0:3], 0 offset:408
	buffer_load_dword v121, off, s[0:3], 0 offset:412
	s_waitcnt vmcnt(0)
	ds_write_b64 v1, v[120:121]
	buffer_store_dword v118, off, s[0:3], 0 offset:408
	buffer_store_dword v118, off, s[0:3], 0 offset:412
.LBB57_253:
	s_or_b64 exec, exec, s[4:5]
	s_waitcnt lgkmcnt(0)
	; wave barrier
	s_waitcnt lgkmcnt(0)
	buffer_load_dword v132, off, s[0:3], 0 offset:416
	buffer_load_dword v133, off, s[0:3], 0 offset:420
	;; [unrolled: 1-line block ×14, first 2 shown]
	ds_read_b128 v[120:123], v118 offset:880
	ds_read_b128 v[124:127], v118 offset:896
	;; [unrolled: 1-line block ×3, first 2 shown]
	v_cmp_lt_u32_e32 vcc, 50, v0
	s_waitcnt vmcnt(12) lgkmcnt(2)
	v_fma_f64 v[118:119], v[132:133], v[120:121], 0
	s_waitcnt vmcnt(10)
	v_fmac_f64_e32 v[118:119], v[134:135], v[122:123]
	s_waitcnt vmcnt(8) lgkmcnt(1)
	v_fmac_f64_e32 v[118:119], v[136:137], v[124:125]
	s_waitcnt vmcnt(6)
	v_fmac_f64_e32 v[118:119], v[138:139], v[126:127]
	s_waitcnt vmcnt(4) lgkmcnt(0)
	v_fmac_f64_e32 v[118:119], v[140:141], v[128:129]
	s_waitcnt vmcnt(2)
	v_fmac_f64_e32 v[118:119], v[142:143], v[130:131]
	s_waitcnt vmcnt(0)
	v_add_f64 v[118:119], v[144:145], -v[118:119]
	buffer_store_dword v118, off, s[0:3], 0 offset:408
	buffer_store_dword v119, off, s[0:3], 0 offset:412
	s_and_saveexec_b64 s[4:5], vcc
	s_cbranch_execz .LBB57_255
; %bb.254:
	buffer_load_dword v118, off, s[0:3], 0 offset:400
	buffer_load_dword v119, off, s[0:3], 0 offset:404
	v_mov_b32_e32 v120, 0
	buffer_store_dword v120, off, s[0:3], 0 offset:400
	buffer_store_dword v120, off, s[0:3], 0 offset:404
	s_waitcnt vmcnt(2)
	ds_write_b64 v1, v[118:119]
.LBB57_255:
	s_or_b64 exec, exec, s[4:5]
	s_waitcnt lgkmcnt(0)
	; wave barrier
	s_waitcnt lgkmcnt(0)
	buffer_load_dword v132, off, s[0:3], 0 offset:408
	buffer_load_dword v133, off, s[0:3], 0 offset:412
	buffer_load_dword v134, off, s[0:3], 0 offset:416
	buffer_load_dword v135, off, s[0:3], 0 offset:420
	buffer_load_dword v136, off, s[0:3], 0 offset:424
	buffer_load_dword v137, off, s[0:3], 0 offset:428
	buffer_load_dword v138, off, s[0:3], 0 offset:432
	buffer_load_dword v139, off, s[0:3], 0 offset:436
	buffer_load_dword v140, off, s[0:3], 0 offset:440
	buffer_load_dword v141, off, s[0:3], 0 offset:444
	buffer_load_dword v142, off, s[0:3], 0 offset:448
	buffer_load_dword v143, off, s[0:3], 0 offset:452
	buffer_load_dword v144, off, s[0:3], 0 offset:456
	buffer_load_dword v145, off, s[0:3], 0 offset:460
	buffer_load_dword v146, off, s[0:3], 0 offset:400
	buffer_load_dword v147, off, s[0:3], 0 offset:404
	v_mov_b32_e32 v118, 0
	ds_read2_b64 v[120:123], v118 offset0:109 offset1:110
	ds_read2_b64 v[124:127], v118 offset0:111 offset1:112
	;; [unrolled: 1-line block ×3, first 2 shown]
	ds_read_b64 v[148:149], v118 offset:920
	v_cmp_lt_u32_e32 vcc, 49, v0
	s_waitcnt vmcnt(14) lgkmcnt(3)
	v_fma_f64 v[120:121], v[132:133], v[120:121], 0
	s_waitcnt vmcnt(12)
	v_fmac_f64_e32 v[120:121], v[134:135], v[122:123]
	s_waitcnt vmcnt(10) lgkmcnt(2)
	v_fmac_f64_e32 v[120:121], v[136:137], v[124:125]
	s_waitcnt vmcnt(8)
	v_fmac_f64_e32 v[120:121], v[138:139], v[126:127]
	s_waitcnt vmcnt(6) lgkmcnt(1)
	v_fmac_f64_e32 v[120:121], v[140:141], v[128:129]
	;; [unrolled: 4-line block ×3, first 2 shown]
	s_waitcnt vmcnt(0)
	v_add_f64 v[120:121], v[146:147], -v[120:121]
	buffer_store_dword v120, off, s[0:3], 0 offset:400
	buffer_store_dword v121, off, s[0:3], 0 offset:404
	s_and_saveexec_b64 s[4:5], vcc
	s_cbranch_execz .LBB57_257
; %bb.256:
	buffer_load_dword v120, off, s[0:3], 0 offset:392
	buffer_load_dword v121, off, s[0:3], 0 offset:396
	s_waitcnt vmcnt(0)
	ds_write_b64 v1, v[120:121]
	buffer_store_dword v118, off, s[0:3], 0 offset:392
	buffer_store_dword v118, off, s[0:3], 0 offset:396
.LBB57_257:
	s_or_b64 exec, exec, s[4:5]
	s_waitcnt lgkmcnt(0)
	; wave barrier
	s_waitcnt lgkmcnt(0)
	buffer_load_dword v136, off, s[0:3], 0 offset:400
	buffer_load_dword v137, off, s[0:3], 0 offset:404
	;; [unrolled: 1-line block ×18, first 2 shown]
	ds_read_b128 v[120:123], v118 offset:864
	ds_read_b128 v[124:127], v118 offset:880
	;; [unrolled: 1-line block ×4, first 2 shown]
	v_cmp_lt_u32_e32 vcc, 48, v0
	s_waitcnt vmcnt(16) lgkmcnt(3)
	v_fma_f64 v[118:119], v[136:137], v[120:121], 0
	s_waitcnt vmcnt(14)
	v_fmac_f64_e32 v[118:119], v[138:139], v[122:123]
	s_waitcnt vmcnt(12) lgkmcnt(2)
	v_fmac_f64_e32 v[118:119], v[140:141], v[124:125]
	s_waitcnt vmcnt(10)
	v_fmac_f64_e32 v[118:119], v[142:143], v[126:127]
	s_waitcnt vmcnt(8) lgkmcnt(1)
	v_fmac_f64_e32 v[118:119], v[144:145], v[128:129]
	;; [unrolled: 4-line block ×3, first 2 shown]
	s_waitcnt vmcnt(2)
	v_fmac_f64_e32 v[118:119], v[150:151], v[134:135]
	s_waitcnt vmcnt(0)
	v_add_f64 v[118:119], v[152:153], -v[118:119]
	buffer_store_dword v118, off, s[0:3], 0 offset:392
	buffer_store_dword v119, off, s[0:3], 0 offset:396
	s_and_saveexec_b64 s[4:5], vcc
	s_cbranch_execz .LBB57_259
; %bb.258:
	buffer_load_dword v118, off, s[0:3], 0 offset:384
	buffer_load_dword v119, off, s[0:3], 0 offset:388
	v_mov_b32_e32 v120, 0
	buffer_store_dword v120, off, s[0:3], 0 offset:384
	buffer_store_dword v120, off, s[0:3], 0 offset:388
	s_waitcnt vmcnt(2)
	ds_write_b64 v1, v[118:119]
.LBB57_259:
	s_or_b64 exec, exec, s[4:5]
	s_waitcnt lgkmcnt(0)
	; wave barrier
	s_waitcnt lgkmcnt(0)
	buffer_load_dword v136, off, s[0:3], 0 offset:392
	buffer_load_dword v137, off, s[0:3], 0 offset:396
	;; [unrolled: 1-line block ×20, first 2 shown]
	v_mov_b32_e32 v118, 0
	ds_read2_b64 v[120:123], v118 offset0:107 offset1:108
	ds_read2_b64 v[124:127], v118 offset0:109 offset1:110
	ds_read2_b64 v[128:131], v118 offset0:111 offset1:112
	ds_read2_b64 v[132:135], v118 offset0:113 offset1:114
	ds_read_b64 v[156:157], v118 offset:920
	v_cmp_lt_u32_e32 vcc, 47, v0
	s_waitcnt vmcnt(18) lgkmcnt(4)
	v_fma_f64 v[120:121], v[136:137], v[120:121], 0
	s_waitcnt vmcnt(16)
	v_fmac_f64_e32 v[120:121], v[138:139], v[122:123]
	s_waitcnt vmcnt(14) lgkmcnt(3)
	v_fmac_f64_e32 v[120:121], v[140:141], v[124:125]
	s_waitcnt vmcnt(12)
	v_fmac_f64_e32 v[120:121], v[142:143], v[126:127]
	s_waitcnt vmcnt(10) lgkmcnt(2)
	v_fmac_f64_e32 v[120:121], v[144:145], v[128:129]
	s_waitcnt vmcnt(8)
	v_fmac_f64_e32 v[120:121], v[146:147], v[130:131]
	s_waitcnt vmcnt(6) lgkmcnt(1)
	v_fmac_f64_e32 v[120:121], v[148:149], v[132:133]
	s_waitcnt vmcnt(2)
	v_fmac_f64_e32 v[120:121], v[152:153], v[134:135]
	s_waitcnt lgkmcnt(0)
	v_fmac_f64_e32 v[120:121], v[150:151], v[156:157]
	s_waitcnt vmcnt(0)
	v_add_f64 v[120:121], v[154:155], -v[120:121]
	buffer_store_dword v120, off, s[0:3], 0 offset:384
	buffer_store_dword v121, off, s[0:3], 0 offset:388
	s_and_saveexec_b64 s[4:5], vcc
	s_cbranch_execz .LBB57_261
; %bb.260:
	buffer_load_dword v120, off, s[0:3], 0 offset:376
	buffer_load_dword v121, off, s[0:3], 0 offset:380
	s_waitcnt vmcnt(0)
	ds_write_b64 v1, v[120:121]
	buffer_store_dword v118, off, s[0:3], 0 offset:376
	buffer_store_dword v118, off, s[0:3], 0 offset:380
.LBB57_261:
	s_or_b64 exec, exec, s[4:5]
	s_waitcnt lgkmcnt(0)
	; wave barrier
	s_waitcnt lgkmcnt(0)
	buffer_load_dword v140, off, s[0:3], 0 offset:384
	buffer_load_dword v141, off, s[0:3], 0 offset:388
	;; [unrolled: 1-line block ×22, first 2 shown]
	ds_read_b128 v[120:123], v118 offset:848
	ds_read_b128 v[124:127], v118 offset:864
	ds_read_b128 v[128:131], v118 offset:880
	ds_read_b128 v[132:135], v118 offset:896
	ds_read_b128 v[136:139], v118 offset:912
	v_cmp_lt_u32_e32 vcc, 46, v0
	s_waitcnt vmcnt(20) lgkmcnt(4)
	v_fma_f64 v[118:119], v[140:141], v[120:121], 0
	s_waitcnt vmcnt(18)
	v_fmac_f64_e32 v[118:119], v[142:143], v[122:123]
	s_waitcnt vmcnt(16) lgkmcnt(3)
	v_fmac_f64_e32 v[118:119], v[144:145], v[124:125]
	s_waitcnt vmcnt(14)
	v_fmac_f64_e32 v[118:119], v[146:147], v[126:127]
	s_waitcnt vmcnt(12) lgkmcnt(2)
	v_fmac_f64_e32 v[118:119], v[148:149], v[128:129]
	;; [unrolled: 4-line block ×3, first 2 shown]
	s_waitcnt vmcnt(3)
	v_fmac_f64_e32 v[118:119], v[158:159], v[134:135]
	s_waitcnt lgkmcnt(0)
	v_fmac_f64_e32 v[118:119], v[156:157], v[136:137]
	s_waitcnt vmcnt(2)
	v_fmac_f64_e32 v[118:119], v[154:155], v[138:139]
	s_waitcnt vmcnt(0)
	v_add_f64 v[118:119], v[160:161], -v[118:119]
	buffer_store_dword v118, off, s[0:3], 0 offset:376
	buffer_store_dword v119, off, s[0:3], 0 offset:380
	s_and_saveexec_b64 s[4:5], vcc
	s_cbranch_execz .LBB57_263
; %bb.262:
	buffer_load_dword v118, off, s[0:3], 0 offset:368
	buffer_load_dword v119, off, s[0:3], 0 offset:372
	v_mov_b32_e32 v120, 0
	buffer_store_dword v120, off, s[0:3], 0 offset:368
	buffer_store_dword v120, off, s[0:3], 0 offset:372
	s_waitcnt vmcnt(2)
	ds_write_b64 v1, v[118:119]
.LBB57_263:
	s_or_b64 exec, exec, s[4:5]
	s_waitcnt lgkmcnt(0)
	; wave barrier
	s_waitcnt lgkmcnt(0)
	buffer_load_dword v140, off, s[0:3], 0 offset:376
	buffer_load_dword v141, off, s[0:3], 0 offset:380
	;; [unrolled: 1-line block ×24, first 2 shown]
	v_mov_b32_e32 v118, 0
	ds_read2_b64 v[120:123], v118 offset0:105 offset1:106
	ds_read2_b64 v[124:127], v118 offset0:107 offset1:108
	;; [unrolled: 1-line block ×5, first 2 shown]
	ds_read_b64 v[164:165], v118 offset:920
	v_cmp_lt_u32_e32 vcc, 45, v0
	s_waitcnt vmcnt(22) lgkmcnt(5)
	v_fma_f64 v[120:121], v[140:141], v[120:121], 0
	s_waitcnt vmcnt(20)
	v_fmac_f64_e32 v[120:121], v[142:143], v[122:123]
	s_waitcnt vmcnt(18) lgkmcnt(4)
	v_fmac_f64_e32 v[120:121], v[144:145], v[124:125]
	s_waitcnt vmcnt(16)
	v_fmac_f64_e32 v[120:121], v[146:147], v[126:127]
	s_waitcnt vmcnt(14) lgkmcnt(3)
	v_fmac_f64_e32 v[120:121], v[148:149], v[128:129]
	;; [unrolled: 4-line block ×3, first 2 shown]
	s_waitcnt vmcnt(4)
	v_fmac_f64_e32 v[120:121], v[160:161], v[134:135]
	s_waitcnt lgkmcnt(1)
	v_fmac_f64_e32 v[120:121], v[158:159], v[136:137]
	s_waitcnt vmcnt(3)
	v_fmac_f64_e32 v[120:121], v[156:157], v[138:139]
	s_waitcnt vmcnt(2) lgkmcnt(0)
	v_fmac_f64_e32 v[120:121], v[154:155], v[164:165]
	s_waitcnt vmcnt(0)
	v_add_f64 v[120:121], v[162:163], -v[120:121]
	buffer_store_dword v121, off, s[0:3], 0 offset:372
	buffer_store_dword v120, off, s[0:3], 0 offset:368
	s_and_saveexec_b64 s[4:5], vcc
	s_cbranch_execz .LBB57_265
; %bb.264:
	buffer_load_dword v120, off, s[0:3], 0 offset:360
	buffer_load_dword v121, off, s[0:3], 0 offset:364
	s_waitcnt vmcnt(0)
	ds_write_b64 v1, v[120:121]
	buffer_store_dword v118, off, s[0:3], 0 offset:360
	buffer_store_dword v118, off, s[0:3], 0 offset:364
.LBB57_265:
	s_or_b64 exec, exec, s[4:5]
	s_waitcnt lgkmcnt(0)
	; wave barrier
	s_waitcnt lgkmcnt(0)
	buffer_load_dword v136, off, s[0:3], 0 offset:360
	buffer_load_dword v137, off, s[0:3], 0 offset:364
	;; [unrolled: 1-line block ×16, first 2 shown]
	ds_read_b128 v[120:123], v118 offset:832
	ds_read_b128 v[124:127], v118 offset:848
	;; [unrolled: 1-line block ×4, first 2 shown]
	v_cmp_lt_u32_e32 vcc, 44, v0
	s_waitcnt vmcnt(12) lgkmcnt(3)
	v_fma_f64 v[138:139], v[138:139], v[120:121], 0
	buffer_load_dword v121, off, s[0:3], 0 offset:428
	buffer_load_dword v120, off, s[0:3], 0 offset:424
	s_waitcnt vmcnt(12)
	v_fmac_f64_e32 v[138:139], v[140:141], v[122:123]
	s_waitcnt vmcnt(10) lgkmcnt(2)
	v_fmac_f64_e32 v[138:139], v[142:143], v[124:125]
	buffer_load_dword v125, off, s[0:3], 0 offset:436
	buffer_load_dword v124, off, s[0:3], 0 offset:432
	s_waitcnt vmcnt(10)
	v_fmac_f64_e32 v[138:139], v[144:145], v[126:127]
	s_waitcnt vmcnt(8) lgkmcnt(1)
	v_fmac_f64_e32 v[138:139], v[146:147], v[128:129]
	s_waitcnt vmcnt(6)
	v_fmac_f64_e32 v[138:139], v[148:149], v[130:131]
	s_waitcnt vmcnt(4) lgkmcnt(0)
	v_fmac_f64_e32 v[138:139], v[150:151], v[132:133]
	s_waitcnt vmcnt(2)
	v_fmac_f64_e32 v[138:139], v[120:121], v[134:135]
	ds_read_b128 v[120:123], v118 offset:896
	s_waitcnt vmcnt(0) lgkmcnt(0)
	v_fmac_f64_e32 v[138:139], v[124:125], v[120:121]
	buffer_load_dword v121, off, s[0:3], 0 offset:444
	buffer_load_dword v120, off, s[0:3], 0 offset:440
	s_waitcnt vmcnt(0)
	v_fmac_f64_e32 v[138:139], v[120:121], v[122:123]
	buffer_load_dword v123, off, s[0:3], 0 offset:452
	buffer_load_dword v122, off, s[0:3], 0 offset:448
	ds_read_b128 v[118:121], v118 offset:912
	s_waitcnt vmcnt(0) lgkmcnt(0)
	v_fmac_f64_e32 v[138:139], v[122:123], v[118:119]
	buffer_load_dword v119, off, s[0:3], 0 offset:460
	buffer_load_dword v118, off, s[0:3], 0 offset:456
	s_waitcnt vmcnt(0)
	v_fmac_f64_e32 v[138:139], v[118:119], v[120:121]
	v_add_f64 v[118:119], v[136:137], -v[138:139]
	buffer_store_dword v119, off, s[0:3], 0 offset:364
	buffer_store_dword v118, off, s[0:3], 0 offset:360
	s_and_saveexec_b64 s[4:5], vcc
	s_cbranch_execz .LBB57_267
; %bb.266:
	buffer_load_dword v118, off, s[0:3], 0 offset:352
	buffer_load_dword v119, off, s[0:3], 0 offset:356
	v_mov_b32_e32 v120, 0
	buffer_store_dword v120, off, s[0:3], 0 offset:352
	buffer_store_dword v120, off, s[0:3], 0 offset:356
	s_waitcnt vmcnt(2)
	ds_write_b64 v1, v[118:119]
.LBB57_267:
	s_or_b64 exec, exec, s[4:5]
	s_waitcnt lgkmcnt(0)
	; wave barrier
	s_waitcnt lgkmcnt(0)
	buffer_load_dword v124, off, s[0:3], 0 offset:352
	buffer_load_dword v125, off, s[0:3], 0 offset:356
	;; [unrolled: 1-line block ×16, first 2 shown]
	v_mov_b32_e32 v118, 0
	ds_read2_b64 v[120:123], v118 offset0:103 offset1:104
	v_cmp_lt_u32_e32 vcc, 43, v0
	s_waitcnt vmcnt(12) lgkmcnt(0)
	v_fma_f64 v[126:127], v[126:127], v[120:121], 0
	s_waitcnt vmcnt(10)
	v_fmac_f64_e32 v[126:127], v[128:129], v[122:123]
	ds_read2_b64 v[120:123], v118 offset0:105 offset1:106
	s_waitcnt vmcnt(8) lgkmcnt(0)
	v_fmac_f64_e32 v[126:127], v[130:131], v[120:121]
	s_waitcnt vmcnt(6)
	v_fmac_f64_e32 v[126:127], v[132:133], v[122:123]
	ds_read2_b64 v[120:123], v118 offset0:107 offset1:108
	s_waitcnt vmcnt(4) lgkmcnt(0)
	v_fmac_f64_e32 v[126:127], v[134:135], v[120:121]
	;; [unrolled: 5-line block ×3, first 2 shown]
	buffer_load_dword v121, off, s[0:3], 0 offset:420
	buffer_load_dword v120, off, s[0:3], 0 offset:416
	buffer_load_dword v129, off, s[0:3], 0 offset:428
	buffer_load_dword v128, off, s[0:3], 0 offset:424
	s_waitcnt vmcnt(2)
	v_fmac_f64_e32 v[126:127], v[120:121], v[122:123]
	ds_read2_b64 v[120:123], v118 offset0:111 offset1:112
	s_waitcnt vmcnt(0) lgkmcnt(0)
	v_fmac_f64_e32 v[126:127], v[128:129], v[120:121]
	buffer_load_dword v121, off, s[0:3], 0 offset:436
	buffer_load_dword v120, off, s[0:3], 0 offset:432
	buffer_load_dword v129, off, s[0:3], 0 offset:444
	buffer_load_dword v128, off, s[0:3], 0 offset:440
	s_waitcnt vmcnt(2)
	v_fmac_f64_e32 v[126:127], v[120:121], v[122:123]
	ds_read2_b64 v[120:123], v118 offset0:113 offset1:114
	s_waitcnt vmcnt(0) lgkmcnt(0)
	v_fmac_f64_e32 v[126:127], v[128:129], v[120:121]
	buffer_load_dword v121, off, s[0:3], 0 offset:452
	buffer_load_dword v120, off, s[0:3], 0 offset:448
	s_waitcnt vmcnt(0)
	v_fmac_f64_e32 v[126:127], v[120:121], v[122:123]
	buffer_load_dword v121, off, s[0:3], 0 offset:460
	buffer_load_dword v120, off, s[0:3], 0 offset:456
	ds_read_b64 v[122:123], v118 offset:920
	s_waitcnt vmcnt(0) lgkmcnt(0)
	v_fmac_f64_e32 v[126:127], v[120:121], v[122:123]
	v_add_f64 v[120:121], v[124:125], -v[126:127]
	buffer_store_dword v121, off, s[0:3], 0 offset:356
	buffer_store_dword v120, off, s[0:3], 0 offset:352
	s_and_saveexec_b64 s[4:5], vcc
	s_cbranch_execz .LBB57_269
; %bb.268:
	buffer_load_dword v120, off, s[0:3], 0 offset:344
	buffer_load_dword v121, off, s[0:3], 0 offset:348
	s_waitcnt vmcnt(0)
	ds_write_b64 v1, v[120:121]
	buffer_store_dword v118, off, s[0:3], 0 offset:344
	buffer_store_dword v118, off, s[0:3], 0 offset:348
.LBB57_269:
	s_or_b64 exec, exec, s[4:5]
	s_waitcnt lgkmcnt(0)
	; wave barrier
	s_waitcnt lgkmcnt(0)
	buffer_load_dword v136, off, s[0:3], 0 offset:344
	buffer_load_dword v137, off, s[0:3], 0 offset:348
	;; [unrolled: 1-line block ×16, first 2 shown]
	ds_read_b128 v[120:123], v118 offset:816
	ds_read_b128 v[124:127], v118 offset:832
	;; [unrolled: 1-line block ×4, first 2 shown]
	v_cmp_lt_u32_e32 vcc, 42, v0
	s_waitcnt vmcnt(12) lgkmcnt(3)
	v_fma_f64 v[138:139], v[138:139], v[120:121], 0
	buffer_load_dword v121, off, s[0:3], 0 offset:412
	buffer_load_dword v120, off, s[0:3], 0 offset:408
	s_waitcnt vmcnt(12)
	v_fmac_f64_e32 v[138:139], v[140:141], v[122:123]
	s_waitcnt vmcnt(10) lgkmcnt(2)
	v_fmac_f64_e32 v[138:139], v[142:143], v[124:125]
	buffer_load_dword v125, off, s[0:3], 0 offset:420
	buffer_load_dword v124, off, s[0:3], 0 offset:416
	s_waitcnt vmcnt(10)
	v_fmac_f64_e32 v[138:139], v[144:145], v[126:127]
	s_waitcnt vmcnt(8) lgkmcnt(1)
	v_fmac_f64_e32 v[138:139], v[146:147], v[128:129]
	s_waitcnt vmcnt(6)
	v_fmac_f64_e32 v[138:139], v[148:149], v[130:131]
	s_waitcnt vmcnt(4) lgkmcnt(0)
	v_fmac_f64_e32 v[138:139], v[150:151], v[132:133]
	s_waitcnt vmcnt(2)
	v_fmac_f64_e32 v[138:139], v[120:121], v[134:135]
	ds_read_b128 v[120:123], v118 offset:880
	s_waitcnt vmcnt(0) lgkmcnt(0)
	v_fmac_f64_e32 v[138:139], v[124:125], v[120:121]
	buffer_load_dword v121, off, s[0:3], 0 offset:428
	buffer_load_dword v120, off, s[0:3], 0 offset:424
	;; [unrolled: 1-line block ×4, first 2 shown]
	s_waitcnt vmcnt(2)
	v_fmac_f64_e32 v[138:139], v[120:121], v[122:123]
	ds_read_b128 v[120:123], v118 offset:896
	s_waitcnt vmcnt(0) lgkmcnt(0)
	v_fmac_f64_e32 v[138:139], v[124:125], v[120:121]
	buffer_load_dword v121, off, s[0:3], 0 offset:444
	buffer_load_dword v120, off, s[0:3], 0 offset:440
	s_waitcnt vmcnt(0)
	v_fmac_f64_e32 v[138:139], v[120:121], v[122:123]
	buffer_load_dword v123, off, s[0:3], 0 offset:452
	buffer_load_dword v122, off, s[0:3], 0 offset:448
	ds_read_b128 v[118:121], v118 offset:912
	s_waitcnt vmcnt(0) lgkmcnt(0)
	v_fmac_f64_e32 v[138:139], v[122:123], v[118:119]
	buffer_load_dword v119, off, s[0:3], 0 offset:460
	buffer_load_dword v118, off, s[0:3], 0 offset:456
	s_waitcnt vmcnt(0)
	v_fmac_f64_e32 v[138:139], v[118:119], v[120:121]
	v_add_f64 v[118:119], v[136:137], -v[138:139]
	buffer_store_dword v119, off, s[0:3], 0 offset:348
	buffer_store_dword v118, off, s[0:3], 0 offset:344
	s_and_saveexec_b64 s[4:5], vcc
	s_cbranch_execz .LBB57_271
; %bb.270:
	buffer_load_dword v118, off, s[0:3], 0 offset:336
	buffer_load_dword v119, off, s[0:3], 0 offset:340
	v_mov_b32_e32 v120, 0
	buffer_store_dword v120, off, s[0:3], 0 offset:336
	buffer_store_dword v120, off, s[0:3], 0 offset:340
	s_waitcnt vmcnt(2)
	ds_write_b64 v1, v[118:119]
.LBB57_271:
	s_or_b64 exec, exec, s[4:5]
	s_waitcnt lgkmcnt(0)
	; wave barrier
	s_waitcnt lgkmcnt(0)
	buffer_load_dword v124, off, s[0:3], 0 offset:336
	buffer_load_dword v125, off, s[0:3], 0 offset:340
	;; [unrolled: 1-line block ×16, first 2 shown]
	v_mov_b32_e32 v118, 0
	ds_read2_b64 v[120:123], v118 offset0:101 offset1:102
	v_cmp_lt_u32_e32 vcc, 41, v0
	s_waitcnt vmcnt(12) lgkmcnt(0)
	v_fma_f64 v[126:127], v[126:127], v[120:121], 0
	s_waitcnt vmcnt(10)
	v_fmac_f64_e32 v[126:127], v[128:129], v[122:123]
	ds_read2_b64 v[120:123], v118 offset0:103 offset1:104
	s_waitcnt vmcnt(8) lgkmcnt(0)
	v_fmac_f64_e32 v[126:127], v[130:131], v[120:121]
	s_waitcnt vmcnt(6)
	v_fmac_f64_e32 v[126:127], v[132:133], v[122:123]
	ds_read2_b64 v[120:123], v118 offset0:105 offset1:106
	s_waitcnt vmcnt(4) lgkmcnt(0)
	v_fmac_f64_e32 v[126:127], v[134:135], v[120:121]
	;; [unrolled: 5-line block ×3, first 2 shown]
	buffer_load_dword v121, off, s[0:3], 0 offset:404
	buffer_load_dword v120, off, s[0:3], 0 offset:400
	buffer_load_dword v129, off, s[0:3], 0 offset:412
	buffer_load_dword v128, off, s[0:3], 0 offset:408
	s_waitcnt vmcnt(2)
	v_fmac_f64_e32 v[126:127], v[120:121], v[122:123]
	ds_read2_b64 v[120:123], v118 offset0:109 offset1:110
	s_waitcnt vmcnt(0) lgkmcnt(0)
	v_fmac_f64_e32 v[126:127], v[128:129], v[120:121]
	buffer_load_dword v121, off, s[0:3], 0 offset:420
	buffer_load_dword v120, off, s[0:3], 0 offset:416
	buffer_load_dword v129, off, s[0:3], 0 offset:428
	buffer_load_dword v128, off, s[0:3], 0 offset:424
	s_waitcnt vmcnt(2)
	v_fmac_f64_e32 v[126:127], v[120:121], v[122:123]
	ds_read2_b64 v[120:123], v118 offset0:111 offset1:112
	s_waitcnt vmcnt(0) lgkmcnt(0)
	v_fmac_f64_e32 v[126:127], v[128:129], v[120:121]
	;; [unrolled: 9-line block ×3, first 2 shown]
	buffer_load_dword v121, off, s[0:3], 0 offset:452
	buffer_load_dword v120, off, s[0:3], 0 offset:448
	s_waitcnt vmcnt(0)
	v_fmac_f64_e32 v[126:127], v[120:121], v[122:123]
	buffer_load_dword v121, off, s[0:3], 0 offset:460
	buffer_load_dword v120, off, s[0:3], 0 offset:456
	ds_read_b64 v[122:123], v118 offset:920
	s_waitcnt vmcnt(0) lgkmcnt(0)
	v_fmac_f64_e32 v[126:127], v[120:121], v[122:123]
	v_add_f64 v[120:121], v[124:125], -v[126:127]
	buffer_store_dword v121, off, s[0:3], 0 offset:340
	buffer_store_dword v120, off, s[0:3], 0 offset:336
	s_and_saveexec_b64 s[4:5], vcc
	s_cbranch_execz .LBB57_273
; %bb.272:
	buffer_load_dword v120, off, s[0:3], 0 offset:328
	buffer_load_dword v121, off, s[0:3], 0 offset:332
	s_waitcnt vmcnt(0)
	ds_write_b64 v1, v[120:121]
	buffer_store_dword v118, off, s[0:3], 0 offset:328
	buffer_store_dword v118, off, s[0:3], 0 offset:332
.LBB57_273:
	s_or_b64 exec, exec, s[4:5]
	s_waitcnt lgkmcnt(0)
	; wave barrier
	s_waitcnt lgkmcnt(0)
	buffer_load_dword v136, off, s[0:3], 0 offset:328
	buffer_load_dword v137, off, s[0:3], 0 offset:332
	;; [unrolled: 1-line block ×16, first 2 shown]
	ds_read_b128 v[120:123], v118 offset:800
	ds_read_b128 v[124:127], v118 offset:816
	;; [unrolled: 1-line block ×4, first 2 shown]
	v_cmp_lt_u32_e32 vcc, 40, v0
	s_waitcnt vmcnt(12) lgkmcnt(3)
	v_fma_f64 v[138:139], v[138:139], v[120:121], 0
	buffer_load_dword v121, off, s[0:3], 0 offset:396
	buffer_load_dword v120, off, s[0:3], 0 offset:392
	s_waitcnt vmcnt(12)
	v_fmac_f64_e32 v[138:139], v[140:141], v[122:123]
	s_waitcnt vmcnt(10) lgkmcnt(2)
	v_fmac_f64_e32 v[138:139], v[142:143], v[124:125]
	buffer_load_dword v125, off, s[0:3], 0 offset:404
	buffer_load_dword v124, off, s[0:3], 0 offset:400
	s_waitcnt vmcnt(10)
	v_fmac_f64_e32 v[138:139], v[144:145], v[126:127]
	s_waitcnt vmcnt(8) lgkmcnt(1)
	v_fmac_f64_e32 v[138:139], v[146:147], v[128:129]
	s_waitcnt vmcnt(6)
	v_fmac_f64_e32 v[138:139], v[148:149], v[130:131]
	s_waitcnt vmcnt(4) lgkmcnt(0)
	v_fmac_f64_e32 v[138:139], v[150:151], v[132:133]
	s_waitcnt vmcnt(2)
	v_fmac_f64_e32 v[138:139], v[120:121], v[134:135]
	ds_read_b128 v[120:123], v118 offset:864
	s_waitcnt vmcnt(0) lgkmcnt(0)
	v_fmac_f64_e32 v[138:139], v[124:125], v[120:121]
	buffer_load_dword v121, off, s[0:3], 0 offset:412
	buffer_load_dword v120, off, s[0:3], 0 offset:408
	;; [unrolled: 1-line block ×4, first 2 shown]
	s_waitcnt vmcnt(2)
	v_fmac_f64_e32 v[138:139], v[120:121], v[122:123]
	ds_read_b128 v[120:123], v118 offset:880
	s_waitcnt vmcnt(0) lgkmcnt(0)
	v_fmac_f64_e32 v[138:139], v[124:125], v[120:121]
	buffer_load_dword v121, off, s[0:3], 0 offset:428
	buffer_load_dword v120, off, s[0:3], 0 offset:424
	;; [unrolled: 1-line block ×4, first 2 shown]
	s_waitcnt vmcnt(2)
	v_fmac_f64_e32 v[138:139], v[120:121], v[122:123]
	ds_read_b128 v[120:123], v118 offset:896
	s_waitcnt vmcnt(0) lgkmcnt(0)
	v_fmac_f64_e32 v[138:139], v[124:125], v[120:121]
	buffer_load_dword v121, off, s[0:3], 0 offset:444
	buffer_load_dword v120, off, s[0:3], 0 offset:440
	s_waitcnt vmcnt(0)
	v_fmac_f64_e32 v[138:139], v[120:121], v[122:123]
	buffer_load_dword v123, off, s[0:3], 0 offset:452
	buffer_load_dword v122, off, s[0:3], 0 offset:448
	ds_read_b128 v[118:121], v118 offset:912
	s_waitcnt vmcnt(0) lgkmcnt(0)
	v_fmac_f64_e32 v[138:139], v[122:123], v[118:119]
	buffer_load_dword v119, off, s[0:3], 0 offset:460
	buffer_load_dword v118, off, s[0:3], 0 offset:456
	s_waitcnt vmcnt(0)
	v_fmac_f64_e32 v[138:139], v[118:119], v[120:121]
	v_add_f64 v[118:119], v[136:137], -v[138:139]
	buffer_store_dword v119, off, s[0:3], 0 offset:332
	buffer_store_dword v118, off, s[0:3], 0 offset:328
	s_and_saveexec_b64 s[4:5], vcc
	s_cbranch_execz .LBB57_275
; %bb.274:
	buffer_load_dword v118, off, s[0:3], 0 offset:320
	buffer_load_dword v119, off, s[0:3], 0 offset:324
	v_mov_b32_e32 v120, 0
	buffer_store_dword v120, off, s[0:3], 0 offset:320
	buffer_store_dword v120, off, s[0:3], 0 offset:324
	s_waitcnt vmcnt(2)
	ds_write_b64 v1, v[118:119]
.LBB57_275:
	s_or_b64 exec, exec, s[4:5]
	s_waitcnt lgkmcnt(0)
	; wave barrier
	s_waitcnt lgkmcnt(0)
	buffer_load_dword v118, off, s[0:3], 0 offset:320
	buffer_load_dword v119, off, s[0:3], 0 offset:324
	buffer_load_dword v120, off, s[0:3], 0 offset:328
	buffer_load_dword v121, off, s[0:3], 0 offset:332
	buffer_load_dword v128, off, s[0:3], 0 offset:336
	buffer_load_dword v129, off, s[0:3], 0 offset:340
	buffer_load_dword v130, off, s[0:3], 0 offset:344
	buffer_load_dword v131, off, s[0:3], 0 offset:348
	buffer_load_dword v132, off, s[0:3], 0 offset:352
	buffer_load_dword v133, off, s[0:3], 0 offset:356
	buffer_load_dword v134, off, s[0:3], 0 offset:360
	buffer_load_dword v135, off, s[0:3], 0 offset:364
	buffer_load_dword v136, off, s[0:3], 0 offset:368
	buffer_load_dword v137, off, s[0:3], 0 offset:372
	buffer_load_dword v138, off, s[0:3], 0 offset:376
	buffer_load_dword v139, off, s[0:3], 0 offset:380
	v_mov_b32_e32 v122, 0
	ds_read2_b64 v[124:127], v122 offset0:99 offset1:100
	v_cmp_lt_u32_e32 vcc, 39, v0
	s_waitcnt vmcnt(12) lgkmcnt(0)
	v_fma_f64 v[120:121], v[120:121], v[124:125], 0
	s_waitcnt vmcnt(10)
	v_fmac_f64_e32 v[120:121], v[128:129], v[126:127]
	ds_read2_b64 v[124:127], v122 offset0:101 offset1:102
	s_waitcnt vmcnt(8) lgkmcnt(0)
	v_fmac_f64_e32 v[120:121], v[130:131], v[124:125]
	s_waitcnt vmcnt(6)
	v_fmac_f64_e32 v[120:121], v[132:133], v[126:127]
	ds_read2_b64 v[124:127], v122 offset0:103 offset1:104
	s_waitcnt vmcnt(4) lgkmcnt(0)
	v_fmac_f64_e32 v[120:121], v[134:135], v[124:125]
	;; [unrolled: 5-line block ×3, first 2 shown]
	buffer_load_dword v125, off, s[0:3], 0 offset:388
	buffer_load_dword v124, off, s[0:3], 0 offset:384
	buffer_load_dword v129, off, s[0:3], 0 offset:396
	buffer_load_dword v128, off, s[0:3], 0 offset:392
	s_waitcnt vmcnt(2)
	v_fmac_f64_e32 v[120:121], v[124:125], v[126:127]
	ds_read2_b64 v[124:127], v122 offset0:107 offset1:108
	s_waitcnt vmcnt(0) lgkmcnt(0)
	v_fmac_f64_e32 v[120:121], v[128:129], v[124:125]
	buffer_load_dword v125, off, s[0:3], 0 offset:404
	buffer_load_dword v124, off, s[0:3], 0 offset:400
	buffer_load_dword v129, off, s[0:3], 0 offset:412
	buffer_load_dword v128, off, s[0:3], 0 offset:408
	s_waitcnt vmcnt(2)
	v_fmac_f64_e32 v[120:121], v[124:125], v[126:127]
	ds_read2_b64 v[124:127], v122 offset0:109 offset1:110
	s_waitcnt vmcnt(0) lgkmcnt(0)
	v_fmac_f64_e32 v[120:121], v[128:129], v[124:125]
	;; [unrolled: 9-line block ×4, first 2 shown]
	buffer_load_dword v125, off, s[0:3], 0 offset:452
	buffer_load_dword v124, off, s[0:3], 0 offset:448
	s_waitcnt vmcnt(0)
	v_fmac_f64_e32 v[120:121], v[124:125], v[126:127]
	buffer_load_dword v125, off, s[0:3], 0 offset:460
	buffer_load_dword v124, off, s[0:3], 0 offset:456
	ds_read_b64 v[126:127], v122 offset:920
	s_waitcnt vmcnt(0) lgkmcnt(0)
	v_fmac_f64_e32 v[120:121], v[124:125], v[126:127]
	v_add_f64 v[118:119], v[118:119], -v[120:121]
	buffer_store_dword v119, off, s[0:3], 0 offset:324
	buffer_store_dword v118, off, s[0:3], 0 offset:320
	s_and_saveexec_b64 s[4:5], vcc
	s_cbranch_execz .LBB57_277
; %bb.276:
	buffer_load_dword v118, off, s[0:3], 0 offset:312
	buffer_load_dword v119, off, s[0:3], 0 offset:316
	s_waitcnt vmcnt(0)
	ds_write_b64 v1, v[118:119]
	buffer_store_dword v122, off, s[0:3], 0 offset:312
	buffer_store_dword v122, off, s[0:3], 0 offset:316
.LBB57_277:
	s_or_b64 exec, exec, s[4:5]
	s_waitcnt lgkmcnt(0)
	; wave barrier
	s_waitcnt lgkmcnt(0)
	buffer_load_dword v118, off, s[0:3], 0 offset:312
	buffer_load_dword v119, off, s[0:3], 0 offset:316
	;; [unrolled: 1-line block ×16, first 2 shown]
	ds_read_b128 v[124:127], v122 offset:784
	ds_read_b128 v[128:131], v122 offset:800
	;; [unrolled: 1-line block ×4, first 2 shown]
	v_cmp_lt_u32_e32 vcc, 38, v0
	s_waitcnt vmcnt(12) lgkmcnt(3)
	v_fma_f64 v[120:121], v[120:121], v[124:125], 0
	buffer_load_dword v125, off, s[0:3], 0 offset:380
	buffer_load_dword v124, off, s[0:3], 0 offset:376
	s_waitcnt vmcnt(12)
	v_fmac_f64_e32 v[120:121], v[140:141], v[126:127]
	s_waitcnt vmcnt(10) lgkmcnt(2)
	v_fmac_f64_e32 v[120:121], v[142:143], v[128:129]
	buffer_load_dword v129, off, s[0:3], 0 offset:388
	buffer_load_dword v128, off, s[0:3], 0 offset:384
	s_waitcnt vmcnt(10)
	v_fmac_f64_e32 v[120:121], v[144:145], v[130:131]
	s_waitcnt vmcnt(8) lgkmcnt(1)
	v_fmac_f64_e32 v[120:121], v[146:147], v[132:133]
	s_waitcnt vmcnt(6)
	v_fmac_f64_e32 v[120:121], v[148:149], v[134:135]
	s_waitcnt vmcnt(4) lgkmcnt(0)
	v_fmac_f64_e32 v[120:121], v[150:151], v[136:137]
	s_waitcnt vmcnt(2)
	v_fmac_f64_e32 v[120:121], v[124:125], v[138:139]
	ds_read_b128 v[124:127], v122 offset:848
	s_waitcnt vmcnt(0) lgkmcnt(0)
	v_fmac_f64_e32 v[120:121], v[128:129], v[124:125]
	buffer_load_dword v125, off, s[0:3], 0 offset:396
	buffer_load_dword v124, off, s[0:3], 0 offset:392
	buffer_load_dword v129, off, s[0:3], 0 offset:404
	buffer_load_dword v128, off, s[0:3], 0 offset:400
	s_waitcnt vmcnt(2)
	v_fmac_f64_e32 v[120:121], v[124:125], v[126:127]
	ds_read_b128 v[124:127], v122 offset:864
	s_waitcnt vmcnt(0) lgkmcnt(0)
	v_fmac_f64_e32 v[120:121], v[128:129], v[124:125]
	buffer_load_dword v125, off, s[0:3], 0 offset:412
	buffer_load_dword v124, off, s[0:3], 0 offset:408
	buffer_load_dword v129, off, s[0:3], 0 offset:420
	buffer_load_dword v128, off, s[0:3], 0 offset:416
	;; [unrolled: 9-line block ×3, first 2 shown]
	s_waitcnt vmcnt(2)
	v_fmac_f64_e32 v[120:121], v[124:125], v[126:127]
	ds_read_b128 v[124:127], v122 offset:896
	s_waitcnt vmcnt(0) lgkmcnt(0)
	v_fmac_f64_e32 v[120:121], v[128:129], v[124:125]
	buffer_load_dword v125, off, s[0:3], 0 offset:444
	buffer_load_dword v124, off, s[0:3], 0 offset:440
	s_waitcnt vmcnt(0)
	v_fmac_f64_e32 v[120:121], v[124:125], v[126:127]
	buffer_load_dword v127, off, s[0:3], 0 offset:452
	buffer_load_dword v126, off, s[0:3], 0 offset:448
	ds_read_b128 v[122:125], v122 offset:912
	s_waitcnt vmcnt(0) lgkmcnt(0)
	v_fmac_f64_e32 v[120:121], v[126:127], v[122:123]
	buffer_load_dword v123, off, s[0:3], 0 offset:460
	buffer_load_dword v122, off, s[0:3], 0 offset:456
	s_waitcnt vmcnt(0)
	v_fmac_f64_e32 v[120:121], v[122:123], v[124:125]
	v_add_f64 v[118:119], v[118:119], -v[120:121]
	buffer_store_dword v119, off, s[0:3], 0 offset:316
	buffer_store_dword v118, off, s[0:3], 0 offset:312
	s_and_saveexec_b64 s[4:5], vcc
	s_cbranch_execz .LBB57_279
; %bb.278:
	buffer_load_dword v118, off, s[0:3], 0 offset:304
	buffer_load_dword v119, off, s[0:3], 0 offset:308
	v_mov_b32_e32 v120, 0
	buffer_store_dword v120, off, s[0:3], 0 offset:304
	buffer_store_dword v120, off, s[0:3], 0 offset:308
	s_waitcnt vmcnt(2)
	ds_write_b64 v1, v[118:119]
.LBB57_279:
	s_or_b64 exec, exec, s[4:5]
	s_waitcnt lgkmcnt(0)
	; wave barrier
	s_waitcnt lgkmcnt(0)
	buffer_load_dword v118, off, s[0:3], 0 offset:304
	buffer_load_dword v119, off, s[0:3], 0 offset:308
	;; [unrolled: 1-line block ×16, first 2 shown]
	v_mov_b32_e32 v122, 0
	ds_read2_b64 v[124:127], v122 offset0:97 offset1:98
	v_cmp_lt_u32_e32 vcc, 37, v0
	s_waitcnt vmcnt(12) lgkmcnt(0)
	v_fma_f64 v[120:121], v[120:121], v[124:125], 0
	s_waitcnt vmcnt(10)
	v_fmac_f64_e32 v[120:121], v[128:129], v[126:127]
	ds_read2_b64 v[124:127], v122 offset0:99 offset1:100
	s_waitcnt vmcnt(8) lgkmcnt(0)
	v_fmac_f64_e32 v[120:121], v[130:131], v[124:125]
	s_waitcnt vmcnt(6)
	v_fmac_f64_e32 v[120:121], v[132:133], v[126:127]
	ds_read2_b64 v[124:127], v122 offset0:101 offset1:102
	s_waitcnt vmcnt(4) lgkmcnt(0)
	v_fmac_f64_e32 v[120:121], v[134:135], v[124:125]
	;; [unrolled: 5-line block ×3, first 2 shown]
	buffer_load_dword v125, off, s[0:3], 0 offset:372
	buffer_load_dword v124, off, s[0:3], 0 offset:368
	buffer_load_dword v129, off, s[0:3], 0 offset:380
	buffer_load_dword v128, off, s[0:3], 0 offset:376
	s_waitcnt vmcnt(2)
	v_fmac_f64_e32 v[120:121], v[124:125], v[126:127]
	ds_read2_b64 v[124:127], v122 offset0:105 offset1:106
	s_waitcnt vmcnt(0) lgkmcnt(0)
	v_fmac_f64_e32 v[120:121], v[128:129], v[124:125]
	buffer_load_dword v125, off, s[0:3], 0 offset:388
	buffer_load_dword v124, off, s[0:3], 0 offset:384
	buffer_load_dword v129, off, s[0:3], 0 offset:396
	buffer_load_dword v128, off, s[0:3], 0 offset:392
	s_waitcnt vmcnt(2)
	v_fmac_f64_e32 v[120:121], v[124:125], v[126:127]
	ds_read2_b64 v[124:127], v122 offset0:107 offset1:108
	s_waitcnt vmcnt(0) lgkmcnt(0)
	v_fmac_f64_e32 v[120:121], v[128:129], v[124:125]
	;; [unrolled: 9-line block ×5, first 2 shown]
	buffer_load_dword v125, off, s[0:3], 0 offset:452
	buffer_load_dword v124, off, s[0:3], 0 offset:448
	s_waitcnt vmcnt(0)
	v_fmac_f64_e32 v[120:121], v[124:125], v[126:127]
	buffer_load_dword v125, off, s[0:3], 0 offset:460
	buffer_load_dword v124, off, s[0:3], 0 offset:456
	ds_read_b64 v[126:127], v122 offset:920
	s_waitcnt vmcnt(0) lgkmcnt(0)
	v_fmac_f64_e32 v[120:121], v[124:125], v[126:127]
	v_add_f64 v[118:119], v[118:119], -v[120:121]
	buffer_store_dword v119, off, s[0:3], 0 offset:308
	buffer_store_dword v118, off, s[0:3], 0 offset:304
	s_and_saveexec_b64 s[4:5], vcc
	s_cbranch_execz .LBB57_281
; %bb.280:
	buffer_load_dword v118, off, s[0:3], 0 offset:296
	buffer_load_dword v119, off, s[0:3], 0 offset:300
	s_waitcnt vmcnt(0)
	ds_write_b64 v1, v[118:119]
	buffer_store_dword v122, off, s[0:3], 0 offset:296
	buffer_store_dword v122, off, s[0:3], 0 offset:300
.LBB57_281:
	s_or_b64 exec, exec, s[4:5]
	s_waitcnt lgkmcnt(0)
	; wave barrier
	s_waitcnt lgkmcnt(0)
	buffer_load_dword v118, off, s[0:3], 0 offset:296
	buffer_load_dword v119, off, s[0:3], 0 offset:300
	;; [unrolled: 1-line block ×16, first 2 shown]
	ds_read_b128 v[124:127], v122 offset:768
	ds_read_b128 v[128:131], v122 offset:784
	;; [unrolled: 1-line block ×4, first 2 shown]
	v_cmp_lt_u32_e32 vcc, 36, v0
	s_waitcnt vmcnt(12) lgkmcnt(3)
	v_fma_f64 v[120:121], v[120:121], v[124:125], 0
	buffer_load_dword v125, off, s[0:3], 0 offset:364
	buffer_load_dword v124, off, s[0:3], 0 offset:360
	s_waitcnt vmcnt(12)
	v_fmac_f64_e32 v[120:121], v[140:141], v[126:127]
	s_waitcnt vmcnt(10) lgkmcnt(2)
	v_fmac_f64_e32 v[120:121], v[142:143], v[128:129]
	buffer_load_dword v129, off, s[0:3], 0 offset:372
	buffer_load_dword v128, off, s[0:3], 0 offset:368
	s_waitcnt vmcnt(10)
	v_fmac_f64_e32 v[120:121], v[144:145], v[130:131]
	s_waitcnt vmcnt(8) lgkmcnt(1)
	v_fmac_f64_e32 v[120:121], v[146:147], v[132:133]
	s_waitcnt vmcnt(6)
	v_fmac_f64_e32 v[120:121], v[148:149], v[134:135]
	s_waitcnt vmcnt(4) lgkmcnt(0)
	v_fmac_f64_e32 v[120:121], v[150:151], v[136:137]
	s_waitcnt vmcnt(2)
	v_fmac_f64_e32 v[120:121], v[124:125], v[138:139]
	ds_read_b128 v[124:127], v122 offset:832
	s_waitcnt vmcnt(0) lgkmcnt(0)
	v_fmac_f64_e32 v[120:121], v[128:129], v[124:125]
	buffer_load_dword v125, off, s[0:3], 0 offset:380
	buffer_load_dword v124, off, s[0:3], 0 offset:376
	buffer_load_dword v129, off, s[0:3], 0 offset:388
	buffer_load_dword v128, off, s[0:3], 0 offset:384
	s_waitcnt vmcnt(2)
	v_fmac_f64_e32 v[120:121], v[124:125], v[126:127]
	ds_read_b128 v[124:127], v122 offset:848
	s_waitcnt vmcnt(0) lgkmcnt(0)
	v_fmac_f64_e32 v[120:121], v[128:129], v[124:125]
	buffer_load_dword v125, off, s[0:3], 0 offset:396
	buffer_load_dword v124, off, s[0:3], 0 offset:392
	buffer_load_dword v129, off, s[0:3], 0 offset:404
	buffer_load_dword v128, off, s[0:3], 0 offset:400
	;; [unrolled: 9-line block ×4, first 2 shown]
	s_waitcnt vmcnt(2)
	v_fmac_f64_e32 v[120:121], v[124:125], v[126:127]
	ds_read_b128 v[124:127], v122 offset:896
	s_waitcnt vmcnt(0) lgkmcnt(0)
	v_fmac_f64_e32 v[120:121], v[128:129], v[124:125]
	buffer_load_dword v125, off, s[0:3], 0 offset:444
	buffer_load_dword v124, off, s[0:3], 0 offset:440
	s_waitcnt vmcnt(0)
	v_fmac_f64_e32 v[120:121], v[124:125], v[126:127]
	buffer_load_dword v127, off, s[0:3], 0 offset:452
	buffer_load_dword v126, off, s[0:3], 0 offset:448
	ds_read_b128 v[122:125], v122 offset:912
	s_waitcnt vmcnt(0) lgkmcnt(0)
	v_fmac_f64_e32 v[120:121], v[126:127], v[122:123]
	buffer_load_dword v123, off, s[0:3], 0 offset:460
	buffer_load_dword v122, off, s[0:3], 0 offset:456
	s_waitcnt vmcnt(0)
	v_fmac_f64_e32 v[120:121], v[122:123], v[124:125]
	v_add_f64 v[118:119], v[118:119], -v[120:121]
	buffer_store_dword v119, off, s[0:3], 0 offset:300
	buffer_store_dword v118, off, s[0:3], 0 offset:296
	s_and_saveexec_b64 s[4:5], vcc
	s_cbranch_execz .LBB57_283
; %bb.282:
	buffer_load_dword v118, off, s[0:3], 0 offset:288
	buffer_load_dword v119, off, s[0:3], 0 offset:292
	v_mov_b32_e32 v120, 0
	buffer_store_dword v120, off, s[0:3], 0 offset:288
	buffer_store_dword v120, off, s[0:3], 0 offset:292
	s_waitcnt vmcnt(2)
	ds_write_b64 v1, v[118:119]
.LBB57_283:
	s_or_b64 exec, exec, s[4:5]
	s_waitcnt lgkmcnt(0)
	; wave barrier
	s_waitcnt lgkmcnt(0)
	buffer_load_dword v118, off, s[0:3], 0 offset:288
	buffer_load_dword v119, off, s[0:3], 0 offset:292
	;; [unrolled: 1-line block ×16, first 2 shown]
	v_mov_b32_e32 v122, 0
	ds_read2_b64 v[124:127], v122 offset0:95 offset1:96
	v_cmp_lt_u32_e32 vcc, 35, v0
	s_waitcnt vmcnt(12) lgkmcnt(0)
	v_fma_f64 v[120:121], v[120:121], v[124:125], 0
	s_waitcnt vmcnt(10)
	v_fmac_f64_e32 v[120:121], v[128:129], v[126:127]
	ds_read2_b64 v[124:127], v122 offset0:97 offset1:98
	s_waitcnt vmcnt(8) lgkmcnt(0)
	v_fmac_f64_e32 v[120:121], v[130:131], v[124:125]
	s_waitcnt vmcnt(6)
	v_fmac_f64_e32 v[120:121], v[132:133], v[126:127]
	ds_read2_b64 v[124:127], v122 offset0:99 offset1:100
	s_waitcnt vmcnt(4) lgkmcnt(0)
	v_fmac_f64_e32 v[120:121], v[134:135], v[124:125]
	;; [unrolled: 5-line block ×3, first 2 shown]
	buffer_load_dword v125, off, s[0:3], 0 offset:356
	buffer_load_dword v124, off, s[0:3], 0 offset:352
	buffer_load_dword v129, off, s[0:3], 0 offset:364
	buffer_load_dword v128, off, s[0:3], 0 offset:360
	s_waitcnt vmcnt(2)
	v_fmac_f64_e32 v[120:121], v[124:125], v[126:127]
	ds_read2_b64 v[124:127], v122 offset0:103 offset1:104
	s_waitcnt vmcnt(0) lgkmcnt(0)
	v_fmac_f64_e32 v[120:121], v[128:129], v[124:125]
	buffer_load_dword v125, off, s[0:3], 0 offset:372
	buffer_load_dword v124, off, s[0:3], 0 offset:368
	buffer_load_dword v129, off, s[0:3], 0 offset:380
	buffer_load_dword v128, off, s[0:3], 0 offset:376
	s_waitcnt vmcnt(2)
	v_fmac_f64_e32 v[120:121], v[124:125], v[126:127]
	ds_read2_b64 v[124:127], v122 offset0:105 offset1:106
	s_waitcnt vmcnt(0) lgkmcnt(0)
	v_fmac_f64_e32 v[120:121], v[128:129], v[124:125]
	;; [unrolled: 9-line block ×6, first 2 shown]
	buffer_load_dword v125, off, s[0:3], 0 offset:452
	buffer_load_dword v124, off, s[0:3], 0 offset:448
	s_waitcnt vmcnt(0)
	v_fmac_f64_e32 v[120:121], v[124:125], v[126:127]
	buffer_load_dword v125, off, s[0:3], 0 offset:460
	buffer_load_dword v124, off, s[0:3], 0 offset:456
	ds_read_b64 v[126:127], v122 offset:920
	s_waitcnt vmcnt(0) lgkmcnt(0)
	v_fmac_f64_e32 v[120:121], v[124:125], v[126:127]
	v_add_f64 v[118:119], v[118:119], -v[120:121]
	buffer_store_dword v119, off, s[0:3], 0 offset:292
	buffer_store_dword v118, off, s[0:3], 0 offset:288
	s_and_saveexec_b64 s[4:5], vcc
	s_cbranch_execz .LBB57_285
; %bb.284:
	buffer_load_dword v118, off, s[0:3], 0 offset:280
	buffer_load_dword v119, off, s[0:3], 0 offset:284
	s_waitcnt vmcnt(0)
	ds_write_b64 v1, v[118:119]
	buffer_store_dword v122, off, s[0:3], 0 offset:280
	buffer_store_dword v122, off, s[0:3], 0 offset:284
.LBB57_285:
	s_or_b64 exec, exec, s[4:5]
	s_waitcnt lgkmcnt(0)
	; wave barrier
	s_waitcnt lgkmcnt(0)
	buffer_load_dword v118, off, s[0:3], 0 offset:280
	buffer_load_dword v119, off, s[0:3], 0 offset:284
	;; [unrolled: 1-line block ×16, first 2 shown]
	ds_read_b128 v[124:127], v122 offset:752
	ds_read_b128 v[128:131], v122 offset:768
	;; [unrolled: 1-line block ×4, first 2 shown]
	v_cmp_lt_u32_e32 vcc, 34, v0
	s_waitcnt vmcnt(12) lgkmcnt(3)
	v_fma_f64 v[120:121], v[120:121], v[124:125], 0
	buffer_load_dword v125, off, s[0:3], 0 offset:348
	buffer_load_dword v124, off, s[0:3], 0 offset:344
	s_waitcnt vmcnt(12)
	v_fmac_f64_e32 v[120:121], v[140:141], v[126:127]
	s_waitcnt vmcnt(10) lgkmcnt(2)
	v_fmac_f64_e32 v[120:121], v[142:143], v[128:129]
	buffer_load_dword v129, off, s[0:3], 0 offset:356
	buffer_load_dword v128, off, s[0:3], 0 offset:352
	s_waitcnt vmcnt(10)
	v_fmac_f64_e32 v[120:121], v[144:145], v[130:131]
	s_waitcnt vmcnt(8) lgkmcnt(1)
	v_fmac_f64_e32 v[120:121], v[146:147], v[132:133]
	s_waitcnt vmcnt(6)
	v_fmac_f64_e32 v[120:121], v[148:149], v[134:135]
	s_waitcnt vmcnt(4) lgkmcnt(0)
	v_fmac_f64_e32 v[120:121], v[150:151], v[136:137]
	s_waitcnt vmcnt(2)
	v_fmac_f64_e32 v[120:121], v[124:125], v[138:139]
	ds_read_b128 v[124:127], v122 offset:816
	s_waitcnt vmcnt(0) lgkmcnt(0)
	v_fmac_f64_e32 v[120:121], v[128:129], v[124:125]
	buffer_load_dword v125, off, s[0:3], 0 offset:364
	buffer_load_dword v124, off, s[0:3], 0 offset:360
	buffer_load_dword v129, off, s[0:3], 0 offset:372
	buffer_load_dword v128, off, s[0:3], 0 offset:368
	s_waitcnt vmcnt(2)
	v_fmac_f64_e32 v[120:121], v[124:125], v[126:127]
	ds_read_b128 v[124:127], v122 offset:832
	s_waitcnt vmcnt(0) lgkmcnt(0)
	v_fmac_f64_e32 v[120:121], v[128:129], v[124:125]
	buffer_load_dword v125, off, s[0:3], 0 offset:380
	buffer_load_dword v124, off, s[0:3], 0 offset:376
	buffer_load_dword v129, off, s[0:3], 0 offset:388
	buffer_load_dword v128, off, s[0:3], 0 offset:384
	;; [unrolled: 9-line block ×5, first 2 shown]
	s_waitcnt vmcnt(2)
	v_fmac_f64_e32 v[120:121], v[124:125], v[126:127]
	ds_read_b128 v[124:127], v122 offset:896
	s_waitcnt vmcnt(0) lgkmcnt(0)
	v_fmac_f64_e32 v[120:121], v[128:129], v[124:125]
	buffer_load_dword v125, off, s[0:3], 0 offset:444
	buffer_load_dword v124, off, s[0:3], 0 offset:440
	s_waitcnt vmcnt(0)
	v_fmac_f64_e32 v[120:121], v[124:125], v[126:127]
	buffer_load_dword v127, off, s[0:3], 0 offset:452
	buffer_load_dword v126, off, s[0:3], 0 offset:448
	ds_read_b128 v[122:125], v122 offset:912
	s_waitcnt vmcnt(0) lgkmcnt(0)
	v_fmac_f64_e32 v[120:121], v[126:127], v[122:123]
	buffer_load_dword v123, off, s[0:3], 0 offset:460
	buffer_load_dword v122, off, s[0:3], 0 offset:456
	s_waitcnt vmcnt(0)
	v_fmac_f64_e32 v[120:121], v[122:123], v[124:125]
	v_add_f64 v[118:119], v[118:119], -v[120:121]
	buffer_store_dword v119, off, s[0:3], 0 offset:284
	buffer_store_dword v118, off, s[0:3], 0 offset:280
	s_and_saveexec_b64 s[4:5], vcc
	s_cbranch_execz .LBB57_287
; %bb.286:
	buffer_load_dword v118, off, s[0:3], 0 offset:272
	buffer_load_dword v119, off, s[0:3], 0 offset:276
	v_mov_b32_e32 v120, 0
	buffer_store_dword v120, off, s[0:3], 0 offset:272
	buffer_store_dword v120, off, s[0:3], 0 offset:276
	s_waitcnt vmcnt(2)
	ds_write_b64 v1, v[118:119]
.LBB57_287:
	s_or_b64 exec, exec, s[4:5]
	s_waitcnt lgkmcnt(0)
	; wave barrier
	s_waitcnt lgkmcnt(0)
	buffer_load_dword v118, off, s[0:3], 0 offset:272
	buffer_load_dword v119, off, s[0:3], 0 offset:276
	;; [unrolled: 1-line block ×16, first 2 shown]
	v_mov_b32_e32 v122, 0
	ds_read2_b64 v[124:127], v122 offset0:93 offset1:94
	v_cmp_lt_u32_e32 vcc, 33, v0
	s_waitcnt vmcnt(12) lgkmcnt(0)
	v_fma_f64 v[120:121], v[120:121], v[124:125], 0
	s_waitcnt vmcnt(10)
	v_fmac_f64_e32 v[120:121], v[128:129], v[126:127]
	ds_read2_b64 v[124:127], v122 offset0:95 offset1:96
	s_waitcnt vmcnt(8) lgkmcnt(0)
	v_fmac_f64_e32 v[120:121], v[130:131], v[124:125]
	s_waitcnt vmcnt(6)
	v_fmac_f64_e32 v[120:121], v[132:133], v[126:127]
	ds_read2_b64 v[124:127], v122 offset0:97 offset1:98
	s_waitcnt vmcnt(4) lgkmcnt(0)
	v_fmac_f64_e32 v[120:121], v[134:135], v[124:125]
	;; [unrolled: 5-line block ×3, first 2 shown]
	buffer_load_dword v125, off, s[0:3], 0 offset:340
	buffer_load_dword v124, off, s[0:3], 0 offset:336
	buffer_load_dword v129, off, s[0:3], 0 offset:348
	buffer_load_dword v128, off, s[0:3], 0 offset:344
	s_waitcnt vmcnt(2)
	v_fmac_f64_e32 v[120:121], v[124:125], v[126:127]
	ds_read2_b64 v[124:127], v122 offset0:101 offset1:102
	s_waitcnt vmcnt(0) lgkmcnt(0)
	v_fmac_f64_e32 v[120:121], v[128:129], v[124:125]
	buffer_load_dword v125, off, s[0:3], 0 offset:356
	buffer_load_dword v124, off, s[0:3], 0 offset:352
	buffer_load_dword v129, off, s[0:3], 0 offset:364
	buffer_load_dword v128, off, s[0:3], 0 offset:360
	s_waitcnt vmcnt(2)
	v_fmac_f64_e32 v[120:121], v[124:125], v[126:127]
	ds_read2_b64 v[124:127], v122 offset0:103 offset1:104
	s_waitcnt vmcnt(0) lgkmcnt(0)
	v_fmac_f64_e32 v[120:121], v[128:129], v[124:125]
	;; [unrolled: 9-line block ×7, first 2 shown]
	buffer_load_dword v125, off, s[0:3], 0 offset:452
	buffer_load_dword v124, off, s[0:3], 0 offset:448
	s_waitcnt vmcnt(0)
	v_fmac_f64_e32 v[120:121], v[124:125], v[126:127]
	buffer_load_dword v125, off, s[0:3], 0 offset:460
	buffer_load_dword v124, off, s[0:3], 0 offset:456
	ds_read_b64 v[126:127], v122 offset:920
	s_waitcnt vmcnt(0) lgkmcnt(0)
	v_fmac_f64_e32 v[120:121], v[124:125], v[126:127]
	v_add_f64 v[118:119], v[118:119], -v[120:121]
	buffer_store_dword v119, off, s[0:3], 0 offset:276
	buffer_store_dword v118, off, s[0:3], 0 offset:272
	s_and_saveexec_b64 s[4:5], vcc
	s_cbranch_execz .LBB57_289
; %bb.288:
	buffer_load_dword v118, off, s[0:3], 0 offset:264
	buffer_load_dword v119, off, s[0:3], 0 offset:268
	s_waitcnt vmcnt(0)
	ds_write_b64 v1, v[118:119]
	buffer_store_dword v122, off, s[0:3], 0 offset:264
	buffer_store_dword v122, off, s[0:3], 0 offset:268
.LBB57_289:
	s_or_b64 exec, exec, s[4:5]
	s_waitcnt lgkmcnt(0)
	; wave barrier
	s_waitcnt lgkmcnt(0)
	buffer_load_dword v118, off, s[0:3], 0 offset:264
	buffer_load_dword v119, off, s[0:3], 0 offset:268
	;; [unrolled: 1-line block ×16, first 2 shown]
	ds_read_b128 v[124:127], v122 offset:736
	ds_read_b128 v[128:131], v122 offset:752
	;; [unrolled: 1-line block ×4, first 2 shown]
	v_cmp_lt_u32_e32 vcc, 32, v0
	s_waitcnt vmcnt(12) lgkmcnt(3)
	v_fma_f64 v[120:121], v[120:121], v[124:125], 0
	buffer_load_dword v125, off, s[0:3], 0 offset:332
	buffer_load_dword v124, off, s[0:3], 0 offset:328
	s_waitcnt vmcnt(12)
	v_fmac_f64_e32 v[120:121], v[140:141], v[126:127]
	s_waitcnt vmcnt(10) lgkmcnt(2)
	v_fmac_f64_e32 v[120:121], v[142:143], v[128:129]
	buffer_load_dword v129, off, s[0:3], 0 offset:340
	buffer_load_dword v128, off, s[0:3], 0 offset:336
	s_waitcnt vmcnt(10)
	v_fmac_f64_e32 v[120:121], v[144:145], v[130:131]
	s_waitcnt vmcnt(8) lgkmcnt(1)
	v_fmac_f64_e32 v[120:121], v[146:147], v[132:133]
	s_waitcnt vmcnt(6)
	v_fmac_f64_e32 v[120:121], v[148:149], v[134:135]
	s_waitcnt vmcnt(4) lgkmcnt(0)
	v_fmac_f64_e32 v[120:121], v[150:151], v[136:137]
	s_waitcnt vmcnt(2)
	v_fmac_f64_e32 v[120:121], v[124:125], v[138:139]
	ds_read_b128 v[124:127], v122 offset:800
	s_waitcnt vmcnt(0) lgkmcnt(0)
	v_fmac_f64_e32 v[120:121], v[128:129], v[124:125]
	buffer_load_dword v125, off, s[0:3], 0 offset:348
	buffer_load_dword v124, off, s[0:3], 0 offset:344
	buffer_load_dword v129, off, s[0:3], 0 offset:356
	buffer_load_dword v128, off, s[0:3], 0 offset:352
	s_waitcnt vmcnt(2)
	v_fmac_f64_e32 v[120:121], v[124:125], v[126:127]
	ds_read_b128 v[124:127], v122 offset:816
	s_waitcnt vmcnt(0) lgkmcnt(0)
	v_fmac_f64_e32 v[120:121], v[128:129], v[124:125]
	buffer_load_dword v125, off, s[0:3], 0 offset:364
	buffer_load_dword v124, off, s[0:3], 0 offset:360
	buffer_load_dword v129, off, s[0:3], 0 offset:372
	buffer_load_dword v128, off, s[0:3], 0 offset:368
	;; [unrolled: 9-line block ×6, first 2 shown]
	s_waitcnt vmcnt(2)
	v_fmac_f64_e32 v[120:121], v[124:125], v[126:127]
	ds_read_b128 v[124:127], v122 offset:896
	s_waitcnt vmcnt(0) lgkmcnt(0)
	v_fmac_f64_e32 v[120:121], v[128:129], v[124:125]
	buffer_load_dword v125, off, s[0:3], 0 offset:444
	buffer_load_dword v124, off, s[0:3], 0 offset:440
	s_waitcnt vmcnt(0)
	v_fmac_f64_e32 v[120:121], v[124:125], v[126:127]
	buffer_load_dword v127, off, s[0:3], 0 offset:452
	buffer_load_dword v126, off, s[0:3], 0 offset:448
	ds_read_b128 v[122:125], v122 offset:912
	s_waitcnt vmcnt(0) lgkmcnt(0)
	v_fmac_f64_e32 v[120:121], v[126:127], v[122:123]
	buffer_load_dword v123, off, s[0:3], 0 offset:460
	buffer_load_dword v122, off, s[0:3], 0 offset:456
	s_waitcnt vmcnt(0)
	v_fmac_f64_e32 v[120:121], v[122:123], v[124:125]
	v_add_f64 v[118:119], v[118:119], -v[120:121]
	buffer_store_dword v119, off, s[0:3], 0 offset:268
	buffer_store_dword v118, off, s[0:3], 0 offset:264
	s_and_saveexec_b64 s[4:5], vcc
	s_cbranch_execz .LBB57_291
; %bb.290:
	buffer_load_dword v118, off, s[0:3], 0 offset:256
	buffer_load_dword v119, off, s[0:3], 0 offset:260
	v_mov_b32_e32 v120, 0
	buffer_store_dword v120, off, s[0:3], 0 offset:256
	buffer_store_dword v120, off, s[0:3], 0 offset:260
	s_waitcnt vmcnt(2)
	ds_write_b64 v1, v[118:119]
.LBB57_291:
	s_or_b64 exec, exec, s[4:5]
	s_waitcnt lgkmcnt(0)
	; wave barrier
	s_waitcnt lgkmcnt(0)
	buffer_load_dword v118, off, s[0:3], 0 offset:256
	buffer_load_dword v119, off, s[0:3], 0 offset:260
	;; [unrolled: 1-line block ×16, first 2 shown]
	v_mov_b32_e32 v122, 0
	ds_read2_b64 v[124:127], v122 offset0:91 offset1:92
	v_cmp_lt_u32_e32 vcc, 31, v0
	s_waitcnt vmcnt(12) lgkmcnt(0)
	v_fma_f64 v[120:121], v[120:121], v[124:125], 0
	s_waitcnt vmcnt(10)
	v_fmac_f64_e32 v[120:121], v[128:129], v[126:127]
	ds_read2_b64 v[124:127], v122 offset0:93 offset1:94
	s_waitcnt vmcnt(8) lgkmcnt(0)
	v_fmac_f64_e32 v[120:121], v[130:131], v[124:125]
	s_waitcnt vmcnt(6)
	v_fmac_f64_e32 v[120:121], v[132:133], v[126:127]
	ds_read2_b64 v[124:127], v122 offset0:95 offset1:96
	s_waitcnt vmcnt(4) lgkmcnt(0)
	v_fmac_f64_e32 v[120:121], v[134:135], v[124:125]
	;; [unrolled: 5-line block ×3, first 2 shown]
	buffer_load_dword v125, off, s[0:3], 0 offset:324
	buffer_load_dword v124, off, s[0:3], 0 offset:320
	buffer_load_dword v129, off, s[0:3], 0 offset:332
	buffer_load_dword v128, off, s[0:3], 0 offset:328
	s_waitcnt vmcnt(2)
	v_fmac_f64_e32 v[120:121], v[124:125], v[126:127]
	ds_read2_b64 v[124:127], v122 offset0:99 offset1:100
	s_waitcnt vmcnt(0) lgkmcnt(0)
	v_fmac_f64_e32 v[120:121], v[128:129], v[124:125]
	buffer_load_dword v125, off, s[0:3], 0 offset:340
	buffer_load_dword v124, off, s[0:3], 0 offset:336
	buffer_load_dword v129, off, s[0:3], 0 offset:348
	buffer_load_dword v128, off, s[0:3], 0 offset:344
	s_waitcnt vmcnt(2)
	v_fmac_f64_e32 v[120:121], v[124:125], v[126:127]
	ds_read2_b64 v[124:127], v122 offset0:101 offset1:102
	s_waitcnt vmcnt(0) lgkmcnt(0)
	v_fmac_f64_e32 v[120:121], v[128:129], v[124:125]
	;; [unrolled: 9-line block ×8, first 2 shown]
	buffer_load_dword v125, off, s[0:3], 0 offset:452
	buffer_load_dword v124, off, s[0:3], 0 offset:448
	s_waitcnt vmcnt(0)
	v_fmac_f64_e32 v[120:121], v[124:125], v[126:127]
	buffer_load_dword v125, off, s[0:3], 0 offset:460
	buffer_load_dword v124, off, s[0:3], 0 offset:456
	ds_read_b64 v[126:127], v122 offset:920
	s_waitcnt vmcnt(0) lgkmcnt(0)
	v_fmac_f64_e32 v[120:121], v[124:125], v[126:127]
	v_add_f64 v[118:119], v[118:119], -v[120:121]
	buffer_store_dword v119, off, s[0:3], 0 offset:260
	buffer_store_dword v118, off, s[0:3], 0 offset:256
	s_and_saveexec_b64 s[4:5], vcc
	s_cbranch_execz .LBB57_293
; %bb.292:
	buffer_load_dword v118, off, s[0:3], 0 offset:248
	buffer_load_dword v119, off, s[0:3], 0 offset:252
	s_waitcnt vmcnt(0)
	ds_write_b64 v1, v[118:119]
	buffer_store_dword v122, off, s[0:3], 0 offset:248
	buffer_store_dword v122, off, s[0:3], 0 offset:252
.LBB57_293:
	s_or_b64 exec, exec, s[4:5]
	s_waitcnt lgkmcnt(0)
	; wave barrier
	s_waitcnt lgkmcnt(0)
	buffer_load_dword v118, off, s[0:3], 0 offset:248
	buffer_load_dword v119, off, s[0:3], 0 offset:252
	;; [unrolled: 1-line block ×16, first 2 shown]
	ds_read_b128 v[124:127], v122 offset:720
	ds_read_b128 v[128:131], v122 offset:736
	;; [unrolled: 1-line block ×4, first 2 shown]
	v_cmp_lt_u32_e32 vcc, 30, v0
	s_waitcnt vmcnt(12) lgkmcnt(3)
	v_fma_f64 v[120:121], v[120:121], v[124:125], 0
	buffer_load_dword v125, off, s[0:3], 0 offset:316
	buffer_load_dword v124, off, s[0:3], 0 offset:312
	s_waitcnt vmcnt(12)
	v_fmac_f64_e32 v[120:121], v[140:141], v[126:127]
	s_waitcnt vmcnt(10) lgkmcnt(2)
	v_fmac_f64_e32 v[120:121], v[142:143], v[128:129]
	buffer_load_dword v129, off, s[0:3], 0 offset:324
	buffer_load_dword v128, off, s[0:3], 0 offset:320
	s_waitcnt vmcnt(10)
	v_fmac_f64_e32 v[120:121], v[144:145], v[130:131]
	s_waitcnt vmcnt(8) lgkmcnt(1)
	v_fmac_f64_e32 v[120:121], v[146:147], v[132:133]
	s_waitcnt vmcnt(6)
	v_fmac_f64_e32 v[120:121], v[148:149], v[134:135]
	s_waitcnt vmcnt(4) lgkmcnt(0)
	v_fmac_f64_e32 v[120:121], v[150:151], v[136:137]
	s_waitcnt vmcnt(2)
	v_fmac_f64_e32 v[120:121], v[124:125], v[138:139]
	ds_read_b128 v[124:127], v122 offset:784
	s_waitcnt vmcnt(0) lgkmcnt(0)
	v_fmac_f64_e32 v[120:121], v[128:129], v[124:125]
	buffer_load_dword v125, off, s[0:3], 0 offset:332
	buffer_load_dword v124, off, s[0:3], 0 offset:328
	buffer_load_dword v129, off, s[0:3], 0 offset:340
	buffer_load_dword v128, off, s[0:3], 0 offset:336
	s_waitcnt vmcnt(2)
	v_fmac_f64_e32 v[120:121], v[124:125], v[126:127]
	ds_read_b128 v[124:127], v122 offset:800
	s_waitcnt vmcnt(0) lgkmcnt(0)
	v_fmac_f64_e32 v[120:121], v[128:129], v[124:125]
	buffer_load_dword v125, off, s[0:3], 0 offset:348
	buffer_load_dword v124, off, s[0:3], 0 offset:344
	buffer_load_dword v129, off, s[0:3], 0 offset:356
	buffer_load_dword v128, off, s[0:3], 0 offset:352
	;; [unrolled: 9-line block ×7, first 2 shown]
	s_waitcnt vmcnt(2)
	v_fmac_f64_e32 v[120:121], v[124:125], v[126:127]
	ds_read_b128 v[124:127], v122 offset:896
	s_waitcnt vmcnt(0) lgkmcnt(0)
	v_fmac_f64_e32 v[120:121], v[128:129], v[124:125]
	buffer_load_dword v125, off, s[0:3], 0 offset:444
	buffer_load_dword v124, off, s[0:3], 0 offset:440
	s_waitcnt vmcnt(0)
	v_fmac_f64_e32 v[120:121], v[124:125], v[126:127]
	buffer_load_dword v127, off, s[0:3], 0 offset:452
	buffer_load_dword v126, off, s[0:3], 0 offset:448
	ds_read_b128 v[122:125], v122 offset:912
	s_waitcnt vmcnt(0) lgkmcnt(0)
	v_fmac_f64_e32 v[120:121], v[126:127], v[122:123]
	buffer_load_dword v123, off, s[0:3], 0 offset:460
	buffer_load_dword v122, off, s[0:3], 0 offset:456
	s_waitcnt vmcnt(0)
	v_fmac_f64_e32 v[120:121], v[122:123], v[124:125]
	v_add_f64 v[118:119], v[118:119], -v[120:121]
	buffer_store_dword v119, off, s[0:3], 0 offset:252
	buffer_store_dword v118, off, s[0:3], 0 offset:248
	s_and_saveexec_b64 s[4:5], vcc
	s_cbranch_execz .LBB57_295
; %bb.294:
	buffer_load_dword v118, off, s[0:3], 0 offset:240
	buffer_load_dword v119, off, s[0:3], 0 offset:244
	v_mov_b32_e32 v120, 0
	buffer_store_dword v120, off, s[0:3], 0 offset:240
	buffer_store_dword v120, off, s[0:3], 0 offset:244
	s_waitcnt vmcnt(2)
	ds_write_b64 v1, v[118:119]
.LBB57_295:
	s_or_b64 exec, exec, s[4:5]
	s_waitcnt lgkmcnt(0)
	; wave barrier
	s_waitcnt lgkmcnt(0)
	buffer_load_dword v118, off, s[0:3], 0 offset:240
	buffer_load_dword v119, off, s[0:3], 0 offset:244
	;; [unrolled: 1-line block ×16, first 2 shown]
	v_mov_b32_e32 v122, 0
	ds_read2_b64 v[124:127], v122 offset0:89 offset1:90
	v_cmp_lt_u32_e32 vcc, 29, v0
	s_waitcnt vmcnt(12) lgkmcnt(0)
	v_fma_f64 v[120:121], v[120:121], v[124:125], 0
	s_waitcnt vmcnt(10)
	v_fmac_f64_e32 v[120:121], v[128:129], v[126:127]
	ds_read2_b64 v[124:127], v122 offset0:91 offset1:92
	s_waitcnt vmcnt(8) lgkmcnt(0)
	v_fmac_f64_e32 v[120:121], v[130:131], v[124:125]
	s_waitcnt vmcnt(6)
	v_fmac_f64_e32 v[120:121], v[132:133], v[126:127]
	ds_read2_b64 v[124:127], v122 offset0:93 offset1:94
	s_waitcnt vmcnt(4) lgkmcnt(0)
	v_fmac_f64_e32 v[120:121], v[134:135], v[124:125]
	;; [unrolled: 5-line block ×3, first 2 shown]
	buffer_load_dword v125, off, s[0:3], 0 offset:308
	buffer_load_dword v124, off, s[0:3], 0 offset:304
	buffer_load_dword v129, off, s[0:3], 0 offset:316
	buffer_load_dword v128, off, s[0:3], 0 offset:312
	s_waitcnt vmcnt(2)
	v_fmac_f64_e32 v[120:121], v[124:125], v[126:127]
	ds_read2_b64 v[124:127], v122 offset0:97 offset1:98
	s_waitcnt vmcnt(0) lgkmcnt(0)
	v_fmac_f64_e32 v[120:121], v[128:129], v[124:125]
	buffer_load_dword v125, off, s[0:3], 0 offset:324
	buffer_load_dword v124, off, s[0:3], 0 offset:320
	buffer_load_dword v129, off, s[0:3], 0 offset:332
	buffer_load_dword v128, off, s[0:3], 0 offset:328
	s_waitcnt vmcnt(2)
	v_fmac_f64_e32 v[120:121], v[124:125], v[126:127]
	ds_read2_b64 v[124:127], v122 offset0:99 offset1:100
	s_waitcnt vmcnt(0) lgkmcnt(0)
	v_fmac_f64_e32 v[120:121], v[128:129], v[124:125]
	;; [unrolled: 9-line block ×9, first 2 shown]
	buffer_load_dword v125, off, s[0:3], 0 offset:452
	buffer_load_dword v124, off, s[0:3], 0 offset:448
	s_waitcnt vmcnt(0)
	v_fmac_f64_e32 v[120:121], v[124:125], v[126:127]
	buffer_load_dword v125, off, s[0:3], 0 offset:460
	buffer_load_dword v124, off, s[0:3], 0 offset:456
	ds_read_b64 v[126:127], v122 offset:920
	s_waitcnt vmcnt(0) lgkmcnt(0)
	v_fmac_f64_e32 v[120:121], v[124:125], v[126:127]
	v_add_f64 v[118:119], v[118:119], -v[120:121]
	buffer_store_dword v119, off, s[0:3], 0 offset:244
	buffer_store_dword v118, off, s[0:3], 0 offset:240
	s_and_saveexec_b64 s[4:5], vcc
	s_cbranch_execz .LBB57_297
; %bb.296:
	buffer_load_dword v118, off, s[0:3], 0 offset:232
	buffer_load_dword v119, off, s[0:3], 0 offset:236
	s_waitcnt vmcnt(0)
	ds_write_b64 v1, v[118:119]
	buffer_store_dword v122, off, s[0:3], 0 offset:232
	buffer_store_dword v122, off, s[0:3], 0 offset:236
.LBB57_297:
	s_or_b64 exec, exec, s[4:5]
	s_waitcnt lgkmcnt(0)
	; wave barrier
	s_waitcnt lgkmcnt(0)
	buffer_load_dword v118, off, s[0:3], 0 offset:232
	buffer_load_dword v119, off, s[0:3], 0 offset:236
	;; [unrolled: 1-line block ×16, first 2 shown]
	ds_read_b128 v[124:127], v122 offset:704
	ds_read_b128 v[128:131], v122 offset:720
	ds_read_b128 v[132:135], v122 offset:736
	ds_read_b128 v[136:139], v122 offset:752
	v_cmp_lt_u32_e32 vcc, 28, v0
	s_waitcnt vmcnt(12) lgkmcnt(3)
	v_fma_f64 v[120:121], v[120:121], v[124:125], 0
	buffer_load_dword v125, off, s[0:3], 0 offset:300
	buffer_load_dword v124, off, s[0:3], 0 offset:296
	s_waitcnt vmcnt(12)
	v_fmac_f64_e32 v[120:121], v[140:141], v[126:127]
	s_waitcnt vmcnt(10) lgkmcnt(2)
	v_fmac_f64_e32 v[120:121], v[142:143], v[128:129]
	buffer_load_dword v129, off, s[0:3], 0 offset:308
	buffer_load_dword v128, off, s[0:3], 0 offset:304
	s_waitcnt vmcnt(10)
	v_fmac_f64_e32 v[120:121], v[144:145], v[130:131]
	s_waitcnt vmcnt(8) lgkmcnt(1)
	v_fmac_f64_e32 v[120:121], v[146:147], v[132:133]
	s_waitcnt vmcnt(6)
	v_fmac_f64_e32 v[120:121], v[148:149], v[134:135]
	s_waitcnt vmcnt(4) lgkmcnt(0)
	v_fmac_f64_e32 v[120:121], v[150:151], v[136:137]
	s_waitcnt vmcnt(2)
	v_fmac_f64_e32 v[120:121], v[124:125], v[138:139]
	ds_read_b128 v[124:127], v122 offset:768
	s_waitcnt vmcnt(0) lgkmcnt(0)
	v_fmac_f64_e32 v[120:121], v[128:129], v[124:125]
	buffer_load_dword v125, off, s[0:3], 0 offset:316
	buffer_load_dword v124, off, s[0:3], 0 offset:312
	buffer_load_dword v129, off, s[0:3], 0 offset:324
	buffer_load_dword v128, off, s[0:3], 0 offset:320
	s_waitcnt vmcnt(2)
	v_fmac_f64_e32 v[120:121], v[124:125], v[126:127]
	ds_read_b128 v[124:127], v122 offset:784
	s_waitcnt vmcnt(0) lgkmcnt(0)
	v_fmac_f64_e32 v[120:121], v[128:129], v[124:125]
	buffer_load_dword v125, off, s[0:3], 0 offset:332
	buffer_load_dword v124, off, s[0:3], 0 offset:328
	buffer_load_dword v129, off, s[0:3], 0 offset:340
	buffer_load_dword v128, off, s[0:3], 0 offset:336
	;; [unrolled: 9-line block ×8, first 2 shown]
	s_waitcnt vmcnt(2)
	v_fmac_f64_e32 v[120:121], v[124:125], v[126:127]
	ds_read_b128 v[124:127], v122 offset:896
	s_waitcnt vmcnt(0) lgkmcnt(0)
	v_fmac_f64_e32 v[120:121], v[128:129], v[124:125]
	buffer_load_dword v125, off, s[0:3], 0 offset:444
	buffer_load_dword v124, off, s[0:3], 0 offset:440
	s_waitcnt vmcnt(0)
	v_fmac_f64_e32 v[120:121], v[124:125], v[126:127]
	buffer_load_dword v127, off, s[0:3], 0 offset:452
	buffer_load_dword v126, off, s[0:3], 0 offset:448
	ds_read_b128 v[122:125], v122 offset:912
	s_waitcnt vmcnt(0) lgkmcnt(0)
	v_fmac_f64_e32 v[120:121], v[126:127], v[122:123]
	buffer_load_dword v123, off, s[0:3], 0 offset:460
	buffer_load_dword v122, off, s[0:3], 0 offset:456
	s_waitcnt vmcnt(0)
	v_fmac_f64_e32 v[120:121], v[122:123], v[124:125]
	v_add_f64 v[118:119], v[118:119], -v[120:121]
	buffer_store_dword v119, off, s[0:3], 0 offset:236
	buffer_store_dword v118, off, s[0:3], 0 offset:232
	s_and_saveexec_b64 s[4:5], vcc
	s_cbranch_execz .LBB57_299
; %bb.298:
	buffer_load_dword v118, off, s[0:3], 0 offset:224
	buffer_load_dword v119, off, s[0:3], 0 offset:228
	v_mov_b32_e32 v120, 0
	buffer_store_dword v120, off, s[0:3], 0 offset:224
	buffer_store_dword v120, off, s[0:3], 0 offset:228
	s_waitcnt vmcnt(2)
	ds_write_b64 v1, v[118:119]
.LBB57_299:
	s_or_b64 exec, exec, s[4:5]
	s_waitcnt lgkmcnt(0)
	; wave barrier
	s_waitcnt lgkmcnt(0)
	buffer_load_dword v118, off, s[0:3], 0 offset:224
	buffer_load_dword v119, off, s[0:3], 0 offset:228
	;; [unrolled: 1-line block ×16, first 2 shown]
	v_mov_b32_e32 v122, 0
	ds_read2_b64 v[124:127], v122 offset0:87 offset1:88
	v_cmp_lt_u32_e32 vcc, 27, v0
	s_waitcnt vmcnt(12) lgkmcnt(0)
	v_fma_f64 v[120:121], v[120:121], v[124:125], 0
	s_waitcnt vmcnt(10)
	v_fmac_f64_e32 v[120:121], v[128:129], v[126:127]
	ds_read2_b64 v[124:127], v122 offset0:89 offset1:90
	s_waitcnt vmcnt(8) lgkmcnt(0)
	v_fmac_f64_e32 v[120:121], v[130:131], v[124:125]
	s_waitcnt vmcnt(6)
	v_fmac_f64_e32 v[120:121], v[132:133], v[126:127]
	ds_read2_b64 v[124:127], v122 offset0:91 offset1:92
	s_waitcnt vmcnt(4) lgkmcnt(0)
	v_fmac_f64_e32 v[120:121], v[134:135], v[124:125]
	;; [unrolled: 5-line block ×3, first 2 shown]
	buffer_load_dword v125, off, s[0:3], 0 offset:292
	buffer_load_dword v124, off, s[0:3], 0 offset:288
	buffer_load_dword v129, off, s[0:3], 0 offset:300
	buffer_load_dword v128, off, s[0:3], 0 offset:296
	s_waitcnt vmcnt(2)
	v_fmac_f64_e32 v[120:121], v[124:125], v[126:127]
	ds_read2_b64 v[124:127], v122 offset0:95 offset1:96
	s_waitcnt vmcnt(0) lgkmcnt(0)
	v_fmac_f64_e32 v[120:121], v[128:129], v[124:125]
	buffer_load_dword v125, off, s[0:3], 0 offset:308
	buffer_load_dword v124, off, s[0:3], 0 offset:304
	buffer_load_dword v129, off, s[0:3], 0 offset:316
	buffer_load_dword v128, off, s[0:3], 0 offset:312
	s_waitcnt vmcnt(2)
	v_fmac_f64_e32 v[120:121], v[124:125], v[126:127]
	ds_read2_b64 v[124:127], v122 offset0:97 offset1:98
	s_waitcnt vmcnt(0) lgkmcnt(0)
	v_fmac_f64_e32 v[120:121], v[128:129], v[124:125]
	buffer_load_dword v125, off, s[0:3], 0 offset:324
	buffer_load_dword v124, off, s[0:3], 0 offset:320
	buffer_load_dword v129, off, s[0:3], 0 offset:332
	buffer_load_dword v128, off, s[0:3], 0 offset:328
	s_waitcnt vmcnt(2)
	v_fmac_f64_e32 v[120:121], v[124:125], v[126:127]
	ds_read2_b64 v[124:127], v122 offset0:99 offset1:100
	s_waitcnt vmcnt(0) lgkmcnt(0)
	v_fmac_f64_e32 v[120:121], v[128:129], v[124:125]
	buffer_load_dword v125, off, s[0:3], 0 offset:340
	buffer_load_dword v124, off, s[0:3], 0 offset:336
	buffer_load_dword v129, off, s[0:3], 0 offset:348
	buffer_load_dword v128, off, s[0:3], 0 offset:344
	s_waitcnt vmcnt(2)
	v_fmac_f64_e32 v[120:121], v[124:125], v[126:127]
	ds_read2_b64 v[124:127], v122 offset0:101 offset1:102
	s_waitcnt vmcnt(0) lgkmcnt(0)
	v_fmac_f64_e32 v[120:121], v[128:129], v[124:125]
	buffer_load_dword v125, off, s[0:3], 0 offset:356
	buffer_load_dword v124, off, s[0:3], 0 offset:352
	buffer_load_dword v129, off, s[0:3], 0 offset:364
	buffer_load_dword v128, off, s[0:3], 0 offset:360
	s_waitcnt vmcnt(2)
	v_fmac_f64_e32 v[120:121], v[124:125], v[126:127]
	ds_read2_b64 v[124:127], v122 offset0:103 offset1:104
	s_waitcnt vmcnt(0) lgkmcnt(0)
	v_fmac_f64_e32 v[120:121], v[128:129], v[124:125]
	buffer_load_dword v125, off, s[0:3], 0 offset:372
	buffer_load_dword v124, off, s[0:3], 0 offset:368
	buffer_load_dword v129, off, s[0:3], 0 offset:380
	buffer_load_dword v128, off, s[0:3], 0 offset:376
	s_waitcnt vmcnt(2)
	v_fmac_f64_e32 v[120:121], v[124:125], v[126:127]
	ds_read2_b64 v[124:127], v122 offset0:105 offset1:106
	s_waitcnt vmcnt(0) lgkmcnt(0)
	v_fmac_f64_e32 v[120:121], v[128:129], v[124:125]
	buffer_load_dword v125, off, s[0:3], 0 offset:388
	buffer_load_dword v124, off, s[0:3], 0 offset:384
	buffer_load_dword v129, off, s[0:3], 0 offset:396
	buffer_load_dword v128, off, s[0:3], 0 offset:392
	s_waitcnt vmcnt(2)
	v_fmac_f64_e32 v[120:121], v[124:125], v[126:127]
	ds_read2_b64 v[124:127], v122 offset0:107 offset1:108
	s_waitcnt vmcnt(0) lgkmcnt(0)
	v_fmac_f64_e32 v[120:121], v[128:129], v[124:125]
	buffer_load_dword v125, off, s[0:3], 0 offset:404
	buffer_load_dword v124, off, s[0:3], 0 offset:400
	buffer_load_dword v129, off, s[0:3], 0 offset:412
	buffer_load_dword v128, off, s[0:3], 0 offset:408
	s_waitcnt vmcnt(2)
	v_fmac_f64_e32 v[120:121], v[124:125], v[126:127]
	ds_read2_b64 v[124:127], v122 offset0:109 offset1:110
	s_waitcnt vmcnt(0) lgkmcnt(0)
	v_fmac_f64_e32 v[120:121], v[128:129], v[124:125]
	buffer_load_dword v125, off, s[0:3], 0 offset:420
	buffer_load_dword v124, off, s[0:3], 0 offset:416
	buffer_load_dword v129, off, s[0:3], 0 offset:428
	buffer_load_dword v128, off, s[0:3], 0 offset:424
	s_waitcnt vmcnt(2)
	v_fmac_f64_e32 v[120:121], v[124:125], v[126:127]
	ds_read2_b64 v[124:127], v122 offset0:111 offset1:112
	s_waitcnt vmcnt(0) lgkmcnt(0)
	v_fmac_f64_e32 v[120:121], v[128:129], v[124:125]
	buffer_load_dword v125, off, s[0:3], 0 offset:436
	buffer_load_dword v124, off, s[0:3], 0 offset:432
	buffer_load_dword v129, off, s[0:3], 0 offset:444
	buffer_load_dword v128, off, s[0:3], 0 offset:440
	s_waitcnt vmcnt(2)
	v_fmac_f64_e32 v[120:121], v[124:125], v[126:127]
	ds_read2_b64 v[124:127], v122 offset0:113 offset1:114
	s_waitcnt vmcnt(0) lgkmcnt(0)
	v_fmac_f64_e32 v[120:121], v[128:129], v[124:125]
	buffer_load_dword v125, off, s[0:3], 0 offset:452
	buffer_load_dword v124, off, s[0:3], 0 offset:448
	s_waitcnt vmcnt(0)
	v_fmac_f64_e32 v[120:121], v[124:125], v[126:127]
	buffer_load_dword v125, off, s[0:3], 0 offset:460
	buffer_load_dword v124, off, s[0:3], 0 offset:456
	ds_read_b64 v[126:127], v122 offset:920
	s_waitcnt vmcnt(0) lgkmcnt(0)
	v_fmac_f64_e32 v[120:121], v[124:125], v[126:127]
	v_add_f64 v[118:119], v[118:119], -v[120:121]
	buffer_store_dword v119, off, s[0:3], 0 offset:228
	buffer_store_dword v118, off, s[0:3], 0 offset:224
	s_and_saveexec_b64 s[4:5], vcc
	s_cbranch_execz .LBB57_301
; %bb.300:
	buffer_load_dword v118, off, s[0:3], 0 offset:216
	buffer_load_dword v119, off, s[0:3], 0 offset:220
	s_waitcnt vmcnt(0)
	ds_write_b64 v1, v[118:119]
	buffer_store_dword v122, off, s[0:3], 0 offset:216
	buffer_store_dword v122, off, s[0:3], 0 offset:220
.LBB57_301:
	s_or_b64 exec, exec, s[4:5]
	s_waitcnt lgkmcnt(0)
	; wave barrier
	s_waitcnt lgkmcnt(0)
	buffer_load_dword v118, off, s[0:3], 0 offset:216
	buffer_load_dword v119, off, s[0:3], 0 offset:220
	;; [unrolled: 1-line block ×16, first 2 shown]
	ds_read_b128 v[124:127], v122 offset:688
	ds_read_b128 v[128:131], v122 offset:704
	;; [unrolled: 1-line block ×4, first 2 shown]
	v_cmp_lt_u32_e32 vcc, 26, v0
	s_waitcnt vmcnt(12) lgkmcnt(3)
	v_fma_f64 v[120:121], v[120:121], v[124:125], 0
	buffer_load_dword v125, off, s[0:3], 0 offset:284
	buffer_load_dword v124, off, s[0:3], 0 offset:280
	s_waitcnt vmcnt(12)
	v_fmac_f64_e32 v[120:121], v[140:141], v[126:127]
	s_waitcnt vmcnt(10) lgkmcnt(2)
	v_fmac_f64_e32 v[120:121], v[142:143], v[128:129]
	buffer_load_dword v129, off, s[0:3], 0 offset:292
	buffer_load_dword v128, off, s[0:3], 0 offset:288
	s_waitcnt vmcnt(10)
	v_fmac_f64_e32 v[120:121], v[144:145], v[130:131]
	s_waitcnt vmcnt(8) lgkmcnt(1)
	v_fmac_f64_e32 v[120:121], v[146:147], v[132:133]
	s_waitcnt vmcnt(6)
	v_fmac_f64_e32 v[120:121], v[148:149], v[134:135]
	s_waitcnt vmcnt(4) lgkmcnt(0)
	v_fmac_f64_e32 v[120:121], v[150:151], v[136:137]
	s_waitcnt vmcnt(2)
	v_fmac_f64_e32 v[120:121], v[124:125], v[138:139]
	ds_read_b128 v[124:127], v122 offset:752
	s_waitcnt vmcnt(0) lgkmcnt(0)
	v_fmac_f64_e32 v[120:121], v[128:129], v[124:125]
	buffer_load_dword v125, off, s[0:3], 0 offset:300
	buffer_load_dword v124, off, s[0:3], 0 offset:296
	buffer_load_dword v129, off, s[0:3], 0 offset:308
	buffer_load_dword v128, off, s[0:3], 0 offset:304
	s_waitcnt vmcnt(2)
	v_fmac_f64_e32 v[120:121], v[124:125], v[126:127]
	ds_read_b128 v[124:127], v122 offset:768
	s_waitcnt vmcnt(0) lgkmcnt(0)
	v_fmac_f64_e32 v[120:121], v[128:129], v[124:125]
	buffer_load_dword v125, off, s[0:3], 0 offset:316
	buffer_load_dword v124, off, s[0:3], 0 offset:312
	buffer_load_dword v129, off, s[0:3], 0 offset:324
	buffer_load_dword v128, off, s[0:3], 0 offset:320
	;; [unrolled: 9-line block ×9, first 2 shown]
	s_waitcnt vmcnt(2)
	v_fmac_f64_e32 v[120:121], v[124:125], v[126:127]
	ds_read_b128 v[124:127], v122 offset:896
	s_waitcnt vmcnt(0) lgkmcnt(0)
	v_fmac_f64_e32 v[120:121], v[128:129], v[124:125]
	buffer_load_dword v125, off, s[0:3], 0 offset:444
	buffer_load_dword v124, off, s[0:3], 0 offset:440
	s_waitcnt vmcnt(0)
	v_fmac_f64_e32 v[120:121], v[124:125], v[126:127]
	buffer_load_dword v127, off, s[0:3], 0 offset:452
	buffer_load_dword v126, off, s[0:3], 0 offset:448
	ds_read_b128 v[122:125], v122 offset:912
	s_waitcnt vmcnt(0) lgkmcnt(0)
	v_fmac_f64_e32 v[120:121], v[126:127], v[122:123]
	buffer_load_dword v123, off, s[0:3], 0 offset:460
	buffer_load_dword v122, off, s[0:3], 0 offset:456
	s_waitcnt vmcnt(0)
	v_fmac_f64_e32 v[120:121], v[122:123], v[124:125]
	v_add_f64 v[118:119], v[118:119], -v[120:121]
	buffer_store_dword v119, off, s[0:3], 0 offset:220
	buffer_store_dword v118, off, s[0:3], 0 offset:216
	s_and_saveexec_b64 s[4:5], vcc
	s_cbranch_execz .LBB57_303
; %bb.302:
	buffer_load_dword v118, off, s[0:3], 0 offset:208
	buffer_load_dword v119, off, s[0:3], 0 offset:212
	v_mov_b32_e32 v120, 0
	buffer_store_dword v120, off, s[0:3], 0 offset:208
	buffer_store_dword v120, off, s[0:3], 0 offset:212
	s_waitcnt vmcnt(2)
	ds_write_b64 v1, v[118:119]
.LBB57_303:
	s_or_b64 exec, exec, s[4:5]
	s_waitcnt lgkmcnt(0)
	; wave barrier
	s_waitcnt lgkmcnt(0)
	buffer_load_dword v118, off, s[0:3], 0 offset:208
	buffer_load_dword v119, off, s[0:3], 0 offset:212
	;; [unrolled: 1-line block ×16, first 2 shown]
	v_mov_b32_e32 v122, 0
	ds_read2_b64 v[124:127], v122 offset0:85 offset1:86
	v_cmp_lt_u32_e32 vcc, 25, v0
	s_waitcnt vmcnt(12) lgkmcnt(0)
	v_fma_f64 v[120:121], v[120:121], v[124:125], 0
	s_waitcnt vmcnt(10)
	v_fmac_f64_e32 v[120:121], v[128:129], v[126:127]
	ds_read2_b64 v[124:127], v122 offset0:87 offset1:88
	s_waitcnt vmcnt(8) lgkmcnt(0)
	v_fmac_f64_e32 v[120:121], v[130:131], v[124:125]
	s_waitcnt vmcnt(6)
	v_fmac_f64_e32 v[120:121], v[132:133], v[126:127]
	ds_read2_b64 v[124:127], v122 offset0:89 offset1:90
	s_waitcnt vmcnt(4) lgkmcnt(0)
	v_fmac_f64_e32 v[120:121], v[134:135], v[124:125]
	;; [unrolled: 5-line block ×3, first 2 shown]
	buffer_load_dword v125, off, s[0:3], 0 offset:276
	buffer_load_dword v124, off, s[0:3], 0 offset:272
	buffer_load_dword v129, off, s[0:3], 0 offset:284
	buffer_load_dword v128, off, s[0:3], 0 offset:280
	s_waitcnt vmcnt(2)
	v_fmac_f64_e32 v[120:121], v[124:125], v[126:127]
	ds_read2_b64 v[124:127], v122 offset0:93 offset1:94
	s_waitcnt vmcnt(0) lgkmcnt(0)
	v_fmac_f64_e32 v[120:121], v[128:129], v[124:125]
	buffer_load_dword v125, off, s[0:3], 0 offset:292
	buffer_load_dword v124, off, s[0:3], 0 offset:288
	buffer_load_dword v129, off, s[0:3], 0 offset:300
	buffer_load_dword v128, off, s[0:3], 0 offset:296
	s_waitcnt vmcnt(2)
	v_fmac_f64_e32 v[120:121], v[124:125], v[126:127]
	ds_read2_b64 v[124:127], v122 offset0:95 offset1:96
	s_waitcnt vmcnt(0) lgkmcnt(0)
	v_fmac_f64_e32 v[120:121], v[128:129], v[124:125]
	;; [unrolled: 9-line block ×11, first 2 shown]
	buffer_load_dword v125, off, s[0:3], 0 offset:452
	buffer_load_dword v124, off, s[0:3], 0 offset:448
	s_waitcnt vmcnt(0)
	v_fmac_f64_e32 v[120:121], v[124:125], v[126:127]
	buffer_load_dword v125, off, s[0:3], 0 offset:460
	buffer_load_dword v124, off, s[0:3], 0 offset:456
	ds_read_b64 v[126:127], v122 offset:920
	s_waitcnt vmcnt(0) lgkmcnt(0)
	v_fmac_f64_e32 v[120:121], v[124:125], v[126:127]
	v_add_f64 v[118:119], v[118:119], -v[120:121]
	buffer_store_dword v119, off, s[0:3], 0 offset:212
	buffer_store_dword v118, off, s[0:3], 0 offset:208
	s_and_saveexec_b64 s[4:5], vcc
	s_cbranch_execz .LBB57_305
; %bb.304:
	buffer_load_dword v118, off, s[0:3], 0 offset:200
	buffer_load_dword v119, off, s[0:3], 0 offset:204
	s_waitcnt vmcnt(0)
	ds_write_b64 v1, v[118:119]
	buffer_store_dword v122, off, s[0:3], 0 offset:200
	buffer_store_dword v122, off, s[0:3], 0 offset:204
.LBB57_305:
	s_or_b64 exec, exec, s[4:5]
	s_waitcnt lgkmcnt(0)
	; wave barrier
	s_waitcnt lgkmcnt(0)
	buffer_load_dword v118, off, s[0:3], 0 offset:200
	buffer_load_dword v119, off, s[0:3], 0 offset:204
	;; [unrolled: 1-line block ×16, first 2 shown]
	ds_read_b128 v[124:127], v122 offset:672
	ds_read_b128 v[128:131], v122 offset:688
	;; [unrolled: 1-line block ×4, first 2 shown]
	v_cmp_lt_u32_e32 vcc, 24, v0
	s_waitcnt vmcnt(12) lgkmcnt(3)
	v_fma_f64 v[120:121], v[120:121], v[124:125], 0
	buffer_load_dword v125, off, s[0:3], 0 offset:268
	buffer_load_dword v124, off, s[0:3], 0 offset:264
	s_waitcnt vmcnt(12)
	v_fmac_f64_e32 v[120:121], v[140:141], v[126:127]
	s_waitcnt vmcnt(10) lgkmcnt(2)
	v_fmac_f64_e32 v[120:121], v[142:143], v[128:129]
	buffer_load_dword v129, off, s[0:3], 0 offset:276
	buffer_load_dword v128, off, s[0:3], 0 offset:272
	s_waitcnt vmcnt(10)
	v_fmac_f64_e32 v[120:121], v[144:145], v[130:131]
	s_waitcnt vmcnt(8) lgkmcnt(1)
	v_fmac_f64_e32 v[120:121], v[146:147], v[132:133]
	s_waitcnt vmcnt(6)
	v_fmac_f64_e32 v[120:121], v[148:149], v[134:135]
	s_waitcnt vmcnt(4) lgkmcnt(0)
	v_fmac_f64_e32 v[120:121], v[150:151], v[136:137]
	s_waitcnt vmcnt(2)
	v_fmac_f64_e32 v[120:121], v[124:125], v[138:139]
	ds_read_b128 v[124:127], v122 offset:736
	s_waitcnt vmcnt(0) lgkmcnt(0)
	v_fmac_f64_e32 v[120:121], v[128:129], v[124:125]
	buffer_load_dword v125, off, s[0:3], 0 offset:284
	buffer_load_dword v124, off, s[0:3], 0 offset:280
	buffer_load_dword v129, off, s[0:3], 0 offset:292
	buffer_load_dword v128, off, s[0:3], 0 offset:288
	s_waitcnt vmcnt(2)
	v_fmac_f64_e32 v[120:121], v[124:125], v[126:127]
	ds_read_b128 v[124:127], v122 offset:752
	s_waitcnt vmcnt(0) lgkmcnt(0)
	v_fmac_f64_e32 v[120:121], v[128:129], v[124:125]
	buffer_load_dword v125, off, s[0:3], 0 offset:300
	buffer_load_dword v124, off, s[0:3], 0 offset:296
	buffer_load_dword v129, off, s[0:3], 0 offset:308
	buffer_load_dword v128, off, s[0:3], 0 offset:304
	;; [unrolled: 9-line block ×10, first 2 shown]
	s_waitcnt vmcnt(2)
	v_fmac_f64_e32 v[120:121], v[124:125], v[126:127]
	ds_read_b128 v[124:127], v122 offset:896
	s_waitcnt vmcnt(0) lgkmcnt(0)
	v_fmac_f64_e32 v[120:121], v[128:129], v[124:125]
	buffer_load_dword v125, off, s[0:3], 0 offset:444
	buffer_load_dword v124, off, s[0:3], 0 offset:440
	s_waitcnt vmcnt(0)
	v_fmac_f64_e32 v[120:121], v[124:125], v[126:127]
	buffer_load_dword v127, off, s[0:3], 0 offset:452
	buffer_load_dword v126, off, s[0:3], 0 offset:448
	ds_read_b128 v[122:125], v122 offset:912
	s_waitcnt vmcnt(0) lgkmcnt(0)
	v_fmac_f64_e32 v[120:121], v[126:127], v[122:123]
	buffer_load_dword v123, off, s[0:3], 0 offset:460
	buffer_load_dword v122, off, s[0:3], 0 offset:456
	s_waitcnt vmcnt(0)
	v_fmac_f64_e32 v[120:121], v[122:123], v[124:125]
	v_add_f64 v[118:119], v[118:119], -v[120:121]
	buffer_store_dword v119, off, s[0:3], 0 offset:204
	buffer_store_dword v118, off, s[0:3], 0 offset:200
	s_and_saveexec_b64 s[4:5], vcc
	s_cbranch_execz .LBB57_307
; %bb.306:
	buffer_load_dword v118, off, s[0:3], 0 offset:192
	buffer_load_dword v119, off, s[0:3], 0 offset:196
	v_mov_b32_e32 v120, 0
	buffer_store_dword v120, off, s[0:3], 0 offset:192
	buffer_store_dword v120, off, s[0:3], 0 offset:196
	s_waitcnt vmcnt(2)
	ds_write_b64 v1, v[118:119]
.LBB57_307:
	s_or_b64 exec, exec, s[4:5]
	s_waitcnt lgkmcnt(0)
	; wave barrier
	s_waitcnt lgkmcnt(0)
	buffer_load_dword v118, off, s[0:3], 0 offset:192
	buffer_load_dword v119, off, s[0:3], 0 offset:196
	;; [unrolled: 1-line block ×16, first 2 shown]
	v_mov_b32_e32 v122, 0
	ds_read2_b64 v[124:127], v122 offset0:83 offset1:84
	v_cmp_lt_u32_e32 vcc, 23, v0
	s_waitcnt vmcnt(12) lgkmcnt(0)
	v_fma_f64 v[120:121], v[120:121], v[124:125], 0
	s_waitcnt vmcnt(10)
	v_fmac_f64_e32 v[120:121], v[128:129], v[126:127]
	ds_read2_b64 v[124:127], v122 offset0:85 offset1:86
	s_waitcnt vmcnt(8) lgkmcnt(0)
	v_fmac_f64_e32 v[120:121], v[130:131], v[124:125]
	s_waitcnt vmcnt(6)
	v_fmac_f64_e32 v[120:121], v[132:133], v[126:127]
	ds_read2_b64 v[124:127], v122 offset0:87 offset1:88
	s_waitcnt vmcnt(4) lgkmcnt(0)
	v_fmac_f64_e32 v[120:121], v[134:135], v[124:125]
	;; [unrolled: 5-line block ×3, first 2 shown]
	buffer_load_dword v125, off, s[0:3], 0 offset:260
	buffer_load_dword v124, off, s[0:3], 0 offset:256
	buffer_load_dword v129, off, s[0:3], 0 offset:268
	buffer_load_dword v128, off, s[0:3], 0 offset:264
	s_waitcnt vmcnt(2)
	v_fmac_f64_e32 v[120:121], v[124:125], v[126:127]
	ds_read2_b64 v[124:127], v122 offset0:91 offset1:92
	s_waitcnt vmcnt(0) lgkmcnt(0)
	v_fmac_f64_e32 v[120:121], v[128:129], v[124:125]
	buffer_load_dword v125, off, s[0:3], 0 offset:276
	buffer_load_dword v124, off, s[0:3], 0 offset:272
	buffer_load_dword v129, off, s[0:3], 0 offset:284
	buffer_load_dword v128, off, s[0:3], 0 offset:280
	s_waitcnt vmcnt(2)
	v_fmac_f64_e32 v[120:121], v[124:125], v[126:127]
	ds_read2_b64 v[124:127], v122 offset0:93 offset1:94
	s_waitcnt vmcnt(0) lgkmcnt(0)
	v_fmac_f64_e32 v[120:121], v[128:129], v[124:125]
	;; [unrolled: 9-line block ×12, first 2 shown]
	buffer_load_dword v125, off, s[0:3], 0 offset:452
	buffer_load_dword v124, off, s[0:3], 0 offset:448
	s_waitcnt vmcnt(0)
	v_fmac_f64_e32 v[120:121], v[124:125], v[126:127]
	buffer_load_dword v125, off, s[0:3], 0 offset:460
	buffer_load_dword v124, off, s[0:3], 0 offset:456
	ds_read_b64 v[126:127], v122 offset:920
	s_waitcnt vmcnt(0) lgkmcnt(0)
	v_fmac_f64_e32 v[120:121], v[124:125], v[126:127]
	v_add_f64 v[118:119], v[118:119], -v[120:121]
	buffer_store_dword v119, off, s[0:3], 0 offset:196
	buffer_store_dword v118, off, s[0:3], 0 offset:192
	s_and_saveexec_b64 s[4:5], vcc
	s_cbranch_execz .LBB57_309
; %bb.308:
	buffer_load_dword v118, off, s[0:3], 0 offset:184
	buffer_load_dword v119, off, s[0:3], 0 offset:188
	s_waitcnt vmcnt(0)
	ds_write_b64 v1, v[118:119]
	buffer_store_dword v122, off, s[0:3], 0 offset:184
	buffer_store_dword v122, off, s[0:3], 0 offset:188
.LBB57_309:
	s_or_b64 exec, exec, s[4:5]
	s_waitcnt lgkmcnt(0)
	; wave barrier
	s_waitcnt lgkmcnt(0)
	buffer_load_dword v118, off, s[0:3], 0 offset:184
	buffer_load_dword v119, off, s[0:3], 0 offset:188
	;; [unrolled: 1-line block ×16, first 2 shown]
	ds_read_b128 v[124:127], v122 offset:656
	ds_read_b128 v[128:131], v122 offset:672
	;; [unrolled: 1-line block ×4, first 2 shown]
	v_cmp_lt_u32_e32 vcc, 22, v0
	s_waitcnt vmcnt(12) lgkmcnt(3)
	v_fma_f64 v[120:121], v[120:121], v[124:125], 0
	buffer_load_dword v125, off, s[0:3], 0 offset:252
	buffer_load_dword v124, off, s[0:3], 0 offset:248
	s_waitcnt vmcnt(12)
	v_fmac_f64_e32 v[120:121], v[140:141], v[126:127]
	s_waitcnt vmcnt(10) lgkmcnt(2)
	v_fmac_f64_e32 v[120:121], v[142:143], v[128:129]
	buffer_load_dword v129, off, s[0:3], 0 offset:260
	buffer_load_dword v128, off, s[0:3], 0 offset:256
	s_waitcnt vmcnt(10)
	v_fmac_f64_e32 v[120:121], v[144:145], v[130:131]
	s_waitcnt vmcnt(8) lgkmcnt(1)
	v_fmac_f64_e32 v[120:121], v[146:147], v[132:133]
	s_waitcnt vmcnt(6)
	v_fmac_f64_e32 v[120:121], v[148:149], v[134:135]
	s_waitcnt vmcnt(4) lgkmcnt(0)
	v_fmac_f64_e32 v[120:121], v[150:151], v[136:137]
	s_waitcnt vmcnt(2)
	v_fmac_f64_e32 v[120:121], v[124:125], v[138:139]
	ds_read_b128 v[124:127], v122 offset:720
	s_waitcnt vmcnt(0) lgkmcnt(0)
	v_fmac_f64_e32 v[120:121], v[128:129], v[124:125]
	buffer_load_dword v125, off, s[0:3], 0 offset:268
	buffer_load_dword v124, off, s[0:3], 0 offset:264
	buffer_load_dword v129, off, s[0:3], 0 offset:276
	buffer_load_dword v128, off, s[0:3], 0 offset:272
	s_waitcnt vmcnt(2)
	v_fmac_f64_e32 v[120:121], v[124:125], v[126:127]
	ds_read_b128 v[124:127], v122 offset:736
	s_waitcnt vmcnt(0) lgkmcnt(0)
	v_fmac_f64_e32 v[120:121], v[128:129], v[124:125]
	buffer_load_dword v125, off, s[0:3], 0 offset:284
	buffer_load_dword v124, off, s[0:3], 0 offset:280
	buffer_load_dword v129, off, s[0:3], 0 offset:292
	buffer_load_dword v128, off, s[0:3], 0 offset:288
	;; [unrolled: 9-line block ×11, first 2 shown]
	s_waitcnt vmcnt(2)
	v_fmac_f64_e32 v[120:121], v[124:125], v[126:127]
	ds_read_b128 v[124:127], v122 offset:896
	s_waitcnt vmcnt(0) lgkmcnt(0)
	v_fmac_f64_e32 v[120:121], v[128:129], v[124:125]
	buffer_load_dword v125, off, s[0:3], 0 offset:444
	buffer_load_dword v124, off, s[0:3], 0 offset:440
	s_waitcnt vmcnt(0)
	v_fmac_f64_e32 v[120:121], v[124:125], v[126:127]
	buffer_load_dword v127, off, s[0:3], 0 offset:452
	buffer_load_dword v126, off, s[0:3], 0 offset:448
	ds_read_b128 v[122:125], v122 offset:912
	s_waitcnt vmcnt(0) lgkmcnt(0)
	v_fmac_f64_e32 v[120:121], v[126:127], v[122:123]
	buffer_load_dword v123, off, s[0:3], 0 offset:460
	buffer_load_dword v122, off, s[0:3], 0 offset:456
	s_waitcnt vmcnt(0)
	v_fmac_f64_e32 v[120:121], v[122:123], v[124:125]
	v_add_f64 v[118:119], v[118:119], -v[120:121]
	buffer_store_dword v119, off, s[0:3], 0 offset:188
	buffer_store_dword v118, off, s[0:3], 0 offset:184
	s_and_saveexec_b64 s[4:5], vcc
	s_cbranch_execz .LBB57_311
; %bb.310:
	buffer_load_dword v118, off, s[0:3], 0 offset:176
	buffer_load_dword v119, off, s[0:3], 0 offset:180
	v_mov_b32_e32 v120, 0
	buffer_store_dword v120, off, s[0:3], 0 offset:176
	buffer_store_dword v120, off, s[0:3], 0 offset:180
	s_waitcnt vmcnt(2)
	ds_write_b64 v1, v[118:119]
.LBB57_311:
	s_or_b64 exec, exec, s[4:5]
	s_waitcnt lgkmcnt(0)
	; wave barrier
	s_waitcnt lgkmcnt(0)
	buffer_load_dword v118, off, s[0:3], 0 offset:176
	buffer_load_dword v119, off, s[0:3], 0 offset:180
	;; [unrolled: 1-line block ×16, first 2 shown]
	v_mov_b32_e32 v122, 0
	ds_read2_b64 v[124:127], v122 offset0:81 offset1:82
	v_cmp_lt_u32_e32 vcc, 21, v0
	s_waitcnt vmcnt(12) lgkmcnt(0)
	v_fma_f64 v[120:121], v[120:121], v[124:125], 0
	s_waitcnt vmcnt(10)
	v_fmac_f64_e32 v[120:121], v[128:129], v[126:127]
	ds_read2_b64 v[124:127], v122 offset0:83 offset1:84
	s_waitcnt vmcnt(8) lgkmcnt(0)
	v_fmac_f64_e32 v[120:121], v[130:131], v[124:125]
	s_waitcnt vmcnt(6)
	v_fmac_f64_e32 v[120:121], v[132:133], v[126:127]
	ds_read2_b64 v[124:127], v122 offset0:85 offset1:86
	s_waitcnt vmcnt(4) lgkmcnt(0)
	v_fmac_f64_e32 v[120:121], v[134:135], v[124:125]
	;; [unrolled: 5-line block ×3, first 2 shown]
	buffer_load_dword v125, off, s[0:3], 0 offset:244
	buffer_load_dword v124, off, s[0:3], 0 offset:240
	buffer_load_dword v129, off, s[0:3], 0 offset:252
	buffer_load_dword v128, off, s[0:3], 0 offset:248
	s_waitcnt vmcnt(2)
	v_fmac_f64_e32 v[120:121], v[124:125], v[126:127]
	ds_read2_b64 v[124:127], v122 offset0:89 offset1:90
	s_waitcnt vmcnt(0) lgkmcnt(0)
	v_fmac_f64_e32 v[120:121], v[128:129], v[124:125]
	buffer_load_dword v125, off, s[0:3], 0 offset:260
	buffer_load_dword v124, off, s[0:3], 0 offset:256
	buffer_load_dword v129, off, s[0:3], 0 offset:268
	buffer_load_dword v128, off, s[0:3], 0 offset:264
	s_waitcnt vmcnt(2)
	v_fmac_f64_e32 v[120:121], v[124:125], v[126:127]
	ds_read2_b64 v[124:127], v122 offset0:91 offset1:92
	s_waitcnt vmcnt(0) lgkmcnt(0)
	v_fmac_f64_e32 v[120:121], v[128:129], v[124:125]
	;; [unrolled: 9-line block ×13, first 2 shown]
	buffer_load_dword v125, off, s[0:3], 0 offset:452
	buffer_load_dword v124, off, s[0:3], 0 offset:448
	s_waitcnt vmcnt(0)
	v_fmac_f64_e32 v[120:121], v[124:125], v[126:127]
	buffer_load_dword v125, off, s[0:3], 0 offset:460
	buffer_load_dword v124, off, s[0:3], 0 offset:456
	ds_read_b64 v[126:127], v122 offset:920
	s_waitcnt vmcnt(0) lgkmcnt(0)
	v_fmac_f64_e32 v[120:121], v[124:125], v[126:127]
	v_add_f64 v[118:119], v[118:119], -v[120:121]
	buffer_store_dword v119, off, s[0:3], 0 offset:180
	buffer_store_dword v118, off, s[0:3], 0 offset:176
	s_and_saveexec_b64 s[4:5], vcc
	s_cbranch_execz .LBB57_313
; %bb.312:
	buffer_load_dword v118, off, s[0:3], 0 offset:168
	buffer_load_dword v119, off, s[0:3], 0 offset:172
	s_waitcnt vmcnt(0)
	ds_write_b64 v1, v[118:119]
	buffer_store_dword v122, off, s[0:3], 0 offset:168
	buffer_store_dword v122, off, s[0:3], 0 offset:172
.LBB57_313:
	s_or_b64 exec, exec, s[4:5]
	s_waitcnt lgkmcnt(0)
	; wave barrier
	s_waitcnt lgkmcnt(0)
	buffer_load_dword v118, off, s[0:3], 0 offset:168
	buffer_load_dword v119, off, s[0:3], 0 offset:172
	;; [unrolled: 1-line block ×16, first 2 shown]
	ds_read_b128 v[124:127], v122 offset:640
	ds_read_b128 v[128:131], v122 offset:656
	;; [unrolled: 1-line block ×4, first 2 shown]
	v_cmp_lt_u32_e32 vcc, 20, v0
	s_waitcnt vmcnt(12) lgkmcnt(3)
	v_fma_f64 v[120:121], v[120:121], v[124:125], 0
	buffer_load_dword v125, off, s[0:3], 0 offset:236
	buffer_load_dword v124, off, s[0:3], 0 offset:232
	s_waitcnt vmcnt(12)
	v_fmac_f64_e32 v[120:121], v[140:141], v[126:127]
	s_waitcnt vmcnt(10) lgkmcnt(2)
	v_fmac_f64_e32 v[120:121], v[142:143], v[128:129]
	buffer_load_dword v129, off, s[0:3], 0 offset:244
	buffer_load_dword v128, off, s[0:3], 0 offset:240
	s_waitcnt vmcnt(10)
	v_fmac_f64_e32 v[120:121], v[144:145], v[130:131]
	s_waitcnt vmcnt(8) lgkmcnt(1)
	v_fmac_f64_e32 v[120:121], v[146:147], v[132:133]
	s_waitcnt vmcnt(6)
	v_fmac_f64_e32 v[120:121], v[148:149], v[134:135]
	s_waitcnt vmcnt(4) lgkmcnt(0)
	v_fmac_f64_e32 v[120:121], v[150:151], v[136:137]
	s_waitcnt vmcnt(2)
	v_fmac_f64_e32 v[120:121], v[124:125], v[138:139]
	ds_read_b128 v[124:127], v122 offset:704
	s_waitcnt vmcnt(0) lgkmcnt(0)
	v_fmac_f64_e32 v[120:121], v[128:129], v[124:125]
	buffer_load_dword v125, off, s[0:3], 0 offset:252
	buffer_load_dword v124, off, s[0:3], 0 offset:248
	buffer_load_dword v129, off, s[0:3], 0 offset:260
	buffer_load_dword v128, off, s[0:3], 0 offset:256
	s_waitcnt vmcnt(2)
	v_fmac_f64_e32 v[120:121], v[124:125], v[126:127]
	ds_read_b128 v[124:127], v122 offset:720
	s_waitcnt vmcnt(0) lgkmcnt(0)
	v_fmac_f64_e32 v[120:121], v[128:129], v[124:125]
	buffer_load_dword v125, off, s[0:3], 0 offset:268
	buffer_load_dword v124, off, s[0:3], 0 offset:264
	buffer_load_dword v129, off, s[0:3], 0 offset:276
	buffer_load_dword v128, off, s[0:3], 0 offset:272
	;; [unrolled: 9-line block ×12, first 2 shown]
	s_waitcnt vmcnt(2)
	v_fmac_f64_e32 v[120:121], v[124:125], v[126:127]
	ds_read_b128 v[124:127], v122 offset:896
	s_waitcnt vmcnt(0) lgkmcnt(0)
	v_fmac_f64_e32 v[120:121], v[128:129], v[124:125]
	buffer_load_dword v125, off, s[0:3], 0 offset:444
	buffer_load_dword v124, off, s[0:3], 0 offset:440
	s_waitcnt vmcnt(0)
	v_fmac_f64_e32 v[120:121], v[124:125], v[126:127]
	buffer_load_dword v127, off, s[0:3], 0 offset:452
	buffer_load_dword v126, off, s[0:3], 0 offset:448
	ds_read_b128 v[122:125], v122 offset:912
	s_waitcnt vmcnt(0) lgkmcnt(0)
	v_fmac_f64_e32 v[120:121], v[126:127], v[122:123]
	buffer_load_dword v123, off, s[0:3], 0 offset:460
	buffer_load_dword v122, off, s[0:3], 0 offset:456
	s_waitcnt vmcnt(0)
	v_fmac_f64_e32 v[120:121], v[122:123], v[124:125]
	v_add_f64 v[118:119], v[118:119], -v[120:121]
	buffer_store_dword v119, off, s[0:3], 0 offset:172
	buffer_store_dword v118, off, s[0:3], 0 offset:168
	s_and_saveexec_b64 s[4:5], vcc
	s_cbranch_execz .LBB57_315
; %bb.314:
	buffer_load_dword v118, off, s[0:3], 0 offset:160
	buffer_load_dword v119, off, s[0:3], 0 offset:164
	v_mov_b32_e32 v120, 0
	buffer_store_dword v120, off, s[0:3], 0 offset:160
	buffer_store_dword v120, off, s[0:3], 0 offset:164
	s_waitcnt vmcnt(2)
	ds_write_b64 v1, v[118:119]
.LBB57_315:
	s_or_b64 exec, exec, s[4:5]
	s_waitcnt lgkmcnt(0)
	; wave barrier
	s_waitcnt lgkmcnt(0)
	buffer_load_dword v118, off, s[0:3], 0 offset:160
	buffer_load_dword v119, off, s[0:3], 0 offset:164
	;; [unrolled: 1-line block ×16, first 2 shown]
	v_mov_b32_e32 v122, 0
	ds_read2_b64 v[124:127], v122 offset0:79 offset1:80
	v_cmp_lt_u32_e32 vcc, 19, v0
	s_waitcnt vmcnt(12) lgkmcnt(0)
	v_fma_f64 v[120:121], v[120:121], v[124:125], 0
	s_waitcnt vmcnt(10)
	v_fmac_f64_e32 v[120:121], v[128:129], v[126:127]
	ds_read2_b64 v[124:127], v122 offset0:81 offset1:82
	s_waitcnt vmcnt(8) lgkmcnt(0)
	v_fmac_f64_e32 v[120:121], v[130:131], v[124:125]
	s_waitcnt vmcnt(6)
	v_fmac_f64_e32 v[120:121], v[132:133], v[126:127]
	ds_read2_b64 v[124:127], v122 offset0:83 offset1:84
	s_waitcnt vmcnt(4) lgkmcnt(0)
	v_fmac_f64_e32 v[120:121], v[134:135], v[124:125]
	;; [unrolled: 5-line block ×3, first 2 shown]
	buffer_load_dword v125, off, s[0:3], 0 offset:228
	buffer_load_dword v124, off, s[0:3], 0 offset:224
	buffer_load_dword v129, off, s[0:3], 0 offset:236
	buffer_load_dword v128, off, s[0:3], 0 offset:232
	s_waitcnt vmcnt(2)
	v_fmac_f64_e32 v[120:121], v[124:125], v[126:127]
	ds_read2_b64 v[124:127], v122 offset0:87 offset1:88
	s_waitcnt vmcnt(0) lgkmcnt(0)
	v_fmac_f64_e32 v[120:121], v[128:129], v[124:125]
	buffer_load_dword v125, off, s[0:3], 0 offset:244
	buffer_load_dword v124, off, s[0:3], 0 offset:240
	buffer_load_dword v129, off, s[0:3], 0 offset:252
	buffer_load_dword v128, off, s[0:3], 0 offset:248
	s_waitcnt vmcnt(2)
	v_fmac_f64_e32 v[120:121], v[124:125], v[126:127]
	ds_read2_b64 v[124:127], v122 offset0:89 offset1:90
	s_waitcnt vmcnt(0) lgkmcnt(0)
	v_fmac_f64_e32 v[120:121], v[128:129], v[124:125]
	;; [unrolled: 9-line block ×14, first 2 shown]
	buffer_load_dword v125, off, s[0:3], 0 offset:452
	buffer_load_dword v124, off, s[0:3], 0 offset:448
	s_waitcnt vmcnt(0)
	v_fmac_f64_e32 v[120:121], v[124:125], v[126:127]
	buffer_load_dword v125, off, s[0:3], 0 offset:460
	buffer_load_dword v124, off, s[0:3], 0 offset:456
	ds_read_b64 v[126:127], v122 offset:920
	s_waitcnt vmcnt(0) lgkmcnt(0)
	v_fmac_f64_e32 v[120:121], v[124:125], v[126:127]
	v_add_f64 v[118:119], v[118:119], -v[120:121]
	buffer_store_dword v119, off, s[0:3], 0 offset:164
	buffer_store_dword v118, off, s[0:3], 0 offset:160
	s_and_saveexec_b64 s[4:5], vcc
	s_cbranch_execz .LBB57_317
; %bb.316:
	buffer_load_dword v118, off, s[0:3], 0 offset:152
	buffer_load_dword v119, off, s[0:3], 0 offset:156
	s_waitcnt vmcnt(0)
	ds_write_b64 v1, v[118:119]
	buffer_store_dword v122, off, s[0:3], 0 offset:152
	buffer_store_dword v122, off, s[0:3], 0 offset:156
.LBB57_317:
	s_or_b64 exec, exec, s[4:5]
	s_waitcnt lgkmcnt(0)
	; wave barrier
	s_waitcnt lgkmcnt(0)
	buffer_load_dword v118, off, s[0:3], 0 offset:152
	buffer_load_dword v119, off, s[0:3], 0 offset:156
	;; [unrolled: 1-line block ×16, first 2 shown]
	ds_read_b128 v[124:127], v122 offset:624
	ds_read_b128 v[128:131], v122 offset:640
	;; [unrolled: 1-line block ×4, first 2 shown]
	v_cmp_lt_u32_e32 vcc, 18, v0
	s_waitcnt vmcnt(12) lgkmcnt(3)
	v_fma_f64 v[120:121], v[120:121], v[124:125], 0
	buffer_load_dword v125, off, s[0:3], 0 offset:220
	buffer_load_dword v124, off, s[0:3], 0 offset:216
	s_waitcnt vmcnt(12)
	v_fmac_f64_e32 v[120:121], v[140:141], v[126:127]
	s_waitcnt vmcnt(10) lgkmcnt(2)
	v_fmac_f64_e32 v[120:121], v[142:143], v[128:129]
	buffer_load_dword v129, off, s[0:3], 0 offset:228
	buffer_load_dword v128, off, s[0:3], 0 offset:224
	s_waitcnt vmcnt(10)
	v_fmac_f64_e32 v[120:121], v[144:145], v[130:131]
	s_waitcnt vmcnt(8) lgkmcnt(1)
	v_fmac_f64_e32 v[120:121], v[146:147], v[132:133]
	s_waitcnt vmcnt(6)
	v_fmac_f64_e32 v[120:121], v[148:149], v[134:135]
	s_waitcnt vmcnt(4) lgkmcnt(0)
	v_fmac_f64_e32 v[120:121], v[150:151], v[136:137]
	s_waitcnt vmcnt(2)
	v_fmac_f64_e32 v[120:121], v[124:125], v[138:139]
	ds_read_b128 v[124:127], v122 offset:688
	s_waitcnt vmcnt(0) lgkmcnt(0)
	v_fmac_f64_e32 v[120:121], v[128:129], v[124:125]
	buffer_load_dword v125, off, s[0:3], 0 offset:236
	buffer_load_dword v124, off, s[0:3], 0 offset:232
	buffer_load_dword v129, off, s[0:3], 0 offset:244
	buffer_load_dword v128, off, s[0:3], 0 offset:240
	s_waitcnt vmcnt(2)
	v_fmac_f64_e32 v[120:121], v[124:125], v[126:127]
	ds_read_b128 v[124:127], v122 offset:704
	s_waitcnt vmcnt(0) lgkmcnt(0)
	v_fmac_f64_e32 v[120:121], v[128:129], v[124:125]
	buffer_load_dword v125, off, s[0:3], 0 offset:252
	buffer_load_dword v124, off, s[0:3], 0 offset:248
	buffer_load_dword v129, off, s[0:3], 0 offset:260
	buffer_load_dword v128, off, s[0:3], 0 offset:256
	;; [unrolled: 9-line block ×13, first 2 shown]
	s_waitcnt vmcnt(2)
	v_fmac_f64_e32 v[120:121], v[124:125], v[126:127]
	ds_read_b128 v[124:127], v122 offset:896
	s_waitcnt vmcnt(0) lgkmcnt(0)
	v_fmac_f64_e32 v[120:121], v[128:129], v[124:125]
	buffer_load_dword v125, off, s[0:3], 0 offset:444
	buffer_load_dword v124, off, s[0:3], 0 offset:440
	s_waitcnt vmcnt(0)
	v_fmac_f64_e32 v[120:121], v[124:125], v[126:127]
	buffer_load_dword v127, off, s[0:3], 0 offset:452
	buffer_load_dword v126, off, s[0:3], 0 offset:448
	ds_read_b128 v[122:125], v122 offset:912
	s_waitcnt vmcnt(0) lgkmcnt(0)
	v_fmac_f64_e32 v[120:121], v[126:127], v[122:123]
	buffer_load_dword v123, off, s[0:3], 0 offset:460
	buffer_load_dword v122, off, s[0:3], 0 offset:456
	s_waitcnt vmcnt(0)
	v_fmac_f64_e32 v[120:121], v[122:123], v[124:125]
	v_add_f64 v[118:119], v[118:119], -v[120:121]
	buffer_store_dword v119, off, s[0:3], 0 offset:156
	buffer_store_dword v118, off, s[0:3], 0 offset:152
	s_and_saveexec_b64 s[4:5], vcc
	s_cbranch_execz .LBB57_319
; %bb.318:
	buffer_load_dword v118, off, s[0:3], 0 offset:144
	buffer_load_dword v119, off, s[0:3], 0 offset:148
	v_mov_b32_e32 v120, 0
	buffer_store_dword v120, off, s[0:3], 0 offset:144
	buffer_store_dword v120, off, s[0:3], 0 offset:148
	s_waitcnt vmcnt(2)
	ds_write_b64 v1, v[118:119]
.LBB57_319:
	s_or_b64 exec, exec, s[4:5]
	s_waitcnt lgkmcnt(0)
	; wave barrier
	s_waitcnt lgkmcnt(0)
	buffer_load_dword v118, off, s[0:3], 0 offset:144
	buffer_load_dword v119, off, s[0:3], 0 offset:148
	;; [unrolled: 1-line block ×16, first 2 shown]
	v_mov_b32_e32 v122, 0
	ds_read2_b64 v[124:127], v122 offset0:77 offset1:78
	v_cmp_lt_u32_e32 vcc, 17, v0
	s_waitcnt vmcnt(12) lgkmcnt(0)
	v_fma_f64 v[120:121], v[120:121], v[124:125], 0
	s_waitcnt vmcnt(10)
	v_fmac_f64_e32 v[120:121], v[128:129], v[126:127]
	ds_read2_b64 v[124:127], v122 offset0:79 offset1:80
	s_waitcnt vmcnt(8) lgkmcnt(0)
	v_fmac_f64_e32 v[120:121], v[130:131], v[124:125]
	s_waitcnt vmcnt(6)
	v_fmac_f64_e32 v[120:121], v[132:133], v[126:127]
	ds_read2_b64 v[124:127], v122 offset0:81 offset1:82
	s_waitcnt vmcnt(4) lgkmcnt(0)
	v_fmac_f64_e32 v[120:121], v[134:135], v[124:125]
	;; [unrolled: 5-line block ×3, first 2 shown]
	buffer_load_dword v125, off, s[0:3], 0 offset:212
	buffer_load_dword v124, off, s[0:3], 0 offset:208
	buffer_load_dword v129, off, s[0:3], 0 offset:220
	buffer_load_dword v128, off, s[0:3], 0 offset:216
	s_waitcnt vmcnt(2)
	v_fmac_f64_e32 v[120:121], v[124:125], v[126:127]
	ds_read2_b64 v[124:127], v122 offset0:85 offset1:86
	s_waitcnt vmcnt(0) lgkmcnt(0)
	v_fmac_f64_e32 v[120:121], v[128:129], v[124:125]
	buffer_load_dword v125, off, s[0:3], 0 offset:228
	buffer_load_dword v124, off, s[0:3], 0 offset:224
	buffer_load_dword v129, off, s[0:3], 0 offset:236
	buffer_load_dword v128, off, s[0:3], 0 offset:232
	s_waitcnt vmcnt(2)
	v_fmac_f64_e32 v[120:121], v[124:125], v[126:127]
	ds_read2_b64 v[124:127], v122 offset0:87 offset1:88
	s_waitcnt vmcnt(0) lgkmcnt(0)
	v_fmac_f64_e32 v[120:121], v[128:129], v[124:125]
	buffer_load_dword v125, off, s[0:3], 0 offset:244
	buffer_load_dword v124, off, s[0:3], 0 offset:240
	buffer_load_dword v129, off, s[0:3], 0 offset:252
	buffer_load_dword v128, off, s[0:3], 0 offset:248
	s_waitcnt vmcnt(2)
	v_fmac_f64_e32 v[120:121], v[124:125], v[126:127]
	ds_read2_b64 v[124:127], v122 offset0:89 offset1:90
	s_waitcnt vmcnt(0) lgkmcnt(0)
	v_fmac_f64_e32 v[120:121], v[128:129], v[124:125]
	buffer_load_dword v125, off, s[0:3], 0 offset:260
	buffer_load_dword v124, off, s[0:3], 0 offset:256
	buffer_load_dword v129, off, s[0:3], 0 offset:268
	buffer_load_dword v128, off, s[0:3], 0 offset:264
	s_waitcnt vmcnt(2)
	v_fmac_f64_e32 v[120:121], v[124:125], v[126:127]
	ds_read2_b64 v[124:127], v122 offset0:91 offset1:92
	s_waitcnt vmcnt(0) lgkmcnt(0)
	v_fmac_f64_e32 v[120:121], v[128:129], v[124:125]
	buffer_load_dword v125, off, s[0:3], 0 offset:276
	buffer_load_dword v124, off, s[0:3], 0 offset:272
	buffer_load_dword v129, off, s[0:3], 0 offset:284
	buffer_load_dword v128, off, s[0:3], 0 offset:280
	s_waitcnt vmcnt(2)
	v_fmac_f64_e32 v[120:121], v[124:125], v[126:127]
	ds_read2_b64 v[124:127], v122 offset0:93 offset1:94
	s_waitcnt vmcnt(0) lgkmcnt(0)
	v_fmac_f64_e32 v[120:121], v[128:129], v[124:125]
	buffer_load_dword v125, off, s[0:3], 0 offset:292
	buffer_load_dword v124, off, s[0:3], 0 offset:288
	buffer_load_dword v129, off, s[0:3], 0 offset:300
	buffer_load_dword v128, off, s[0:3], 0 offset:296
	s_waitcnt vmcnt(2)
	v_fmac_f64_e32 v[120:121], v[124:125], v[126:127]
	ds_read2_b64 v[124:127], v122 offset0:95 offset1:96
	s_waitcnt vmcnt(0) lgkmcnt(0)
	v_fmac_f64_e32 v[120:121], v[128:129], v[124:125]
	buffer_load_dword v125, off, s[0:3], 0 offset:308
	buffer_load_dword v124, off, s[0:3], 0 offset:304
	buffer_load_dword v129, off, s[0:3], 0 offset:316
	buffer_load_dword v128, off, s[0:3], 0 offset:312
	s_waitcnt vmcnt(2)
	v_fmac_f64_e32 v[120:121], v[124:125], v[126:127]
	ds_read2_b64 v[124:127], v122 offset0:97 offset1:98
	s_waitcnt vmcnt(0) lgkmcnt(0)
	v_fmac_f64_e32 v[120:121], v[128:129], v[124:125]
	buffer_load_dword v125, off, s[0:3], 0 offset:324
	buffer_load_dword v124, off, s[0:3], 0 offset:320
	buffer_load_dword v129, off, s[0:3], 0 offset:332
	buffer_load_dword v128, off, s[0:3], 0 offset:328
	s_waitcnt vmcnt(2)
	v_fmac_f64_e32 v[120:121], v[124:125], v[126:127]
	ds_read2_b64 v[124:127], v122 offset0:99 offset1:100
	s_waitcnt vmcnt(0) lgkmcnt(0)
	v_fmac_f64_e32 v[120:121], v[128:129], v[124:125]
	buffer_load_dword v125, off, s[0:3], 0 offset:340
	buffer_load_dword v124, off, s[0:3], 0 offset:336
	buffer_load_dword v129, off, s[0:3], 0 offset:348
	buffer_load_dword v128, off, s[0:3], 0 offset:344
	s_waitcnt vmcnt(2)
	v_fmac_f64_e32 v[120:121], v[124:125], v[126:127]
	ds_read2_b64 v[124:127], v122 offset0:101 offset1:102
	s_waitcnt vmcnt(0) lgkmcnt(0)
	v_fmac_f64_e32 v[120:121], v[128:129], v[124:125]
	buffer_load_dword v125, off, s[0:3], 0 offset:356
	buffer_load_dword v124, off, s[0:3], 0 offset:352
	buffer_load_dword v129, off, s[0:3], 0 offset:364
	buffer_load_dword v128, off, s[0:3], 0 offset:360
	s_waitcnt vmcnt(2)
	v_fmac_f64_e32 v[120:121], v[124:125], v[126:127]
	ds_read2_b64 v[124:127], v122 offset0:103 offset1:104
	s_waitcnt vmcnt(0) lgkmcnt(0)
	v_fmac_f64_e32 v[120:121], v[128:129], v[124:125]
	buffer_load_dword v125, off, s[0:3], 0 offset:372
	buffer_load_dword v124, off, s[0:3], 0 offset:368
	buffer_load_dword v129, off, s[0:3], 0 offset:380
	buffer_load_dword v128, off, s[0:3], 0 offset:376
	s_waitcnt vmcnt(2)
	v_fmac_f64_e32 v[120:121], v[124:125], v[126:127]
	ds_read2_b64 v[124:127], v122 offset0:105 offset1:106
	s_waitcnt vmcnt(0) lgkmcnt(0)
	v_fmac_f64_e32 v[120:121], v[128:129], v[124:125]
	buffer_load_dword v125, off, s[0:3], 0 offset:388
	buffer_load_dword v124, off, s[0:3], 0 offset:384
	buffer_load_dword v129, off, s[0:3], 0 offset:396
	buffer_load_dword v128, off, s[0:3], 0 offset:392
	s_waitcnt vmcnt(2)
	v_fmac_f64_e32 v[120:121], v[124:125], v[126:127]
	ds_read2_b64 v[124:127], v122 offset0:107 offset1:108
	s_waitcnt vmcnt(0) lgkmcnt(0)
	v_fmac_f64_e32 v[120:121], v[128:129], v[124:125]
	buffer_load_dword v125, off, s[0:3], 0 offset:404
	buffer_load_dword v124, off, s[0:3], 0 offset:400
	buffer_load_dword v129, off, s[0:3], 0 offset:412
	buffer_load_dword v128, off, s[0:3], 0 offset:408
	s_waitcnt vmcnt(2)
	v_fmac_f64_e32 v[120:121], v[124:125], v[126:127]
	ds_read2_b64 v[124:127], v122 offset0:109 offset1:110
	s_waitcnt vmcnt(0) lgkmcnt(0)
	v_fmac_f64_e32 v[120:121], v[128:129], v[124:125]
	buffer_load_dword v125, off, s[0:3], 0 offset:420
	buffer_load_dword v124, off, s[0:3], 0 offset:416
	buffer_load_dword v129, off, s[0:3], 0 offset:428
	buffer_load_dword v128, off, s[0:3], 0 offset:424
	s_waitcnt vmcnt(2)
	v_fmac_f64_e32 v[120:121], v[124:125], v[126:127]
	ds_read2_b64 v[124:127], v122 offset0:111 offset1:112
	s_waitcnt vmcnt(0) lgkmcnt(0)
	v_fmac_f64_e32 v[120:121], v[128:129], v[124:125]
	buffer_load_dword v125, off, s[0:3], 0 offset:436
	buffer_load_dword v124, off, s[0:3], 0 offset:432
	buffer_load_dword v129, off, s[0:3], 0 offset:444
	buffer_load_dword v128, off, s[0:3], 0 offset:440
	s_waitcnt vmcnt(2)
	v_fmac_f64_e32 v[120:121], v[124:125], v[126:127]
	ds_read2_b64 v[124:127], v122 offset0:113 offset1:114
	s_waitcnt vmcnt(0) lgkmcnt(0)
	v_fmac_f64_e32 v[120:121], v[128:129], v[124:125]
	buffer_load_dword v125, off, s[0:3], 0 offset:452
	buffer_load_dword v124, off, s[0:3], 0 offset:448
	s_waitcnt vmcnt(0)
	v_fmac_f64_e32 v[120:121], v[124:125], v[126:127]
	buffer_load_dword v125, off, s[0:3], 0 offset:460
	buffer_load_dword v124, off, s[0:3], 0 offset:456
	ds_read_b64 v[126:127], v122 offset:920
	s_waitcnt vmcnt(0) lgkmcnt(0)
	v_fmac_f64_e32 v[120:121], v[124:125], v[126:127]
	v_add_f64 v[118:119], v[118:119], -v[120:121]
	buffer_store_dword v119, off, s[0:3], 0 offset:148
	buffer_store_dword v118, off, s[0:3], 0 offset:144
	s_and_saveexec_b64 s[4:5], vcc
	s_cbranch_execz .LBB57_321
; %bb.320:
	buffer_load_dword v118, off, s[0:3], 0 offset:136
	buffer_load_dword v119, off, s[0:3], 0 offset:140
	s_waitcnt vmcnt(0)
	ds_write_b64 v1, v[118:119]
	buffer_store_dword v122, off, s[0:3], 0 offset:136
	buffer_store_dword v122, off, s[0:3], 0 offset:140
.LBB57_321:
	s_or_b64 exec, exec, s[4:5]
	s_waitcnt lgkmcnt(0)
	; wave barrier
	s_waitcnt lgkmcnt(0)
	buffer_load_dword v118, off, s[0:3], 0 offset:136
	buffer_load_dword v119, off, s[0:3], 0 offset:140
	;; [unrolled: 1-line block ×16, first 2 shown]
	ds_read_b128 v[124:127], v122 offset:608
	ds_read_b128 v[128:131], v122 offset:624
	;; [unrolled: 1-line block ×4, first 2 shown]
	v_cmp_lt_u32_e32 vcc, 16, v0
	s_waitcnt vmcnt(12) lgkmcnt(3)
	v_fma_f64 v[120:121], v[120:121], v[124:125], 0
	buffer_load_dword v125, off, s[0:3], 0 offset:204
	buffer_load_dword v124, off, s[0:3], 0 offset:200
	s_waitcnt vmcnt(12)
	v_fmac_f64_e32 v[120:121], v[140:141], v[126:127]
	s_waitcnt vmcnt(10) lgkmcnt(2)
	v_fmac_f64_e32 v[120:121], v[142:143], v[128:129]
	buffer_load_dword v129, off, s[0:3], 0 offset:212
	buffer_load_dword v128, off, s[0:3], 0 offset:208
	s_waitcnt vmcnt(10)
	v_fmac_f64_e32 v[120:121], v[144:145], v[130:131]
	s_waitcnt vmcnt(8) lgkmcnt(1)
	v_fmac_f64_e32 v[120:121], v[146:147], v[132:133]
	s_waitcnt vmcnt(6)
	v_fmac_f64_e32 v[120:121], v[148:149], v[134:135]
	s_waitcnt vmcnt(4) lgkmcnt(0)
	v_fmac_f64_e32 v[120:121], v[150:151], v[136:137]
	s_waitcnt vmcnt(2)
	v_fmac_f64_e32 v[120:121], v[124:125], v[138:139]
	ds_read_b128 v[124:127], v122 offset:672
	s_waitcnt vmcnt(0) lgkmcnt(0)
	v_fmac_f64_e32 v[120:121], v[128:129], v[124:125]
	buffer_load_dword v125, off, s[0:3], 0 offset:220
	buffer_load_dword v124, off, s[0:3], 0 offset:216
	buffer_load_dword v129, off, s[0:3], 0 offset:228
	buffer_load_dword v128, off, s[0:3], 0 offset:224
	s_waitcnt vmcnt(2)
	v_fmac_f64_e32 v[120:121], v[124:125], v[126:127]
	ds_read_b128 v[124:127], v122 offset:688
	s_waitcnt vmcnt(0) lgkmcnt(0)
	v_fmac_f64_e32 v[120:121], v[128:129], v[124:125]
	buffer_load_dword v125, off, s[0:3], 0 offset:236
	buffer_load_dword v124, off, s[0:3], 0 offset:232
	buffer_load_dword v129, off, s[0:3], 0 offset:244
	buffer_load_dword v128, off, s[0:3], 0 offset:240
	;; [unrolled: 9-line block ×14, first 2 shown]
	s_waitcnt vmcnt(2)
	v_fmac_f64_e32 v[120:121], v[124:125], v[126:127]
	ds_read_b128 v[124:127], v122 offset:896
	s_waitcnt vmcnt(0) lgkmcnt(0)
	v_fmac_f64_e32 v[120:121], v[128:129], v[124:125]
	buffer_load_dword v125, off, s[0:3], 0 offset:444
	buffer_load_dword v124, off, s[0:3], 0 offset:440
	s_waitcnt vmcnt(0)
	v_fmac_f64_e32 v[120:121], v[124:125], v[126:127]
	buffer_load_dword v127, off, s[0:3], 0 offset:452
	buffer_load_dword v126, off, s[0:3], 0 offset:448
	ds_read_b128 v[122:125], v122 offset:912
	s_waitcnt vmcnt(0) lgkmcnt(0)
	v_fmac_f64_e32 v[120:121], v[126:127], v[122:123]
	buffer_load_dword v123, off, s[0:3], 0 offset:460
	buffer_load_dword v122, off, s[0:3], 0 offset:456
	s_waitcnt vmcnt(0)
	v_fmac_f64_e32 v[120:121], v[122:123], v[124:125]
	v_add_f64 v[118:119], v[118:119], -v[120:121]
	buffer_store_dword v119, off, s[0:3], 0 offset:140
	buffer_store_dword v118, off, s[0:3], 0 offset:136
	s_and_saveexec_b64 s[4:5], vcc
	s_cbranch_execz .LBB57_323
; %bb.322:
	buffer_load_dword v118, off, s[0:3], 0 offset:128
	buffer_load_dword v119, off, s[0:3], 0 offset:132
	v_mov_b32_e32 v120, 0
	buffer_store_dword v120, off, s[0:3], 0 offset:128
	buffer_store_dword v120, off, s[0:3], 0 offset:132
	s_waitcnt vmcnt(2)
	ds_write_b64 v1, v[118:119]
.LBB57_323:
	s_or_b64 exec, exec, s[4:5]
	s_waitcnt lgkmcnt(0)
	; wave barrier
	s_waitcnt lgkmcnt(0)
	buffer_load_dword v118, off, s[0:3], 0 offset:128
	buffer_load_dword v119, off, s[0:3], 0 offset:132
	;; [unrolled: 1-line block ×16, first 2 shown]
	v_mov_b32_e32 v122, 0
	ds_read2_b64 v[124:127], v122 offset0:75 offset1:76
	v_cmp_lt_u32_e32 vcc, 15, v0
	s_waitcnt vmcnt(12) lgkmcnt(0)
	v_fma_f64 v[120:121], v[120:121], v[124:125], 0
	s_waitcnt vmcnt(10)
	v_fmac_f64_e32 v[120:121], v[128:129], v[126:127]
	ds_read2_b64 v[124:127], v122 offset0:77 offset1:78
	s_waitcnt vmcnt(8) lgkmcnt(0)
	v_fmac_f64_e32 v[120:121], v[130:131], v[124:125]
	s_waitcnt vmcnt(6)
	v_fmac_f64_e32 v[120:121], v[132:133], v[126:127]
	ds_read2_b64 v[124:127], v122 offset0:79 offset1:80
	s_waitcnt vmcnt(4) lgkmcnt(0)
	v_fmac_f64_e32 v[120:121], v[134:135], v[124:125]
	;; [unrolled: 5-line block ×3, first 2 shown]
	buffer_load_dword v125, off, s[0:3], 0 offset:196
	buffer_load_dword v124, off, s[0:3], 0 offset:192
	buffer_load_dword v129, off, s[0:3], 0 offset:204
	buffer_load_dword v128, off, s[0:3], 0 offset:200
	s_waitcnt vmcnt(2)
	v_fmac_f64_e32 v[120:121], v[124:125], v[126:127]
	ds_read2_b64 v[124:127], v122 offset0:83 offset1:84
	s_waitcnt vmcnt(0) lgkmcnt(0)
	v_fmac_f64_e32 v[120:121], v[128:129], v[124:125]
	buffer_load_dword v125, off, s[0:3], 0 offset:212
	buffer_load_dword v124, off, s[0:3], 0 offset:208
	buffer_load_dword v129, off, s[0:3], 0 offset:220
	buffer_load_dword v128, off, s[0:3], 0 offset:216
	s_waitcnt vmcnt(2)
	v_fmac_f64_e32 v[120:121], v[124:125], v[126:127]
	ds_read2_b64 v[124:127], v122 offset0:85 offset1:86
	s_waitcnt vmcnt(0) lgkmcnt(0)
	v_fmac_f64_e32 v[120:121], v[128:129], v[124:125]
	;; [unrolled: 9-line block ×16, first 2 shown]
	buffer_load_dword v125, off, s[0:3], 0 offset:452
	buffer_load_dword v124, off, s[0:3], 0 offset:448
	s_waitcnt vmcnt(0)
	v_fmac_f64_e32 v[120:121], v[124:125], v[126:127]
	buffer_load_dword v125, off, s[0:3], 0 offset:460
	buffer_load_dword v124, off, s[0:3], 0 offset:456
	ds_read_b64 v[126:127], v122 offset:920
	s_waitcnt vmcnt(0) lgkmcnt(0)
	v_fmac_f64_e32 v[120:121], v[124:125], v[126:127]
	v_add_f64 v[118:119], v[118:119], -v[120:121]
	buffer_store_dword v119, off, s[0:3], 0 offset:132
	buffer_store_dword v118, off, s[0:3], 0 offset:128
	s_and_saveexec_b64 s[4:5], vcc
	s_cbranch_execz .LBB57_325
; %bb.324:
	buffer_load_dword v118, off, s[0:3], 0 offset:120
	buffer_load_dword v119, off, s[0:3], 0 offset:124
	s_waitcnt vmcnt(0)
	ds_write_b64 v1, v[118:119]
	buffer_store_dword v122, off, s[0:3], 0 offset:120
	buffer_store_dword v122, off, s[0:3], 0 offset:124
.LBB57_325:
	s_or_b64 exec, exec, s[4:5]
	s_waitcnt lgkmcnt(0)
	; wave barrier
	s_waitcnt lgkmcnt(0)
	buffer_load_dword v118, off, s[0:3], 0 offset:120
	buffer_load_dword v119, off, s[0:3], 0 offset:124
	buffer_load_dword v120, off, s[0:3], 0 offset:128
	buffer_load_dword v121, off, s[0:3], 0 offset:132
	buffer_load_dword v140, off, s[0:3], 0 offset:136
	buffer_load_dword v141, off, s[0:3], 0 offset:140
	buffer_load_dword v142, off, s[0:3], 0 offset:144
	buffer_load_dword v143, off, s[0:3], 0 offset:148
	buffer_load_dword v144, off, s[0:3], 0 offset:152
	buffer_load_dword v145, off, s[0:3], 0 offset:156
	buffer_load_dword v146, off, s[0:3], 0 offset:160
	buffer_load_dword v147, off, s[0:3], 0 offset:164
	buffer_load_dword v148, off, s[0:3], 0 offset:168
	buffer_load_dword v149, off, s[0:3], 0 offset:172
	buffer_load_dword v150, off, s[0:3], 0 offset:176
	buffer_load_dword v151, off, s[0:3], 0 offset:180
	ds_read_b128 v[124:127], v122 offset:592
	ds_read_b128 v[128:131], v122 offset:608
	;; [unrolled: 1-line block ×4, first 2 shown]
	v_cmp_lt_u32_e32 vcc, 14, v0
	s_waitcnt vmcnt(12) lgkmcnt(3)
	v_fma_f64 v[120:121], v[120:121], v[124:125], 0
	buffer_load_dword v125, off, s[0:3], 0 offset:188
	buffer_load_dword v124, off, s[0:3], 0 offset:184
	s_waitcnt vmcnt(12)
	v_fmac_f64_e32 v[120:121], v[140:141], v[126:127]
	s_waitcnt vmcnt(10) lgkmcnt(2)
	v_fmac_f64_e32 v[120:121], v[142:143], v[128:129]
	buffer_load_dword v129, off, s[0:3], 0 offset:196
	buffer_load_dword v128, off, s[0:3], 0 offset:192
	s_waitcnt vmcnt(10)
	v_fmac_f64_e32 v[120:121], v[144:145], v[130:131]
	s_waitcnt vmcnt(8) lgkmcnt(1)
	v_fmac_f64_e32 v[120:121], v[146:147], v[132:133]
	s_waitcnt vmcnt(6)
	v_fmac_f64_e32 v[120:121], v[148:149], v[134:135]
	s_waitcnt vmcnt(4) lgkmcnt(0)
	v_fmac_f64_e32 v[120:121], v[150:151], v[136:137]
	s_waitcnt vmcnt(2)
	v_fmac_f64_e32 v[120:121], v[124:125], v[138:139]
	ds_read_b128 v[124:127], v122 offset:656
	s_waitcnt vmcnt(0) lgkmcnt(0)
	v_fmac_f64_e32 v[120:121], v[128:129], v[124:125]
	buffer_load_dword v125, off, s[0:3], 0 offset:204
	buffer_load_dword v124, off, s[0:3], 0 offset:200
	buffer_load_dword v129, off, s[0:3], 0 offset:212
	buffer_load_dword v128, off, s[0:3], 0 offset:208
	s_waitcnt vmcnt(2)
	v_fmac_f64_e32 v[120:121], v[124:125], v[126:127]
	ds_read_b128 v[124:127], v122 offset:672
	s_waitcnt vmcnt(0) lgkmcnt(0)
	v_fmac_f64_e32 v[120:121], v[128:129], v[124:125]
	buffer_load_dword v125, off, s[0:3], 0 offset:220
	buffer_load_dword v124, off, s[0:3], 0 offset:216
	buffer_load_dword v129, off, s[0:3], 0 offset:228
	buffer_load_dword v128, off, s[0:3], 0 offset:224
	;; [unrolled: 9-line block ×15, first 2 shown]
	s_waitcnt vmcnt(2)
	v_fmac_f64_e32 v[120:121], v[124:125], v[126:127]
	ds_read_b128 v[124:127], v122 offset:896
	s_waitcnt vmcnt(0) lgkmcnt(0)
	v_fmac_f64_e32 v[120:121], v[128:129], v[124:125]
	buffer_load_dword v125, off, s[0:3], 0 offset:444
	buffer_load_dword v124, off, s[0:3], 0 offset:440
	s_waitcnt vmcnt(0)
	v_fmac_f64_e32 v[120:121], v[124:125], v[126:127]
	buffer_load_dword v127, off, s[0:3], 0 offset:452
	buffer_load_dword v126, off, s[0:3], 0 offset:448
	ds_read_b128 v[122:125], v122 offset:912
	s_waitcnt vmcnt(0) lgkmcnt(0)
	v_fmac_f64_e32 v[120:121], v[126:127], v[122:123]
	buffer_load_dword v123, off, s[0:3], 0 offset:460
	buffer_load_dword v122, off, s[0:3], 0 offset:456
	s_waitcnt vmcnt(0)
	v_fmac_f64_e32 v[120:121], v[122:123], v[124:125]
	v_add_f64 v[118:119], v[118:119], -v[120:121]
	buffer_store_dword v119, off, s[0:3], 0 offset:124
	buffer_store_dword v118, off, s[0:3], 0 offset:120
	s_and_saveexec_b64 s[4:5], vcc
	s_cbranch_execz .LBB57_327
; %bb.326:
	buffer_load_dword v118, off, s[0:3], 0 offset:112
	buffer_load_dword v119, off, s[0:3], 0 offset:116
	v_mov_b32_e32 v120, 0
	buffer_store_dword v120, off, s[0:3], 0 offset:112
	buffer_store_dword v120, off, s[0:3], 0 offset:116
	s_waitcnt vmcnt(2)
	ds_write_b64 v1, v[118:119]
.LBB57_327:
	s_or_b64 exec, exec, s[4:5]
	s_waitcnt lgkmcnt(0)
	; wave barrier
	s_waitcnt lgkmcnt(0)
	buffer_load_dword v118, off, s[0:3], 0 offset:112
	buffer_load_dword v119, off, s[0:3], 0 offset:116
	buffer_load_dword v120, off, s[0:3], 0 offset:120
	buffer_load_dword v121, off, s[0:3], 0 offset:124
	buffer_load_dword v128, off, s[0:3], 0 offset:128
	buffer_load_dword v129, off, s[0:3], 0 offset:132
	buffer_load_dword v130, off, s[0:3], 0 offset:136
	buffer_load_dword v131, off, s[0:3], 0 offset:140
	buffer_load_dword v132, off, s[0:3], 0 offset:144
	buffer_load_dword v133, off, s[0:3], 0 offset:148
	buffer_load_dword v134, off, s[0:3], 0 offset:152
	buffer_load_dword v135, off, s[0:3], 0 offset:156
	buffer_load_dword v136, off, s[0:3], 0 offset:160
	buffer_load_dword v137, off, s[0:3], 0 offset:164
	buffer_load_dword v138, off, s[0:3], 0 offset:168
	buffer_load_dword v139, off, s[0:3], 0 offset:172
	v_mov_b32_e32 v122, 0
	ds_read2_b64 v[124:127], v122 offset0:73 offset1:74
	v_cmp_lt_u32_e32 vcc, 13, v0
	s_waitcnt vmcnt(12) lgkmcnt(0)
	v_fma_f64 v[120:121], v[120:121], v[124:125], 0
	s_waitcnt vmcnt(10)
	v_fmac_f64_e32 v[120:121], v[128:129], v[126:127]
	ds_read2_b64 v[124:127], v122 offset0:75 offset1:76
	s_waitcnt vmcnt(8) lgkmcnt(0)
	v_fmac_f64_e32 v[120:121], v[130:131], v[124:125]
	s_waitcnt vmcnt(6)
	v_fmac_f64_e32 v[120:121], v[132:133], v[126:127]
	ds_read2_b64 v[124:127], v122 offset0:77 offset1:78
	s_waitcnt vmcnt(4) lgkmcnt(0)
	v_fmac_f64_e32 v[120:121], v[134:135], v[124:125]
	;; [unrolled: 5-line block ×3, first 2 shown]
	buffer_load_dword v125, off, s[0:3], 0 offset:180
	buffer_load_dword v124, off, s[0:3], 0 offset:176
	buffer_load_dword v129, off, s[0:3], 0 offset:188
	buffer_load_dword v128, off, s[0:3], 0 offset:184
	s_waitcnt vmcnt(2)
	v_fmac_f64_e32 v[120:121], v[124:125], v[126:127]
	ds_read2_b64 v[124:127], v122 offset0:81 offset1:82
	s_waitcnt vmcnt(0) lgkmcnt(0)
	v_fmac_f64_e32 v[120:121], v[128:129], v[124:125]
	buffer_load_dword v125, off, s[0:3], 0 offset:196
	buffer_load_dword v124, off, s[0:3], 0 offset:192
	buffer_load_dword v129, off, s[0:3], 0 offset:204
	buffer_load_dword v128, off, s[0:3], 0 offset:200
	s_waitcnt vmcnt(2)
	v_fmac_f64_e32 v[120:121], v[124:125], v[126:127]
	ds_read2_b64 v[124:127], v122 offset0:83 offset1:84
	s_waitcnt vmcnt(0) lgkmcnt(0)
	v_fmac_f64_e32 v[120:121], v[128:129], v[124:125]
	;; [unrolled: 9-line block ×17, first 2 shown]
	buffer_load_dword v125, off, s[0:3], 0 offset:452
	buffer_load_dword v124, off, s[0:3], 0 offset:448
	s_waitcnt vmcnt(0)
	v_fmac_f64_e32 v[120:121], v[124:125], v[126:127]
	buffer_load_dword v125, off, s[0:3], 0 offset:460
	buffer_load_dword v124, off, s[0:3], 0 offset:456
	ds_read_b64 v[126:127], v122 offset:920
	s_waitcnt vmcnt(0) lgkmcnt(0)
	v_fmac_f64_e32 v[120:121], v[124:125], v[126:127]
	v_add_f64 v[118:119], v[118:119], -v[120:121]
	buffer_store_dword v119, off, s[0:3], 0 offset:116
	buffer_store_dword v118, off, s[0:3], 0 offset:112
	s_and_saveexec_b64 s[4:5], vcc
	s_cbranch_execz .LBB57_329
; %bb.328:
	buffer_load_dword v118, off, s[0:3], 0 offset:104
	buffer_load_dword v119, off, s[0:3], 0 offset:108
	s_waitcnt vmcnt(0)
	ds_write_b64 v1, v[118:119]
	buffer_store_dword v122, off, s[0:3], 0 offset:104
	buffer_store_dword v122, off, s[0:3], 0 offset:108
.LBB57_329:
	s_or_b64 exec, exec, s[4:5]
	s_waitcnt lgkmcnt(0)
	; wave barrier
	s_waitcnt lgkmcnt(0)
	buffer_load_dword v118, off, s[0:3], 0 offset:104
	buffer_load_dword v119, off, s[0:3], 0 offset:108
	;; [unrolled: 1-line block ×16, first 2 shown]
	ds_read_b128 v[124:127], v122 offset:576
	ds_read_b128 v[128:131], v122 offset:592
	;; [unrolled: 1-line block ×4, first 2 shown]
	v_cmp_lt_u32_e32 vcc, 12, v0
	s_waitcnt vmcnt(12) lgkmcnt(3)
	v_fma_f64 v[120:121], v[120:121], v[124:125], 0
	buffer_load_dword v125, off, s[0:3], 0 offset:172
	buffer_load_dword v124, off, s[0:3], 0 offset:168
	s_waitcnt vmcnt(12)
	v_fmac_f64_e32 v[120:121], v[140:141], v[126:127]
	s_waitcnt vmcnt(10) lgkmcnt(2)
	v_fmac_f64_e32 v[120:121], v[142:143], v[128:129]
	buffer_load_dword v129, off, s[0:3], 0 offset:180
	buffer_load_dword v128, off, s[0:3], 0 offset:176
	s_waitcnt vmcnt(10)
	v_fmac_f64_e32 v[120:121], v[144:145], v[130:131]
	s_waitcnt vmcnt(8) lgkmcnt(1)
	v_fmac_f64_e32 v[120:121], v[146:147], v[132:133]
	s_waitcnt vmcnt(6)
	v_fmac_f64_e32 v[120:121], v[148:149], v[134:135]
	s_waitcnt vmcnt(4) lgkmcnt(0)
	v_fmac_f64_e32 v[120:121], v[150:151], v[136:137]
	s_waitcnt vmcnt(2)
	v_fmac_f64_e32 v[120:121], v[124:125], v[138:139]
	ds_read_b128 v[124:127], v122 offset:640
	s_waitcnt vmcnt(0) lgkmcnt(0)
	v_fmac_f64_e32 v[120:121], v[128:129], v[124:125]
	buffer_load_dword v125, off, s[0:3], 0 offset:188
	buffer_load_dword v124, off, s[0:3], 0 offset:184
	buffer_load_dword v129, off, s[0:3], 0 offset:196
	buffer_load_dword v128, off, s[0:3], 0 offset:192
	s_waitcnt vmcnt(2)
	v_fmac_f64_e32 v[120:121], v[124:125], v[126:127]
	ds_read_b128 v[124:127], v122 offset:656
	s_waitcnt vmcnt(0) lgkmcnt(0)
	v_fmac_f64_e32 v[120:121], v[128:129], v[124:125]
	buffer_load_dword v125, off, s[0:3], 0 offset:204
	buffer_load_dword v124, off, s[0:3], 0 offset:200
	buffer_load_dword v129, off, s[0:3], 0 offset:212
	buffer_load_dword v128, off, s[0:3], 0 offset:208
	;; [unrolled: 9-line block ×16, first 2 shown]
	s_waitcnt vmcnt(2)
	v_fmac_f64_e32 v[120:121], v[124:125], v[126:127]
	ds_read_b128 v[124:127], v122 offset:896
	s_waitcnt vmcnt(0) lgkmcnt(0)
	v_fmac_f64_e32 v[120:121], v[128:129], v[124:125]
	buffer_load_dword v125, off, s[0:3], 0 offset:444
	buffer_load_dword v124, off, s[0:3], 0 offset:440
	s_waitcnt vmcnt(0)
	v_fmac_f64_e32 v[120:121], v[124:125], v[126:127]
	buffer_load_dword v127, off, s[0:3], 0 offset:452
	buffer_load_dword v126, off, s[0:3], 0 offset:448
	ds_read_b128 v[122:125], v122 offset:912
	s_waitcnt vmcnt(0) lgkmcnt(0)
	v_fmac_f64_e32 v[120:121], v[126:127], v[122:123]
	buffer_load_dword v123, off, s[0:3], 0 offset:460
	buffer_load_dword v122, off, s[0:3], 0 offset:456
	s_waitcnt vmcnt(0)
	v_fmac_f64_e32 v[120:121], v[122:123], v[124:125]
	v_add_f64 v[118:119], v[118:119], -v[120:121]
	buffer_store_dword v119, off, s[0:3], 0 offset:108
	buffer_store_dword v118, off, s[0:3], 0 offset:104
	s_and_saveexec_b64 s[4:5], vcc
	s_cbranch_execz .LBB57_331
; %bb.330:
	buffer_load_dword v118, off, s[0:3], 0 offset:96
	buffer_load_dword v119, off, s[0:3], 0 offset:100
	v_mov_b32_e32 v120, 0
	buffer_store_dword v120, off, s[0:3], 0 offset:96
	buffer_store_dword v120, off, s[0:3], 0 offset:100
	s_waitcnt vmcnt(2)
	ds_write_b64 v1, v[118:119]
.LBB57_331:
	s_or_b64 exec, exec, s[4:5]
	s_waitcnt lgkmcnt(0)
	; wave barrier
	s_waitcnt lgkmcnt(0)
	buffer_load_dword v118, off, s[0:3], 0 offset:96
	buffer_load_dword v119, off, s[0:3], 0 offset:100
	buffer_load_dword v120, off, s[0:3], 0 offset:104
	buffer_load_dword v121, off, s[0:3], 0 offset:108
	buffer_load_dword v128, off, s[0:3], 0 offset:112
	buffer_load_dword v129, off, s[0:3], 0 offset:116
	buffer_load_dword v130, off, s[0:3], 0 offset:120
	buffer_load_dword v131, off, s[0:3], 0 offset:124
	buffer_load_dword v132, off, s[0:3], 0 offset:128
	buffer_load_dword v133, off, s[0:3], 0 offset:132
	buffer_load_dword v134, off, s[0:3], 0 offset:136
	buffer_load_dword v135, off, s[0:3], 0 offset:140
	buffer_load_dword v136, off, s[0:3], 0 offset:144
	buffer_load_dword v137, off, s[0:3], 0 offset:148
	buffer_load_dword v138, off, s[0:3], 0 offset:152
	buffer_load_dword v139, off, s[0:3], 0 offset:156
	v_mov_b32_e32 v122, 0
	ds_read2_b64 v[124:127], v122 offset0:71 offset1:72
	v_cmp_lt_u32_e32 vcc, 11, v0
	s_waitcnt vmcnt(12) lgkmcnt(0)
	v_fma_f64 v[120:121], v[120:121], v[124:125], 0
	s_waitcnt vmcnt(10)
	v_fmac_f64_e32 v[120:121], v[128:129], v[126:127]
	ds_read2_b64 v[124:127], v122 offset0:73 offset1:74
	s_waitcnt vmcnt(8) lgkmcnt(0)
	v_fmac_f64_e32 v[120:121], v[130:131], v[124:125]
	s_waitcnt vmcnt(6)
	v_fmac_f64_e32 v[120:121], v[132:133], v[126:127]
	ds_read2_b64 v[124:127], v122 offset0:75 offset1:76
	s_waitcnt vmcnt(4) lgkmcnt(0)
	v_fmac_f64_e32 v[120:121], v[134:135], v[124:125]
	;; [unrolled: 5-line block ×3, first 2 shown]
	buffer_load_dword v125, off, s[0:3], 0 offset:164
	buffer_load_dword v124, off, s[0:3], 0 offset:160
	buffer_load_dword v129, off, s[0:3], 0 offset:172
	buffer_load_dword v128, off, s[0:3], 0 offset:168
	s_waitcnt vmcnt(2)
	v_fmac_f64_e32 v[120:121], v[124:125], v[126:127]
	ds_read2_b64 v[124:127], v122 offset0:79 offset1:80
	s_waitcnt vmcnt(0) lgkmcnt(0)
	v_fmac_f64_e32 v[120:121], v[128:129], v[124:125]
	buffer_load_dword v125, off, s[0:3], 0 offset:180
	buffer_load_dword v124, off, s[0:3], 0 offset:176
	buffer_load_dword v129, off, s[0:3], 0 offset:188
	buffer_load_dword v128, off, s[0:3], 0 offset:184
	s_waitcnt vmcnt(2)
	v_fmac_f64_e32 v[120:121], v[124:125], v[126:127]
	ds_read2_b64 v[124:127], v122 offset0:81 offset1:82
	s_waitcnt vmcnt(0) lgkmcnt(0)
	v_fmac_f64_e32 v[120:121], v[128:129], v[124:125]
	;; [unrolled: 9-line block ×18, first 2 shown]
	buffer_load_dword v125, off, s[0:3], 0 offset:452
	buffer_load_dword v124, off, s[0:3], 0 offset:448
	s_waitcnt vmcnt(0)
	v_fmac_f64_e32 v[120:121], v[124:125], v[126:127]
	buffer_load_dword v125, off, s[0:3], 0 offset:460
	buffer_load_dword v124, off, s[0:3], 0 offset:456
	ds_read_b64 v[126:127], v122 offset:920
	s_waitcnt vmcnt(0) lgkmcnt(0)
	v_fmac_f64_e32 v[120:121], v[124:125], v[126:127]
	v_add_f64 v[118:119], v[118:119], -v[120:121]
	buffer_store_dword v119, off, s[0:3], 0 offset:100
	buffer_store_dword v118, off, s[0:3], 0 offset:96
	s_and_saveexec_b64 s[4:5], vcc
	s_cbranch_execz .LBB57_333
; %bb.332:
	buffer_load_dword v118, off, s[0:3], 0 offset:88
	buffer_load_dword v119, off, s[0:3], 0 offset:92
	s_waitcnt vmcnt(0)
	ds_write_b64 v1, v[118:119]
	buffer_store_dword v122, off, s[0:3], 0 offset:88
	buffer_store_dword v122, off, s[0:3], 0 offset:92
.LBB57_333:
	s_or_b64 exec, exec, s[4:5]
	s_waitcnt lgkmcnt(0)
	; wave barrier
	s_waitcnt lgkmcnt(0)
	buffer_load_dword v118, off, s[0:3], 0 offset:88
	buffer_load_dword v119, off, s[0:3], 0 offset:92
	;; [unrolled: 1-line block ×16, first 2 shown]
	ds_read_b128 v[124:127], v122 offset:560
	ds_read_b128 v[128:131], v122 offset:576
	;; [unrolled: 1-line block ×4, first 2 shown]
	v_cmp_lt_u32_e32 vcc, 10, v0
	s_waitcnt vmcnt(12) lgkmcnt(3)
	v_fma_f64 v[120:121], v[120:121], v[124:125], 0
	buffer_load_dword v125, off, s[0:3], 0 offset:156
	buffer_load_dword v124, off, s[0:3], 0 offset:152
	s_waitcnt vmcnt(12)
	v_fmac_f64_e32 v[120:121], v[140:141], v[126:127]
	s_waitcnt vmcnt(10) lgkmcnt(2)
	v_fmac_f64_e32 v[120:121], v[142:143], v[128:129]
	buffer_load_dword v129, off, s[0:3], 0 offset:164
	buffer_load_dword v128, off, s[0:3], 0 offset:160
	s_waitcnt vmcnt(10)
	v_fmac_f64_e32 v[120:121], v[144:145], v[130:131]
	s_waitcnt vmcnt(8) lgkmcnt(1)
	v_fmac_f64_e32 v[120:121], v[146:147], v[132:133]
	s_waitcnt vmcnt(6)
	v_fmac_f64_e32 v[120:121], v[148:149], v[134:135]
	s_waitcnt vmcnt(4) lgkmcnt(0)
	v_fmac_f64_e32 v[120:121], v[150:151], v[136:137]
	s_waitcnt vmcnt(2)
	v_fmac_f64_e32 v[120:121], v[124:125], v[138:139]
	ds_read_b128 v[124:127], v122 offset:624
	s_waitcnt vmcnt(0) lgkmcnt(0)
	v_fmac_f64_e32 v[120:121], v[128:129], v[124:125]
	buffer_load_dword v125, off, s[0:3], 0 offset:172
	buffer_load_dword v124, off, s[0:3], 0 offset:168
	buffer_load_dword v129, off, s[0:3], 0 offset:180
	buffer_load_dword v128, off, s[0:3], 0 offset:176
	s_waitcnt vmcnt(2)
	v_fmac_f64_e32 v[120:121], v[124:125], v[126:127]
	ds_read_b128 v[124:127], v122 offset:640
	s_waitcnt vmcnt(0) lgkmcnt(0)
	v_fmac_f64_e32 v[120:121], v[128:129], v[124:125]
	buffer_load_dword v125, off, s[0:3], 0 offset:188
	buffer_load_dword v124, off, s[0:3], 0 offset:184
	buffer_load_dword v129, off, s[0:3], 0 offset:196
	buffer_load_dword v128, off, s[0:3], 0 offset:192
	;; [unrolled: 9-line block ×17, first 2 shown]
	s_waitcnt vmcnt(2)
	v_fmac_f64_e32 v[120:121], v[124:125], v[126:127]
	ds_read_b128 v[124:127], v122 offset:896
	s_waitcnt vmcnt(0) lgkmcnt(0)
	v_fmac_f64_e32 v[120:121], v[128:129], v[124:125]
	buffer_load_dword v125, off, s[0:3], 0 offset:444
	buffer_load_dword v124, off, s[0:3], 0 offset:440
	s_waitcnt vmcnt(0)
	v_fmac_f64_e32 v[120:121], v[124:125], v[126:127]
	buffer_load_dword v127, off, s[0:3], 0 offset:452
	buffer_load_dword v126, off, s[0:3], 0 offset:448
	ds_read_b128 v[122:125], v122 offset:912
	s_waitcnt vmcnt(0) lgkmcnt(0)
	v_fmac_f64_e32 v[120:121], v[126:127], v[122:123]
	buffer_load_dword v123, off, s[0:3], 0 offset:460
	buffer_load_dword v122, off, s[0:3], 0 offset:456
	s_waitcnt vmcnt(0)
	v_fmac_f64_e32 v[120:121], v[122:123], v[124:125]
	v_add_f64 v[118:119], v[118:119], -v[120:121]
	buffer_store_dword v119, off, s[0:3], 0 offset:92
	buffer_store_dword v118, off, s[0:3], 0 offset:88
	s_and_saveexec_b64 s[4:5], vcc
	s_cbranch_execz .LBB57_335
; %bb.334:
	buffer_load_dword v118, off, s[0:3], 0 offset:80
	buffer_load_dword v119, off, s[0:3], 0 offset:84
	v_mov_b32_e32 v120, 0
	buffer_store_dword v120, off, s[0:3], 0 offset:80
	buffer_store_dword v120, off, s[0:3], 0 offset:84
	s_waitcnt vmcnt(2)
	ds_write_b64 v1, v[118:119]
.LBB57_335:
	s_or_b64 exec, exec, s[4:5]
	s_waitcnt lgkmcnt(0)
	; wave barrier
	s_waitcnt lgkmcnt(0)
	buffer_load_dword v118, off, s[0:3], 0 offset:80
	buffer_load_dword v119, off, s[0:3], 0 offset:84
	;; [unrolled: 1-line block ×16, first 2 shown]
	v_mov_b32_e32 v122, 0
	ds_read2_b64 v[124:127], v122 offset0:69 offset1:70
	v_cmp_lt_u32_e32 vcc, 9, v0
	s_waitcnt vmcnt(12) lgkmcnt(0)
	v_fma_f64 v[120:121], v[120:121], v[124:125], 0
	s_waitcnt vmcnt(10)
	v_fmac_f64_e32 v[120:121], v[128:129], v[126:127]
	ds_read2_b64 v[124:127], v122 offset0:71 offset1:72
	s_waitcnt vmcnt(8) lgkmcnt(0)
	v_fmac_f64_e32 v[120:121], v[130:131], v[124:125]
	s_waitcnt vmcnt(6)
	v_fmac_f64_e32 v[120:121], v[132:133], v[126:127]
	ds_read2_b64 v[124:127], v122 offset0:73 offset1:74
	s_waitcnt vmcnt(4) lgkmcnt(0)
	v_fmac_f64_e32 v[120:121], v[134:135], v[124:125]
	;; [unrolled: 5-line block ×3, first 2 shown]
	buffer_load_dword v125, off, s[0:3], 0 offset:148
	buffer_load_dword v124, off, s[0:3], 0 offset:144
	buffer_load_dword v129, off, s[0:3], 0 offset:156
	buffer_load_dword v128, off, s[0:3], 0 offset:152
	s_waitcnt vmcnt(2)
	v_fmac_f64_e32 v[120:121], v[124:125], v[126:127]
	ds_read2_b64 v[124:127], v122 offset0:77 offset1:78
	s_waitcnt vmcnt(0) lgkmcnt(0)
	v_fmac_f64_e32 v[120:121], v[128:129], v[124:125]
	buffer_load_dword v125, off, s[0:3], 0 offset:164
	buffer_load_dword v124, off, s[0:3], 0 offset:160
	buffer_load_dword v129, off, s[0:3], 0 offset:172
	buffer_load_dword v128, off, s[0:3], 0 offset:168
	s_waitcnt vmcnt(2)
	v_fmac_f64_e32 v[120:121], v[124:125], v[126:127]
	ds_read2_b64 v[124:127], v122 offset0:79 offset1:80
	s_waitcnt vmcnt(0) lgkmcnt(0)
	v_fmac_f64_e32 v[120:121], v[128:129], v[124:125]
	;; [unrolled: 9-line block ×19, first 2 shown]
	buffer_load_dword v125, off, s[0:3], 0 offset:452
	buffer_load_dword v124, off, s[0:3], 0 offset:448
	s_waitcnt vmcnt(0)
	v_fmac_f64_e32 v[120:121], v[124:125], v[126:127]
	buffer_load_dword v125, off, s[0:3], 0 offset:460
	buffer_load_dword v124, off, s[0:3], 0 offset:456
	ds_read_b64 v[126:127], v122 offset:920
	s_waitcnt vmcnt(0) lgkmcnt(0)
	v_fmac_f64_e32 v[120:121], v[124:125], v[126:127]
	v_add_f64 v[118:119], v[118:119], -v[120:121]
	buffer_store_dword v119, off, s[0:3], 0 offset:84
	buffer_store_dword v118, off, s[0:3], 0 offset:80
	s_and_saveexec_b64 s[4:5], vcc
	s_cbranch_execz .LBB57_337
; %bb.336:
	buffer_load_dword v118, off, s[0:3], 0 offset:72
	buffer_load_dword v119, off, s[0:3], 0 offset:76
	s_waitcnt vmcnt(0)
	ds_write_b64 v1, v[118:119]
	buffer_store_dword v122, off, s[0:3], 0 offset:72
	buffer_store_dword v122, off, s[0:3], 0 offset:76
.LBB57_337:
	s_or_b64 exec, exec, s[4:5]
	s_waitcnt lgkmcnt(0)
	; wave barrier
	s_waitcnt lgkmcnt(0)
	buffer_load_dword v118, off, s[0:3], 0 offset:72
	buffer_load_dword v119, off, s[0:3], 0 offset:76
	;; [unrolled: 1-line block ×16, first 2 shown]
	ds_read_b128 v[124:127], v122 offset:544
	ds_read_b128 v[128:131], v122 offset:560
	ds_read_b128 v[132:135], v122 offset:576
	ds_read_b128 v[136:139], v122 offset:592
	v_cmp_lt_u32_e32 vcc, 8, v0
	s_waitcnt vmcnt(12) lgkmcnt(3)
	v_fma_f64 v[120:121], v[120:121], v[124:125], 0
	buffer_load_dword v125, off, s[0:3], 0 offset:140
	buffer_load_dword v124, off, s[0:3], 0 offset:136
	s_waitcnt vmcnt(12)
	v_fmac_f64_e32 v[120:121], v[140:141], v[126:127]
	s_waitcnt vmcnt(10) lgkmcnt(2)
	v_fmac_f64_e32 v[120:121], v[142:143], v[128:129]
	buffer_load_dword v129, off, s[0:3], 0 offset:148
	buffer_load_dword v128, off, s[0:3], 0 offset:144
	s_waitcnt vmcnt(10)
	v_fmac_f64_e32 v[120:121], v[144:145], v[130:131]
	s_waitcnt vmcnt(8) lgkmcnt(1)
	v_fmac_f64_e32 v[120:121], v[146:147], v[132:133]
	s_waitcnt vmcnt(6)
	v_fmac_f64_e32 v[120:121], v[148:149], v[134:135]
	s_waitcnt vmcnt(4) lgkmcnt(0)
	v_fmac_f64_e32 v[120:121], v[150:151], v[136:137]
	s_waitcnt vmcnt(2)
	v_fmac_f64_e32 v[120:121], v[124:125], v[138:139]
	ds_read_b128 v[124:127], v122 offset:608
	s_waitcnt vmcnt(0) lgkmcnt(0)
	v_fmac_f64_e32 v[120:121], v[128:129], v[124:125]
	buffer_load_dword v125, off, s[0:3], 0 offset:156
	buffer_load_dword v124, off, s[0:3], 0 offset:152
	buffer_load_dword v129, off, s[0:3], 0 offset:164
	buffer_load_dword v128, off, s[0:3], 0 offset:160
	s_waitcnt vmcnt(2)
	v_fmac_f64_e32 v[120:121], v[124:125], v[126:127]
	ds_read_b128 v[124:127], v122 offset:624
	s_waitcnt vmcnt(0) lgkmcnt(0)
	v_fmac_f64_e32 v[120:121], v[128:129], v[124:125]
	buffer_load_dword v125, off, s[0:3], 0 offset:172
	buffer_load_dword v124, off, s[0:3], 0 offset:168
	buffer_load_dword v129, off, s[0:3], 0 offset:180
	buffer_load_dword v128, off, s[0:3], 0 offset:176
	;; [unrolled: 9-line block ×18, first 2 shown]
	s_waitcnt vmcnt(2)
	v_fmac_f64_e32 v[120:121], v[124:125], v[126:127]
	ds_read_b128 v[124:127], v122 offset:896
	s_waitcnt vmcnt(0) lgkmcnt(0)
	v_fmac_f64_e32 v[120:121], v[128:129], v[124:125]
	buffer_load_dword v125, off, s[0:3], 0 offset:444
	buffer_load_dword v124, off, s[0:3], 0 offset:440
	s_waitcnt vmcnt(0)
	v_fmac_f64_e32 v[120:121], v[124:125], v[126:127]
	buffer_load_dword v127, off, s[0:3], 0 offset:452
	buffer_load_dword v126, off, s[0:3], 0 offset:448
	ds_read_b128 v[122:125], v122 offset:912
	s_waitcnt vmcnt(0) lgkmcnt(0)
	v_fmac_f64_e32 v[120:121], v[126:127], v[122:123]
	buffer_load_dword v123, off, s[0:3], 0 offset:460
	buffer_load_dword v122, off, s[0:3], 0 offset:456
	s_waitcnt vmcnt(0)
	v_fmac_f64_e32 v[120:121], v[122:123], v[124:125]
	v_add_f64 v[118:119], v[118:119], -v[120:121]
	buffer_store_dword v119, off, s[0:3], 0 offset:76
	buffer_store_dword v118, off, s[0:3], 0 offset:72
	s_and_saveexec_b64 s[4:5], vcc
	s_cbranch_execz .LBB57_339
; %bb.338:
	buffer_load_dword v118, off, s[0:3], 0 offset:64
	buffer_load_dword v119, off, s[0:3], 0 offset:68
	v_mov_b32_e32 v120, 0
	buffer_store_dword v120, off, s[0:3], 0 offset:64
	buffer_store_dword v120, off, s[0:3], 0 offset:68
	s_waitcnt vmcnt(2)
	ds_write_b64 v1, v[118:119]
.LBB57_339:
	s_or_b64 exec, exec, s[4:5]
	s_waitcnt lgkmcnt(0)
	; wave barrier
	s_waitcnt lgkmcnt(0)
	buffer_load_dword v118, off, s[0:3], 0 offset:64
	buffer_load_dword v119, off, s[0:3], 0 offset:68
	;; [unrolled: 1-line block ×16, first 2 shown]
	v_mov_b32_e32 v122, 0
	ds_read2_b64 v[124:127], v122 offset0:67 offset1:68
	v_cmp_lt_u32_e32 vcc, 7, v0
	s_waitcnt vmcnt(12) lgkmcnt(0)
	v_fma_f64 v[120:121], v[120:121], v[124:125], 0
	s_waitcnt vmcnt(10)
	v_fmac_f64_e32 v[120:121], v[128:129], v[126:127]
	ds_read2_b64 v[124:127], v122 offset0:69 offset1:70
	s_waitcnt vmcnt(8) lgkmcnt(0)
	v_fmac_f64_e32 v[120:121], v[130:131], v[124:125]
	s_waitcnt vmcnt(6)
	v_fmac_f64_e32 v[120:121], v[132:133], v[126:127]
	ds_read2_b64 v[124:127], v122 offset0:71 offset1:72
	s_waitcnt vmcnt(4) lgkmcnt(0)
	v_fmac_f64_e32 v[120:121], v[134:135], v[124:125]
	;; [unrolled: 5-line block ×3, first 2 shown]
	buffer_load_dword v125, off, s[0:3], 0 offset:132
	buffer_load_dword v124, off, s[0:3], 0 offset:128
	buffer_load_dword v129, off, s[0:3], 0 offset:140
	buffer_load_dword v128, off, s[0:3], 0 offset:136
	s_waitcnt vmcnt(2)
	v_fmac_f64_e32 v[120:121], v[124:125], v[126:127]
	ds_read2_b64 v[124:127], v122 offset0:75 offset1:76
	s_waitcnt vmcnt(0) lgkmcnt(0)
	v_fmac_f64_e32 v[120:121], v[128:129], v[124:125]
	buffer_load_dword v125, off, s[0:3], 0 offset:148
	buffer_load_dword v124, off, s[0:3], 0 offset:144
	buffer_load_dword v129, off, s[0:3], 0 offset:156
	buffer_load_dword v128, off, s[0:3], 0 offset:152
	s_waitcnt vmcnt(2)
	v_fmac_f64_e32 v[120:121], v[124:125], v[126:127]
	ds_read2_b64 v[124:127], v122 offset0:77 offset1:78
	s_waitcnt vmcnt(0) lgkmcnt(0)
	v_fmac_f64_e32 v[120:121], v[128:129], v[124:125]
	;; [unrolled: 9-line block ×20, first 2 shown]
	buffer_load_dword v125, off, s[0:3], 0 offset:452
	buffer_load_dword v124, off, s[0:3], 0 offset:448
	s_waitcnt vmcnt(0)
	v_fmac_f64_e32 v[120:121], v[124:125], v[126:127]
	buffer_load_dword v125, off, s[0:3], 0 offset:460
	buffer_load_dword v124, off, s[0:3], 0 offset:456
	ds_read_b64 v[126:127], v122 offset:920
	s_waitcnt vmcnt(0) lgkmcnt(0)
	v_fmac_f64_e32 v[120:121], v[124:125], v[126:127]
	v_add_f64 v[118:119], v[118:119], -v[120:121]
	buffer_store_dword v119, off, s[0:3], 0 offset:68
	buffer_store_dword v118, off, s[0:3], 0 offset:64
	s_and_saveexec_b64 s[4:5], vcc
	s_cbranch_execz .LBB57_341
; %bb.340:
	buffer_load_dword v118, off, s[0:3], 0 offset:56
	buffer_load_dword v119, off, s[0:3], 0 offset:60
	s_waitcnt vmcnt(0)
	ds_write_b64 v1, v[118:119]
	buffer_store_dword v122, off, s[0:3], 0 offset:56
	buffer_store_dword v122, off, s[0:3], 0 offset:60
.LBB57_341:
	s_or_b64 exec, exec, s[4:5]
	s_waitcnt lgkmcnt(0)
	; wave barrier
	s_waitcnt lgkmcnt(0)
	buffer_load_dword v118, off, s[0:3], 0 offset:56
	buffer_load_dword v119, off, s[0:3], 0 offset:60
	;; [unrolled: 1-line block ×16, first 2 shown]
	ds_read_b128 v[124:127], v122 offset:528
	v_cmp_lt_u32_e32 vcc, 6, v0
	s_waitcnt vmcnt(12) lgkmcnt(0)
	v_fma_f64 v[120:121], v[120:121], v[124:125], 0
	s_waitcnt vmcnt(10)
	v_fmac_f64_e32 v[120:121], v[128:129], v[126:127]
	ds_read_b128 v[124:127], v122 offset:544
	s_waitcnt vmcnt(8) lgkmcnt(0)
	v_fmac_f64_e32 v[120:121], v[130:131], v[124:125]
	s_waitcnt vmcnt(6)
	v_fmac_f64_e32 v[120:121], v[132:133], v[126:127]
	ds_read_b128 v[124:127], v122 offset:560
	s_waitcnt vmcnt(4) lgkmcnt(0)
	v_fmac_f64_e32 v[120:121], v[134:135], v[124:125]
	;; [unrolled: 5-line block ×3, first 2 shown]
	buffer_load_dword v125, off, s[0:3], 0 offset:124
	buffer_load_dword v124, off, s[0:3], 0 offset:120
	buffer_load_dword v129, off, s[0:3], 0 offset:132
	buffer_load_dword v128, off, s[0:3], 0 offset:128
	s_waitcnt vmcnt(2)
	v_fmac_f64_e32 v[120:121], v[124:125], v[126:127]
	ds_read_b128 v[124:127], v122 offset:592
	s_waitcnt vmcnt(0) lgkmcnt(0)
	v_fmac_f64_e32 v[120:121], v[128:129], v[124:125]
	buffer_load_dword v125, off, s[0:3], 0 offset:140
	buffer_load_dword v124, off, s[0:3], 0 offset:136
	buffer_load_dword v129, off, s[0:3], 0 offset:148
	buffer_load_dword v128, off, s[0:3], 0 offset:144
	s_waitcnt vmcnt(2)
	v_fmac_f64_e32 v[120:121], v[124:125], v[126:127]
	ds_read_b128 v[124:127], v122 offset:608
	s_waitcnt vmcnt(0) lgkmcnt(0)
	v_fmac_f64_e32 v[120:121], v[128:129], v[124:125]
	;; [unrolled: 9-line block ×20, first 2 shown]
	buffer_load_dword v125, off, s[0:3], 0 offset:444
	buffer_load_dword v124, off, s[0:3], 0 offset:440
	s_waitcnt vmcnt(0)
	v_fmac_f64_e32 v[120:121], v[124:125], v[126:127]
	buffer_load_dword v127, off, s[0:3], 0 offset:452
	buffer_load_dword v126, off, s[0:3], 0 offset:448
	ds_read_b128 v[122:125], v122 offset:912
	s_waitcnt vmcnt(0) lgkmcnt(0)
	v_fmac_f64_e32 v[120:121], v[126:127], v[122:123]
	buffer_load_dword v123, off, s[0:3], 0 offset:460
	buffer_load_dword v122, off, s[0:3], 0 offset:456
	s_waitcnt vmcnt(0)
	v_fmac_f64_e32 v[120:121], v[122:123], v[124:125]
	v_add_f64 v[118:119], v[118:119], -v[120:121]
	buffer_store_dword v119, off, s[0:3], 0 offset:60
	buffer_store_dword v118, off, s[0:3], 0 offset:56
	s_and_saveexec_b64 s[4:5], vcc
	s_cbranch_execz .LBB57_343
; %bb.342:
	buffer_load_dword v118, off, s[0:3], 0 offset:48
	buffer_load_dword v119, off, s[0:3], 0 offset:52
	v_mov_b32_e32 v120, 0
	buffer_store_dword v120, off, s[0:3], 0 offset:48
	buffer_store_dword v120, off, s[0:3], 0 offset:52
	s_waitcnt vmcnt(2)
	ds_write_b64 v1, v[118:119]
.LBB57_343:
	s_or_b64 exec, exec, s[4:5]
	s_waitcnt lgkmcnt(0)
	; wave barrier
	s_waitcnt lgkmcnt(0)
	buffer_load_dword v118, off, s[0:3], 0 offset:48
	buffer_load_dword v119, off, s[0:3], 0 offset:52
	;; [unrolled: 1-line block ×16, first 2 shown]
	v_mov_b32_e32 v122, 0
	ds_read2_b64 v[124:127], v122 offset0:65 offset1:66
	v_cmp_lt_u32_e32 vcc, 5, v0
	s_waitcnt vmcnt(12) lgkmcnt(0)
	v_fma_f64 v[120:121], v[120:121], v[124:125], 0
	s_waitcnt vmcnt(10)
	v_fmac_f64_e32 v[120:121], v[128:129], v[126:127]
	ds_read2_b64 v[124:127], v122 offset0:67 offset1:68
	s_waitcnt vmcnt(8) lgkmcnt(0)
	v_fmac_f64_e32 v[120:121], v[130:131], v[124:125]
	s_waitcnt vmcnt(6)
	v_fmac_f64_e32 v[120:121], v[132:133], v[126:127]
	ds_read2_b64 v[124:127], v122 offset0:69 offset1:70
	s_waitcnt vmcnt(4) lgkmcnt(0)
	v_fmac_f64_e32 v[120:121], v[134:135], v[124:125]
	;; [unrolled: 5-line block ×3, first 2 shown]
	buffer_load_dword v125, off, s[0:3], 0 offset:116
	buffer_load_dword v124, off, s[0:3], 0 offset:112
	buffer_load_dword v129, off, s[0:3], 0 offset:124
	buffer_load_dword v128, off, s[0:3], 0 offset:120
	s_waitcnt vmcnt(2)
	v_fmac_f64_e32 v[120:121], v[124:125], v[126:127]
	ds_read2_b64 v[124:127], v122 offset0:73 offset1:74
	s_waitcnt vmcnt(0) lgkmcnt(0)
	v_fmac_f64_e32 v[120:121], v[128:129], v[124:125]
	buffer_load_dword v125, off, s[0:3], 0 offset:132
	buffer_load_dword v124, off, s[0:3], 0 offset:128
	buffer_load_dword v129, off, s[0:3], 0 offset:140
	buffer_load_dword v128, off, s[0:3], 0 offset:136
	s_waitcnt vmcnt(2)
	v_fmac_f64_e32 v[120:121], v[124:125], v[126:127]
	ds_read2_b64 v[124:127], v122 offset0:75 offset1:76
	s_waitcnt vmcnt(0) lgkmcnt(0)
	v_fmac_f64_e32 v[120:121], v[128:129], v[124:125]
	;; [unrolled: 9-line block ×21, first 2 shown]
	buffer_load_dword v125, off, s[0:3], 0 offset:452
	buffer_load_dword v124, off, s[0:3], 0 offset:448
	s_waitcnt vmcnt(0)
	v_fmac_f64_e32 v[120:121], v[124:125], v[126:127]
	buffer_load_dword v125, off, s[0:3], 0 offset:460
	buffer_load_dword v124, off, s[0:3], 0 offset:456
	ds_read_b64 v[126:127], v122 offset:920
	s_waitcnt vmcnt(0) lgkmcnt(0)
	v_fmac_f64_e32 v[120:121], v[124:125], v[126:127]
	v_add_f64 v[118:119], v[118:119], -v[120:121]
	buffer_store_dword v119, off, s[0:3], 0 offset:52
	buffer_store_dword v118, off, s[0:3], 0 offset:48
	s_and_saveexec_b64 s[4:5], vcc
	s_cbranch_execz .LBB57_345
; %bb.344:
	buffer_load_dword v118, off, s[0:3], 0 offset:40
	buffer_load_dword v119, off, s[0:3], 0 offset:44
	s_waitcnt vmcnt(0)
	ds_write_b64 v1, v[118:119]
	buffer_store_dword v122, off, s[0:3], 0 offset:40
	buffer_store_dword v122, off, s[0:3], 0 offset:44
.LBB57_345:
	s_or_b64 exec, exec, s[4:5]
	s_waitcnt lgkmcnt(0)
	; wave barrier
	s_waitcnt lgkmcnt(0)
	buffer_load_dword v118, off, s[0:3], 0 offset:40
	buffer_load_dword v119, off, s[0:3], 0 offset:44
	buffer_load_dword v120, off, s[0:3], 0 offset:48
	buffer_load_dword v121, off, s[0:3], 0 offset:52
	buffer_load_dword v128, off, s[0:3], 0 offset:56
	buffer_load_dword v129, off, s[0:3], 0 offset:60
	buffer_load_dword v130, off, s[0:3], 0 offset:64
	buffer_load_dword v131, off, s[0:3], 0 offset:68
	buffer_load_dword v132, off, s[0:3], 0 offset:72
	buffer_load_dword v133, off, s[0:3], 0 offset:76
	buffer_load_dword v134, off, s[0:3], 0 offset:80
	buffer_load_dword v135, off, s[0:3], 0 offset:84
	buffer_load_dword v136, off, s[0:3], 0 offset:88
	buffer_load_dword v137, off, s[0:3], 0 offset:92
	buffer_load_dword v138, off, s[0:3], 0 offset:96
	buffer_load_dword v139, off, s[0:3], 0 offset:100
	ds_read_b128 v[124:127], v122 offset:512
	v_cmp_lt_u32_e32 vcc, 4, v0
	s_waitcnt vmcnt(12) lgkmcnt(0)
	v_fma_f64 v[120:121], v[120:121], v[124:125], 0
	s_waitcnt vmcnt(10)
	v_fmac_f64_e32 v[120:121], v[128:129], v[126:127]
	ds_read_b128 v[124:127], v122 offset:528
	s_waitcnt vmcnt(8) lgkmcnt(0)
	v_fmac_f64_e32 v[120:121], v[130:131], v[124:125]
	s_waitcnt vmcnt(6)
	v_fmac_f64_e32 v[120:121], v[132:133], v[126:127]
	ds_read_b128 v[124:127], v122 offset:544
	s_waitcnt vmcnt(4) lgkmcnt(0)
	v_fmac_f64_e32 v[120:121], v[134:135], v[124:125]
	;; [unrolled: 5-line block ×3, first 2 shown]
	buffer_load_dword v125, off, s[0:3], 0 offset:108
	buffer_load_dword v124, off, s[0:3], 0 offset:104
	buffer_load_dword v129, off, s[0:3], 0 offset:116
	buffer_load_dword v128, off, s[0:3], 0 offset:112
	s_waitcnt vmcnt(2)
	v_fmac_f64_e32 v[120:121], v[124:125], v[126:127]
	ds_read_b128 v[124:127], v122 offset:576
	s_waitcnt vmcnt(0) lgkmcnt(0)
	v_fmac_f64_e32 v[120:121], v[128:129], v[124:125]
	buffer_load_dword v125, off, s[0:3], 0 offset:124
	buffer_load_dword v124, off, s[0:3], 0 offset:120
	buffer_load_dword v129, off, s[0:3], 0 offset:132
	buffer_load_dword v128, off, s[0:3], 0 offset:128
	s_waitcnt vmcnt(2)
	v_fmac_f64_e32 v[120:121], v[124:125], v[126:127]
	ds_read_b128 v[124:127], v122 offset:592
	s_waitcnt vmcnt(0) lgkmcnt(0)
	v_fmac_f64_e32 v[120:121], v[128:129], v[124:125]
	;; [unrolled: 9-line block ×21, first 2 shown]
	buffer_load_dword v125, off, s[0:3], 0 offset:444
	buffer_load_dword v124, off, s[0:3], 0 offset:440
	s_waitcnt vmcnt(0)
	v_fmac_f64_e32 v[120:121], v[124:125], v[126:127]
	buffer_load_dword v127, off, s[0:3], 0 offset:452
	buffer_load_dword v126, off, s[0:3], 0 offset:448
	ds_read_b128 v[122:125], v122 offset:912
	s_waitcnt vmcnt(0) lgkmcnt(0)
	v_fmac_f64_e32 v[120:121], v[126:127], v[122:123]
	buffer_load_dword v123, off, s[0:3], 0 offset:460
	buffer_load_dword v122, off, s[0:3], 0 offset:456
	s_waitcnt vmcnt(0)
	v_fmac_f64_e32 v[120:121], v[122:123], v[124:125]
	v_add_f64 v[118:119], v[118:119], -v[120:121]
	buffer_store_dword v119, off, s[0:3], 0 offset:44
	buffer_store_dword v118, off, s[0:3], 0 offset:40
	s_and_saveexec_b64 s[4:5], vcc
	s_cbranch_execz .LBB57_347
; %bb.346:
	buffer_load_dword v118, off, s[0:3], 0 offset:32
	buffer_load_dword v119, off, s[0:3], 0 offset:36
	v_mov_b32_e32 v120, 0
	buffer_store_dword v120, off, s[0:3], 0 offset:32
	buffer_store_dword v120, off, s[0:3], 0 offset:36
	s_waitcnt vmcnt(2)
	ds_write_b64 v1, v[118:119]
.LBB57_347:
	s_or_b64 exec, exec, s[4:5]
	s_waitcnt lgkmcnt(0)
	; wave barrier
	s_waitcnt lgkmcnt(0)
	buffer_load_dword v118, off, s[0:3], 0 offset:32
	buffer_load_dword v119, off, s[0:3], 0 offset:36
	;; [unrolled: 1-line block ×16, first 2 shown]
	v_mov_b32_e32 v122, 0
	ds_read2_b64 v[124:127], v122 offset0:63 offset1:64
	v_cmp_lt_u32_e32 vcc, 3, v0
	s_waitcnt vmcnt(12) lgkmcnt(0)
	v_fma_f64 v[120:121], v[120:121], v[124:125], 0
	s_waitcnt vmcnt(10)
	v_fmac_f64_e32 v[120:121], v[128:129], v[126:127]
	ds_read2_b64 v[124:127], v122 offset0:65 offset1:66
	s_waitcnt vmcnt(8) lgkmcnt(0)
	v_fmac_f64_e32 v[120:121], v[130:131], v[124:125]
	s_waitcnt vmcnt(6)
	v_fmac_f64_e32 v[120:121], v[132:133], v[126:127]
	ds_read2_b64 v[124:127], v122 offset0:67 offset1:68
	s_waitcnt vmcnt(4) lgkmcnt(0)
	v_fmac_f64_e32 v[120:121], v[134:135], v[124:125]
	;; [unrolled: 5-line block ×3, first 2 shown]
	buffer_load_dword v125, off, s[0:3], 0 offset:100
	buffer_load_dword v124, off, s[0:3], 0 offset:96
	buffer_load_dword v129, off, s[0:3], 0 offset:108
	buffer_load_dword v128, off, s[0:3], 0 offset:104
	s_waitcnt vmcnt(2)
	v_fmac_f64_e32 v[120:121], v[124:125], v[126:127]
	ds_read2_b64 v[124:127], v122 offset0:71 offset1:72
	s_waitcnt vmcnt(0) lgkmcnt(0)
	v_fmac_f64_e32 v[120:121], v[128:129], v[124:125]
	buffer_load_dword v125, off, s[0:3], 0 offset:116
	buffer_load_dword v124, off, s[0:3], 0 offset:112
	buffer_load_dword v129, off, s[0:3], 0 offset:124
	buffer_load_dword v128, off, s[0:3], 0 offset:120
	s_waitcnt vmcnt(2)
	v_fmac_f64_e32 v[120:121], v[124:125], v[126:127]
	ds_read2_b64 v[124:127], v122 offset0:73 offset1:74
	s_waitcnt vmcnt(0) lgkmcnt(0)
	v_fmac_f64_e32 v[120:121], v[128:129], v[124:125]
	;; [unrolled: 9-line block ×22, first 2 shown]
	buffer_load_dword v125, off, s[0:3], 0 offset:452
	buffer_load_dword v124, off, s[0:3], 0 offset:448
	s_waitcnt vmcnt(0)
	v_fmac_f64_e32 v[120:121], v[124:125], v[126:127]
	buffer_load_dword v125, off, s[0:3], 0 offset:460
	buffer_load_dword v124, off, s[0:3], 0 offset:456
	ds_read_b64 v[126:127], v122 offset:920
	s_waitcnt vmcnt(0) lgkmcnt(0)
	v_fmac_f64_e32 v[120:121], v[124:125], v[126:127]
	v_add_f64 v[118:119], v[118:119], -v[120:121]
	buffer_store_dword v119, off, s[0:3], 0 offset:36
	buffer_store_dword v118, off, s[0:3], 0 offset:32
	s_and_saveexec_b64 s[4:5], vcc
	s_cbranch_execz .LBB57_349
; %bb.348:
	buffer_load_dword v118, off, s[0:3], 0 offset:24
	buffer_load_dword v119, off, s[0:3], 0 offset:28
	s_waitcnt vmcnt(0)
	ds_write_b64 v1, v[118:119]
	buffer_store_dword v122, off, s[0:3], 0 offset:24
	buffer_store_dword v122, off, s[0:3], 0 offset:28
.LBB57_349:
	s_or_b64 exec, exec, s[4:5]
	s_waitcnt lgkmcnt(0)
	; wave barrier
	s_waitcnt lgkmcnt(0)
	buffer_load_dword v118, off, s[0:3], 0 offset:24
	buffer_load_dword v119, off, s[0:3], 0 offset:28
	;; [unrolled: 1-line block ×16, first 2 shown]
	ds_read_b128 v[124:127], v122 offset:496
	v_cmp_lt_u32_e32 vcc, 2, v0
	s_waitcnt vmcnt(12) lgkmcnt(0)
	v_fma_f64 v[120:121], v[120:121], v[124:125], 0
	s_waitcnt vmcnt(10)
	v_fmac_f64_e32 v[120:121], v[128:129], v[126:127]
	ds_read_b128 v[124:127], v122 offset:512
	s_waitcnt vmcnt(8) lgkmcnt(0)
	v_fmac_f64_e32 v[120:121], v[130:131], v[124:125]
	s_waitcnt vmcnt(6)
	v_fmac_f64_e32 v[120:121], v[132:133], v[126:127]
	ds_read_b128 v[124:127], v122 offset:528
	s_waitcnt vmcnt(4) lgkmcnt(0)
	v_fmac_f64_e32 v[120:121], v[134:135], v[124:125]
	;; [unrolled: 5-line block ×3, first 2 shown]
	buffer_load_dword v125, off, s[0:3], 0 offset:92
	buffer_load_dword v124, off, s[0:3], 0 offset:88
	buffer_load_dword v129, off, s[0:3], 0 offset:100
	buffer_load_dword v128, off, s[0:3], 0 offset:96
	s_waitcnt vmcnt(2)
	v_fmac_f64_e32 v[120:121], v[124:125], v[126:127]
	ds_read_b128 v[124:127], v122 offset:560
	s_waitcnt vmcnt(0) lgkmcnt(0)
	v_fmac_f64_e32 v[120:121], v[128:129], v[124:125]
	buffer_load_dword v125, off, s[0:3], 0 offset:108
	buffer_load_dword v124, off, s[0:3], 0 offset:104
	buffer_load_dword v129, off, s[0:3], 0 offset:116
	buffer_load_dword v128, off, s[0:3], 0 offset:112
	s_waitcnt vmcnt(2)
	v_fmac_f64_e32 v[120:121], v[124:125], v[126:127]
	ds_read_b128 v[124:127], v122 offset:576
	s_waitcnt vmcnt(0) lgkmcnt(0)
	v_fmac_f64_e32 v[120:121], v[128:129], v[124:125]
	;; [unrolled: 9-line block ×22, first 2 shown]
	buffer_load_dword v125, off, s[0:3], 0 offset:444
	buffer_load_dword v124, off, s[0:3], 0 offset:440
	s_waitcnt vmcnt(0)
	v_fmac_f64_e32 v[120:121], v[124:125], v[126:127]
	buffer_load_dword v127, off, s[0:3], 0 offset:452
	buffer_load_dword v126, off, s[0:3], 0 offset:448
	ds_read_b128 v[122:125], v122 offset:912
	s_waitcnt vmcnt(0) lgkmcnt(0)
	v_fmac_f64_e32 v[120:121], v[126:127], v[122:123]
	buffer_load_dword v123, off, s[0:3], 0 offset:460
	buffer_load_dword v122, off, s[0:3], 0 offset:456
	s_waitcnt vmcnt(0)
	v_fmac_f64_e32 v[120:121], v[122:123], v[124:125]
	v_add_f64 v[118:119], v[118:119], -v[120:121]
	buffer_store_dword v119, off, s[0:3], 0 offset:28
	buffer_store_dword v118, off, s[0:3], 0 offset:24
	s_and_saveexec_b64 s[4:5], vcc
	s_cbranch_execz .LBB57_351
; %bb.350:
	buffer_load_dword v118, off, s[0:3], 0 offset:16
	buffer_load_dword v119, off, s[0:3], 0 offset:20
	v_mov_b32_e32 v120, 0
	buffer_store_dword v120, off, s[0:3], 0 offset:16
	buffer_store_dword v120, off, s[0:3], 0 offset:20
	s_waitcnt vmcnt(2)
	ds_write_b64 v1, v[118:119]
.LBB57_351:
	s_or_b64 exec, exec, s[4:5]
	s_waitcnt lgkmcnt(0)
	; wave barrier
	s_waitcnt lgkmcnt(0)
	buffer_load_dword v118, off, s[0:3], 0 offset:16
	buffer_load_dword v119, off, s[0:3], 0 offset:20
	;; [unrolled: 1-line block ×16, first 2 shown]
	v_mov_b32_e32 v122, 0
	ds_read2_b64 v[124:127], v122 offset0:61 offset1:62
	v_cmp_lt_u32_e32 vcc, 1, v0
	s_waitcnt vmcnt(12) lgkmcnt(0)
	v_fma_f64 v[120:121], v[120:121], v[124:125], 0
	s_waitcnt vmcnt(10)
	v_fmac_f64_e32 v[120:121], v[128:129], v[126:127]
	ds_read2_b64 v[124:127], v122 offset0:63 offset1:64
	s_waitcnt vmcnt(8) lgkmcnt(0)
	v_fmac_f64_e32 v[120:121], v[130:131], v[124:125]
	s_waitcnt vmcnt(6)
	v_fmac_f64_e32 v[120:121], v[132:133], v[126:127]
	ds_read2_b64 v[124:127], v122 offset0:65 offset1:66
	s_waitcnt vmcnt(4) lgkmcnt(0)
	v_fmac_f64_e32 v[120:121], v[134:135], v[124:125]
	;; [unrolled: 5-line block ×3, first 2 shown]
	buffer_load_dword v125, off, s[0:3], 0 offset:84
	buffer_load_dword v124, off, s[0:3], 0 offset:80
	buffer_load_dword v129, off, s[0:3], 0 offset:92
	buffer_load_dword v128, off, s[0:3], 0 offset:88
	s_waitcnt vmcnt(2)
	v_fmac_f64_e32 v[120:121], v[124:125], v[126:127]
	ds_read2_b64 v[124:127], v122 offset0:69 offset1:70
	s_waitcnt vmcnt(0) lgkmcnt(0)
	v_fmac_f64_e32 v[120:121], v[128:129], v[124:125]
	buffer_load_dword v125, off, s[0:3], 0 offset:100
	buffer_load_dword v124, off, s[0:3], 0 offset:96
	buffer_load_dword v129, off, s[0:3], 0 offset:108
	buffer_load_dword v128, off, s[0:3], 0 offset:104
	s_waitcnt vmcnt(2)
	v_fmac_f64_e32 v[120:121], v[124:125], v[126:127]
	ds_read2_b64 v[124:127], v122 offset0:71 offset1:72
	s_waitcnt vmcnt(0) lgkmcnt(0)
	v_fmac_f64_e32 v[120:121], v[128:129], v[124:125]
	;; [unrolled: 9-line block ×23, first 2 shown]
	buffer_load_dword v125, off, s[0:3], 0 offset:452
	buffer_load_dword v124, off, s[0:3], 0 offset:448
	s_waitcnt vmcnt(0)
	v_fmac_f64_e32 v[120:121], v[124:125], v[126:127]
	buffer_load_dword v125, off, s[0:3], 0 offset:460
	buffer_load_dword v124, off, s[0:3], 0 offset:456
	ds_read_b64 v[126:127], v122 offset:920
	s_waitcnt vmcnt(0) lgkmcnt(0)
	v_fmac_f64_e32 v[120:121], v[124:125], v[126:127]
	v_add_f64 v[118:119], v[118:119], -v[120:121]
	buffer_store_dword v119, off, s[0:3], 0 offset:20
	buffer_store_dword v118, off, s[0:3], 0 offset:16
	s_and_saveexec_b64 s[4:5], vcc
	s_cbranch_execz .LBB57_353
; %bb.352:
	buffer_load_dword v118, off, s[0:3], 0 offset:8
	buffer_load_dword v119, off, s[0:3], 0 offset:12
	s_waitcnt vmcnt(0)
	ds_write_b64 v1, v[118:119]
	buffer_store_dword v122, off, s[0:3], 0 offset:8
	buffer_store_dword v122, off, s[0:3], 0 offset:12
.LBB57_353:
	s_or_b64 exec, exec, s[4:5]
	s_waitcnt lgkmcnt(0)
	; wave barrier
	s_waitcnt lgkmcnt(0)
	buffer_load_dword v118, off, s[0:3], 0 offset:8
	buffer_load_dword v119, off, s[0:3], 0 offset:12
	;; [unrolled: 1-line block ×16, first 2 shown]
	ds_read_b128 v[124:127], v122 offset:480
	v_cmp_ne_u32_e32 vcc, 0, v0
	s_waitcnt vmcnt(12) lgkmcnt(0)
	v_fma_f64 v[120:121], v[120:121], v[124:125], 0
	s_waitcnt vmcnt(10)
	v_fmac_f64_e32 v[120:121], v[128:129], v[126:127]
	ds_read_b128 v[124:127], v122 offset:496
	s_waitcnt vmcnt(8) lgkmcnt(0)
	v_fmac_f64_e32 v[120:121], v[130:131], v[124:125]
	s_waitcnt vmcnt(6)
	v_fmac_f64_e32 v[120:121], v[132:133], v[126:127]
	ds_read_b128 v[124:127], v122 offset:512
	s_waitcnt vmcnt(4) lgkmcnt(0)
	v_fmac_f64_e32 v[120:121], v[134:135], v[124:125]
	;; [unrolled: 5-line block ×3, first 2 shown]
	buffer_load_dword v125, off, s[0:3], 0 offset:76
	buffer_load_dword v124, off, s[0:3], 0 offset:72
	buffer_load_dword v129, off, s[0:3], 0 offset:84
	buffer_load_dword v128, off, s[0:3], 0 offset:80
	s_waitcnt vmcnt(2)
	v_fmac_f64_e32 v[120:121], v[124:125], v[126:127]
	ds_read_b128 v[124:127], v122 offset:544
	s_waitcnt vmcnt(0) lgkmcnt(0)
	v_fmac_f64_e32 v[120:121], v[128:129], v[124:125]
	buffer_load_dword v125, off, s[0:3], 0 offset:92
	buffer_load_dword v124, off, s[0:3], 0 offset:88
	buffer_load_dword v129, off, s[0:3], 0 offset:100
	buffer_load_dword v128, off, s[0:3], 0 offset:96
	s_waitcnt vmcnt(2)
	v_fmac_f64_e32 v[120:121], v[124:125], v[126:127]
	ds_read_b128 v[124:127], v122 offset:560
	s_waitcnt vmcnt(0) lgkmcnt(0)
	v_fmac_f64_e32 v[120:121], v[128:129], v[124:125]
	;; [unrolled: 9-line block ×23, first 2 shown]
	buffer_load_dword v125, off, s[0:3], 0 offset:444
	buffer_load_dword v124, off, s[0:3], 0 offset:440
	s_waitcnt vmcnt(0)
	v_fmac_f64_e32 v[120:121], v[124:125], v[126:127]
	buffer_load_dword v127, off, s[0:3], 0 offset:452
	buffer_load_dword v126, off, s[0:3], 0 offset:448
	ds_read_b128 v[122:125], v122 offset:912
	s_waitcnt vmcnt(0) lgkmcnt(0)
	v_fmac_f64_e32 v[120:121], v[126:127], v[122:123]
	buffer_load_dword v123, off, s[0:3], 0 offset:460
	buffer_load_dword v122, off, s[0:3], 0 offset:456
	s_waitcnt vmcnt(0)
	v_fmac_f64_e32 v[120:121], v[122:123], v[124:125]
	v_add_f64 v[118:119], v[118:119], -v[120:121]
	buffer_store_dword v119, off, s[0:3], 0 offset:12
	buffer_store_dword v118, off, s[0:3], 0 offset:8
	s_and_saveexec_b64 s[4:5], vcc
	s_cbranch_execz .LBB57_355
; %bb.354:
	buffer_load_dword v118, off, s[0:3], 0
	buffer_load_dword v119, off, s[0:3], 0 offset:4
	v_mov_b32_e32 v0, 0
	buffer_store_dword v0, off, s[0:3], 0
	buffer_store_dword v0, off, s[0:3], 0 offset:4
	s_waitcnt vmcnt(2)
	ds_write_b64 v1, v[118:119]
.LBB57_355:
	s_or_b64 exec, exec, s[4:5]
	s_waitcnt lgkmcnt(0)
	; wave barrier
	s_waitcnt lgkmcnt(0)
	buffer_load_dword v0, off, s[0:3], 0
	buffer_load_dword v1, off, s[0:3], 0 offset:4
	buffer_load_dword v124, off, s[0:3], 0 offset:8
	;; [unrolled: 1-line block ×15, first 2 shown]
	v_mov_b32_e32 v122, 0
	ds_read2_b64 v[118:121], v122 offset0:59 offset1:60
	s_and_b64 vcc, exec, s[20:21]
	s_waitcnt vmcnt(12) lgkmcnt(0)
	v_fma_f64 v[118:119], v[124:125], v[118:119], 0
	s_waitcnt vmcnt(10)
	v_fmac_f64_e32 v[118:119], v[126:127], v[120:121]
	ds_read2_b64 v[124:127], v122 offset0:61 offset1:62
	s_waitcnt vmcnt(8) lgkmcnt(0)
	v_fmac_f64_e32 v[118:119], v[128:129], v[124:125]
	s_waitcnt vmcnt(6)
	v_fmac_f64_e32 v[118:119], v[130:131], v[126:127]
	ds_read2_b64 v[124:127], v122 offset0:63 offset1:64
	s_waitcnt vmcnt(4) lgkmcnt(0)
	v_fmac_f64_e32 v[118:119], v[132:133], v[124:125]
	s_waitcnt vmcnt(2)
	v_fmac_f64_e32 v[118:119], v[134:135], v[126:127]
	ds_read2_b64 v[124:127], v122 offset0:65 offset1:66
	buffer_load_dword v121, off, s[0:3], 0 offset:68
	buffer_load_dword v120, off, s[0:3], 0 offset:64
	s_waitcnt vmcnt(2) lgkmcnt(0)
	v_fmac_f64_e32 v[118:119], v[136:137], v[124:125]
	s_waitcnt vmcnt(0)
	v_fmac_f64_e32 v[118:119], v[120:121], v[126:127]
	buffer_load_dword v121, off, s[0:3], 0 offset:76
	buffer_load_dword v120, off, s[0:3], 0 offset:72
	ds_read2_b64 v[124:127], v122 offset0:67 offset1:68
	s_waitcnt vmcnt(0) lgkmcnt(0)
	v_fmac_f64_e32 v[118:119], v[120:121], v[124:125]
	buffer_load_dword v121, off, s[0:3], 0 offset:84
	buffer_load_dword v120, off, s[0:3], 0 offset:80
	s_waitcnt vmcnt(0)
	v_fmac_f64_e32 v[118:119], v[120:121], v[126:127]
	buffer_load_dword v121, off, s[0:3], 0 offset:92
	buffer_load_dword v120, off, s[0:3], 0 offset:88
	ds_read2_b64 v[124:127], v122 offset0:69 offset1:70
	s_waitcnt vmcnt(0) lgkmcnt(0)
	v_fmac_f64_e32 v[118:119], v[120:121], v[124:125]
	buffer_load_dword v121, off, s[0:3], 0 offset:100
	buffer_load_dword v120, off, s[0:3], 0 offset:96
	;; [unrolled: 9-line block ×24, first 2 shown]
	buffer_load_dword v125, off, s[0:3], 0 offset:460
	buffer_load_dword v124, off, s[0:3], 0 offset:456
	ds_read_b64 v[122:123], v122 offset:920
	s_waitcnt vmcnt(2)
	v_fmac_f64_e32 v[118:119], v[120:121], v[126:127]
	s_waitcnt vmcnt(0) lgkmcnt(0)
	v_fmac_f64_e32 v[118:119], v[124:125], v[122:123]
	v_add_f64 v[0:1], v[0:1], -v[118:119]
	buffer_store_dword v1, off, s[0:3], 0 offset:4
	buffer_store_dword v0, off, s[0:3], 0
	s_cbranch_vccz .LBB57_471
; %bb.356:
	v_pk_mov_b32 v[0:1], s[10:11], s[10:11] op_sel:[0,1]
	flat_load_dword v0, v[0:1] offset:224
	s_waitcnt vmcnt(0) lgkmcnt(0)
	v_add_u32_e32 v0, -1, v0
	v_cmp_ne_u32_e32 vcc, 56, v0
	s_and_saveexec_b64 s[4:5], vcc
	s_cbranch_execz .LBB57_358
; %bb.357:
	v_mov_b32_e32 v1, 0
	v_lshl_add_u32 v0, v0, 3, v1
	buffer_load_dword v1, v0, s[0:3], 0 offen offset:4
	buffer_load_dword v118, v0, s[0:3], 0 offen
	s_waitcnt vmcnt(1)
	buffer_store_dword v1, off, s[0:3], 0 offset:452
	s_waitcnt vmcnt(1)
	buffer_store_dword v118, off, s[0:3], 0 offset:448
	buffer_store_dword v121, v0, s[0:3], 0 offen offset:4
	buffer_store_dword v120, v0, s[0:3], 0 offen
.LBB57_358:
	s_or_b64 exec, exec, s[4:5]
	v_pk_mov_b32 v[0:1], s[10:11], s[10:11] op_sel:[0,1]
	flat_load_dword v0, v[0:1] offset:220
	s_waitcnt vmcnt(0) lgkmcnt(0)
	v_add_u32_e32 v0, -1, v0
	v_cmp_ne_u32_e32 vcc, 55, v0
	s_and_saveexec_b64 s[4:5], vcc
	s_cbranch_execz .LBB57_360
; %bb.359:
	v_mov_b32_e32 v1, 0
	v_lshl_add_u32 v0, v0, 3, v1
	buffer_load_dword v1, v0, s[0:3], 0 offen
	buffer_load_dword v118, v0, s[0:3], 0 offen offset:4
	buffer_load_dword v119, off, s[0:3], 0 offset:440
	buffer_load_dword v120, off, s[0:3], 0 offset:444
	s_waitcnt vmcnt(3)
	buffer_store_dword v1, off, s[0:3], 0 offset:440
	s_waitcnt vmcnt(3)
	buffer_store_dword v118, off, s[0:3], 0 offset:444
	s_waitcnt vmcnt(3)
	buffer_store_dword v119, v0, s[0:3], 0 offen
	s_waitcnt vmcnt(3)
	buffer_store_dword v120, v0, s[0:3], 0 offen offset:4
.LBB57_360:
	s_or_b64 exec, exec, s[4:5]
	v_pk_mov_b32 v[0:1], s[10:11], s[10:11] op_sel:[0,1]
	flat_load_dword v0, v[0:1] offset:216
	s_waitcnt vmcnt(0) lgkmcnt(0)
	v_add_u32_e32 v0, -1, v0
	v_cmp_ne_u32_e32 vcc, 54, v0
	s_and_saveexec_b64 s[4:5], vcc
	s_cbranch_execz .LBB57_362
; %bb.361:
	v_mov_b32_e32 v1, 0
	v_lshl_add_u32 v0, v0, 3, v1
	buffer_load_dword v1, v0, s[0:3], 0 offen
	buffer_load_dword v118, v0, s[0:3], 0 offen offset:4
	buffer_load_dword v119, off, s[0:3], 0 offset:436
	buffer_load_dword v120, off, s[0:3], 0 offset:432
	s_waitcnt vmcnt(3)
	buffer_store_dword v1, off, s[0:3], 0 offset:432
	s_waitcnt vmcnt(3)
	buffer_store_dword v118, off, s[0:3], 0 offset:436
	s_waitcnt vmcnt(3)
	buffer_store_dword v119, v0, s[0:3], 0 offen offset:4
	s_waitcnt vmcnt(3)
	buffer_store_dword v120, v0, s[0:3], 0 offen
.LBB57_362:
	s_or_b64 exec, exec, s[4:5]
	v_pk_mov_b32 v[0:1], s[10:11], s[10:11] op_sel:[0,1]
	flat_load_dword v0, v[0:1] offset:212
	s_waitcnt vmcnt(0) lgkmcnt(0)
	v_add_u32_e32 v0, -1, v0
	v_cmp_ne_u32_e32 vcc, 53, v0
	s_and_saveexec_b64 s[4:5], vcc
	s_cbranch_execz .LBB57_364
; %bb.363:
	v_mov_b32_e32 v1, 0
	v_lshl_add_u32 v0, v0, 3, v1
	buffer_load_dword v1, v0, s[0:3], 0 offen
	buffer_load_dword v118, v0, s[0:3], 0 offen offset:4
	buffer_load_dword v119, off, s[0:3], 0 offset:424
	buffer_load_dword v120, off, s[0:3], 0 offset:428
	s_waitcnt vmcnt(3)
	buffer_store_dword v1, off, s[0:3], 0 offset:424
	s_waitcnt vmcnt(3)
	buffer_store_dword v118, off, s[0:3], 0 offset:428
	s_waitcnt vmcnt(3)
	buffer_store_dword v119, v0, s[0:3], 0 offen
	s_waitcnt vmcnt(3)
	buffer_store_dword v120, v0, s[0:3], 0 offen offset:4
.LBB57_364:
	s_or_b64 exec, exec, s[4:5]
	v_pk_mov_b32 v[0:1], s[10:11], s[10:11] op_sel:[0,1]
	flat_load_dword v0, v[0:1] offset:208
	s_waitcnt vmcnt(0) lgkmcnt(0)
	v_add_u32_e32 v0, -1, v0
	v_cmp_ne_u32_e32 vcc, 52, v0
	s_and_saveexec_b64 s[4:5], vcc
	s_cbranch_execz .LBB57_366
; %bb.365:
	v_mov_b32_e32 v1, 0
	v_lshl_add_u32 v0, v0, 3, v1
	buffer_load_dword v1, v0, s[0:3], 0 offen
	buffer_load_dword v118, v0, s[0:3], 0 offen offset:4
	buffer_load_dword v119, off, s[0:3], 0 offset:420
	buffer_load_dword v120, off, s[0:3], 0 offset:416
	s_waitcnt vmcnt(3)
	buffer_store_dword v1, off, s[0:3], 0 offset:416
	s_waitcnt vmcnt(3)
	buffer_store_dword v118, off, s[0:3], 0 offset:420
	s_waitcnt vmcnt(3)
	buffer_store_dword v119, v0, s[0:3], 0 offen offset:4
	s_waitcnt vmcnt(3)
	buffer_store_dword v120, v0, s[0:3], 0 offen
.LBB57_366:
	;; [unrolled: 48-line block ×27, first 2 shown]
	s_or_b64 exec, exec, s[4:5]
	v_pk_mov_b32 v[0:1], s[10:11], s[10:11] op_sel:[0,1]
	flat_load_dword v0, v[0:1] offset:4
	s_waitcnt vmcnt(0) lgkmcnt(0)
	v_add_u32_e32 v0, -1, v0
	v_cmp_ne_u32_e32 vcc, 1, v0
	s_and_saveexec_b64 s[4:5], vcc
	s_cbranch_execz .LBB57_468
; %bb.467:
	v_mov_b32_e32 v1, 0
	v_lshl_add_u32 v0, v0, 3, v1
	buffer_load_dword v1, v0, s[0:3], 0 offen
	buffer_load_dword v118, v0, s[0:3], 0 offen offset:4
	buffer_load_dword v119, off, s[0:3], 0 offset:8
	buffer_load_dword v120, off, s[0:3], 0 offset:12
	s_waitcnt vmcnt(3)
	buffer_store_dword v1, off, s[0:3], 0 offset:8
	s_waitcnt vmcnt(3)
	buffer_store_dword v118, off, s[0:3], 0 offset:12
	s_waitcnt vmcnt(3)
	buffer_store_dword v119, v0, s[0:3], 0 offen
	s_waitcnt vmcnt(3)
	buffer_store_dword v120, v0, s[0:3], 0 offen offset:4
.LBB57_468:
	s_or_b64 exec, exec, s[4:5]
	v_pk_mov_b32 v[0:1], s[10:11], s[10:11] op_sel:[0,1]
	flat_load_dword v118, v[0:1]
	s_nop 0
	buffer_load_dword v0, off, s[0:3], 0
	buffer_load_dword v1, off, s[0:3], 0 offset:4
	s_waitcnt vmcnt(0) lgkmcnt(0)
	v_add_u32_e32 v118, -1, v118
	v_cmp_ne_u32_e32 vcc, 0, v118
	s_and_saveexec_b64 s[4:5], vcc
	s_cbranch_execz .LBB57_470
; %bb.469:
	v_mov_b32_e32 v119, 0
	v_lshl_add_u32 v118, v118, 3, v119
	buffer_load_dword v119, v118, s[0:3], 0 offen offset:4
	buffer_load_dword v120, v118, s[0:3], 0 offen
	s_waitcnt vmcnt(1)
	buffer_store_dword v119, off, s[0:3], 0 offset:4
	s_waitcnt vmcnt(1)
	buffer_store_dword v120, off, s[0:3], 0
	buffer_store_dword v1, v118, s[0:3], 0 offen offset:4
	buffer_store_dword v0, v118, s[0:3], 0 offen
	buffer_load_dword v0, off, s[0:3], 0
	s_nop 0
	buffer_load_dword v1, off, s[0:3], 0 offset:4
.LBB57_470:
	s_or_b64 exec, exec, s[4:5]
.LBB57_471:
	s_waitcnt vmcnt(0)
	global_store_dwordx2 v[116:117], v[0:1], off
	buffer_load_dword v0, off, s[0:3], 0 offset:8
	s_nop 0
	buffer_load_dword v1, off, s[0:3], 0 offset:12
	buffer_load_dword v116, off, s[0:3], 0 offset:16
	;; [unrolled: 1-line block ×15, first 2 shown]
	s_waitcnt vmcnt(14)
	global_store_dwordx2 v[114:115], v[0:1], off
	s_waitcnt vmcnt(13)
	global_store_dwordx2 v[2:3], v[116:117], off
	;; [unrolled: 2-line block ×8, first 2 shown]
	buffer_load_dword v0, off, s[0:3], 0 offset:72
	buffer_load_dword v1, off, s[0:3], 0 offset:76
	s_waitcnt vmcnt(0)
	global_store_dwordx2 v[14:15], v[0:1], off
	buffer_load_dword v0, off, s[0:3], 0 offset:80
	s_nop 0
	buffer_load_dword v1, off, s[0:3], 0 offset:84
	s_waitcnt vmcnt(0)
	global_store_dwordx2 v[16:17], v[0:1], off
	buffer_load_dword v0, off, s[0:3], 0 offset:88
	s_nop 0
	buffer_load_dword v1, off, s[0:3], 0 offset:92
	s_waitcnt vmcnt(0)
	global_store_dwordx2 v[20:21], v[0:1], off
	buffer_load_dword v0, off, s[0:3], 0 offset:96
	s_nop 0
	buffer_load_dword v1, off, s[0:3], 0 offset:100
	s_waitcnt vmcnt(0)
	global_store_dwordx2 v[22:23], v[0:1], off
	buffer_load_dword v0, off, s[0:3], 0 offset:104
	s_nop 0
	buffer_load_dword v1, off, s[0:3], 0 offset:108
	s_waitcnt vmcnt(0)
	global_store_dwordx2 v[24:25], v[0:1], off
	buffer_load_dword v0, off, s[0:3], 0 offset:112
	s_nop 0
	buffer_load_dword v1, off, s[0:3], 0 offset:116
	s_waitcnt vmcnt(0)
	global_store_dwordx2 v[26:27], v[0:1], off
	buffer_load_dword v0, off, s[0:3], 0 offset:120
	s_nop 0
	buffer_load_dword v1, off, s[0:3], 0 offset:124
	s_waitcnt vmcnt(0)
	global_store_dwordx2 v[28:29], v[0:1], off
	buffer_load_dword v0, off, s[0:3], 0 offset:128
	s_nop 0
	buffer_load_dword v1, off, s[0:3], 0 offset:132
	s_waitcnt vmcnt(0)
	global_store_dwordx2 v[30:31], v[0:1], off
	buffer_load_dword v0, off, s[0:3], 0 offset:136
	s_nop 0
	buffer_load_dword v1, off, s[0:3], 0 offset:140
	s_waitcnt vmcnt(0)
	global_store_dwordx2 v[32:33], v[0:1], off
	buffer_load_dword v0, off, s[0:3], 0 offset:144
	s_nop 0
	buffer_load_dword v1, off, s[0:3], 0 offset:148
	s_waitcnt vmcnt(0)
	global_store_dwordx2 v[34:35], v[0:1], off
	buffer_load_dword v0, off, s[0:3], 0 offset:152
	s_nop 0
	buffer_load_dword v1, off, s[0:3], 0 offset:156
	s_waitcnt vmcnt(0)
	global_store_dwordx2 v[36:37], v[0:1], off
	buffer_load_dword v0, off, s[0:3], 0 offset:160
	s_nop 0
	buffer_load_dword v1, off, s[0:3], 0 offset:164
	s_waitcnt vmcnt(0)
	global_store_dwordx2 v[38:39], v[0:1], off
	buffer_load_dword v0, off, s[0:3], 0 offset:168
	s_nop 0
	buffer_load_dword v1, off, s[0:3], 0 offset:172
	s_waitcnt vmcnt(0)
	global_store_dwordx2 v[40:41], v[0:1], off
	buffer_load_dword v0, off, s[0:3], 0 offset:176
	s_nop 0
	buffer_load_dword v1, off, s[0:3], 0 offset:180
	s_waitcnt vmcnt(0)
	global_store_dwordx2 v[42:43], v[0:1], off
	buffer_load_dword v0, off, s[0:3], 0 offset:184
	s_nop 0
	buffer_load_dword v1, off, s[0:3], 0 offset:188
	s_waitcnt vmcnt(0)
	global_store_dwordx2 v[44:45], v[0:1], off
	buffer_load_dword v0, off, s[0:3], 0 offset:192
	s_nop 0
	buffer_load_dword v1, off, s[0:3], 0 offset:196
	s_waitcnt vmcnt(0)
	global_store_dwordx2 v[46:47], v[0:1], off
	buffer_load_dword v0, off, s[0:3], 0 offset:200
	s_nop 0
	buffer_load_dword v1, off, s[0:3], 0 offset:204
	s_waitcnt vmcnt(0)
	global_store_dwordx2 v[48:49], v[0:1], off
	buffer_load_dword v0, off, s[0:3], 0 offset:208
	s_nop 0
	buffer_load_dword v1, off, s[0:3], 0 offset:212
	s_waitcnt vmcnt(0)
	global_store_dwordx2 v[50:51], v[0:1], off
	buffer_load_dword v0, off, s[0:3], 0 offset:216
	s_nop 0
	buffer_load_dword v1, off, s[0:3], 0 offset:220
	s_waitcnt vmcnt(0)
	global_store_dwordx2 v[52:53], v[0:1], off
	buffer_load_dword v0, off, s[0:3], 0 offset:224
	s_nop 0
	buffer_load_dword v1, off, s[0:3], 0 offset:228
	s_waitcnt vmcnt(0)
	global_store_dwordx2 v[54:55], v[0:1], off
	buffer_load_dword v0, off, s[0:3], 0 offset:232
	s_nop 0
	buffer_load_dword v1, off, s[0:3], 0 offset:236
	s_waitcnt vmcnt(0)
	global_store_dwordx2 v[56:57], v[0:1], off
	buffer_load_dword v0, off, s[0:3], 0 offset:240
	s_nop 0
	buffer_load_dword v1, off, s[0:3], 0 offset:244
	s_waitcnt vmcnt(0)
	global_store_dwordx2 v[58:59], v[0:1], off
	buffer_load_dword v0, off, s[0:3], 0 offset:248
	s_nop 0
	buffer_load_dword v1, off, s[0:3], 0 offset:252
	s_waitcnt vmcnt(0)
	global_store_dwordx2 v[60:61], v[0:1], off
	buffer_load_dword v0, off, s[0:3], 0 offset:256
	s_nop 0
	buffer_load_dword v1, off, s[0:3], 0 offset:260
	s_waitcnt vmcnt(0)
	global_store_dwordx2 v[62:63], v[0:1], off
	buffer_load_dword v0, off, s[0:3], 0 offset:264
	s_nop 0
	buffer_load_dword v1, off, s[0:3], 0 offset:268
	s_waitcnt vmcnt(0)
	global_store_dwordx2 v[64:65], v[0:1], off
	buffer_load_dword v0, off, s[0:3], 0 offset:272
	s_nop 0
	buffer_load_dword v1, off, s[0:3], 0 offset:276
	s_waitcnt vmcnt(0)
	global_store_dwordx2 v[66:67], v[0:1], off
	buffer_load_dword v0, off, s[0:3], 0 offset:280
	s_nop 0
	buffer_load_dword v1, off, s[0:3], 0 offset:284
	s_waitcnt vmcnt(0)
	global_store_dwordx2 v[68:69], v[0:1], off
	buffer_load_dword v0, off, s[0:3], 0 offset:288
	s_nop 0
	buffer_load_dword v1, off, s[0:3], 0 offset:292
	s_waitcnt vmcnt(0)
	global_store_dwordx2 v[70:71], v[0:1], off
	buffer_load_dword v0, off, s[0:3], 0 offset:296
	s_nop 0
	buffer_load_dword v1, off, s[0:3], 0 offset:300
	s_waitcnt vmcnt(0)
	global_store_dwordx2 v[72:73], v[0:1], off
	buffer_load_dword v0, off, s[0:3], 0 offset:304
	s_nop 0
	buffer_load_dword v1, off, s[0:3], 0 offset:308
	s_waitcnt vmcnt(0)
	global_store_dwordx2 v[74:75], v[0:1], off
	buffer_load_dword v0, off, s[0:3], 0 offset:312
	s_nop 0
	buffer_load_dword v1, off, s[0:3], 0 offset:316
	s_waitcnt vmcnt(0)
	global_store_dwordx2 v[76:77], v[0:1], off
	buffer_load_dword v0, off, s[0:3], 0 offset:320
	s_nop 0
	buffer_load_dword v1, off, s[0:3], 0 offset:324
	s_waitcnt vmcnt(0)
	global_store_dwordx2 v[78:79], v[0:1], off
	buffer_load_dword v0, off, s[0:3], 0 offset:328
	s_nop 0
	buffer_load_dword v1, off, s[0:3], 0 offset:332
	s_waitcnt vmcnt(0)
	global_store_dwordx2 v[80:81], v[0:1], off
	buffer_load_dword v0, off, s[0:3], 0 offset:336
	s_nop 0
	buffer_load_dword v1, off, s[0:3], 0 offset:340
	s_waitcnt vmcnt(0)
	global_store_dwordx2 v[82:83], v[0:1], off
	buffer_load_dword v0, off, s[0:3], 0 offset:344
	s_nop 0
	buffer_load_dword v1, off, s[0:3], 0 offset:348
	s_waitcnt vmcnt(0)
	global_store_dwordx2 v[84:85], v[0:1], off
	buffer_load_dword v0, off, s[0:3], 0 offset:352
	s_nop 0
	buffer_load_dword v1, off, s[0:3], 0 offset:356
	s_waitcnt vmcnt(0)
	global_store_dwordx2 v[86:87], v[0:1], off
	buffer_load_dword v0, off, s[0:3], 0 offset:360
	s_nop 0
	buffer_load_dword v1, off, s[0:3], 0 offset:364
	s_waitcnt vmcnt(0)
	global_store_dwordx2 v[88:89], v[0:1], off
	buffer_load_dword v0, off, s[0:3], 0 offset:368
	s_nop 0
	buffer_load_dword v1, off, s[0:3], 0 offset:372
	s_waitcnt vmcnt(0)
	global_store_dwordx2 v[90:91], v[0:1], off
	buffer_load_dword v0, off, s[0:3], 0 offset:376
	s_nop 0
	buffer_load_dword v1, off, s[0:3], 0 offset:380
	s_waitcnt vmcnt(0)
	global_store_dwordx2 v[92:93], v[0:1], off
	buffer_load_dword v0, off, s[0:3], 0 offset:384
	s_nop 0
	buffer_load_dword v1, off, s[0:3], 0 offset:388
	s_waitcnt vmcnt(0)
	global_store_dwordx2 v[94:95], v[0:1], off
	buffer_load_dword v0, off, s[0:3], 0 offset:392
	s_nop 0
	buffer_load_dword v1, off, s[0:3], 0 offset:396
	s_waitcnt vmcnt(0)
	global_store_dwordx2 v[96:97], v[0:1], off
	buffer_load_dword v0, off, s[0:3], 0 offset:400
	s_nop 0
	buffer_load_dword v1, off, s[0:3], 0 offset:404
	s_waitcnt vmcnt(0)
	global_store_dwordx2 v[100:101], v[0:1], off
	buffer_load_dword v0, off, s[0:3], 0 offset:408
	s_nop 0
	buffer_load_dword v1, off, s[0:3], 0 offset:412
	s_waitcnt vmcnt(0)
	global_store_dwordx2 v[102:103], v[0:1], off
	buffer_load_dword v0, off, s[0:3], 0 offset:416
	s_nop 0
	buffer_load_dword v1, off, s[0:3], 0 offset:420
	s_waitcnt vmcnt(0)
	global_store_dwordx2 v[104:105], v[0:1], off
	buffer_load_dword v0, off, s[0:3], 0 offset:424
	s_nop 0
	buffer_load_dword v1, off, s[0:3], 0 offset:428
	s_waitcnt vmcnt(0)
	global_store_dwordx2 v[106:107], v[0:1], off
	buffer_load_dword v0, off, s[0:3], 0 offset:432
	s_nop 0
	buffer_load_dword v1, off, s[0:3], 0 offset:436
	s_waitcnt vmcnt(0)
	global_store_dwordx2 v[108:109], v[0:1], off
	buffer_load_dword v0, off, s[0:3], 0 offset:440
	s_nop 0
	buffer_load_dword v1, off, s[0:3], 0 offset:444
	s_waitcnt vmcnt(0)
	global_store_dwordx2 v[110:111], v[0:1], off
	buffer_load_dword v0, off, s[0:3], 0 offset:448
	s_nop 0
	buffer_load_dword v1, off, s[0:3], 0 offset:452
	s_waitcnt vmcnt(0)
	global_store_dwordx2 v[112:113], v[0:1], off
	buffer_load_dword v0, off, s[0:3], 0 offset:456
	s_nop 0
	buffer_load_dword v1, off, s[0:3], 0 offset:460
	s_waitcnt vmcnt(0)
	global_store_dwordx2 v[98:99], v[0:1], off
	s_endpgm
	.section	.rodata,"a",@progbits
	.p2align	6, 0x0
	.amdhsa_kernel _ZN9rocsolver6v33100L18getri_kernel_smallILi58EdPdEEvT1_iilPiilS4_bb
		.amdhsa_group_segment_fixed_size 936
		.amdhsa_private_segment_fixed_size 480
		.amdhsa_kernarg_size 60
		.amdhsa_user_sgpr_count 8
		.amdhsa_user_sgpr_private_segment_buffer 1
		.amdhsa_user_sgpr_dispatch_ptr 0
		.amdhsa_user_sgpr_queue_ptr 0
		.amdhsa_user_sgpr_kernarg_segment_ptr 1
		.amdhsa_user_sgpr_dispatch_id 0
		.amdhsa_user_sgpr_flat_scratch_init 1
		.amdhsa_user_sgpr_kernarg_preload_length 0
		.amdhsa_user_sgpr_kernarg_preload_offset 0
		.amdhsa_user_sgpr_private_segment_size 0
		.amdhsa_uses_dynamic_stack 0
		.amdhsa_system_sgpr_private_segment_wavefront_offset 1
		.amdhsa_system_sgpr_workgroup_id_x 1
		.amdhsa_system_sgpr_workgroup_id_y 0
		.amdhsa_system_sgpr_workgroup_id_z 0
		.amdhsa_system_sgpr_workgroup_info 0
		.amdhsa_system_vgpr_workitem_id 0
		.amdhsa_next_free_vgpr 166
		.amdhsa_next_free_sgpr 23
		.amdhsa_accum_offset 168
		.amdhsa_reserve_vcc 1
		.amdhsa_reserve_flat_scratch 1
		.amdhsa_float_round_mode_32 0
		.amdhsa_float_round_mode_16_64 0
		.amdhsa_float_denorm_mode_32 3
		.amdhsa_float_denorm_mode_16_64 3
		.amdhsa_dx10_clamp 1
		.amdhsa_ieee_mode 1
		.amdhsa_fp16_overflow 0
		.amdhsa_tg_split 0
		.amdhsa_exception_fp_ieee_invalid_op 0
		.amdhsa_exception_fp_denorm_src 0
		.amdhsa_exception_fp_ieee_div_zero 0
		.amdhsa_exception_fp_ieee_overflow 0
		.amdhsa_exception_fp_ieee_underflow 0
		.amdhsa_exception_fp_ieee_inexact 0
		.amdhsa_exception_int_div_zero 0
	.end_amdhsa_kernel
	.section	.text._ZN9rocsolver6v33100L18getri_kernel_smallILi58EdPdEEvT1_iilPiilS4_bb,"axG",@progbits,_ZN9rocsolver6v33100L18getri_kernel_smallILi58EdPdEEvT1_iilPiilS4_bb,comdat
.Lfunc_end57:
	.size	_ZN9rocsolver6v33100L18getri_kernel_smallILi58EdPdEEvT1_iilPiilS4_bb, .Lfunc_end57-_ZN9rocsolver6v33100L18getri_kernel_smallILi58EdPdEEvT1_iilPiilS4_bb
                                        ; -- End function
	.section	.AMDGPU.csdata,"",@progbits
; Kernel info:
; codeLenInByte = 76720
; NumSgprs: 29
; NumVgprs: 166
; NumAgprs: 0
; TotalNumVgprs: 166
; ScratchSize: 480
; MemoryBound: 1
; FloatMode: 240
; IeeeMode: 1
; LDSByteSize: 936 bytes/workgroup (compile time only)
; SGPRBlocks: 3
; VGPRBlocks: 20
; NumSGPRsForWavesPerEU: 29
; NumVGPRsForWavesPerEU: 166
; AccumOffset: 168
; Occupancy: 3
; WaveLimiterHint : 1
; COMPUTE_PGM_RSRC2:SCRATCH_EN: 1
; COMPUTE_PGM_RSRC2:USER_SGPR: 8
; COMPUTE_PGM_RSRC2:TRAP_HANDLER: 0
; COMPUTE_PGM_RSRC2:TGID_X_EN: 1
; COMPUTE_PGM_RSRC2:TGID_Y_EN: 0
; COMPUTE_PGM_RSRC2:TGID_Z_EN: 0
; COMPUTE_PGM_RSRC2:TIDIG_COMP_CNT: 0
; COMPUTE_PGM_RSRC3_GFX90A:ACCUM_OFFSET: 41
; COMPUTE_PGM_RSRC3_GFX90A:TG_SPLIT: 0
	.section	.text._ZN9rocsolver6v33100L18getri_kernel_smallILi59EdPdEEvT1_iilPiilS4_bb,"axG",@progbits,_ZN9rocsolver6v33100L18getri_kernel_smallILi59EdPdEEvT1_iilPiilS4_bb,comdat
	.globl	_ZN9rocsolver6v33100L18getri_kernel_smallILi59EdPdEEvT1_iilPiilS4_bb ; -- Begin function _ZN9rocsolver6v33100L18getri_kernel_smallILi59EdPdEEvT1_iilPiilS4_bb
	.p2align	8
	.type	_ZN9rocsolver6v33100L18getri_kernel_smallILi59EdPdEEvT1_iilPiilS4_bb,@function
_ZN9rocsolver6v33100L18getri_kernel_smallILi59EdPdEEvT1_iilPiilS4_bb: ; @_ZN9rocsolver6v33100L18getri_kernel_smallILi59EdPdEEvT1_iilPiilS4_bb
; %bb.0:
	s_add_u32 flat_scratch_lo, s6, s9
	s_addc_u32 flat_scratch_hi, s7, 0
	s_add_u32 s0, s0, s9
	s_addc_u32 s1, s1, 0
	v_cmp_gt_u32_e32 vcc, 59, v0
	s_and_saveexec_b64 s[6:7], vcc
	s_cbranch_execz .LBB58_244
; %bb.1:
	s_load_dword s22, s[4:5], 0x38
	s_load_dwordx4 s[16:19], s[4:5], 0x10
	s_load_dwordx4 s[12:15], s[4:5], 0x28
                                        ; implicit-def: $sgpr10_sgpr11
	s_waitcnt lgkmcnt(0)
	s_bitcmp1_b32 s22, 8
	s_cselect_b64 s[20:21], -1, 0
	s_ashr_i32 s9, s8, 31
	s_bfe_u32 s6, s22, 0x10008
	s_cmp_eq_u32 s6, 0
	s_cbranch_scc1 .LBB58_3
; %bb.2:
	s_load_dword s6, s[4:5], 0x20
	s_mul_i32 s7, s8, s13
	s_mul_hi_u32 s10, s8, s12
	s_mul_i32 s11, s9, s12
	s_add_i32 s10, s10, s7
	s_add_i32 s11, s10, s11
	s_mul_i32 s10, s8, s12
	s_waitcnt lgkmcnt(0)
	s_ashr_i32 s7, s6, 31
	s_lshl_b64 s[10:11], s[10:11], 2
	s_add_u32 s10, s18, s10
	s_addc_u32 s11, s19, s11
	s_lshl_b64 s[6:7], s[6:7], 2
	s_add_u32 s10, s10, s6
	s_addc_u32 s11, s11, s7
.LBB58_3:
	s_load_dwordx4 s[4:7], s[4:5], 0x0
	s_mul_i32 s12, s8, s17
	s_mul_hi_u32 s13, s8, s16
	s_add_i32 s17, s13, s12
	v_lshlrev_b32_e32 v1, 3, v0
	s_waitcnt lgkmcnt(0)
	s_ashr_i32 s13, s6, 31
	s_mov_b32 s12, s6
	s_mul_i32 s6, s9, s16
	s_add_i32 s17, s17, s6
	s_mul_i32 s16, s8, s16
	s_lshl_b64 s[16:17], s[16:17], 3
	s_add_u32 s6, s4, s16
	s_addc_u32 s16, s5, s17
	s_lshl_b64 s[4:5], s[12:13], 3
	s_add_u32 s4, s6, s4
	s_addc_u32 s5, s16, s5
	v_mov_b32_e32 v2, s5
	v_add_co_u32_e32 v4, vcc, s4, v1
	s_ashr_i32 s13, s7, 31
	s_mov_b32 s12, s7
	s_add_i32 s6, s7, s7
	v_addc_co_u32_e32 v5, vcc, 0, v2, vcc
	s_lshl_b64 s[12:13], s[12:13], 3
	v_add_u32_e32 v8, s6, v0
	v_mov_b32_e32 v3, s13
	v_add_co_u32_e32 v2, vcc, s12, v4
	v_ashrrev_i32_e32 v9, 31, v8
	v_addc_co_u32_e32 v3, vcc, v5, v3, vcc
	v_lshlrev_b64 v[6:7], 3, v[8:9]
	v_add_u32_e32 v10, s7, v8
	v_mov_b32_e32 v9, s5
	v_add_co_u32_e32 v6, vcc, s4, v6
	v_ashrrev_i32_e32 v11, 31, v10
	v_addc_co_u32_e32 v7, vcc, v9, v7, vcc
	v_lshlrev_b64 v[8:9], 3, v[10:11]
	;; [unrolled: 6-line block ×6, first 2 shown]
	v_mov_b32_e32 v19, s5
	v_add_co_u32_e32 v16, vcc, s4, v16
	v_add_u32_e32 v18, s7, v18
	v_addc_co_u32_e32 v17, vcc, v19, v17, vcc
	v_ashrrev_i32_e32 v19, 31, v18
	v_lshlrev_b64 v[20:21], 3, v[18:19]
	v_add_u32_e32 v22, s7, v18
	v_mov_b32_e32 v19, s5
	v_add_co_u32_e32 v20, vcc, s4, v20
	v_ashrrev_i32_e32 v23, 31, v22
	v_addc_co_u32_e32 v21, vcc, v19, v21, vcc
	v_lshlrev_b64 v[18:19], 3, v[22:23]
	v_add_u32_e32 v24, s7, v22
	v_mov_b32_e32 v23, s5
	v_add_co_u32_e32 v18, vcc, s4, v18
	v_ashrrev_i32_e32 v25, 31, v24
	v_addc_co_u32_e32 v19, vcc, v23, v19, vcc
	;; [unrolled: 6-line block ×4, first 2 shown]
	v_lshlrev_b64 v[26:27], 3, v[28:29]
	v_mov_b32_e32 v29, s5
	v_add_co_u32_e32 v26, vcc, s4, v26
	global_load_dwordx2 v[32:33], v1, s[4:5]
	global_load_dwordx2 v[40:41], v[2:3], off
	global_load_dwordx2 v[38:39], v[6:7], off
	;; [unrolled: 1-line block ×8, first 2 shown]
	v_addc_co_u32_e32 v27, vcc, v29, v27, vcc
	global_load_dwordx2 v[58:59], v[18:19], off
	global_load_dwordx2 v[56:57], v[22:23], off
	;; [unrolled: 1-line block ×4, first 2 shown]
	v_add_u32_e32 v30, s7, v28
	v_ashrrev_i32_e32 v31, 31, v30
	v_lshlrev_b64 v[28:29], 3, v[30:31]
	v_mov_b32_e32 v31, s5
	v_add_co_u32_e32 v28, vcc, s4, v28
	v_addc_co_u32_e32 v29, vcc, v31, v29, vcc
	global_load_dwordx2 v[50:51], v[28:29], off
	v_add_u32_e32 v60, s7, v30
	v_add_u32_e32 v62, s7, v60
	;; [unrolled: 1-line block ×45, first 2 shown]
	v_ashrrev_i32_e32 v31, 31, v30
	v_lshlrev_b64 v[30:31], 3, v[30:31]
	v_mov_b32_e32 v61, s5
	v_add_co_u32_e32 v30, vcc, s4, v30
	v_addc_co_u32_e32 v31, vcc, v61, v31, vcc
	global_load_dwordx2 v[120:121], v[30:31], off
	v_ashrrev_i32_e32 v61, 31, v60
	s_waitcnt vmcnt(14)
	buffer_store_dword v33, off, s[0:3], 0 offset:4
	buffer_store_dword v32, off, s[0:3], 0
	s_waitcnt vmcnt(15)
	buffer_store_dword v41, off, s[0:3], 0 offset:12
	buffer_store_dword v40, off, s[0:3], 0 offset:8
	s_waitcnt vmcnt(16)
	buffer_store_dword v39, off, s[0:3], 0 offset:20
	buffer_store_dword v38, off, s[0:3], 0 offset:16
	;; [unrolled: 3-line block ×12, first 2 shown]
	v_lshlrev_b64 v[32:33], 3, v[60:61]
	v_mov_b32_e32 v34, s5
	v_add_co_u32_e32 v44, vcc, s4, v32
	v_ashrrev_i32_e32 v63, 31, v62
	v_addc_co_u32_e32 v45, vcc, v34, v33, vcc
	v_lshlrev_b64 v[32:33], 3, v[62:63]
	v_mov_b32_e32 v35, s5
	v_add_co_u32_e32 v34, vcc, s4, v32
	v_ashrrev_i32_e32 v65, 31, v64
	v_addc_co_u32_e32 v35, vcc, v35, v33, vcc
	;; [unrolled: 5-line block ×4, first 2 shown]
	v_lshlrev_b64 v[36:37], 3, v[68:69]
	v_add_co_u32_e32 v56, vcc, s4, v36
	v_ashrrev_i32_e32 v71, 31, v70
	v_addc_co_u32_e32 v57, vcc, v38, v37, vcc
	v_lshlrev_b64 v[36:37], 3, v[70:71]
	v_add_co_u32_e32 v46, vcc, s4, v36
	v_ashrrev_i32_e32 v73, 31, v72
	v_addc_co_u32_e32 v47, vcc, v38, v37, vcc
	;; [unrolled: 4-line block ×3, first 2 shown]
	v_lshlrev_b64 v[38:39], 3, v[74:75]
	v_mov_b32_e32 v40, s5
	v_add_co_u32_e32 v68, vcc, s4, v38
	v_ashrrev_i32_e32 v77, 31, v76
	v_addc_co_u32_e32 v69, vcc, v40, v39, vcc
	v_lshlrev_b64 v[38:39], 3, v[76:77]
	v_add_co_u32_e32 v58, vcc, s4, v38
	v_ashrrev_i32_e32 v79, 31, v78
	v_addc_co_u32_e32 v59, vcc, v40, v39, vcc
	v_lshlrev_b64 v[38:39], 3, v[78:79]
	;; [unrolled: 4-line block ×4, first 2 shown]
	v_mov_b32_e32 v42, s5
	v_add_co_u32_e32 v70, vcc, s4, v40
	v_ashrrev_i32_e32 v85, 31, v84
	v_addc_co_u32_e32 v71, vcc, v42, v41, vcc
	v_lshlrev_b64 v[40:41], 3, v[84:85]
	v_add_co_u32_e32 v60, vcc, s4, v40
	v_ashrrev_i32_e32 v87, 31, v86
	v_addc_co_u32_e32 v61, vcc, v42, v41, vcc
	v_lshlrev_b64 v[40:41], 3, v[86:87]
	global_load_dwordx2 v[150:151], v[44:45], off
	global_load_dwordx2 v[152:153], v[34:35], off
	;; [unrolled: 1-line block ×3, first 2 shown]
	s_waitcnt vmcnt(30)
	buffer_store_dword v50, off, s[0:3], 0 offset:104
	buffer_store_dword v51, off, s[0:3], 0 offset:108
	v_add_co_u32_e32 v50, vcc, s4, v40
	v_ashrrev_i32_e32 v89, 31, v88
	v_addc_co_u32_e32 v51, vcc, v42, v41, vcc
	v_lshlrev_b64 v[40:41], 3, v[88:89]
	v_add_co_u32_e32 v40, vcc, s4, v40
	v_ashrrev_i32_e32 v91, 31, v90
	v_addc_co_u32_e32 v41, vcc, v42, v41, vcc
	v_lshlrev_b64 v[42:43], 3, v[90:91]
	v_mov_b32_e32 v52, s5
	v_add_co_u32_e32 v72, vcc, s4, v42
	v_ashrrev_i32_e32 v93, 31, v92
	v_addc_co_u32_e32 v73, vcc, v52, v43, vcc
	v_lshlrev_b64 v[42:43], 3, v[92:93]
	v_add_co_u32_e32 v62, vcc, s4, v42
	v_ashrrev_i32_e32 v95, 31, v94
	v_addc_co_u32_e32 v63, vcc, v52, v43, vcc
	v_lshlrev_b64 v[42:43], 3, v[94:95]
	v_mov_b32_e32 v53, s5
	v_add_co_u32_e32 v52, vcc, s4, v42
	v_ashrrev_i32_e32 v97, 31, v96
	v_addc_co_u32_e32 v53, vcc, v53, v43, vcc
	v_lshlrev_b64 v[42:43], 3, v[96:97]
	v_mov_b32_e32 v54, s5
	;; [unrolled: 5-line block ×3, first 2 shown]
	v_add_co_u32_e32 v74, vcc, s4, v54
	v_ashrrev_i32_e32 v105, 31, v104
	v_addc_co_u32_e32 v75, vcc, v64, v55, vcc
	v_lshlrev_b64 v[54:55], 3, v[104:105]
	global_load_dwordx2 v[156:157], v[66:67], off
	global_load_dwordx2 v[158:159], v[56:57], off
	;; [unrolled: 1-line block ×16, first 2 shown]
	v_mov_b32_e32 v65, s5
	v_add_co_u32_e32 v64, vcc, s4, v54
	v_ashrrev_i32_e32 v109, 31, v108
	v_addc_co_u32_e32 v65, vcc, v65, v55, vcc
	v_lshlrev_b64 v[54:55], 3, v[108:109]
	v_mov_b32_e32 v98, s5
	v_add_co_u32_e32 v54, vcc, s4, v54
	v_addc_co_u32_e32 v55, vcc, v98, v55, vcc
	global_load_dwordx2 v[98:99], v[74:75], off
	global_load_dwordx2 v[104:105], v[64:65], off
	;; [unrolled: 1-line block ×3, first 2 shown]
	v_ashrrev_i32_e32 v101, 31, v100
	v_ashrrev_i32_e32 v103, 31, v102
	;; [unrolled: 1-line block ×11, first 2 shown]
	s_waitcnt vmcnt(23)
	buffer_store_dword v151, off, s[0:3], 0 offset:116
	buffer_store_dword v150, off, s[0:3], 0 offset:112
	s_waitcnt vmcnt(24)
	buffer_store_dword v152, off, s[0:3], 0 offset:120
	buffer_store_dword v153, off, s[0:3], 0 offset:124
	;; [unrolled: 3-line block ×19, first 2 shown]
	v_lshlrev_b64 v[76:77], 3, v[100:101]
	v_mov_b32_e32 v78, s5
	v_add_co_u32_e32 v76, vcc, s4, v76
	v_addc_co_u32_e32 v77, vcc, v78, v77, vcc
	v_lshlrev_b64 v[78:79], 3, v[102:103]
	global_load_dwordx2 v[150:151], v[76:77], off
	s_waitcnt vmcnt(41)
	buffer_store_dword v98, off, s[0:3], 0 offset:264
	buffer_store_dword v99, off, s[0:3], 0 offset:268
	s_waitcnt vmcnt(42)
	buffer_store_dword v104, off, s[0:3], 0 offset:272
	buffer_store_dword v105, off, s[0:3], 0 offset:276
	s_waitcnt vmcnt(43)
	buffer_store_dword v108, off, s[0:3], 0 offset:280
	buffer_store_dword v109, off, s[0:3], 0 offset:284
	v_mov_b32_e32 v80, s5
	v_add_co_u32_e32 v108, vcc, s4, v78
	v_addc_co_u32_e32 v109, vcc, v80, v79, vcc
	v_lshlrev_b64 v[78:79], 3, v[106:107]
	v_add_co_u32_e32 v96, vcc, s4, v78
	v_addc_co_u32_e32 v97, vcc, v80, v79, vcc
	v_lshlrev_b64 v[78:79], 3, v[110:111]
	;; [unrolled: 3-line block ×4, first 2 shown]
	v_mov_b32_e32 v82, s5
	v_add_co_u32_e32 v110, vcc, s4, v80
	v_addc_co_u32_e32 v111, vcc, v82, v81, vcc
	v_lshlrev_b64 v[80:81], 3, v[116:117]
	v_add_co_u32_e32 v98, vcc, s4, v80
	v_addc_co_u32_e32 v99, vcc, v82, v81, vcc
	v_lshlrev_b64 v[80:81], 3, v[118:119]
	;; [unrolled: 3-line block ×4, first 2 shown]
	v_mov_b32_e32 v84, s5
	v_add_co_u32_e32 v112, vcc, s4, v82
	v_addc_co_u32_e32 v113, vcc, v84, v83, vcc
	v_lshlrev_b64 v[82:83], 3, v[126:127]
	v_add_co_u32_e32 v100, vcc, s4, v82
	v_ashrrev_i32_e32 v129, 31, v128
	v_addc_co_u32_e32 v101, vcc, v84, v83, vcc
	v_lshlrev_b64 v[82:83], 3, v[128:129]
	v_add_co_u32_e32 v90, vcc, s4, v82
	v_ashrrev_i32_e32 v131, 31, v130
	;; [unrolled: 4-line block ×3, first 2 shown]
	v_addc_co_u32_e32 v83, vcc, v84, v83, vcc
	v_lshlrev_b64 v[84:85], 3, v[132:133]
	v_mov_b32_e32 v92, s5
	v_add_co_u32_e32 v114, vcc, s4, v84
	v_ashrrev_i32_e32 v135, 31, v134
	v_addc_co_u32_e32 v115, vcc, v92, v85, vcc
	v_lshlrev_b64 v[84:85], 3, v[134:135]
	v_add_co_u32_e32 v102, vcc, s4, v84
	v_ashrrev_i32_e32 v137, 31, v136
	v_addc_co_u32_e32 v103, vcc, v92, v85, vcc
	v_lshlrev_b64 v[84:85], 3, v[136:137]
	v_mov_b32_e32 v93, s5
	v_add_co_u32_e32 v92, vcc, s4, v84
	v_ashrrev_i32_e32 v139, 31, v138
	v_addc_co_u32_e32 v93, vcc, v93, v85, vcc
	v_lshlrev_b64 v[84:85], 3, v[138:139]
	v_mov_b32_e32 v94, s5
	;; [unrolled: 5-line block ×4, first 2 shown]
	v_add_co_u32_e32 v104, vcc, s4, v94
	global_load_dwordx2 v[152:153], v[108:109], off
	global_load_dwordx2 v[154:155], v[96:97], off
	;; [unrolled: 1-line block ×16, first 2 shown]
	v_addc_co_u32_e32 v105, vcc, v105, v95, vcc
	global_load_dwordx2 v[140:141], v[116:117], off
	global_load_dwordx2 v[142:143], v[104:105], off
	v_ashrrev_i32_e32 v145, 31, v144
	v_lshlrev_b64 v[94:95], 3, v[144:145]
	v_mov_b32_e32 v106, s5
	v_add_co_u32_e32 v118, vcc, s4, v94
	v_ashrrev_i32_e32 v147, 31, v146
	v_addc_co_u32_e32 v119, vcc, v106, v95, vcc
	v_lshlrev_b64 v[94:95], 3, v[146:147]
	v_mov_b32_e32 v107, s5
	v_add_co_u32_e32 v106, vcc, s4, v94
	v_ashrrev_i32_e32 v149, 31, v148
	v_addc_co_u32_e32 v107, vcc, v107, v95, vcc
	v_lshlrev_b64 v[94:95], 3, v[148:149]
	v_mov_b32_e32 v144, s5
	v_add_co_u32_e32 v94, vcc, s4, v94
	v_addc_co_u32_e32 v95, vcc, v144, v95, vcc
	global_load_dwordx2 v[144:145], v[118:119], off
	global_load_dwordx2 v[146:147], v[106:107], off
	;; [unrolled: 1-line block ×3, first 2 shown]
	s_bitcmp0_b32 s22, 0
	s_mov_b64 s[6:7], -1
	s_waitcnt vmcnt(27)
	buffer_store_dword v150, off, s[0:3], 0 offset:288
	buffer_store_dword v151, off, s[0:3], 0 offset:292
	s_waitcnt vmcnt(22)
	buffer_store_dword v153, off, s[0:3], 0 offset:300
	buffer_store_dword v152, off, s[0:3], 0 offset:296
	;; [unrolled: 3-line block ×22, first 2 shown]
	buffer_store_dword v120, off, s[0:3], 0 offset:464
	buffer_store_dword v121, off, s[0:3], 0 offset:468
	s_cbranch_scc1 .LBB58_242
; %bb.4:
	v_cmp_eq_u32_e64 s[4:5], 0, v0
	s_and_saveexec_b64 s[6:7], s[4:5]
	s_cbranch_execz .LBB58_6
; %bb.5:
	v_mov_b32_e32 v120, 0
	ds_write_b32 v120, v120 offset:472
.LBB58_6:
	s_or_b64 exec, exec, s[6:7]
	v_mov_b32_e32 v120, 0
	v_lshl_add_u32 v120, v0, 3, v120
	s_waitcnt lgkmcnt(0)
	; wave barrier
	s_waitcnt lgkmcnt(0)
	buffer_load_dword v122, v120, s[0:3], 0 offen
	buffer_load_dword v123, v120, s[0:3], 0 offen offset:4
	s_waitcnt vmcnt(0)
	v_cmp_eq_f64_e32 vcc, 0, v[122:123]
	s_and_saveexec_b64 s[12:13], vcc
	s_cbranch_execz .LBB58_10
; %bb.7:
	v_mov_b32_e32 v121, 0
	ds_read_b32 v123, v121 offset:472
	v_add_u32_e32 v122, 1, v0
	s_waitcnt lgkmcnt(0)
	v_readfirstlane_b32 s6, v123
	s_cmp_eq_u32 s6, 0
	s_cselect_b64 s[16:17], -1, 0
	v_cmp_gt_i32_e32 vcc, s6, v122
	s_or_b64 s[16:17], s[16:17], vcc
	s_and_b64 exec, exec, s[16:17]
	s_cbranch_execz .LBB58_10
; %bb.8:
	s_mov_b64 s[16:17], 0
	v_mov_b32_e32 v123, s6
.LBB58_9:                               ; =>This Inner Loop Header: Depth=1
	ds_cmpst_rtn_b32 v123, v121, v123, v122 offset:472
	s_waitcnt lgkmcnt(0)
	v_cmp_ne_u32_e32 vcc, 0, v123
	v_cmp_le_i32_e64 s[6:7], v123, v122
	s_and_b64 s[6:7], vcc, s[6:7]
	s_and_b64 s[6:7], exec, s[6:7]
	s_or_b64 s[16:17], s[6:7], s[16:17]
	s_andn2_b64 exec, exec, s[16:17]
	s_cbranch_execnz .LBB58_9
.LBB58_10:
	s_or_b64 exec, exec, s[12:13]
	v_mov_b32_e32 v122, 0
	s_waitcnt lgkmcnt(0)
	; wave barrier
	ds_read_b32 v121, v122 offset:472
	s_and_saveexec_b64 s[6:7], s[4:5]
	s_cbranch_execz .LBB58_12
; %bb.11:
	s_lshl_b64 s[12:13], s[8:9], 2
	s_add_u32 s12, s14, s12
	s_addc_u32 s13, s15, s13
	s_waitcnt lgkmcnt(0)
	global_store_dword v122, v121, s[12:13]
.LBB58_12:
	s_or_b64 exec, exec, s[6:7]
	s_waitcnt lgkmcnt(0)
	v_cmp_ne_u32_e32 vcc, 0, v121
	s_mov_b64 s[6:7], 0
	s_cbranch_vccnz .LBB58_242
; %bb.13:
	buffer_load_dword v122, v120, s[0:3], 0 offen
	buffer_load_dword v123, v120, s[0:3], 0 offen offset:4
	s_waitcnt vmcnt(0)
	v_div_scale_f64 v[124:125], s[6:7], v[122:123], v[122:123], 1.0
	v_rcp_f64_e32 v[126:127], v[124:125]
	v_div_scale_f64 v[128:129], vcc, 1.0, v[122:123], 1.0
	v_fma_f64 v[130:131], -v[124:125], v[126:127], 1.0
	v_fmac_f64_e32 v[126:127], v[126:127], v[130:131]
	v_fma_f64 v[130:131], -v[124:125], v[126:127], 1.0
	v_fmac_f64_e32 v[126:127], v[126:127], v[130:131]
	v_mul_f64 v[130:131], v[128:129], v[126:127]
	v_fma_f64 v[124:125], -v[124:125], v[130:131], v[128:129]
	v_div_fmas_f64 v[124:125], v[124:125], v[126:127], v[130:131]
	v_div_fixup_f64 v[124:125], v[124:125], v[122:123], 1.0
	buffer_store_dword v125, v120, s[0:3], 0 offen offset:4
	buffer_store_dword v124, v120, s[0:3], 0 offen
	buffer_load_dword v127, off, s[0:3], 0 offset:12
	buffer_load_dword v126, off, s[0:3], 0 offset:8
	v_add_u32_e32 v122, 0x1e0, v1
	v_xor_b32_e32 v125, 0x80000000, v125
	s_waitcnt vmcnt(0)
	ds_write2_b64 v1, v[124:125], v[126:127] offset1:60
	s_waitcnt lgkmcnt(0)
	; wave barrier
	s_waitcnt lgkmcnt(0)
	s_and_saveexec_b64 s[6:7], s[4:5]
	s_cbranch_execz .LBB58_15
; %bb.14:
	buffer_load_dword v124, v120, s[0:3], 0 offen
	buffer_load_dword v125, v120, s[0:3], 0 offen offset:4
	v_mov_b32_e32 v121, 0
	ds_read_b64 v[126:127], v122
	ds_read_b64 v[128:129], v121 offset:8
	s_waitcnt vmcnt(0) lgkmcnt(1)
	v_fma_f64 v[124:125], v[124:125], v[126:127], 0
	s_waitcnt lgkmcnt(0)
	v_mul_f64 v[124:125], v[124:125], v[128:129]
	buffer_store_dword v124, off, s[0:3], 0 offset:8
	buffer_store_dword v125, off, s[0:3], 0 offset:12
.LBB58_15:
	s_or_b64 exec, exec, s[6:7]
	s_waitcnt lgkmcnt(0)
	; wave barrier
	buffer_load_dword v124, off, s[0:3], 0 offset:16
	buffer_load_dword v125, off, s[0:3], 0 offset:20
	v_cmp_gt_u32_e32 vcc, 2, v0
	s_waitcnt vmcnt(0)
	ds_write_b64 v122, v[124:125]
	s_waitcnt lgkmcnt(0)
	; wave barrier
	s_waitcnt lgkmcnt(0)
	s_and_saveexec_b64 s[6:7], vcc
	s_cbranch_execz .LBB58_17
; %bb.16:
	buffer_load_dword v121, v120, s[0:3], 0 offen offset:4
	buffer_load_dword v128, off, s[0:3], 0 offset:8
	s_nop 0
	buffer_load_dword v120, v120, s[0:3], 0 offen
	s_nop 0
	buffer_load_dword v129, off, s[0:3], 0 offset:12
	ds_read_b64 v[130:131], v122
	v_mov_b32_e32 v123, 0
	ds_read2_b64 v[124:127], v123 offset0:2 offset1:61
	s_waitcnt vmcnt(1) lgkmcnt(1)
	v_fma_f64 v[120:121], v[120:121], v[130:131], 0
	s_waitcnt vmcnt(0) lgkmcnt(0)
	v_fma_f64 v[126:127], v[128:129], v[126:127], v[120:121]
	v_cndmask_b32_e64 v121, v121, v127, s[4:5]
	v_cndmask_b32_e64 v120, v120, v126, s[4:5]
	v_mul_f64 v[120:121], v[120:121], v[124:125]
	buffer_store_dword v121, off, s[0:3], 0 offset:20
	buffer_store_dword v120, off, s[0:3], 0 offset:16
.LBB58_17:
	s_or_b64 exec, exec, s[6:7]
	s_waitcnt lgkmcnt(0)
	; wave barrier
	buffer_load_dword v120, off, s[0:3], 0 offset:24
	buffer_load_dword v121, off, s[0:3], 0 offset:28
	v_cmp_gt_u32_e32 vcc, 3, v0
	v_add_u32_e32 v123, -1, v0
	s_waitcnt vmcnt(0)
	ds_write_b64 v122, v[120:121]
	s_waitcnt lgkmcnt(0)
	; wave barrier
	s_waitcnt lgkmcnt(0)
	s_and_saveexec_b64 s[4:5], vcc
	s_cbranch_execz .LBB58_21
; %bb.18:
	v_add_u32_e32 v124, -1, v0
	v_add_u32_e32 v125, 0x1e0, v1
	v_add_u32_e32 v126, 0, v1
	s_mov_b64 s[6:7], 0
	v_pk_mov_b32 v[120:121], 0, 0
.LBB58_19:                              ; =>This Inner Loop Header: Depth=1
	buffer_load_dword v128, v126, s[0:3], 0 offen
	buffer_load_dword v129, v126, s[0:3], 0 offen offset:4
	ds_read_b64 v[130:131], v125
	v_add_u32_e32 v124, 1, v124
	v_cmp_lt_u32_e32 vcc, 1, v124
	v_add_u32_e32 v125, 8, v125
	v_add_u32_e32 v126, 8, v126
	s_or_b64 s[6:7], vcc, s[6:7]
	s_waitcnt vmcnt(0) lgkmcnt(0)
	v_fmac_f64_e32 v[120:121], v[128:129], v[130:131]
	s_andn2_b64 exec, exec, s[6:7]
	s_cbranch_execnz .LBB58_19
; %bb.20:
	s_or_b64 exec, exec, s[6:7]
	v_mov_b32_e32 v124, 0
	ds_read_b64 v[124:125], v124 offset:24
	s_waitcnt lgkmcnt(0)
	v_mul_f64 v[120:121], v[120:121], v[124:125]
	buffer_store_dword v121, off, s[0:3], 0 offset:28
	buffer_store_dword v120, off, s[0:3], 0 offset:24
.LBB58_21:
	s_or_b64 exec, exec, s[4:5]
	s_waitcnt lgkmcnt(0)
	; wave barrier
	buffer_load_dword v120, off, s[0:3], 0 offset:32
	buffer_load_dword v121, off, s[0:3], 0 offset:36
	v_cmp_gt_u32_e32 vcc, 4, v0
	s_waitcnt vmcnt(0)
	ds_write_b64 v122, v[120:121]
	s_waitcnt lgkmcnt(0)
	; wave barrier
	s_waitcnt lgkmcnt(0)
	s_and_saveexec_b64 s[4:5], vcc
	s_cbranch_execz .LBB58_25
; %bb.22:
	v_add_u32_e32 v124, -1, v0
	v_add_u32_e32 v125, 0x1e0, v1
	v_add_u32_e32 v126, 0, v1
	s_mov_b64 s[6:7], 0
	v_pk_mov_b32 v[120:121], 0, 0
.LBB58_23:                              ; =>This Inner Loop Header: Depth=1
	buffer_load_dword v128, v126, s[0:3], 0 offen
	buffer_load_dword v129, v126, s[0:3], 0 offen offset:4
	ds_read_b64 v[130:131], v125
	v_add_u32_e32 v124, 1, v124
	v_cmp_lt_u32_e32 vcc, 2, v124
	v_add_u32_e32 v125, 8, v125
	v_add_u32_e32 v126, 8, v126
	s_or_b64 s[6:7], vcc, s[6:7]
	s_waitcnt vmcnt(0) lgkmcnt(0)
	v_fmac_f64_e32 v[120:121], v[128:129], v[130:131]
	s_andn2_b64 exec, exec, s[6:7]
	s_cbranch_execnz .LBB58_23
; %bb.24:
	s_or_b64 exec, exec, s[6:7]
	v_mov_b32_e32 v124, 0
	ds_read_b64 v[124:125], v124 offset:32
	s_waitcnt lgkmcnt(0)
	v_mul_f64 v[120:121], v[120:121], v[124:125]
	buffer_store_dword v121, off, s[0:3], 0 offset:36
	buffer_store_dword v120, off, s[0:3], 0 offset:32
.LBB58_25:
	s_or_b64 exec, exec, s[4:5]
	s_waitcnt lgkmcnt(0)
	; wave barrier
	buffer_load_dword v120, off, s[0:3], 0 offset:40
	buffer_load_dword v121, off, s[0:3], 0 offset:44
	v_cmp_gt_u32_e32 vcc, 5, v0
	;; [unrolled: 41-line block ×21, first 2 shown]
	s_waitcnt vmcnt(0)
	ds_write_b64 v122, v[120:121]
	s_waitcnt lgkmcnt(0)
	; wave barrier
	s_waitcnt lgkmcnt(0)
	s_and_saveexec_b64 s[4:5], vcc
	s_cbranch_execz .LBB58_105
; %bb.102:
	v_add_u32_e32 v124, -1, v0
	v_add_u32_e32 v125, 0x1e0, v1
	v_add_u32_e32 v126, 0, v1
	s_mov_b64 s[6:7], 0
	v_pk_mov_b32 v[120:121], 0, 0
.LBB58_103:                             ; =>This Inner Loop Header: Depth=1
	buffer_load_dword v128, v126, s[0:3], 0 offen
	buffer_load_dword v129, v126, s[0:3], 0 offen offset:4
	ds_read_b64 v[130:131], v125
	v_add_u32_e32 v124, 1, v124
	v_cmp_lt_u32_e32 vcc, 22, v124
	v_add_u32_e32 v125, 8, v125
	v_add_u32_e32 v126, 8, v126
	s_or_b64 s[6:7], vcc, s[6:7]
	s_waitcnt vmcnt(0) lgkmcnt(0)
	v_fmac_f64_e32 v[120:121], v[128:129], v[130:131]
	s_andn2_b64 exec, exec, s[6:7]
	s_cbranch_execnz .LBB58_103
; %bb.104:
	s_or_b64 exec, exec, s[6:7]
	v_mov_b32_e32 v124, 0
	ds_read_b64 v[124:125], v124 offset:192
	s_waitcnt lgkmcnt(0)
	v_mul_f64 v[120:121], v[120:121], v[124:125]
	buffer_store_dword v121, off, s[0:3], 0 offset:196
	buffer_store_dword v120, off, s[0:3], 0 offset:192
.LBB58_105:
	s_or_b64 exec, exec, s[4:5]
	s_waitcnt lgkmcnt(0)
	; wave barrier
	buffer_load_dword v120, off, s[0:3], 0 offset:200
	buffer_load_dword v121, off, s[0:3], 0 offset:204
	v_cmp_gt_u32_e32 vcc, 25, v0
	s_waitcnt vmcnt(0)
	ds_write_b64 v122, v[120:121]
	s_waitcnt lgkmcnt(0)
	; wave barrier
	s_waitcnt lgkmcnt(0)
	s_and_saveexec_b64 s[4:5], vcc
	s_cbranch_execz .LBB58_109
; %bb.106:
	v_add_u32_e32 v124, -1, v0
	v_add_u32_e32 v125, 0x1e0, v1
	v_add_u32_e32 v126, 0, v1
	s_mov_b64 s[6:7], 0
	v_pk_mov_b32 v[120:121], 0, 0
.LBB58_107:                             ; =>This Inner Loop Header: Depth=1
	buffer_load_dword v128, v126, s[0:3], 0 offen
	buffer_load_dword v129, v126, s[0:3], 0 offen offset:4
	ds_read_b64 v[130:131], v125
	v_add_u32_e32 v124, 1, v124
	v_cmp_lt_u32_e32 vcc, 23, v124
	v_add_u32_e32 v125, 8, v125
	v_add_u32_e32 v126, 8, v126
	s_or_b64 s[6:7], vcc, s[6:7]
	s_waitcnt vmcnt(0) lgkmcnt(0)
	v_fmac_f64_e32 v[120:121], v[128:129], v[130:131]
	s_andn2_b64 exec, exec, s[6:7]
	s_cbranch_execnz .LBB58_107
; %bb.108:
	s_or_b64 exec, exec, s[6:7]
	v_mov_b32_e32 v124, 0
	ds_read_b64 v[124:125], v124 offset:200
	s_waitcnt lgkmcnt(0)
	v_mul_f64 v[120:121], v[120:121], v[124:125]
	buffer_store_dword v121, off, s[0:3], 0 offset:204
	buffer_store_dword v120, off, s[0:3], 0 offset:200
.LBB58_109:
	s_or_b64 exec, exec, s[4:5]
	s_waitcnt lgkmcnt(0)
	; wave barrier
	buffer_load_dword v120, off, s[0:3], 0 offset:208
	buffer_load_dword v121, off, s[0:3], 0 offset:212
	v_cmp_gt_u32_e32 vcc, 26, v0
	;; [unrolled: 41-line block ×33, first 2 shown]
	s_waitcnt vmcnt(0)
	ds_write_b64 v122, v[120:121]
	s_waitcnt lgkmcnt(0)
	; wave barrier
	s_waitcnt lgkmcnt(0)
	s_and_saveexec_b64 s[4:5], vcc
	s_cbranch_execz .LBB58_237
; %bb.234:
	v_add_u32_e32 v124, -1, v0
	v_add_u32_e32 v125, 0x1e0, v1
	v_add_u32_e32 v126, 0, v1
	s_mov_b64 s[6:7], 0
	v_pk_mov_b32 v[120:121], 0, 0
.LBB58_235:                             ; =>This Inner Loop Header: Depth=1
	buffer_load_dword v128, v126, s[0:3], 0 offen
	buffer_load_dword v129, v126, s[0:3], 0 offen offset:4
	ds_read_b64 v[130:131], v125
	v_add_u32_e32 v124, 1, v124
	v_cmp_lt_u32_e32 vcc, 55, v124
	v_add_u32_e32 v125, 8, v125
	v_add_u32_e32 v126, 8, v126
	s_or_b64 s[6:7], vcc, s[6:7]
	s_waitcnt vmcnt(0) lgkmcnt(0)
	v_fmac_f64_e32 v[120:121], v[128:129], v[130:131]
	s_andn2_b64 exec, exec, s[6:7]
	s_cbranch_execnz .LBB58_235
; %bb.236:
	s_or_b64 exec, exec, s[6:7]
	v_mov_b32_e32 v124, 0
	ds_read_b64 v[124:125], v124 offset:456
	s_waitcnt lgkmcnt(0)
	v_mul_f64 v[120:121], v[120:121], v[124:125]
	buffer_store_dword v121, off, s[0:3], 0 offset:460
	buffer_store_dword v120, off, s[0:3], 0 offset:456
.LBB58_237:
	s_or_b64 exec, exec, s[4:5]
	s_waitcnt lgkmcnt(0)
	; wave barrier
	buffer_load_dword v120, off, s[0:3], 0 offset:464
	buffer_load_dword v121, off, s[0:3], 0 offset:468
	v_cmp_ne_u32_e32 vcc, 58, v0
	s_waitcnt vmcnt(0)
	ds_write_b64 v122, v[120:121]
	s_waitcnt lgkmcnt(0)
	; wave barrier
	s_waitcnt lgkmcnt(0)
	s_and_saveexec_b64 s[4:5], vcc
	s_cbranch_execz .LBB58_241
; %bb.238:
	v_add_u32_e32 v122, 0x1e0, v1
	v_add_u32_e32 v1, 0, v1
	s_mov_b64 s[6:7], 0
	v_pk_mov_b32 v[120:121], 0, 0
.LBB58_239:                             ; =>This Inner Loop Header: Depth=1
	buffer_load_dword v124, v1, s[0:3], 0 offen
	buffer_load_dword v125, v1, s[0:3], 0 offen offset:4
	ds_read_b64 v[126:127], v122
	v_add_u32_e32 v123, 1, v123
	v_cmp_lt_u32_e32 vcc, 56, v123
	v_add_u32_e32 v122, 8, v122
	v_add_u32_e32 v1, 8, v1
	s_or_b64 s[6:7], vcc, s[6:7]
	s_waitcnt vmcnt(0) lgkmcnt(0)
	v_fmac_f64_e32 v[120:121], v[124:125], v[126:127]
	s_andn2_b64 exec, exec, s[6:7]
	s_cbranch_execnz .LBB58_239
; %bb.240:
	s_or_b64 exec, exec, s[6:7]
	v_mov_b32_e32 v1, 0
	ds_read_b64 v[122:123], v1 offset:464
	s_waitcnt lgkmcnt(0)
	v_mul_f64 v[120:121], v[120:121], v[122:123]
	buffer_store_dword v121, off, s[0:3], 0 offset:468
	buffer_store_dword v120, off, s[0:3], 0 offset:464
.LBB58_241:
	s_or_b64 exec, exec, s[4:5]
	s_mov_b64 s[6:7], -1
	s_waitcnt lgkmcnt(0)
	; wave barrier
.LBB58_242:
	s_and_b64 vcc, exec, s[6:7]
	s_cbranch_vccz .LBB58_244
; %bb.243:
	s_lshl_b64 s[4:5], s[8:9], 2
	s_add_u32 s4, s14, s4
	s_addc_u32 s5, s15, s5
	v_mov_b32_e32 v1, 0
	global_load_dword v1, v1, s[4:5]
	s_waitcnt vmcnt(0)
	v_cmp_ne_u32_e32 vcc, 0, v1
	s_cbranch_vccz .LBB58_245
.LBB58_244:
	s_endpgm
.LBB58_245:
	v_mov_b32_e32 v1, 0x1e0
	v_lshl_add_u32 v1, v0, 3, v1
	v_cmp_eq_u32_e32 vcc, 58, v0
	s_and_saveexec_b64 s[4:5], vcc
	s_cbranch_execz .LBB58_247
; %bb.246:
	buffer_load_dword v120, off, s[0:3], 0 offset:456
	buffer_load_dword v121, off, s[0:3], 0 offset:460
	v_mov_b32_e32 v122, 0
	buffer_store_dword v122, off, s[0:3], 0 offset:456
	buffer_store_dword v122, off, s[0:3], 0 offset:460
	s_waitcnt vmcnt(2)
	ds_write_b64 v1, v[120:121]
.LBB58_247:
	s_or_b64 exec, exec, s[4:5]
	s_waitcnt lgkmcnt(0)
	; wave barrier
	s_waitcnt lgkmcnt(0)
	buffer_load_dword v122, off, s[0:3], 0 offset:464
	buffer_load_dword v123, off, s[0:3], 0 offset:468
	;; [unrolled: 1-line block ×4, first 2 shown]
	v_mov_b32_e32 v120, 0
	ds_read_b64 v[126:127], v120 offset:944
	v_cmp_lt_u32_e32 vcc, 56, v0
	s_waitcnt vmcnt(2) lgkmcnt(0)
	v_fma_f64 v[122:123], v[122:123], v[126:127], 0
	s_waitcnt vmcnt(0)
	v_add_f64 v[122:123], v[124:125], -v[122:123]
	buffer_store_dword v122, off, s[0:3], 0 offset:456
	buffer_store_dword v123, off, s[0:3], 0 offset:460
	s_and_saveexec_b64 s[4:5], vcc
	s_cbranch_execz .LBB58_249
; %bb.248:
	buffer_load_dword v122, off, s[0:3], 0 offset:448
	buffer_load_dword v123, off, s[0:3], 0 offset:452
	s_waitcnt vmcnt(0)
	ds_write_b64 v1, v[122:123]
	buffer_store_dword v120, off, s[0:3], 0 offset:448
	buffer_store_dword v120, off, s[0:3], 0 offset:452
.LBB58_249:
	s_or_b64 exec, exec, s[4:5]
	s_waitcnt lgkmcnt(0)
	; wave barrier
	s_waitcnt lgkmcnt(0)
	buffer_load_dword v124, off, s[0:3], 0 offset:456
	buffer_load_dword v125, off, s[0:3], 0 offset:460
	;; [unrolled: 1-line block ×6, first 2 shown]
	ds_read2_b64 v[120:123], v120 offset0:117 offset1:118
	v_cmp_lt_u32_e32 vcc, 55, v0
	s_waitcnt vmcnt(4) lgkmcnt(0)
	v_fma_f64 v[120:121], v[124:125], v[120:121], 0
	s_waitcnt vmcnt(2)
	v_fmac_f64_e32 v[120:121], v[126:127], v[122:123]
	s_waitcnt vmcnt(0)
	v_add_f64 v[120:121], v[128:129], -v[120:121]
	buffer_store_dword v120, off, s[0:3], 0 offset:448
	buffer_store_dword v121, off, s[0:3], 0 offset:452
	s_and_saveexec_b64 s[4:5], vcc
	s_cbranch_execz .LBB58_251
; %bb.250:
	buffer_load_dword v120, off, s[0:3], 0 offset:440
	buffer_load_dword v121, off, s[0:3], 0 offset:444
	v_mov_b32_e32 v122, 0
	buffer_store_dword v122, off, s[0:3], 0 offset:440
	buffer_store_dword v122, off, s[0:3], 0 offset:444
	s_waitcnt vmcnt(2)
	ds_write_b64 v1, v[120:121]
.LBB58_251:
	s_or_b64 exec, exec, s[4:5]
	s_waitcnt lgkmcnt(0)
	; wave barrier
	s_waitcnt lgkmcnt(0)
	buffer_load_dword v126, off, s[0:3], 0 offset:448
	buffer_load_dword v127, off, s[0:3], 0 offset:452
	;; [unrolled: 1-line block ×8, first 2 shown]
	v_mov_b32_e32 v120, 0
	ds_read_b128 v[122:125], v120 offset:928
	ds_read_b64 v[134:135], v120 offset:944
	v_cmp_lt_u32_e32 vcc, 54, v0
	s_waitcnt vmcnt(6) lgkmcnt(1)
	v_fma_f64 v[122:123], v[126:127], v[122:123], 0
	s_waitcnt vmcnt(4)
	v_fmac_f64_e32 v[122:123], v[128:129], v[124:125]
	s_waitcnt vmcnt(2) lgkmcnt(0)
	v_fmac_f64_e32 v[122:123], v[130:131], v[134:135]
	s_waitcnt vmcnt(0)
	v_add_f64 v[122:123], v[132:133], -v[122:123]
	buffer_store_dword v122, off, s[0:3], 0 offset:440
	buffer_store_dword v123, off, s[0:3], 0 offset:444
	s_and_saveexec_b64 s[4:5], vcc
	s_cbranch_execz .LBB58_253
; %bb.252:
	buffer_load_dword v122, off, s[0:3], 0 offset:432
	buffer_load_dword v123, off, s[0:3], 0 offset:436
	s_waitcnt vmcnt(0)
	ds_write_b64 v1, v[122:123]
	buffer_store_dword v120, off, s[0:3], 0 offset:432
	buffer_store_dword v120, off, s[0:3], 0 offset:436
.LBB58_253:
	s_or_b64 exec, exec, s[4:5]
	s_waitcnt lgkmcnt(0)
	; wave barrier
	s_waitcnt lgkmcnt(0)
	buffer_load_dword v130, off, s[0:3], 0 offset:440
	buffer_load_dword v131, off, s[0:3], 0 offset:444
	;; [unrolled: 1-line block ×10, first 2 shown]
	ds_read2_b64 v[122:125], v120 offset0:115 offset1:116
	ds_read2_b64 v[126:129], v120 offset0:117 offset1:118
	v_cmp_lt_u32_e32 vcc, 53, v0
	s_waitcnt vmcnt(8) lgkmcnt(1)
	v_fma_f64 v[120:121], v[130:131], v[122:123], 0
	s_waitcnt vmcnt(6)
	v_fmac_f64_e32 v[120:121], v[132:133], v[124:125]
	s_waitcnt vmcnt(4) lgkmcnt(0)
	v_fmac_f64_e32 v[120:121], v[134:135], v[126:127]
	s_waitcnt vmcnt(2)
	v_fmac_f64_e32 v[120:121], v[136:137], v[128:129]
	s_waitcnt vmcnt(0)
	v_add_f64 v[120:121], v[138:139], -v[120:121]
	buffer_store_dword v120, off, s[0:3], 0 offset:432
	buffer_store_dword v121, off, s[0:3], 0 offset:436
	s_and_saveexec_b64 s[4:5], vcc
	s_cbranch_execz .LBB58_255
; %bb.254:
	buffer_load_dword v120, off, s[0:3], 0 offset:424
	buffer_load_dword v121, off, s[0:3], 0 offset:428
	v_mov_b32_e32 v122, 0
	buffer_store_dword v122, off, s[0:3], 0 offset:424
	buffer_store_dword v122, off, s[0:3], 0 offset:428
	s_waitcnt vmcnt(2)
	ds_write_b64 v1, v[120:121]
.LBB58_255:
	s_or_b64 exec, exec, s[4:5]
	s_waitcnt lgkmcnt(0)
	; wave barrier
	s_waitcnt lgkmcnt(0)
	buffer_load_dword v130, off, s[0:3], 0 offset:432
	buffer_load_dword v131, off, s[0:3], 0 offset:436
	;; [unrolled: 1-line block ×12, first 2 shown]
	v_mov_b32_e32 v120, 0
	ds_read_b128 v[122:125], v120 offset:912
	ds_read_b128 v[126:129], v120 offset:928
	ds_read_b64 v[142:143], v120 offset:944
	v_cmp_lt_u32_e32 vcc, 52, v0
	s_waitcnt vmcnt(10) lgkmcnt(2)
	v_fma_f64 v[122:123], v[130:131], v[122:123], 0
	s_waitcnt vmcnt(8)
	v_fmac_f64_e32 v[122:123], v[132:133], v[124:125]
	s_waitcnt vmcnt(6) lgkmcnt(1)
	v_fmac_f64_e32 v[122:123], v[134:135], v[126:127]
	s_waitcnt vmcnt(4)
	v_fmac_f64_e32 v[122:123], v[136:137], v[128:129]
	s_waitcnt vmcnt(2) lgkmcnt(0)
	v_fmac_f64_e32 v[122:123], v[138:139], v[142:143]
	s_waitcnt vmcnt(0)
	v_add_f64 v[122:123], v[140:141], -v[122:123]
	buffer_store_dword v122, off, s[0:3], 0 offset:424
	buffer_store_dword v123, off, s[0:3], 0 offset:428
	s_and_saveexec_b64 s[4:5], vcc
	s_cbranch_execz .LBB58_257
; %bb.256:
	buffer_load_dword v122, off, s[0:3], 0 offset:416
	buffer_load_dword v123, off, s[0:3], 0 offset:420
	s_waitcnt vmcnt(0)
	ds_write_b64 v1, v[122:123]
	buffer_store_dword v120, off, s[0:3], 0 offset:416
	buffer_store_dword v120, off, s[0:3], 0 offset:420
.LBB58_257:
	s_or_b64 exec, exec, s[4:5]
	s_waitcnt lgkmcnt(0)
	; wave barrier
	s_waitcnt lgkmcnt(0)
	buffer_load_dword v134, off, s[0:3], 0 offset:424
	buffer_load_dword v135, off, s[0:3], 0 offset:428
	;; [unrolled: 1-line block ×14, first 2 shown]
	ds_read2_b64 v[122:125], v120 offset0:113 offset1:114
	ds_read2_b64 v[126:129], v120 offset0:115 offset1:116
	;; [unrolled: 1-line block ×3, first 2 shown]
	v_cmp_lt_u32_e32 vcc, 51, v0
	s_waitcnt vmcnt(12) lgkmcnt(2)
	v_fma_f64 v[120:121], v[134:135], v[122:123], 0
	s_waitcnt vmcnt(10)
	v_fmac_f64_e32 v[120:121], v[136:137], v[124:125]
	s_waitcnt vmcnt(8) lgkmcnt(1)
	v_fmac_f64_e32 v[120:121], v[138:139], v[126:127]
	s_waitcnt vmcnt(6)
	v_fmac_f64_e32 v[120:121], v[140:141], v[128:129]
	s_waitcnt vmcnt(4) lgkmcnt(0)
	v_fmac_f64_e32 v[120:121], v[142:143], v[130:131]
	s_waitcnt vmcnt(2)
	v_fmac_f64_e32 v[120:121], v[144:145], v[132:133]
	s_waitcnt vmcnt(0)
	v_add_f64 v[120:121], v[146:147], -v[120:121]
	buffer_store_dword v120, off, s[0:3], 0 offset:416
	buffer_store_dword v121, off, s[0:3], 0 offset:420
	s_and_saveexec_b64 s[4:5], vcc
	s_cbranch_execz .LBB58_259
; %bb.258:
	buffer_load_dword v120, off, s[0:3], 0 offset:408
	buffer_load_dword v121, off, s[0:3], 0 offset:412
	v_mov_b32_e32 v122, 0
	buffer_store_dword v122, off, s[0:3], 0 offset:408
	buffer_store_dword v122, off, s[0:3], 0 offset:412
	s_waitcnt vmcnt(2)
	ds_write_b64 v1, v[120:121]
.LBB58_259:
	s_or_b64 exec, exec, s[4:5]
	s_waitcnt lgkmcnt(0)
	; wave barrier
	s_waitcnt lgkmcnt(0)
	buffer_load_dword v134, off, s[0:3], 0 offset:416
	buffer_load_dword v135, off, s[0:3], 0 offset:420
	;; [unrolled: 1-line block ×16, first 2 shown]
	v_mov_b32_e32 v120, 0
	ds_read_b128 v[122:125], v120 offset:896
	ds_read_b128 v[126:129], v120 offset:912
	;; [unrolled: 1-line block ×3, first 2 shown]
	ds_read_b64 v[150:151], v120 offset:944
	v_cmp_lt_u32_e32 vcc, 50, v0
	s_waitcnt vmcnt(14) lgkmcnt(3)
	v_fma_f64 v[122:123], v[134:135], v[122:123], 0
	s_waitcnt vmcnt(12)
	v_fmac_f64_e32 v[122:123], v[136:137], v[124:125]
	s_waitcnt vmcnt(10) lgkmcnt(2)
	v_fmac_f64_e32 v[122:123], v[138:139], v[126:127]
	s_waitcnt vmcnt(8)
	v_fmac_f64_e32 v[122:123], v[140:141], v[128:129]
	s_waitcnt vmcnt(6) lgkmcnt(1)
	v_fmac_f64_e32 v[122:123], v[142:143], v[130:131]
	;; [unrolled: 4-line block ×3, first 2 shown]
	s_waitcnt vmcnt(0)
	v_add_f64 v[122:123], v[148:149], -v[122:123]
	buffer_store_dword v122, off, s[0:3], 0 offset:408
	buffer_store_dword v123, off, s[0:3], 0 offset:412
	s_and_saveexec_b64 s[4:5], vcc
	s_cbranch_execz .LBB58_261
; %bb.260:
	buffer_load_dword v122, off, s[0:3], 0 offset:400
	buffer_load_dword v123, off, s[0:3], 0 offset:404
	s_waitcnt vmcnt(0)
	ds_write_b64 v1, v[122:123]
	buffer_store_dword v120, off, s[0:3], 0 offset:400
	buffer_store_dword v120, off, s[0:3], 0 offset:404
.LBB58_261:
	s_or_b64 exec, exec, s[4:5]
	s_waitcnt lgkmcnt(0)
	; wave barrier
	s_waitcnt lgkmcnt(0)
	buffer_load_dword v138, off, s[0:3], 0 offset:408
	buffer_load_dword v139, off, s[0:3], 0 offset:412
	;; [unrolled: 1-line block ×18, first 2 shown]
	ds_read2_b64 v[122:125], v120 offset0:111 offset1:112
	ds_read2_b64 v[126:129], v120 offset0:113 offset1:114
	;; [unrolled: 1-line block ×4, first 2 shown]
	v_cmp_lt_u32_e32 vcc, 49, v0
	s_waitcnt vmcnt(16) lgkmcnt(3)
	v_fma_f64 v[120:121], v[138:139], v[122:123], 0
	s_waitcnt vmcnt(14)
	v_fmac_f64_e32 v[120:121], v[140:141], v[124:125]
	s_waitcnt vmcnt(12) lgkmcnt(2)
	v_fmac_f64_e32 v[120:121], v[142:143], v[126:127]
	s_waitcnt vmcnt(10)
	v_fmac_f64_e32 v[120:121], v[144:145], v[128:129]
	s_waitcnt vmcnt(8) lgkmcnt(1)
	v_fmac_f64_e32 v[120:121], v[146:147], v[130:131]
	;; [unrolled: 4-line block ×3, first 2 shown]
	s_waitcnt vmcnt(2)
	v_fmac_f64_e32 v[120:121], v[152:153], v[136:137]
	s_waitcnt vmcnt(0)
	v_add_f64 v[120:121], v[154:155], -v[120:121]
	buffer_store_dword v120, off, s[0:3], 0 offset:400
	buffer_store_dword v121, off, s[0:3], 0 offset:404
	s_and_saveexec_b64 s[4:5], vcc
	s_cbranch_execz .LBB58_263
; %bb.262:
	buffer_load_dword v120, off, s[0:3], 0 offset:392
	buffer_load_dword v121, off, s[0:3], 0 offset:396
	v_mov_b32_e32 v122, 0
	buffer_store_dword v122, off, s[0:3], 0 offset:392
	buffer_store_dword v122, off, s[0:3], 0 offset:396
	s_waitcnt vmcnt(2)
	ds_write_b64 v1, v[120:121]
.LBB58_263:
	s_or_b64 exec, exec, s[4:5]
	s_waitcnt lgkmcnt(0)
	; wave barrier
	s_waitcnt lgkmcnt(0)
	buffer_load_dword v138, off, s[0:3], 0 offset:400
	buffer_load_dword v139, off, s[0:3], 0 offset:404
	buffer_load_dword v140, off, s[0:3], 0 offset:408
	buffer_load_dword v141, off, s[0:3], 0 offset:412
	buffer_load_dword v142, off, s[0:3], 0 offset:416
	buffer_load_dword v143, off, s[0:3], 0 offset:420
	buffer_load_dword v144, off, s[0:3], 0 offset:424
	buffer_load_dword v145, off, s[0:3], 0 offset:428
	buffer_load_dword v146, off, s[0:3], 0 offset:432
	buffer_load_dword v147, off, s[0:3], 0 offset:436
	buffer_load_dword v148, off, s[0:3], 0 offset:440
	buffer_load_dword v149, off, s[0:3], 0 offset:444
	buffer_load_dword v150, off, s[0:3], 0 offset:448
	buffer_load_dword v151, off, s[0:3], 0 offset:452
	buffer_load_dword v153, off, s[0:3], 0 offset:468
	buffer_load_dword v152, off, s[0:3], 0 offset:464
	buffer_load_dword v155, off, s[0:3], 0 offset:460
	buffer_load_dword v154, off, s[0:3], 0 offset:456
	buffer_load_dword v156, off, s[0:3], 0 offset:392
	buffer_load_dword v157, off, s[0:3], 0 offset:396
	v_mov_b32_e32 v120, 0
	ds_read_b128 v[122:125], v120 offset:880
	ds_read_b128 v[126:129], v120 offset:896
	;; [unrolled: 1-line block ×4, first 2 shown]
	ds_read_b64 v[158:159], v120 offset:944
	v_cmp_lt_u32_e32 vcc, 48, v0
	s_waitcnt vmcnt(18) lgkmcnt(4)
	v_fma_f64 v[122:123], v[138:139], v[122:123], 0
	s_waitcnt vmcnt(16)
	v_fmac_f64_e32 v[122:123], v[140:141], v[124:125]
	s_waitcnt vmcnt(14) lgkmcnt(3)
	v_fmac_f64_e32 v[122:123], v[142:143], v[126:127]
	s_waitcnt vmcnt(12)
	v_fmac_f64_e32 v[122:123], v[144:145], v[128:129]
	s_waitcnt vmcnt(10) lgkmcnt(2)
	v_fmac_f64_e32 v[122:123], v[146:147], v[130:131]
	;; [unrolled: 4-line block ×3, first 2 shown]
	s_waitcnt vmcnt(2)
	v_fmac_f64_e32 v[122:123], v[154:155], v[136:137]
	s_waitcnt lgkmcnt(0)
	v_fmac_f64_e32 v[122:123], v[152:153], v[158:159]
	s_waitcnt vmcnt(0)
	v_add_f64 v[122:123], v[156:157], -v[122:123]
	buffer_store_dword v122, off, s[0:3], 0 offset:392
	buffer_store_dword v123, off, s[0:3], 0 offset:396
	s_and_saveexec_b64 s[4:5], vcc
	s_cbranch_execz .LBB58_265
; %bb.264:
	buffer_load_dword v122, off, s[0:3], 0 offset:384
	buffer_load_dword v123, off, s[0:3], 0 offset:388
	s_waitcnt vmcnt(0)
	ds_write_b64 v1, v[122:123]
	buffer_store_dword v120, off, s[0:3], 0 offset:384
	buffer_store_dword v120, off, s[0:3], 0 offset:388
.LBB58_265:
	s_or_b64 exec, exec, s[4:5]
	s_waitcnt lgkmcnt(0)
	; wave barrier
	s_waitcnt lgkmcnt(0)
	buffer_load_dword v142, off, s[0:3], 0 offset:392
	buffer_load_dword v143, off, s[0:3], 0 offset:396
	;; [unrolled: 1-line block ×22, first 2 shown]
	ds_read2_b64 v[122:125], v120 offset0:109 offset1:110
	ds_read2_b64 v[126:129], v120 offset0:111 offset1:112
	;; [unrolled: 1-line block ×5, first 2 shown]
	v_cmp_lt_u32_e32 vcc, 47, v0
	s_waitcnt vmcnt(20) lgkmcnt(4)
	v_fma_f64 v[120:121], v[142:143], v[122:123], 0
	s_waitcnt vmcnt(18)
	v_fmac_f64_e32 v[120:121], v[144:145], v[124:125]
	s_waitcnt vmcnt(16) lgkmcnt(3)
	v_fmac_f64_e32 v[120:121], v[146:147], v[126:127]
	s_waitcnt vmcnt(14)
	v_fmac_f64_e32 v[120:121], v[148:149], v[128:129]
	s_waitcnt vmcnt(12) lgkmcnt(2)
	v_fmac_f64_e32 v[120:121], v[150:151], v[130:131]
	s_waitcnt vmcnt(10)
	v_fmac_f64_e32 v[120:121], v[152:153], v[132:133]
	s_waitcnt vmcnt(8) lgkmcnt(1)
	v_fmac_f64_e32 v[120:121], v[154:155], v[134:135]
	s_waitcnt vmcnt(3)
	v_fmac_f64_e32 v[120:121], v[160:161], v[136:137]
	s_waitcnt lgkmcnt(0)
	v_fmac_f64_e32 v[120:121], v[158:159], v[138:139]
	s_waitcnt vmcnt(2)
	v_fmac_f64_e32 v[120:121], v[156:157], v[140:141]
	s_waitcnt vmcnt(0)
	v_add_f64 v[120:121], v[162:163], -v[120:121]
	buffer_store_dword v120, off, s[0:3], 0 offset:384
	buffer_store_dword v121, off, s[0:3], 0 offset:388
	s_and_saveexec_b64 s[4:5], vcc
	s_cbranch_execz .LBB58_267
; %bb.266:
	buffer_load_dword v120, off, s[0:3], 0 offset:376
	buffer_load_dword v121, off, s[0:3], 0 offset:380
	v_mov_b32_e32 v122, 0
	buffer_store_dword v122, off, s[0:3], 0 offset:376
	buffer_store_dword v122, off, s[0:3], 0 offset:380
	s_waitcnt vmcnt(2)
	ds_write_b64 v1, v[120:121]
.LBB58_267:
	s_or_b64 exec, exec, s[4:5]
	s_waitcnt lgkmcnt(0)
	; wave barrier
	s_waitcnt lgkmcnt(0)
	buffer_load_dword v138, off, s[0:3], 0 offset:376
	buffer_load_dword v139, off, s[0:3], 0 offset:380
	;; [unrolled: 1-line block ×16, first 2 shown]
	v_mov_b32_e32 v120, 0
	ds_read_b128 v[122:125], v120 offset:864
	ds_read_b128 v[126:129], v120 offset:880
	;; [unrolled: 1-line block ×4, first 2 shown]
	v_cmp_lt_u32_e32 vcc, 46, v0
	s_waitcnt vmcnt(12) lgkmcnt(3)
	v_fma_f64 v[140:141], v[140:141], v[122:123], 0
	buffer_load_dword v123, off, s[0:3], 0 offset:444
	buffer_load_dword v122, off, s[0:3], 0 offset:440
	s_waitcnt vmcnt(12)
	v_fmac_f64_e32 v[140:141], v[142:143], v[124:125]
	s_waitcnt vmcnt(10) lgkmcnt(2)
	v_fmac_f64_e32 v[140:141], v[144:145], v[126:127]
	buffer_load_dword v127, off, s[0:3], 0 offset:452
	buffer_load_dword v126, off, s[0:3], 0 offset:448
	s_waitcnt vmcnt(10)
	v_fmac_f64_e32 v[140:141], v[146:147], v[128:129]
	s_waitcnt vmcnt(8) lgkmcnt(1)
	v_fmac_f64_e32 v[140:141], v[148:149], v[130:131]
	s_waitcnt vmcnt(6)
	v_fmac_f64_e32 v[140:141], v[150:151], v[132:133]
	s_waitcnt vmcnt(4) lgkmcnt(0)
	v_fmac_f64_e32 v[140:141], v[152:153], v[134:135]
	s_waitcnt vmcnt(2)
	v_fmac_f64_e32 v[140:141], v[122:123], v[136:137]
	ds_read_b128 v[122:125], v120 offset:928
	s_waitcnt vmcnt(0) lgkmcnt(0)
	v_fmac_f64_e32 v[140:141], v[126:127], v[122:123]
	buffer_load_dword v123, off, s[0:3], 0 offset:460
	buffer_load_dword v122, off, s[0:3], 0 offset:456
	s_waitcnt vmcnt(0)
	v_fmac_f64_e32 v[140:141], v[122:123], v[124:125]
	buffer_load_dword v123, off, s[0:3], 0 offset:468
	buffer_load_dword v122, off, s[0:3], 0 offset:464
	ds_read_b64 v[124:125], v120 offset:944
	s_waitcnt vmcnt(0) lgkmcnt(0)
	v_fmac_f64_e32 v[140:141], v[122:123], v[124:125]
	v_add_f64 v[122:123], v[138:139], -v[140:141]
	buffer_store_dword v123, off, s[0:3], 0 offset:380
	buffer_store_dword v122, off, s[0:3], 0 offset:376
	s_and_saveexec_b64 s[4:5], vcc
	s_cbranch_execz .LBB58_269
; %bb.268:
	buffer_load_dword v122, off, s[0:3], 0 offset:368
	buffer_load_dword v123, off, s[0:3], 0 offset:372
	s_waitcnt vmcnt(0)
	ds_write_b64 v1, v[122:123]
	buffer_store_dword v120, off, s[0:3], 0 offset:368
	buffer_store_dword v120, off, s[0:3], 0 offset:372
.LBB58_269:
	s_or_b64 exec, exec, s[4:5]
	s_waitcnt lgkmcnt(0)
	; wave barrier
	s_waitcnt lgkmcnt(0)
	buffer_load_dword v126, off, s[0:3], 0 offset:368
	buffer_load_dword v127, off, s[0:3], 0 offset:372
	;; [unrolled: 1-line block ×16, first 2 shown]
	ds_read2_b64 v[122:125], v120 offset0:107 offset1:108
	v_cmp_lt_u32_e32 vcc, 45, v0
	s_waitcnt vmcnt(12) lgkmcnt(0)
	v_fma_f64 v[128:129], v[128:129], v[122:123], 0
	s_waitcnt vmcnt(10)
	v_fmac_f64_e32 v[128:129], v[130:131], v[124:125]
	ds_read2_b64 v[122:125], v120 offset0:109 offset1:110
	s_waitcnt vmcnt(8) lgkmcnt(0)
	v_fmac_f64_e32 v[128:129], v[132:133], v[122:123]
	s_waitcnt vmcnt(6)
	v_fmac_f64_e32 v[128:129], v[134:135], v[124:125]
	ds_read2_b64 v[122:125], v120 offset0:111 offset1:112
	s_waitcnt vmcnt(4) lgkmcnt(0)
	v_fmac_f64_e32 v[128:129], v[136:137], v[122:123]
	;; [unrolled: 5-line block ×3, first 2 shown]
	buffer_load_dword v123, off, s[0:3], 0 offset:436
	buffer_load_dword v122, off, s[0:3], 0 offset:432
	;; [unrolled: 1-line block ×4, first 2 shown]
	s_waitcnt vmcnt(2)
	v_fmac_f64_e32 v[128:129], v[122:123], v[124:125]
	ds_read2_b64 v[122:125], v120 offset0:115 offset1:116
	s_waitcnt vmcnt(0) lgkmcnt(0)
	v_fmac_f64_e32 v[128:129], v[130:131], v[122:123]
	buffer_load_dword v123, off, s[0:3], 0 offset:452
	buffer_load_dword v122, off, s[0:3], 0 offset:448
	s_waitcnt vmcnt(0)
	v_fmac_f64_e32 v[128:129], v[122:123], v[124:125]
	buffer_load_dword v125, off, s[0:3], 0 offset:460
	buffer_load_dword v124, off, s[0:3], 0 offset:456
	ds_read2_b64 v[120:123], v120 offset0:117 offset1:118
	s_waitcnt vmcnt(0) lgkmcnt(0)
	v_fmac_f64_e32 v[128:129], v[124:125], v[120:121]
	buffer_load_dword v121, off, s[0:3], 0 offset:468
	buffer_load_dword v120, off, s[0:3], 0 offset:464
	s_waitcnt vmcnt(0)
	v_fmac_f64_e32 v[128:129], v[120:121], v[122:123]
	v_add_f64 v[120:121], v[126:127], -v[128:129]
	buffer_store_dword v121, off, s[0:3], 0 offset:372
	buffer_store_dword v120, off, s[0:3], 0 offset:368
	s_and_saveexec_b64 s[4:5], vcc
	s_cbranch_execz .LBB58_271
; %bb.270:
	buffer_load_dword v120, off, s[0:3], 0 offset:360
	buffer_load_dword v121, off, s[0:3], 0 offset:364
	v_mov_b32_e32 v122, 0
	buffer_store_dword v122, off, s[0:3], 0 offset:360
	buffer_store_dword v122, off, s[0:3], 0 offset:364
	s_waitcnt vmcnt(2)
	ds_write_b64 v1, v[120:121]
.LBB58_271:
	s_or_b64 exec, exec, s[4:5]
	s_waitcnt lgkmcnt(0)
	; wave barrier
	s_waitcnt lgkmcnt(0)
	buffer_load_dword v138, off, s[0:3], 0 offset:360
	buffer_load_dword v139, off, s[0:3], 0 offset:364
	buffer_load_dword v140, off, s[0:3], 0 offset:368
	buffer_load_dword v141, off, s[0:3], 0 offset:372
	buffer_load_dword v142, off, s[0:3], 0 offset:376
	buffer_load_dword v143, off, s[0:3], 0 offset:380
	buffer_load_dword v144, off, s[0:3], 0 offset:384
	buffer_load_dword v145, off, s[0:3], 0 offset:388
	buffer_load_dword v146, off, s[0:3], 0 offset:392
	buffer_load_dword v147, off, s[0:3], 0 offset:396
	buffer_load_dword v148, off, s[0:3], 0 offset:400
	buffer_load_dword v149, off, s[0:3], 0 offset:404
	buffer_load_dword v150, off, s[0:3], 0 offset:408
	buffer_load_dword v151, off, s[0:3], 0 offset:412
	buffer_load_dword v152, off, s[0:3], 0 offset:416
	buffer_load_dword v153, off, s[0:3], 0 offset:420
	v_mov_b32_e32 v120, 0
	ds_read_b128 v[122:125], v120 offset:848
	ds_read_b128 v[126:129], v120 offset:864
	;; [unrolled: 1-line block ×4, first 2 shown]
	v_cmp_lt_u32_e32 vcc, 44, v0
	s_waitcnt vmcnt(12) lgkmcnt(3)
	v_fma_f64 v[140:141], v[140:141], v[122:123], 0
	buffer_load_dword v123, off, s[0:3], 0 offset:428
	buffer_load_dword v122, off, s[0:3], 0 offset:424
	s_waitcnt vmcnt(12)
	v_fmac_f64_e32 v[140:141], v[142:143], v[124:125]
	s_waitcnt vmcnt(10) lgkmcnt(2)
	v_fmac_f64_e32 v[140:141], v[144:145], v[126:127]
	buffer_load_dword v127, off, s[0:3], 0 offset:436
	buffer_load_dword v126, off, s[0:3], 0 offset:432
	s_waitcnt vmcnt(10)
	v_fmac_f64_e32 v[140:141], v[146:147], v[128:129]
	s_waitcnt vmcnt(8) lgkmcnt(1)
	v_fmac_f64_e32 v[140:141], v[148:149], v[130:131]
	s_waitcnt vmcnt(6)
	v_fmac_f64_e32 v[140:141], v[150:151], v[132:133]
	s_waitcnt vmcnt(4) lgkmcnt(0)
	v_fmac_f64_e32 v[140:141], v[152:153], v[134:135]
	s_waitcnt vmcnt(2)
	v_fmac_f64_e32 v[140:141], v[122:123], v[136:137]
	ds_read_b128 v[122:125], v120 offset:912
	s_waitcnt vmcnt(0) lgkmcnt(0)
	v_fmac_f64_e32 v[140:141], v[126:127], v[122:123]
	buffer_load_dword v123, off, s[0:3], 0 offset:444
	buffer_load_dword v122, off, s[0:3], 0 offset:440
	;; [unrolled: 1-line block ×4, first 2 shown]
	s_waitcnt vmcnt(2)
	v_fmac_f64_e32 v[140:141], v[122:123], v[124:125]
	ds_read_b128 v[122:125], v120 offset:928
	s_waitcnt vmcnt(0) lgkmcnt(0)
	v_fmac_f64_e32 v[140:141], v[126:127], v[122:123]
	buffer_load_dword v123, off, s[0:3], 0 offset:460
	buffer_load_dword v122, off, s[0:3], 0 offset:456
	s_waitcnt vmcnt(0)
	v_fmac_f64_e32 v[140:141], v[122:123], v[124:125]
	buffer_load_dword v123, off, s[0:3], 0 offset:468
	buffer_load_dword v122, off, s[0:3], 0 offset:464
	ds_read_b64 v[124:125], v120 offset:944
	s_waitcnt vmcnt(0) lgkmcnt(0)
	v_fmac_f64_e32 v[140:141], v[122:123], v[124:125]
	v_add_f64 v[122:123], v[138:139], -v[140:141]
	buffer_store_dword v123, off, s[0:3], 0 offset:364
	buffer_store_dword v122, off, s[0:3], 0 offset:360
	s_and_saveexec_b64 s[4:5], vcc
	s_cbranch_execz .LBB58_273
; %bb.272:
	buffer_load_dword v122, off, s[0:3], 0 offset:352
	buffer_load_dword v123, off, s[0:3], 0 offset:356
	s_waitcnt vmcnt(0)
	ds_write_b64 v1, v[122:123]
	buffer_store_dword v120, off, s[0:3], 0 offset:352
	buffer_store_dword v120, off, s[0:3], 0 offset:356
.LBB58_273:
	s_or_b64 exec, exec, s[4:5]
	s_waitcnt lgkmcnt(0)
	; wave barrier
	s_waitcnt lgkmcnt(0)
	buffer_load_dword v126, off, s[0:3], 0 offset:352
	buffer_load_dword v127, off, s[0:3], 0 offset:356
	;; [unrolled: 1-line block ×16, first 2 shown]
	ds_read2_b64 v[122:125], v120 offset0:105 offset1:106
	v_cmp_lt_u32_e32 vcc, 43, v0
	s_waitcnt vmcnt(12) lgkmcnt(0)
	v_fma_f64 v[128:129], v[128:129], v[122:123], 0
	s_waitcnt vmcnt(10)
	v_fmac_f64_e32 v[128:129], v[130:131], v[124:125]
	ds_read2_b64 v[122:125], v120 offset0:107 offset1:108
	s_waitcnt vmcnt(8) lgkmcnt(0)
	v_fmac_f64_e32 v[128:129], v[132:133], v[122:123]
	s_waitcnt vmcnt(6)
	v_fmac_f64_e32 v[128:129], v[134:135], v[124:125]
	ds_read2_b64 v[122:125], v120 offset0:109 offset1:110
	s_waitcnt vmcnt(4) lgkmcnt(0)
	v_fmac_f64_e32 v[128:129], v[136:137], v[122:123]
	;; [unrolled: 5-line block ×3, first 2 shown]
	buffer_load_dword v123, off, s[0:3], 0 offset:420
	buffer_load_dword v122, off, s[0:3], 0 offset:416
	;; [unrolled: 1-line block ×4, first 2 shown]
	s_waitcnt vmcnt(2)
	v_fmac_f64_e32 v[128:129], v[122:123], v[124:125]
	ds_read2_b64 v[122:125], v120 offset0:113 offset1:114
	s_waitcnt vmcnt(0) lgkmcnt(0)
	v_fmac_f64_e32 v[128:129], v[130:131], v[122:123]
	buffer_load_dword v123, off, s[0:3], 0 offset:436
	buffer_load_dword v122, off, s[0:3], 0 offset:432
	;; [unrolled: 1-line block ×4, first 2 shown]
	s_waitcnt vmcnt(2)
	v_fmac_f64_e32 v[128:129], v[122:123], v[124:125]
	ds_read2_b64 v[122:125], v120 offset0:115 offset1:116
	s_waitcnt vmcnt(0) lgkmcnt(0)
	v_fmac_f64_e32 v[128:129], v[130:131], v[122:123]
	buffer_load_dword v123, off, s[0:3], 0 offset:452
	buffer_load_dword v122, off, s[0:3], 0 offset:448
	s_waitcnt vmcnt(0)
	v_fmac_f64_e32 v[128:129], v[122:123], v[124:125]
	buffer_load_dword v125, off, s[0:3], 0 offset:460
	buffer_load_dword v124, off, s[0:3], 0 offset:456
	ds_read2_b64 v[120:123], v120 offset0:117 offset1:118
	s_waitcnt vmcnt(0) lgkmcnt(0)
	v_fmac_f64_e32 v[128:129], v[124:125], v[120:121]
	buffer_load_dword v121, off, s[0:3], 0 offset:468
	buffer_load_dword v120, off, s[0:3], 0 offset:464
	s_waitcnt vmcnt(0)
	v_fmac_f64_e32 v[128:129], v[120:121], v[122:123]
	v_add_f64 v[120:121], v[126:127], -v[128:129]
	buffer_store_dword v121, off, s[0:3], 0 offset:356
	buffer_store_dword v120, off, s[0:3], 0 offset:352
	s_and_saveexec_b64 s[4:5], vcc
	s_cbranch_execz .LBB58_275
; %bb.274:
	buffer_load_dword v120, off, s[0:3], 0 offset:344
	buffer_load_dword v121, off, s[0:3], 0 offset:348
	v_mov_b32_e32 v122, 0
	buffer_store_dword v122, off, s[0:3], 0 offset:344
	buffer_store_dword v122, off, s[0:3], 0 offset:348
	s_waitcnt vmcnt(2)
	ds_write_b64 v1, v[120:121]
.LBB58_275:
	s_or_b64 exec, exec, s[4:5]
	s_waitcnt lgkmcnt(0)
	; wave barrier
	s_waitcnt lgkmcnt(0)
	buffer_load_dword v138, off, s[0:3], 0 offset:344
	buffer_load_dword v139, off, s[0:3], 0 offset:348
	;; [unrolled: 1-line block ×16, first 2 shown]
	v_mov_b32_e32 v120, 0
	ds_read_b128 v[122:125], v120 offset:832
	ds_read_b128 v[126:129], v120 offset:848
	;; [unrolled: 1-line block ×4, first 2 shown]
	v_cmp_lt_u32_e32 vcc, 42, v0
	s_waitcnt vmcnt(12) lgkmcnt(3)
	v_fma_f64 v[140:141], v[140:141], v[122:123], 0
	buffer_load_dword v123, off, s[0:3], 0 offset:412
	buffer_load_dword v122, off, s[0:3], 0 offset:408
	s_waitcnt vmcnt(12)
	v_fmac_f64_e32 v[140:141], v[142:143], v[124:125]
	s_waitcnt vmcnt(10) lgkmcnt(2)
	v_fmac_f64_e32 v[140:141], v[144:145], v[126:127]
	buffer_load_dword v127, off, s[0:3], 0 offset:420
	buffer_load_dword v126, off, s[0:3], 0 offset:416
	s_waitcnt vmcnt(10)
	v_fmac_f64_e32 v[140:141], v[146:147], v[128:129]
	s_waitcnt vmcnt(8) lgkmcnt(1)
	v_fmac_f64_e32 v[140:141], v[148:149], v[130:131]
	s_waitcnt vmcnt(6)
	v_fmac_f64_e32 v[140:141], v[150:151], v[132:133]
	s_waitcnt vmcnt(4) lgkmcnt(0)
	v_fmac_f64_e32 v[140:141], v[152:153], v[134:135]
	s_waitcnt vmcnt(2)
	v_fmac_f64_e32 v[140:141], v[122:123], v[136:137]
	ds_read_b128 v[122:125], v120 offset:896
	s_waitcnt vmcnt(0) lgkmcnt(0)
	v_fmac_f64_e32 v[140:141], v[126:127], v[122:123]
	buffer_load_dword v123, off, s[0:3], 0 offset:428
	buffer_load_dword v122, off, s[0:3], 0 offset:424
	buffer_load_dword v127, off, s[0:3], 0 offset:436
	buffer_load_dword v126, off, s[0:3], 0 offset:432
	s_waitcnt vmcnt(2)
	v_fmac_f64_e32 v[140:141], v[122:123], v[124:125]
	ds_read_b128 v[122:125], v120 offset:912
	s_waitcnt vmcnt(0) lgkmcnt(0)
	v_fmac_f64_e32 v[140:141], v[126:127], v[122:123]
	buffer_load_dword v123, off, s[0:3], 0 offset:444
	buffer_load_dword v122, off, s[0:3], 0 offset:440
	;; [unrolled: 1-line block ×4, first 2 shown]
	s_waitcnt vmcnt(2)
	v_fmac_f64_e32 v[140:141], v[122:123], v[124:125]
	ds_read_b128 v[122:125], v120 offset:928
	s_waitcnt vmcnt(0) lgkmcnt(0)
	v_fmac_f64_e32 v[140:141], v[126:127], v[122:123]
	buffer_load_dword v123, off, s[0:3], 0 offset:460
	buffer_load_dword v122, off, s[0:3], 0 offset:456
	s_waitcnt vmcnt(0)
	v_fmac_f64_e32 v[140:141], v[122:123], v[124:125]
	buffer_load_dword v123, off, s[0:3], 0 offset:468
	buffer_load_dword v122, off, s[0:3], 0 offset:464
	ds_read_b64 v[124:125], v120 offset:944
	s_waitcnt vmcnt(0) lgkmcnt(0)
	v_fmac_f64_e32 v[140:141], v[122:123], v[124:125]
	v_add_f64 v[122:123], v[138:139], -v[140:141]
	buffer_store_dword v123, off, s[0:3], 0 offset:348
	buffer_store_dword v122, off, s[0:3], 0 offset:344
	s_and_saveexec_b64 s[4:5], vcc
	s_cbranch_execz .LBB58_277
; %bb.276:
	buffer_load_dword v122, off, s[0:3], 0 offset:336
	buffer_load_dword v123, off, s[0:3], 0 offset:340
	s_waitcnt vmcnt(0)
	ds_write_b64 v1, v[122:123]
	buffer_store_dword v120, off, s[0:3], 0 offset:336
	buffer_store_dword v120, off, s[0:3], 0 offset:340
.LBB58_277:
	s_or_b64 exec, exec, s[4:5]
	s_waitcnt lgkmcnt(0)
	; wave barrier
	s_waitcnt lgkmcnt(0)
	buffer_load_dword v126, off, s[0:3], 0 offset:336
	buffer_load_dword v127, off, s[0:3], 0 offset:340
	;; [unrolled: 1-line block ×16, first 2 shown]
	ds_read2_b64 v[122:125], v120 offset0:103 offset1:104
	v_cmp_lt_u32_e32 vcc, 41, v0
	s_waitcnt vmcnt(12) lgkmcnt(0)
	v_fma_f64 v[128:129], v[128:129], v[122:123], 0
	s_waitcnt vmcnt(10)
	v_fmac_f64_e32 v[128:129], v[130:131], v[124:125]
	ds_read2_b64 v[122:125], v120 offset0:105 offset1:106
	s_waitcnt vmcnt(8) lgkmcnt(0)
	v_fmac_f64_e32 v[128:129], v[132:133], v[122:123]
	s_waitcnt vmcnt(6)
	v_fmac_f64_e32 v[128:129], v[134:135], v[124:125]
	ds_read2_b64 v[122:125], v120 offset0:107 offset1:108
	s_waitcnt vmcnt(4) lgkmcnt(0)
	v_fmac_f64_e32 v[128:129], v[136:137], v[122:123]
	;; [unrolled: 5-line block ×3, first 2 shown]
	buffer_load_dword v123, off, s[0:3], 0 offset:404
	buffer_load_dword v122, off, s[0:3], 0 offset:400
	buffer_load_dword v131, off, s[0:3], 0 offset:412
	buffer_load_dword v130, off, s[0:3], 0 offset:408
	s_waitcnt vmcnt(2)
	v_fmac_f64_e32 v[128:129], v[122:123], v[124:125]
	ds_read2_b64 v[122:125], v120 offset0:111 offset1:112
	s_waitcnt vmcnt(0) lgkmcnt(0)
	v_fmac_f64_e32 v[128:129], v[130:131], v[122:123]
	buffer_load_dword v123, off, s[0:3], 0 offset:420
	buffer_load_dword v122, off, s[0:3], 0 offset:416
	buffer_load_dword v131, off, s[0:3], 0 offset:428
	buffer_load_dword v130, off, s[0:3], 0 offset:424
	s_waitcnt vmcnt(2)
	v_fmac_f64_e32 v[128:129], v[122:123], v[124:125]
	ds_read2_b64 v[122:125], v120 offset0:113 offset1:114
	s_waitcnt vmcnt(0) lgkmcnt(0)
	v_fmac_f64_e32 v[128:129], v[130:131], v[122:123]
	;; [unrolled: 9-line block ×3, first 2 shown]
	buffer_load_dword v123, off, s[0:3], 0 offset:452
	buffer_load_dword v122, off, s[0:3], 0 offset:448
	s_waitcnt vmcnt(0)
	v_fmac_f64_e32 v[128:129], v[122:123], v[124:125]
	buffer_load_dword v125, off, s[0:3], 0 offset:460
	buffer_load_dword v124, off, s[0:3], 0 offset:456
	ds_read2_b64 v[120:123], v120 offset0:117 offset1:118
	s_waitcnt vmcnt(0) lgkmcnt(0)
	v_fmac_f64_e32 v[128:129], v[124:125], v[120:121]
	buffer_load_dword v121, off, s[0:3], 0 offset:468
	buffer_load_dword v120, off, s[0:3], 0 offset:464
	s_waitcnt vmcnt(0)
	v_fmac_f64_e32 v[128:129], v[120:121], v[122:123]
	v_add_f64 v[120:121], v[126:127], -v[128:129]
	buffer_store_dword v121, off, s[0:3], 0 offset:340
	buffer_store_dword v120, off, s[0:3], 0 offset:336
	s_and_saveexec_b64 s[4:5], vcc
	s_cbranch_execz .LBB58_279
; %bb.278:
	buffer_load_dword v120, off, s[0:3], 0 offset:328
	buffer_load_dword v121, off, s[0:3], 0 offset:332
	v_mov_b32_e32 v122, 0
	buffer_store_dword v122, off, s[0:3], 0 offset:328
	buffer_store_dword v122, off, s[0:3], 0 offset:332
	s_waitcnt vmcnt(2)
	ds_write_b64 v1, v[120:121]
.LBB58_279:
	s_or_b64 exec, exec, s[4:5]
	s_waitcnt lgkmcnt(0)
	; wave barrier
	s_waitcnt lgkmcnt(0)
	buffer_load_dword v120, off, s[0:3], 0 offset:328
	buffer_load_dword v121, off, s[0:3], 0 offset:332
	;; [unrolled: 1-line block ×16, first 2 shown]
	v_mov_b32_e32 v124, 0
	ds_read_b128 v[126:129], v124 offset:816
	ds_read_b128 v[130:133], v124 offset:832
	;; [unrolled: 1-line block ×4, first 2 shown]
	v_cmp_lt_u32_e32 vcc, 40, v0
	s_waitcnt vmcnt(12) lgkmcnt(3)
	v_fma_f64 v[122:123], v[122:123], v[126:127], 0
	buffer_load_dword v127, off, s[0:3], 0 offset:396
	buffer_load_dword v126, off, s[0:3], 0 offset:392
	s_waitcnt vmcnt(12)
	v_fmac_f64_e32 v[122:123], v[142:143], v[128:129]
	s_waitcnt vmcnt(10) lgkmcnt(2)
	v_fmac_f64_e32 v[122:123], v[144:145], v[130:131]
	buffer_load_dword v131, off, s[0:3], 0 offset:404
	buffer_load_dword v130, off, s[0:3], 0 offset:400
	s_waitcnt vmcnt(10)
	v_fmac_f64_e32 v[122:123], v[146:147], v[132:133]
	s_waitcnt vmcnt(8) lgkmcnt(1)
	v_fmac_f64_e32 v[122:123], v[148:149], v[134:135]
	s_waitcnt vmcnt(6)
	v_fmac_f64_e32 v[122:123], v[150:151], v[136:137]
	s_waitcnt vmcnt(4) lgkmcnt(0)
	v_fmac_f64_e32 v[122:123], v[152:153], v[138:139]
	s_waitcnt vmcnt(2)
	v_fmac_f64_e32 v[122:123], v[126:127], v[140:141]
	ds_read_b128 v[126:129], v124 offset:880
	s_waitcnt vmcnt(0) lgkmcnt(0)
	v_fmac_f64_e32 v[122:123], v[130:131], v[126:127]
	buffer_load_dword v127, off, s[0:3], 0 offset:412
	buffer_load_dword v126, off, s[0:3], 0 offset:408
	buffer_load_dword v131, off, s[0:3], 0 offset:420
	buffer_load_dword v130, off, s[0:3], 0 offset:416
	s_waitcnt vmcnt(2)
	v_fmac_f64_e32 v[122:123], v[126:127], v[128:129]
	ds_read_b128 v[126:129], v124 offset:896
	s_waitcnt vmcnt(0) lgkmcnt(0)
	v_fmac_f64_e32 v[122:123], v[130:131], v[126:127]
	buffer_load_dword v127, off, s[0:3], 0 offset:428
	buffer_load_dword v126, off, s[0:3], 0 offset:424
	buffer_load_dword v131, off, s[0:3], 0 offset:436
	buffer_load_dword v130, off, s[0:3], 0 offset:432
	;; [unrolled: 9-line block ×3, first 2 shown]
	s_waitcnt vmcnt(2)
	v_fmac_f64_e32 v[122:123], v[126:127], v[128:129]
	ds_read_b128 v[126:129], v124 offset:928
	s_waitcnt vmcnt(0) lgkmcnt(0)
	v_fmac_f64_e32 v[122:123], v[130:131], v[126:127]
	buffer_load_dword v127, off, s[0:3], 0 offset:460
	buffer_load_dword v126, off, s[0:3], 0 offset:456
	s_waitcnt vmcnt(0)
	v_fmac_f64_e32 v[122:123], v[126:127], v[128:129]
	buffer_load_dword v127, off, s[0:3], 0 offset:468
	buffer_load_dword v126, off, s[0:3], 0 offset:464
	ds_read_b64 v[128:129], v124 offset:944
	s_waitcnt vmcnt(0) lgkmcnt(0)
	v_fmac_f64_e32 v[122:123], v[126:127], v[128:129]
	v_add_f64 v[120:121], v[120:121], -v[122:123]
	buffer_store_dword v121, off, s[0:3], 0 offset:332
	buffer_store_dword v120, off, s[0:3], 0 offset:328
	s_and_saveexec_b64 s[4:5], vcc
	s_cbranch_execz .LBB58_281
; %bb.280:
	buffer_load_dword v120, off, s[0:3], 0 offset:320
	buffer_load_dword v121, off, s[0:3], 0 offset:324
	s_waitcnt vmcnt(0)
	ds_write_b64 v1, v[120:121]
	buffer_store_dword v124, off, s[0:3], 0 offset:320
	buffer_store_dword v124, off, s[0:3], 0 offset:324
.LBB58_281:
	s_or_b64 exec, exec, s[4:5]
	s_waitcnt lgkmcnt(0)
	; wave barrier
	s_waitcnt lgkmcnt(0)
	buffer_load_dword v120, off, s[0:3], 0 offset:320
	buffer_load_dword v121, off, s[0:3], 0 offset:324
	buffer_load_dword v122, off, s[0:3], 0 offset:328
	buffer_load_dword v123, off, s[0:3], 0 offset:332
	buffer_load_dword v130, off, s[0:3], 0 offset:336
	buffer_load_dword v131, off, s[0:3], 0 offset:340
	buffer_load_dword v132, off, s[0:3], 0 offset:344
	buffer_load_dword v133, off, s[0:3], 0 offset:348
	buffer_load_dword v134, off, s[0:3], 0 offset:352
	buffer_load_dword v135, off, s[0:3], 0 offset:356
	buffer_load_dword v136, off, s[0:3], 0 offset:360
	buffer_load_dword v137, off, s[0:3], 0 offset:364
	buffer_load_dword v138, off, s[0:3], 0 offset:368
	buffer_load_dword v139, off, s[0:3], 0 offset:372
	buffer_load_dword v140, off, s[0:3], 0 offset:376
	buffer_load_dword v141, off, s[0:3], 0 offset:380
	ds_read2_b64 v[126:129], v124 offset0:101 offset1:102
	v_cmp_lt_u32_e32 vcc, 39, v0
	s_waitcnt vmcnt(12) lgkmcnt(0)
	v_fma_f64 v[122:123], v[122:123], v[126:127], 0
	s_waitcnt vmcnt(10)
	v_fmac_f64_e32 v[122:123], v[130:131], v[128:129]
	ds_read2_b64 v[126:129], v124 offset0:103 offset1:104
	s_waitcnt vmcnt(8) lgkmcnt(0)
	v_fmac_f64_e32 v[122:123], v[132:133], v[126:127]
	s_waitcnt vmcnt(6)
	v_fmac_f64_e32 v[122:123], v[134:135], v[128:129]
	ds_read2_b64 v[126:129], v124 offset0:105 offset1:106
	s_waitcnt vmcnt(4) lgkmcnt(0)
	v_fmac_f64_e32 v[122:123], v[136:137], v[126:127]
	;; [unrolled: 5-line block ×3, first 2 shown]
	buffer_load_dword v127, off, s[0:3], 0 offset:388
	buffer_load_dword v126, off, s[0:3], 0 offset:384
	buffer_load_dword v131, off, s[0:3], 0 offset:396
	buffer_load_dword v130, off, s[0:3], 0 offset:392
	s_waitcnt vmcnt(2)
	v_fmac_f64_e32 v[122:123], v[126:127], v[128:129]
	ds_read2_b64 v[126:129], v124 offset0:109 offset1:110
	s_waitcnt vmcnt(0) lgkmcnt(0)
	v_fmac_f64_e32 v[122:123], v[130:131], v[126:127]
	buffer_load_dword v127, off, s[0:3], 0 offset:404
	buffer_load_dword v126, off, s[0:3], 0 offset:400
	buffer_load_dword v131, off, s[0:3], 0 offset:412
	buffer_load_dword v130, off, s[0:3], 0 offset:408
	s_waitcnt vmcnt(2)
	v_fmac_f64_e32 v[122:123], v[126:127], v[128:129]
	ds_read2_b64 v[126:129], v124 offset0:111 offset1:112
	s_waitcnt vmcnt(0) lgkmcnt(0)
	v_fmac_f64_e32 v[122:123], v[130:131], v[126:127]
	;; [unrolled: 9-line block ×4, first 2 shown]
	buffer_load_dword v127, off, s[0:3], 0 offset:452
	buffer_load_dword v126, off, s[0:3], 0 offset:448
	s_waitcnt vmcnt(0)
	v_fmac_f64_e32 v[122:123], v[126:127], v[128:129]
	buffer_load_dword v129, off, s[0:3], 0 offset:460
	buffer_load_dword v128, off, s[0:3], 0 offset:456
	ds_read2_b64 v[124:127], v124 offset0:117 offset1:118
	s_waitcnt vmcnt(0) lgkmcnt(0)
	v_fmac_f64_e32 v[122:123], v[128:129], v[124:125]
	buffer_load_dword v125, off, s[0:3], 0 offset:468
	buffer_load_dword v124, off, s[0:3], 0 offset:464
	s_waitcnt vmcnt(0)
	v_fmac_f64_e32 v[122:123], v[124:125], v[126:127]
	v_add_f64 v[120:121], v[120:121], -v[122:123]
	buffer_store_dword v121, off, s[0:3], 0 offset:324
	buffer_store_dword v120, off, s[0:3], 0 offset:320
	s_and_saveexec_b64 s[4:5], vcc
	s_cbranch_execz .LBB58_283
; %bb.282:
	buffer_load_dword v120, off, s[0:3], 0 offset:312
	buffer_load_dword v121, off, s[0:3], 0 offset:316
	v_mov_b32_e32 v122, 0
	buffer_store_dword v122, off, s[0:3], 0 offset:312
	buffer_store_dword v122, off, s[0:3], 0 offset:316
	s_waitcnt vmcnt(2)
	ds_write_b64 v1, v[120:121]
.LBB58_283:
	s_or_b64 exec, exec, s[4:5]
	s_waitcnt lgkmcnt(0)
	; wave barrier
	s_waitcnt lgkmcnt(0)
	buffer_load_dword v120, off, s[0:3], 0 offset:312
	buffer_load_dword v121, off, s[0:3], 0 offset:316
	;; [unrolled: 1-line block ×16, first 2 shown]
	v_mov_b32_e32 v124, 0
	ds_read_b128 v[126:129], v124 offset:800
	ds_read_b128 v[130:133], v124 offset:816
	;; [unrolled: 1-line block ×4, first 2 shown]
	v_cmp_lt_u32_e32 vcc, 38, v0
	s_waitcnt vmcnt(12) lgkmcnt(3)
	v_fma_f64 v[122:123], v[122:123], v[126:127], 0
	buffer_load_dword v127, off, s[0:3], 0 offset:380
	buffer_load_dword v126, off, s[0:3], 0 offset:376
	s_waitcnt vmcnt(12)
	v_fmac_f64_e32 v[122:123], v[142:143], v[128:129]
	s_waitcnt vmcnt(10) lgkmcnt(2)
	v_fmac_f64_e32 v[122:123], v[144:145], v[130:131]
	buffer_load_dword v131, off, s[0:3], 0 offset:388
	buffer_load_dword v130, off, s[0:3], 0 offset:384
	s_waitcnt vmcnt(10)
	v_fmac_f64_e32 v[122:123], v[146:147], v[132:133]
	s_waitcnt vmcnt(8) lgkmcnt(1)
	v_fmac_f64_e32 v[122:123], v[148:149], v[134:135]
	s_waitcnt vmcnt(6)
	v_fmac_f64_e32 v[122:123], v[150:151], v[136:137]
	s_waitcnt vmcnt(4) lgkmcnt(0)
	v_fmac_f64_e32 v[122:123], v[152:153], v[138:139]
	s_waitcnt vmcnt(2)
	v_fmac_f64_e32 v[122:123], v[126:127], v[140:141]
	ds_read_b128 v[126:129], v124 offset:864
	s_waitcnt vmcnt(0) lgkmcnt(0)
	v_fmac_f64_e32 v[122:123], v[130:131], v[126:127]
	buffer_load_dword v127, off, s[0:3], 0 offset:396
	buffer_load_dword v126, off, s[0:3], 0 offset:392
	buffer_load_dword v131, off, s[0:3], 0 offset:404
	buffer_load_dword v130, off, s[0:3], 0 offset:400
	s_waitcnt vmcnt(2)
	v_fmac_f64_e32 v[122:123], v[126:127], v[128:129]
	ds_read_b128 v[126:129], v124 offset:880
	s_waitcnt vmcnt(0) lgkmcnt(0)
	v_fmac_f64_e32 v[122:123], v[130:131], v[126:127]
	buffer_load_dword v127, off, s[0:3], 0 offset:412
	buffer_load_dword v126, off, s[0:3], 0 offset:408
	buffer_load_dword v131, off, s[0:3], 0 offset:420
	buffer_load_dword v130, off, s[0:3], 0 offset:416
	s_waitcnt vmcnt(2)
	v_fmac_f64_e32 v[122:123], v[126:127], v[128:129]
	ds_read_b128 v[126:129], v124 offset:896
	s_waitcnt vmcnt(0) lgkmcnt(0)
	v_fmac_f64_e32 v[122:123], v[130:131], v[126:127]
	buffer_load_dword v127, off, s[0:3], 0 offset:428
	buffer_load_dword v126, off, s[0:3], 0 offset:424
	buffer_load_dword v131, off, s[0:3], 0 offset:436
	buffer_load_dword v130, off, s[0:3], 0 offset:432
	s_waitcnt vmcnt(2)
	v_fmac_f64_e32 v[122:123], v[126:127], v[128:129]
	ds_read_b128 v[126:129], v124 offset:912
	s_waitcnt vmcnt(0) lgkmcnt(0)
	v_fmac_f64_e32 v[122:123], v[130:131], v[126:127]
	buffer_load_dword v127, off, s[0:3], 0 offset:444
	buffer_load_dword v126, off, s[0:3], 0 offset:440
	buffer_load_dword v131, off, s[0:3], 0 offset:452
	buffer_load_dword v130, off, s[0:3], 0 offset:448
	s_waitcnt vmcnt(2)
	v_fmac_f64_e32 v[122:123], v[126:127], v[128:129]
	ds_read_b128 v[126:129], v124 offset:928
	s_waitcnt vmcnt(0) lgkmcnt(0)
	v_fmac_f64_e32 v[122:123], v[130:131], v[126:127]
	buffer_load_dword v127, off, s[0:3], 0 offset:460
	buffer_load_dword v126, off, s[0:3], 0 offset:456
	s_waitcnt vmcnt(0)
	v_fmac_f64_e32 v[122:123], v[126:127], v[128:129]
	buffer_load_dword v127, off, s[0:3], 0 offset:468
	buffer_load_dword v126, off, s[0:3], 0 offset:464
	ds_read_b64 v[128:129], v124 offset:944
	s_waitcnt vmcnt(0) lgkmcnt(0)
	v_fmac_f64_e32 v[122:123], v[126:127], v[128:129]
	v_add_f64 v[120:121], v[120:121], -v[122:123]
	buffer_store_dword v121, off, s[0:3], 0 offset:316
	buffer_store_dword v120, off, s[0:3], 0 offset:312
	s_and_saveexec_b64 s[4:5], vcc
	s_cbranch_execz .LBB58_285
; %bb.284:
	buffer_load_dword v120, off, s[0:3], 0 offset:304
	buffer_load_dword v121, off, s[0:3], 0 offset:308
	s_waitcnt vmcnt(0)
	ds_write_b64 v1, v[120:121]
	buffer_store_dword v124, off, s[0:3], 0 offset:304
	buffer_store_dword v124, off, s[0:3], 0 offset:308
.LBB58_285:
	s_or_b64 exec, exec, s[4:5]
	s_waitcnt lgkmcnt(0)
	; wave barrier
	s_waitcnt lgkmcnt(0)
	buffer_load_dword v120, off, s[0:3], 0 offset:304
	buffer_load_dword v121, off, s[0:3], 0 offset:308
	;; [unrolled: 1-line block ×16, first 2 shown]
	ds_read2_b64 v[126:129], v124 offset0:99 offset1:100
	v_cmp_lt_u32_e32 vcc, 37, v0
	s_waitcnt vmcnt(12) lgkmcnt(0)
	v_fma_f64 v[122:123], v[122:123], v[126:127], 0
	s_waitcnt vmcnt(10)
	v_fmac_f64_e32 v[122:123], v[130:131], v[128:129]
	ds_read2_b64 v[126:129], v124 offset0:101 offset1:102
	s_waitcnt vmcnt(8) lgkmcnt(0)
	v_fmac_f64_e32 v[122:123], v[132:133], v[126:127]
	s_waitcnt vmcnt(6)
	v_fmac_f64_e32 v[122:123], v[134:135], v[128:129]
	ds_read2_b64 v[126:129], v124 offset0:103 offset1:104
	s_waitcnt vmcnt(4) lgkmcnt(0)
	v_fmac_f64_e32 v[122:123], v[136:137], v[126:127]
	;; [unrolled: 5-line block ×3, first 2 shown]
	buffer_load_dword v127, off, s[0:3], 0 offset:372
	buffer_load_dword v126, off, s[0:3], 0 offset:368
	buffer_load_dword v131, off, s[0:3], 0 offset:380
	buffer_load_dword v130, off, s[0:3], 0 offset:376
	s_waitcnt vmcnt(2)
	v_fmac_f64_e32 v[122:123], v[126:127], v[128:129]
	ds_read2_b64 v[126:129], v124 offset0:107 offset1:108
	s_waitcnt vmcnt(0) lgkmcnt(0)
	v_fmac_f64_e32 v[122:123], v[130:131], v[126:127]
	buffer_load_dword v127, off, s[0:3], 0 offset:388
	buffer_load_dword v126, off, s[0:3], 0 offset:384
	buffer_load_dword v131, off, s[0:3], 0 offset:396
	buffer_load_dword v130, off, s[0:3], 0 offset:392
	s_waitcnt vmcnt(2)
	v_fmac_f64_e32 v[122:123], v[126:127], v[128:129]
	ds_read2_b64 v[126:129], v124 offset0:109 offset1:110
	s_waitcnt vmcnt(0) lgkmcnt(0)
	v_fmac_f64_e32 v[122:123], v[130:131], v[126:127]
	;; [unrolled: 9-line block ×5, first 2 shown]
	buffer_load_dword v127, off, s[0:3], 0 offset:452
	buffer_load_dword v126, off, s[0:3], 0 offset:448
	s_waitcnt vmcnt(0)
	v_fmac_f64_e32 v[122:123], v[126:127], v[128:129]
	buffer_load_dword v129, off, s[0:3], 0 offset:460
	buffer_load_dword v128, off, s[0:3], 0 offset:456
	ds_read2_b64 v[124:127], v124 offset0:117 offset1:118
	s_waitcnt vmcnt(0) lgkmcnt(0)
	v_fmac_f64_e32 v[122:123], v[128:129], v[124:125]
	buffer_load_dword v125, off, s[0:3], 0 offset:468
	buffer_load_dword v124, off, s[0:3], 0 offset:464
	s_waitcnt vmcnt(0)
	v_fmac_f64_e32 v[122:123], v[124:125], v[126:127]
	v_add_f64 v[120:121], v[120:121], -v[122:123]
	buffer_store_dword v121, off, s[0:3], 0 offset:308
	buffer_store_dword v120, off, s[0:3], 0 offset:304
	s_and_saveexec_b64 s[4:5], vcc
	s_cbranch_execz .LBB58_287
; %bb.286:
	buffer_load_dword v120, off, s[0:3], 0 offset:296
	buffer_load_dword v121, off, s[0:3], 0 offset:300
	v_mov_b32_e32 v122, 0
	buffer_store_dword v122, off, s[0:3], 0 offset:296
	buffer_store_dword v122, off, s[0:3], 0 offset:300
	s_waitcnt vmcnt(2)
	ds_write_b64 v1, v[120:121]
.LBB58_287:
	s_or_b64 exec, exec, s[4:5]
	s_waitcnt lgkmcnt(0)
	; wave barrier
	s_waitcnt lgkmcnt(0)
	buffer_load_dword v120, off, s[0:3], 0 offset:296
	buffer_load_dword v121, off, s[0:3], 0 offset:300
	buffer_load_dword v122, off, s[0:3], 0 offset:304
	buffer_load_dword v123, off, s[0:3], 0 offset:308
	buffer_load_dword v142, off, s[0:3], 0 offset:312
	buffer_load_dword v143, off, s[0:3], 0 offset:316
	buffer_load_dword v144, off, s[0:3], 0 offset:320
	buffer_load_dword v145, off, s[0:3], 0 offset:324
	buffer_load_dword v146, off, s[0:3], 0 offset:328
	buffer_load_dword v147, off, s[0:3], 0 offset:332
	buffer_load_dword v148, off, s[0:3], 0 offset:336
	buffer_load_dword v149, off, s[0:3], 0 offset:340
	buffer_load_dword v150, off, s[0:3], 0 offset:344
	buffer_load_dword v151, off, s[0:3], 0 offset:348
	buffer_load_dword v152, off, s[0:3], 0 offset:352
	buffer_load_dword v153, off, s[0:3], 0 offset:356
	v_mov_b32_e32 v124, 0
	ds_read_b128 v[126:129], v124 offset:784
	ds_read_b128 v[130:133], v124 offset:800
	;; [unrolled: 1-line block ×4, first 2 shown]
	v_cmp_lt_u32_e32 vcc, 36, v0
	s_waitcnt vmcnt(12) lgkmcnt(3)
	v_fma_f64 v[122:123], v[122:123], v[126:127], 0
	buffer_load_dword v127, off, s[0:3], 0 offset:364
	buffer_load_dword v126, off, s[0:3], 0 offset:360
	s_waitcnt vmcnt(12)
	v_fmac_f64_e32 v[122:123], v[142:143], v[128:129]
	s_waitcnt vmcnt(10) lgkmcnt(2)
	v_fmac_f64_e32 v[122:123], v[144:145], v[130:131]
	buffer_load_dword v131, off, s[0:3], 0 offset:372
	buffer_load_dword v130, off, s[0:3], 0 offset:368
	s_waitcnt vmcnt(10)
	v_fmac_f64_e32 v[122:123], v[146:147], v[132:133]
	s_waitcnt vmcnt(8) lgkmcnt(1)
	v_fmac_f64_e32 v[122:123], v[148:149], v[134:135]
	s_waitcnt vmcnt(6)
	v_fmac_f64_e32 v[122:123], v[150:151], v[136:137]
	s_waitcnt vmcnt(4) lgkmcnt(0)
	v_fmac_f64_e32 v[122:123], v[152:153], v[138:139]
	s_waitcnt vmcnt(2)
	v_fmac_f64_e32 v[122:123], v[126:127], v[140:141]
	ds_read_b128 v[126:129], v124 offset:848
	s_waitcnt vmcnt(0) lgkmcnt(0)
	v_fmac_f64_e32 v[122:123], v[130:131], v[126:127]
	buffer_load_dword v127, off, s[0:3], 0 offset:380
	buffer_load_dword v126, off, s[0:3], 0 offset:376
	buffer_load_dword v131, off, s[0:3], 0 offset:388
	buffer_load_dword v130, off, s[0:3], 0 offset:384
	s_waitcnt vmcnt(2)
	v_fmac_f64_e32 v[122:123], v[126:127], v[128:129]
	ds_read_b128 v[126:129], v124 offset:864
	s_waitcnt vmcnt(0) lgkmcnt(0)
	v_fmac_f64_e32 v[122:123], v[130:131], v[126:127]
	buffer_load_dword v127, off, s[0:3], 0 offset:396
	buffer_load_dword v126, off, s[0:3], 0 offset:392
	buffer_load_dword v131, off, s[0:3], 0 offset:404
	buffer_load_dword v130, off, s[0:3], 0 offset:400
	;; [unrolled: 9-line block ×5, first 2 shown]
	s_waitcnt vmcnt(2)
	v_fmac_f64_e32 v[122:123], v[126:127], v[128:129]
	ds_read_b128 v[126:129], v124 offset:928
	s_waitcnt vmcnt(0) lgkmcnt(0)
	v_fmac_f64_e32 v[122:123], v[130:131], v[126:127]
	buffer_load_dword v127, off, s[0:3], 0 offset:460
	buffer_load_dword v126, off, s[0:3], 0 offset:456
	s_waitcnt vmcnt(0)
	v_fmac_f64_e32 v[122:123], v[126:127], v[128:129]
	buffer_load_dword v127, off, s[0:3], 0 offset:468
	buffer_load_dword v126, off, s[0:3], 0 offset:464
	ds_read_b64 v[128:129], v124 offset:944
	s_waitcnt vmcnt(0) lgkmcnt(0)
	v_fmac_f64_e32 v[122:123], v[126:127], v[128:129]
	v_add_f64 v[120:121], v[120:121], -v[122:123]
	buffer_store_dword v121, off, s[0:3], 0 offset:300
	buffer_store_dword v120, off, s[0:3], 0 offset:296
	s_and_saveexec_b64 s[4:5], vcc
	s_cbranch_execz .LBB58_289
; %bb.288:
	buffer_load_dword v120, off, s[0:3], 0 offset:288
	buffer_load_dword v121, off, s[0:3], 0 offset:292
	s_waitcnt vmcnt(0)
	ds_write_b64 v1, v[120:121]
	buffer_store_dword v124, off, s[0:3], 0 offset:288
	buffer_store_dword v124, off, s[0:3], 0 offset:292
.LBB58_289:
	s_or_b64 exec, exec, s[4:5]
	s_waitcnt lgkmcnt(0)
	; wave barrier
	s_waitcnt lgkmcnt(0)
	buffer_load_dword v120, off, s[0:3], 0 offset:288
	buffer_load_dword v121, off, s[0:3], 0 offset:292
	;; [unrolled: 1-line block ×16, first 2 shown]
	ds_read2_b64 v[126:129], v124 offset0:97 offset1:98
	v_cmp_lt_u32_e32 vcc, 35, v0
	s_waitcnt vmcnt(12) lgkmcnt(0)
	v_fma_f64 v[122:123], v[122:123], v[126:127], 0
	s_waitcnt vmcnt(10)
	v_fmac_f64_e32 v[122:123], v[130:131], v[128:129]
	ds_read2_b64 v[126:129], v124 offset0:99 offset1:100
	s_waitcnt vmcnt(8) lgkmcnt(0)
	v_fmac_f64_e32 v[122:123], v[132:133], v[126:127]
	s_waitcnt vmcnt(6)
	v_fmac_f64_e32 v[122:123], v[134:135], v[128:129]
	ds_read2_b64 v[126:129], v124 offset0:101 offset1:102
	s_waitcnt vmcnt(4) lgkmcnt(0)
	v_fmac_f64_e32 v[122:123], v[136:137], v[126:127]
	s_waitcnt vmcnt(2)
	v_fmac_f64_e32 v[122:123], v[138:139], v[128:129]
	ds_read2_b64 v[126:129], v124 offset0:103 offset1:104
	s_waitcnt vmcnt(0) lgkmcnt(0)
	v_fmac_f64_e32 v[122:123], v[140:141], v[126:127]
	buffer_load_dword v127, off, s[0:3], 0 offset:356
	buffer_load_dword v126, off, s[0:3], 0 offset:352
	buffer_load_dword v131, off, s[0:3], 0 offset:364
	buffer_load_dword v130, off, s[0:3], 0 offset:360
	s_waitcnt vmcnt(2)
	v_fmac_f64_e32 v[122:123], v[126:127], v[128:129]
	ds_read2_b64 v[126:129], v124 offset0:105 offset1:106
	s_waitcnt vmcnt(0) lgkmcnt(0)
	v_fmac_f64_e32 v[122:123], v[130:131], v[126:127]
	buffer_load_dword v127, off, s[0:3], 0 offset:372
	buffer_load_dword v126, off, s[0:3], 0 offset:368
	buffer_load_dword v131, off, s[0:3], 0 offset:380
	buffer_load_dword v130, off, s[0:3], 0 offset:376
	s_waitcnt vmcnt(2)
	v_fmac_f64_e32 v[122:123], v[126:127], v[128:129]
	ds_read2_b64 v[126:129], v124 offset0:107 offset1:108
	s_waitcnt vmcnt(0) lgkmcnt(0)
	v_fmac_f64_e32 v[122:123], v[130:131], v[126:127]
	;; [unrolled: 9-line block ×6, first 2 shown]
	buffer_load_dword v127, off, s[0:3], 0 offset:452
	buffer_load_dword v126, off, s[0:3], 0 offset:448
	s_waitcnt vmcnt(0)
	v_fmac_f64_e32 v[122:123], v[126:127], v[128:129]
	buffer_load_dword v129, off, s[0:3], 0 offset:460
	buffer_load_dword v128, off, s[0:3], 0 offset:456
	ds_read2_b64 v[124:127], v124 offset0:117 offset1:118
	s_waitcnt vmcnt(0) lgkmcnt(0)
	v_fmac_f64_e32 v[122:123], v[128:129], v[124:125]
	buffer_load_dword v125, off, s[0:3], 0 offset:468
	buffer_load_dword v124, off, s[0:3], 0 offset:464
	s_waitcnt vmcnt(0)
	v_fmac_f64_e32 v[122:123], v[124:125], v[126:127]
	v_add_f64 v[120:121], v[120:121], -v[122:123]
	buffer_store_dword v121, off, s[0:3], 0 offset:292
	buffer_store_dword v120, off, s[0:3], 0 offset:288
	s_and_saveexec_b64 s[4:5], vcc
	s_cbranch_execz .LBB58_291
; %bb.290:
	buffer_load_dword v120, off, s[0:3], 0 offset:280
	buffer_load_dword v121, off, s[0:3], 0 offset:284
	v_mov_b32_e32 v122, 0
	buffer_store_dword v122, off, s[0:3], 0 offset:280
	buffer_store_dword v122, off, s[0:3], 0 offset:284
	s_waitcnt vmcnt(2)
	ds_write_b64 v1, v[120:121]
.LBB58_291:
	s_or_b64 exec, exec, s[4:5]
	s_waitcnt lgkmcnt(0)
	; wave barrier
	s_waitcnt lgkmcnt(0)
	buffer_load_dword v120, off, s[0:3], 0 offset:280
	buffer_load_dword v121, off, s[0:3], 0 offset:284
	;; [unrolled: 1-line block ×16, first 2 shown]
	v_mov_b32_e32 v124, 0
	ds_read_b128 v[126:129], v124 offset:768
	ds_read_b128 v[130:133], v124 offset:784
	;; [unrolled: 1-line block ×4, first 2 shown]
	v_cmp_lt_u32_e32 vcc, 34, v0
	s_waitcnt vmcnt(12) lgkmcnt(3)
	v_fma_f64 v[122:123], v[122:123], v[126:127], 0
	buffer_load_dword v127, off, s[0:3], 0 offset:348
	buffer_load_dword v126, off, s[0:3], 0 offset:344
	s_waitcnt vmcnt(12)
	v_fmac_f64_e32 v[122:123], v[142:143], v[128:129]
	s_waitcnt vmcnt(10) lgkmcnt(2)
	v_fmac_f64_e32 v[122:123], v[144:145], v[130:131]
	buffer_load_dword v131, off, s[0:3], 0 offset:356
	buffer_load_dword v130, off, s[0:3], 0 offset:352
	s_waitcnt vmcnt(10)
	v_fmac_f64_e32 v[122:123], v[146:147], v[132:133]
	s_waitcnt vmcnt(8) lgkmcnt(1)
	v_fmac_f64_e32 v[122:123], v[148:149], v[134:135]
	s_waitcnt vmcnt(6)
	v_fmac_f64_e32 v[122:123], v[150:151], v[136:137]
	s_waitcnt vmcnt(4) lgkmcnt(0)
	v_fmac_f64_e32 v[122:123], v[152:153], v[138:139]
	s_waitcnt vmcnt(2)
	v_fmac_f64_e32 v[122:123], v[126:127], v[140:141]
	ds_read_b128 v[126:129], v124 offset:832
	s_waitcnt vmcnt(0) lgkmcnt(0)
	v_fmac_f64_e32 v[122:123], v[130:131], v[126:127]
	buffer_load_dword v127, off, s[0:3], 0 offset:364
	buffer_load_dword v126, off, s[0:3], 0 offset:360
	buffer_load_dword v131, off, s[0:3], 0 offset:372
	buffer_load_dword v130, off, s[0:3], 0 offset:368
	s_waitcnt vmcnt(2)
	v_fmac_f64_e32 v[122:123], v[126:127], v[128:129]
	ds_read_b128 v[126:129], v124 offset:848
	s_waitcnt vmcnt(0) lgkmcnt(0)
	v_fmac_f64_e32 v[122:123], v[130:131], v[126:127]
	buffer_load_dword v127, off, s[0:3], 0 offset:380
	buffer_load_dword v126, off, s[0:3], 0 offset:376
	buffer_load_dword v131, off, s[0:3], 0 offset:388
	buffer_load_dword v130, off, s[0:3], 0 offset:384
	;; [unrolled: 9-line block ×6, first 2 shown]
	s_waitcnt vmcnt(2)
	v_fmac_f64_e32 v[122:123], v[126:127], v[128:129]
	ds_read_b128 v[126:129], v124 offset:928
	s_waitcnt vmcnt(0) lgkmcnt(0)
	v_fmac_f64_e32 v[122:123], v[130:131], v[126:127]
	buffer_load_dword v127, off, s[0:3], 0 offset:460
	buffer_load_dword v126, off, s[0:3], 0 offset:456
	s_waitcnt vmcnt(0)
	v_fmac_f64_e32 v[122:123], v[126:127], v[128:129]
	buffer_load_dword v127, off, s[0:3], 0 offset:468
	buffer_load_dword v126, off, s[0:3], 0 offset:464
	ds_read_b64 v[128:129], v124 offset:944
	s_waitcnt vmcnt(0) lgkmcnt(0)
	v_fmac_f64_e32 v[122:123], v[126:127], v[128:129]
	v_add_f64 v[120:121], v[120:121], -v[122:123]
	buffer_store_dword v121, off, s[0:3], 0 offset:284
	buffer_store_dword v120, off, s[0:3], 0 offset:280
	s_and_saveexec_b64 s[4:5], vcc
	s_cbranch_execz .LBB58_293
; %bb.292:
	buffer_load_dword v120, off, s[0:3], 0 offset:272
	buffer_load_dword v121, off, s[0:3], 0 offset:276
	s_waitcnt vmcnt(0)
	ds_write_b64 v1, v[120:121]
	buffer_store_dword v124, off, s[0:3], 0 offset:272
	buffer_store_dword v124, off, s[0:3], 0 offset:276
.LBB58_293:
	s_or_b64 exec, exec, s[4:5]
	s_waitcnt lgkmcnt(0)
	; wave barrier
	s_waitcnt lgkmcnt(0)
	buffer_load_dword v120, off, s[0:3], 0 offset:272
	buffer_load_dword v121, off, s[0:3], 0 offset:276
	;; [unrolled: 1-line block ×16, first 2 shown]
	ds_read2_b64 v[126:129], v124 offset0:95 offset1:96
	v_cmp_lt_u32_e32 vcc, 33, v0
	s_waitcnt vmcnt(12) lgkmcnt(0)
	v_fma_f64 v[122:123], v[122:123], v[126:127], 0
	s_waitcnt vmcnt(10)
	v_fmac_f64_e32 v[122:123], v[130:131], v[128:129]
	ds_read2_b64 v[126:129], v124 offset0:97 offset1:98
	s_waitcnt vmcnt(8) lgkmcnt(0)
	v_fmac_f64_e32 v[122:123], v[132:133], v[126:127]
	s_waitcnt vmcnt(6)
	v_fmac_f64_e32 v[122:123], v[134:135], v[128:129]
	ds_read2_b64 v[126:129], v124 offset0:99 offset1:100
	s_waitcnt vmcnt(4) lgkmcnt(0)
	v_fmac_f64_e32 v[122:123], v[136:137], v[126:127]
	;; [unrolled: 5-line block ×3, first 2 shown]
	buffer_load_dword v127, off, s[0:3], 0 offset:340
	buffer_load_dword v126, off, s[0:3], 0 offset:336
	buffer_load_dword v131, off, s[0:3], 0 offset:348
	buffer_load_dword v130, off, s[0:3], 0 offset:344
	s_waitcnt vmcnt(2)
	v_fmac_f64_e32 v[122:123], v[126:127], v[128:129]
	ds_read2_b64 v[126:129], v124 offset0:103 offset1:104
	s_waitcnt vmcnt(0) lgkmcnt(0)
	v_fmac_f64_e32 v[122:123], v[130:131], v[126:127]
	buffer_load_dword v127, off, s[0:3], 0 offset:356
	buffer_load_dword v126, off, s[0:3], 0 offset:352
	buffer_load_dword v131, off, s[0:3], 0 offset:364
	buffer_load_dword v130, off, s[0:3], 0 offset:360
	s_waitcnt vmcnt(2)
	v_fmac_f64_e32 v[122:123], v[126:127], v[128:129]
	ds_read2_b64 v[126:129], v124 offset0:105 offset1:106
	s_waitcnt vmcnt(0) lgkmcnt(0)
	v_fmac_f64_e32 v[122:123], v[130:131], v[126:127]
	;; [unrolled: 9-line block ×7, first 2 shown]
	buffer_load_dword v127, off, s[0:3], 0 offset:452
	buffer_load_dword v126, off, s[0:3], 0 offset:448
	s_waitcnt vmcnt(0)
	v_fmac_f64_e32 v[122:123], v[126:127], v[128:129]
	buffer_load_dword v129, off, s[0:3], 0 offset:460
	buffer_load_dword v128, off, s[0:3], 0 offset:456
	ds_read2_b64 v[124:127], v124 offset0:117 offset1:118
	s_waitcnt vmcnt(0) lgkmcnt(0)
	v_fmac_f64_e32 v[122:123], v[128:129], v[124:125]
	buffer_load_dword v125, off, s[0:3], 0 offset:468
	buffer_load_dword v124, off, s[0:3], 0 offset:464
	s_waitcnt vmcnt(0)
	v_fmac_f64_e32 v[122:123], v[124:125], v[126:127]
	v_add_f64 v[120:121], v[120:121], -v[122:123]
	buffer_store_dword v121, off, s[0:3], 0 offset:276
	buffer_store_dword v120, off, s[0:3], 0 offset:272
	s_and_saveexec_b64 s[4:5], vcc
	s_cbranch_execz .LBB58_295
; %bb.294:
	buffer_load_dword v120, off, s[0:3], 0 offset:264
	buffer_load_dword v121, off, s[0:3], 0 offset:268
	v_mov_b32_e32 v122, 0
	buffer_store_dword v122, off, s[0:3], 0 offset:264
	buffer_store_dword v122, off, s[0:3], 0 offset:268
	s_waitcnt vmcnt(2)
	ds_write_b64 v1, v[120:121]
.LBB58_295:
	s_or_b64 exec, exec, s[4:5]
	s_waitcnt lgkmcnt(0)
	; wave barrier
	s_waitcnt lgkmcnt(0)
	buffer_load_dword v120, off, s[0:3], 0 offset:264
	buffer_load_dword v121, off, s[0:3], 0 offset:268
	;; [unrolled: 1-line block ×16, first 2 shown]
	v_mov_b32_e32 v124, 0
	ds_read_b128 v[126:129], v124 offset:752
	ds_read_b128 v[130:133], v124 offset:768
	;; [unrolled: 1-line block ×4, first 2 shown]
	v_cmp_lt_u32_e32 vcc, 32, v0
	s_waitcnt vmcnt(12) lgkmcnt(3)
	v_fma_f64 v[122:123], v[122:123], v[126:127], 0
	buffer_load_dword v127, off, s[0:3], 0 offset:332
	buffer_load_dword v126, off, s[0:3], 0 offset:328
	s_waitcnt vmcnt(12)
	v_fmac_f64_e32 v[122:123], v[142:143], v[128:129]
	s_waitcnt vmcnt(10) lgkmcnt(2)
	v_fmac_f64_e32 v[122:123], v[144:145], v[130:131]
	buffer_load_dword v131, off, s[0:3], 0 offset:340
	buffer_load_dword v130, off, s[0:3], 0 offset:336
	s_waitcnt vmcnt(10)
	v_fmac_f64_e32 v[122:123], v[146:147], v[132:133]
	s_waitcnt vmcnt(8) lgkmcnt(1)
	v_fmac_f64_e32 v[122:123], v[148:149], v[134:135]
	s_waitcnt vmcnt(6)
	v_fmac_f64_e32 v[122:123], v[150:151], v[136:137]
	s_waitcnt vmcnt(4) lgkmcnt(0)
	v_fmac_f64_e32 v[122:123], v[152:153], v[138:139]
	s_waitcnt vmcnt(2)
	v_fmac_f64_e32 v[122:123], v[126:127], v[140:141]
	ds_read_b128 v[126:129], v124 offset:816
	s_waitcnt vmcnt(0) lgkmcnt(0)
	v_fmac_f64_e32 v[122:123], v[130:131], v[126:127]
	buffer_load_dword v127, off, s[0:3], 0 offset:348
	buffer_load_dword v126, off, s[0:3], 0 offset:344
	buffer_load_dword v131, off, s[0:3], 0 offset:356
	buffer_load_dword v130, off, s[0:3], 0 offset:352
	s_waitcnt vmcnt(2)
	v_fmac_f64_e32 v[122:123], v[126:127], v[128:129]
	ds_read_b128 v[126:129], v124 offset:832
	s_waitcnt vmcnt(0) lgkmcnt(0)
	v_fmac_f64_e32 v[122:123], v[130:131], v[126:127]
	buffer_load_dword v127, off, s[0:3], 0 offset:364
	buffer_load_dword v126, off, s[0:3], 0 offset:360
	buffer_load_dword v131, off, s[0:3], 0 offset:372
	buffer_load_dword v130, off, s[0:3], 0 offset:368
	;; [unrolled: 9-line block ×7, first 2 shown]
	s_waitcnt vmcnt(2)
	v_fmac_f64_e32 v[122:123], v[126:127], v[128:129]
	ds_read_b128 v[126:129], v124 offset:928
	s_waitcnt vmcnt(0) lgkmcnt(0)
	v_fmac_f64_e32 v[122:123], v[130:131], v[126:127]
	buffer_load_dword v127, off, s[0:3], 0 offset:460
	buffer_load_dword v126, off, s[0:3], 0 offset:456
	s_waitcnt vmcnt(0)
	v_fmac_f64_e32 v[122:123], v[126:127], v[128:129]
	buffer_load_dword v127, off, s[0:3], 0 offset:468
	buffer_load_dword v126, off, s[0:3], 0 offset:464
	ds_read_b64 v[128:129], v124 offset:944
	s_waitcnt vmcnt(0) lgkmcnt(0)
	v_fmac_f64_e32 v[122:123], v[126:127], v[128:129]
	v_add_f64 v[120:121], v[120:121], -v[122:123]
	buffer_store_dword v121, off, s[0:3], 0 offset:268
	buffer_store_dword v120, off, s[0:3], 0 offset:264
	s_and_saveexec_b64 s[4:5], vcc
	s_cbranch_execz .LBB58_297
; %bb.296:
	buffer_load_dword v120, off, s[0:3], 0 offset:256
	buffer_load_dword v121, off, s[0:3], 0 offset:260
	s_waitcnt vmcnt(0)
	ds_write_b64 v1, v[120:121]
	buffer_store_dword v124, off, s[0:3], 0 offset:256
	buffer_store_dword v124, off, s[0:3], 0 offset:260
.LBB58_297:
	s_or_b64 exec, exec, s[4:5]
	s_waitcnt lgkmcnt(0)
	; wave barrier
	s_waitcnt lgkmcnt(0)
	buffer_load_dword v120, off, s[0:3], 0 offset:256
	buffer_load_dword v121, off, s[0:3], 0 offset:260
	;; [unrolled: 1-line block ×16, first 2 shown]
	ds_read2_b64 v[126:129], v124 offset0:93 offset1:94
	v_cmp_lt_u32_e32 vcc, 31, v0
	s_waitcnt vmcnt(12) lgkmcnt(0)
	v_fma_f64 v[122:123], v[122:123], v[126:127], 0
	s_waitcnt vmcnt(10)
	v_fmac_f64_e32 v[122:123], v[130:131], v[128:129]
	ds_read2_b64 v[126:129], v124 offset0:95 offset1:96
	s_waitcnt vmcnt(8) lgkmcnt(0)
	v_fmac_f64_e32 v[122:123], v[132:133], v[126:127]
	s_waitcnt vmcnt(6)
	v_fmac_f64_e32 v[122:123], v[134:135], v[128:129]
	ds_read2_b64 v[126:129], v124 offset0:97 offset1:98
	s_waitcnt vmcnt(4) lgkmcnt(0)
	v_fmac_f64_e32 v[122:123], v[136:137], v[126:127]
	;; [unrolled: 5-line block ×3, first 2 shown]
	buffer_load_dword v127, off, s[0:3], 0 offset:324
	buffer_load_dword v126, off, s[0:3], 0 offset:320
	buffer_load_dword v131, off, s[0:3], 0 offset:332
	buffer_load_dword v130, off, s[0:3], 0 offset:328
	s_waitcnt vmcnt(2)
	v_fmac_f64_e32 v[122:123], v[126:127], v[128:129]
	ds_read2_b64 v[126:129], v124 offset0:101 offset1:102
	s_waitcnt vmcnt(0) lgkmcnt(0)
	v_fmac_f64_e32 v[122:123], v[130:131], v[126:127]
	buffer_load_dword v127, off, s[0:3], 0 offset:340
	buffer_load_dword v126, off, s[0:3], 0 offset:336
	buffer_load_dword v131, off, s[0:3], 0 offset:348
	buffer_load_dword v130, off, s[0:3], 0 offset:344
	s_waitcnt vmcnt(2)
	v_fmac_f64_e32 v[122:123], v[126:127], v[128:129]
	ds_read2_b64 v[126:129], v124 offset0:103 offset1:104
	s_waitcnt vmcnt(0) lgkmcnt(0)
	v_fmac_f64_e32 v[122:123], v[130:131], v[126:127]
	;; [unrolled: 9-line block ×8, first 2 shown]
	buffer_load_dword v127, off, s[0:3], 0 offset:452
	buffer_load_dword v126, off, s[0:3], 0 offset:448
	s_waitcnt vmcnt(0)
	v_fmac_f64_e32 v[122:123], v[126:127], v[128:129]
	buffer_load_dword v129, off, s[0:3], 0 offset:460
	buffer_load_dword v128, off, s[0:3], 0 offset:456
	ds_read2_b64 v[124:127], v124 offset0:117 offset1:118
	s_waitcnt vmcnt(0) lgkmcnt(0)
	v_fmac_f64_e32 v[122:123], v[128:129], v[124:125]
	buffer_load_dword v125, off, s[0:3], 0 offset:468
	buffer_load_dword v124, off, s[0:3], 0 offset:464
	s_waitcnt vmcnt(0)
	v_fmac_f64_e32 v[122:123], v[124:125], v[126:127]
	v_add_f64 v[120:121], v[120:121], -v[122:123]
	buffer_store_dword v121, off, s[0:3], 0 offset:260
	buffer_store_dword v120, off, s[0:3], 0 offset:256
	s_and_saveexec_b64 s[4:5], vcc
	s_cbranch_execz .LBB58_299
; %bb.298:
	buffer_load_dword v120, off, s[0:3], 0 offset:248
	buffer_load_dword v121, off, s[0:3], 0 offset:252
	v_mov_b32_e32 v122, 0
	buffer_store_dword v122, off, s[0:3], 0 offset:248
	buffer_store_dword v122, off, s[0:3], 0 offset:252
	s_waitcnt vmcnt(2)
	ds_write_b64 v1, v[120:121]
.LBB58_299:
	s_or_b64 exec, exec, s[4:5]
	s_waitcnt lgkmcnt(0)
	; wave barrier
	s_waitcnt lgkmcnt(0)
	buffer_load_dword v120, off, s[0:3], 0 offset:248
	buffer_load_dword v121, off, s[0:3], 0 offset:252
	;; [unrolled: 1-line block ×16, first 2 shown]
	v_mov_b32_e32 v124, 0
	ds_read_b128 v[126:129], v124 offset:736
	ds_read_b128 v[130:133], v124 offset:752
	;; [unrolled: 1-line block ×4, first 2 shown]
	v_cmp_lt_u32_e32 vcc, 30, v0
	s_waitcnt vmcnt(12) lgkmcnt(3)
	v_fma_f64 v[122:123], v[122:123], v[126:127], 0
	buffer_load_dword v127, off, s[0:3], 0 offset:316
	buffer_load_dword v126, off, s[0:3], 0 offset:312
	s_waitcnt vmcnt(12)
	v_fmac_f64_e32 v[122:123], v[142:143], v[128:129]
	s_waitcnt vmcnt(10) lgkmcnt(2)
	v_fmac_f64_e32 v[122:123], v[144:145], v[130:131]
	buffer_load_dword v131, off, s[0:3], 0 offset:324
	buffer_load_dword v130, off, s[0:3], 0 offset:320
	s_waitcnt vmcnt(10)
	v_fmac_f64_e32 v[122:123], v[146:147], v[132:133]
	s_waitcnt vmcnt(8) lgkmcnt(1)
	v_fmac_f64_e32 v[122:123], v[148:149], v[134:135]
	s_waitcnt vmcnt(6)
	v_fmac_f64_e32 v[122:123], v[150:151], v[136:137]
	s_waitcnt vmcnt(4) lgkmcnt(0)
	v_fmac_f64_e32 v[122:123], v[152:153], v[138:139]
	s_waitcnt vmcnt(2)
	v_fmac_f64_e32 v[122:123], v[126:127], v[140:141]
	ds_read_b128 v[126:129], v124 offset:800
	s_waitcnt vmcnt(0) lgkmcnt(0)
	v_fmac_f64_e32 v[122:123], v[130:131], v[126:127]
	buffer_load_dword v127, off, s[0:3], 0 offset:332
	buffer_load_dword v126, off, s[0:3], 0 offset:328
	buffer_load_dword v131, off, s[0:3], 0 offset:340
	buffer_load_dword v130, off, s[0:3], 0 offset:336
	s_waitcnt vmcnt(2)
	v_fmac_f64_e32 v[122:123], v[126:127], v[128:129]
	ds_read_b128 v[126:129], v124 offset:816
	s_waitcnt vmcnt(0) lgkmcnt(0)
	v_fmac_f64_e32 v[122:123], v[130:131], v[126:127]
	buffer_load_dword v127, off, s[0:3], 0 offset:348
	buffer_load_dword v126, off, s[0:3], 0 offset:344
	buffer_load_dword v131, off, s[0:3], 0 offset:356
	buffer_load_dword v130, off, s[0:3], 0 offset:352
	;; [unrolled: 9-line block ×8, first 2 shown]
	s_waitcnt vmcnt(2)
	v_fmac_f64_e32 v[122:123], v[126:127], v[128:129]
	ds_read_b128 v[126:129], v124 offset:928
	s_waitcnt vmcnt(0) lgkmcnt(0)
	v_fmac_f64_e32 v[122:123], v[130:131], v[126:127]
	buffer_load_dword v127, off, s[0:3], 0 offset:460
	buffer_load_dword v126, off, s[0:3], 0 offset:456
	s_waitcnt vmcnt(0)
	v_fmac_f64_e32 v[122:123], v[126:127], v[128:129]
	buffer_load_dword v127, off, s[0:3], 0 offset:468
	buffer_load_dword v126, off, s[0:3], 0 offset:464
	ds_read_b64 v[128:129], v124 offset:944
	s_waitcnt vmcnt(0) lgkmcnt(0)
	v_fmac_f64_e32 v[122:123], v[126:127], v[128:129]
	v_add_f64 v[120:121], v[120:121], -v[122:123]
	buffer_store_dword v121, off, s[0:3], 0 offset:252
	buffer_store_dword v120, off, s[0:3], 0 offset:248
	s_and_saveexec_b64 s[4:5], vcc
	s_cbranch_execz .LBB58_301
; %bb.300:
	buffer_load_dword v120, off, s[0:3], 0 offset:240
	buffer_load_dword v121, off, s[0:3], 0 offset:244
	s_waitcnt vmcnt(0)
	ds_write_b64 v1, v[120:121]
	buffer_store_dword v124, off, s[0:3], 0 offset:240
	buffer_store_dword v124, off, s[0:3], 0 offset:244
.LBB58_301:
	s_or_b64 exec, exec, s[4:5]
	s_waitcnt lgkmcnt(0)
	; wave barrier
	s_waitcnt lgkmcnt(0)
	buffer_load_dword v120, off, s[0:3], 0 offset:240
	buffer_load_dword v121, off, s[0:3], 0 offset:244
	;; [unrolled: 1-line block ×16, first 2 shown]
	ds_read2_b64 v[126:129], v124 offset0:91 offset1:92
	v_cmp_lt_u32_e32 vcc, 29, v0
	s_waitcnt vmcnt(12) lgkmcnt(0)
	v_fma_f64 v[122:123], v[122:123], v[126:127], 0
	s_waitcnt vmcnt(10)
	v_fmac_f64_e32 v[122:123], v[130:131], v[128:129]
	ds_read2_b64 v[126:129], v124 offset0:93 offset1:94
	s_waitcnt vmcnt(8) lgkmcnt(0)
	v_fmac_f64_e32 v[122:123], v[132:133], v[126:127]
	s_waitcnt vmcnt(6)
	v_fmac_f64_e32 v[122:123], v[134:135], v[128:129]
	ds_read2_b64 v[126:129], v124 offset0:95 offset1:96
	s_waitcnt vmcnt(4) lgkmcnt(0)
	v_fmac_f64_e32 v[122:123], v[136:137], v[126:127]
	;; [unrolled: 5-line block ×3, first 2 shown]
	buffer_load_dword v127, off, s[0:3], 0 offset:308
	buffer_load_dword v126, off, s[0:3], 0 offset:304
	buffer_load_dword v131, off, s[0:3], 0 offset:316
	buffer_load_dword v130, off, s[0:3], 0 offset:312
	s_waitcnt vmcnt(2)
	v_fmac_f64_e32 v[122:123], v[126:127], v[128:129]
	ds_read2_b64 v[126:129], v124 offset0:99 offset1:100
	s_waitcnt vmcnt(0) lgkmcnt(0)
	v_fmac_f64_e32 v[122:123], v[130:131], v[126:127]
	buffer_load_dword v127, off, s[0:3], 0 offset:324
	buffer_load_dword v126, off, s[0:3], 0 offset:320
	buffer_load_dword v131, off, s[0:3], 0 offset:332
	buffer_load_dword v130, off, s[0:3], 0 offset:328
	s_waitcnt vmcnt(2)
	v_fmac_f64_e32 v[122:123], v[126:127], v[128:129]
	ds_read2_b64 v[126:129], v124 offset0:101 offset1:102
	s_waitcnt vmcnt(0) lgkmcnt(0)
	v_fmac_f64_e32 v[122:123], v[130:131], v[126:127]
	;; [unrolled: 9-line block ×9, first 2 shown]
	buffer_load_dword v127, off, s[0:3], 0 offset:452
	buffer_load_dword v126, off, s[0:3], 0 offset:448
	s_waitcnt vmcnt(0)
	v_fmac_f64_e32 v[122:123], v[126:127], v[128:129]
	buffer_load_dword v129, off, s[0:3], 0 offset:460
	buffer_load_dword v128, off, s[0:3], 0 offset:456
	ds_read2_b64 v[124:127], v124 offset0:117 offset1:118
	s_waitcnt vmcnt(0) lgkmcnt(0)
	v_fmac_f64_e32 v[122:123], v[128:129], v[124:125]
	buffer_load_dword v125, off, s[0:3], 0 offset:468
	buffer_load_dword v124, off, s[0:3], 0 offset:464
	s_waitcnt vmcnt(0)
	v_fmac_f64_e32 v[122:123], v[124:125], v[126:127]
	v_add_f64 v[120:121], v[120:121], -v[122:123]
	buffer_store_dword v121, off, s[0:3], 0 offset:244
	buffer_store_dword v120, off, s[0:3], 0 offset:240
	s_and_saveexec_b64 s[4:5], vcc
	s_cbranch_execz .LBB58_303
; %bb.302:
	buffer_load_dword v120, off, s[0:3], 0 offset:232
	buffer_load_dword v121, off, s[0:3], 0 offset:236
	v_mov_b32_e32 v122, 0
	buffer_store_dword v122, off, s[0:3], 0 offset:232
	buffer_store_dword v122, off, s[0:3], 0 offset:236
	s_waitcnt vmcnt(2)
	ds_write_b64 v1, v[120:121]
.LBB58_303:
	s_or_b64 exec, exec, s[4:5]
	s_waitcnt lgkmcnt(0)
	; wave barrier
	s_waitcnt lgkmcnt(0)
	buffer_load_dword v120, off, s[0:3], 0 offset:232
	buffer_load_dword v121, off, s[0:3], 0 offset:236
	;; [unrolled: 1-line block ×16, first 2 shown]
	v_mov_b32_e32 v124, 0
	ds_read_b128 v[126:129], v124 offset:720
	ds_read_b128 v[130:133], v124 offset:736
	;; [unrolled: 1-line block ×4, first 2 shown]
	v_cmp_lt_u32_e32 vcc, 28, v0
	s_waitcnt vmcnt(12) lgkmcnt(3)
	v_fma_f64 v[122:123], v[122:123], v[126:127], 0
	buffer_load_dword v127, off, s[0:3], 0 offset:300
	buffer_load_dword v126, off, s[0:3], 0 offset:296
	s_waitcnt vmcnt(12)
	v_fmac_f64_e32 v[122:123], v[142:143], v[128:129]
	s_waitcnt vmcnt(10) lgkmcnt(2)
	v_fmac_f64_e32 v[122:123], v[144:145], v[130:131]
	buffer_load_dword v131, off, s[0:3], 0 offset:308
	buffer_load_dword v130, off, s[0:3], 0 offset:304
	s_waitcnt vmcnt(10)
	v_fmac_f64_e32 v[122:123], v[146:147], v[132:133]
	s_waitcnt vmcnt(8) lgkmcnt(1)
	v_fmac_f64_e32 v[122:123], v[148:149], v[134:135]
	s_waitcnt vmcnt(6)
	v_fmac_f64_e32 v[122:123], v[150:151], v[136:137]
	s_waitcnt vmcnt(4) lgkmcnt(0)
	v_fmac_f64_e32 v[122:123], v[152:153], v[138:139]
	s_waitcnt vmcnt(2)
	v_fmac_f64_e32 v[122:123], v[126:127], v[140:141]
	ds_read_b128 v[126:129], v124 offset:784
	s_waitcnt vmcnt(0) lgkmcnt(0)
	v_fmac_f64_e32 v[122:123], v[130:131], v[126:127]
	buffer_load_dword v127, off, s[0:3], 0 offset:316
	buffer_load_dword v126, off, s[0:3], 0 offset:312
	buffer_load_dword v131, off, s[0:3], 0 offset:324
	buffer_load_dword v130, off, s[0:3], 0 offset:320
	s_waitcnt vmcnt(2)
	v_fmac_f64_e32 v[122:123], v[126:127], v[128:129]
	ds_read_b128 v[126:129], v124 offset:800
	s_waitcnt vmcnt(0) lgkmcnt(0)
	v_fmac_f64_e32 v[122:123], v[130:131], v[126:127]
	buffer_load_dword v127, off, s[0:3], 0 offset:332
	buffer_load_dword v126, off, s[0:3], 0 offset:328
	buffer_load_dword v131, off, s[0:3], 0 offset:340
	buffer_load_dword v130, off, s[0:3], 0 offset:336
	;; [unrolled: 9-line block ×9, first 2 shown]
	s_waitcnt vmcnt(2)
	v_fmac_f64_e32 v[122:123], v[126:127], v[128:129]
	ds_read_b128 v[126:129], v124 offset:928
	s_waitcnt vmcnt(0) lgkmcnt(0)
	v_fmac_f64_e32 v[122:123], v[130:131], v[126:127]
	buffer_load_dword v127, off, s[0:3], 0 offset:460
	buffer_load_dword v126, off, s[0:3], 0 offset:456
	s_waitcnt vmcnt(0)
	v_fmac_f64_e32 v[122:123], v[126:127], v[128:129]
	buffer_load_dword v127, off, s[0:3], 0 offset:468
	buffer_load_dword v126, off, s[0:3], 0 offset:464
	ds_read_b64 v[128:129], v124 offset:944
	s_waitcnt vmcnt(0) lgkmcnt(0)
	v_fmac_f64_e32 v[122:123], v[126:127], v[128:129]
	v_add_f64 v[120:121], v[120:121], -v[122:123]
	buffer_store_dword v121, off, s[0:3], 0 offset:236
	buffer_store_dword v120, off, s[0:3], 0 offset:232
	s_and_saveexec_b64 s[4:5], vcc
	s_cbranch_execz .LBB58_305
; %bb.304:
	buffer_load_dword v120, off, s[0:3], 0 offset:224
	buffer_load_dword v121, off, s[0:3], 0 offset:228
	s_waitcnt vmcnt(0)
	ds_write_b64 v1, v[120:121]
	buffer_store_dword v124, off, s[0:3], 0 offset:224
	buffer_store_dword v124, off, s[0:3], 0 offset:228
.LBB58_305:
	s_or_b64 exec, exec, s[4:5]
	s_waitcnt lgkmcnt(0)
	; wave barrier
	s_waitcnt lgkmcnt(0)
	buffer_load_dword v120, off, s[0:3], 0 offset:224
	buffer_load_dword v121, off, s[0:3], 0 offset:228
	;; [unrolled: 1-line block ×16, first 2 shown]
	ds_read2_b64 v[126:129], v124 offset0:89 offset1:90
	v_cmp_lt_u32_e32 vcc, 27, v0
	s_waitcnt vmcnt(12) lgkmcnt(0)
	v_fma_f64 v[122:123], v[122:123], v[126:127], 0
	s_waitcnt vmcnt(10)
	v_fmac_f64_e32 v[122:123], v[130:131], v[128:129]
	ds_read2_b64 v[126:129], v124 offset0:91 offset1:92
	s_waitcnt vmcnt(8) lgkmcnt(0)
	v_fmac_f64_e32 v[122:123], v[132:133], v[126:127]
	s_waitcnt vmcnt(6)
	v_fmac_f64_e32 v[122:123], v[134:135], v[128:129]
	ds_read2_b64 v[126:129], v124 offset0:93 offset1:94
	s_waitcnt vmcnt(4) lgkmcnt(0)
	v_fmac_f64_e32 v[122:123], v[136:137], v[126:127]
	;; [unrolled: 5-line block ×3, first 2 shown]
	buffer_load_dword v127, off, s[0:3], 0 offset:292
	buffer_load_dword v126, off, s[0:3], 0 offset:288
	buffer_load_dword v131, off, s[0:3], 0 offset:300
	buffer_load_dword v130, off, s[0:3], 0 offset:296
	s_waitcnt vmcnt(2)
	v_fmac_f64_e32 v[122:123], v[126:127], v[128:129]
	ds_read2_b64 v[126:129], v124 offset0:97 offset1:98
	s_waitcnt vmcnt(0) lgkmcnt(0)
	v_fmac_f64_e32 v[122:123], v[130:131], v[126:127]
	buffer_load_dword v127, off, s[0:3], 0 offset:308
	buffer_load_dword v126, off, s[0:3], 0 offset:304
	buffer_load_dword v131, off, s[0:3], 0 offset:316
	buffer_load_dword v130, off, s[0:3], 0 offset:312
	s_waitcnt vmcnt(2)
	v_fmac_f64_e32 v[122:123], v[126:127], v[128:129]
	ds_read2_b64 v[126:129], v124 offset0:99 offset1:100
	s_waitcnt vmcnt(0) lgkmcnt(0)
	v_fmac_f64_e32 v[122:123], v[130:131], v[126:127]
	;; [unrolled: 9-line block ×10, first 2 shown]
	buffer_load_dword v127, off, s[0:3], 0 offset:452
	buffer_load_dword v126, off, s[0:3], 0 offset:448
	s_waitcnt vmcnt(0)
	v_fmac_f64_e32 v[122:123], v[126:127], v[128:129]
	buffer_load_dword v129, off, s[0:3], 0 offset:460
	buffer_load_dword v128, off, s[0:3], 0 offset:456
	ds_read2_b64 v[124:127], v124 offset0:117 offset1:118
	s_waitcnt vmcnt(0) lgkmcnt(0)
	v_fmac_f64_e32 v[122:123], v[128:129], v[124:125]
	buffer_load_dword v125, off, s[0:3], 0 offset:468
	buffer_load_dword v124, off, s[0:3], 0 offset:464
	s_waitcnt vmcnt(0)
	v_fmac_f64_e32 v[122:123], v[124:125], v[126:127]
	v_add_f64 v[120:121], v[120:121], -v[122:123]
	buffer_store_dword v121, off, s[0:3], 0 offset:228
	buffer_store_dword v120, off, s[0:3], 0 offset:224
	s_and_saveexec_b64 s[4:5], vcc
	s_cbranch_execz .LBB58_307
; %bb.306:
	buffer_load_dword v120, off, s[0:3], 0 offset:216
	buffer_load_dword v121, off, s[0:3], 0 offset:220
	v_mov_b32_e32 v122, 0
	buffer_store_dword v122, off, s[0:3], 0 offset:216
	buffer_store_dword v122, off, s[0:3], 0 offset:220
	s_waitcnt vmcnt(2)
	ds_write_b64 v1, v[120:121]
.LBB58_307:
	s_or_b64 exec, exec, s[4:5]
	s_waitcnt lgkmcnt(0)
	; wave barrier
	s_waitcnt lgkmcnt(0)
	buffer_load_dword v120, off, s[0:3], 0 offset:216
	buffer_load_dword v121, off, s[0:3], 0 offset:220
	;; [unrolled: 1-line block ×16, first 2 shown]
	v_mov_b32_e32 v124, 0
	ds_read_b128 v[126:129], v124 offset:704
	ds_read_b128 v[130:133], v124 offset:720
	;; [unrolled: 1-line block ×4, first 2 shown]
	v_cmp_lt_u32_e32 vcc, 26, v0
	s_waitcnt vmcnt(12) lgkmcnt(3)
	v_fma_f64 v[122:123], v[122:123], v[126:127], 0
	buffer_load_dword v127, off, s[0:3], 0 offset:284
	buffer_load_dword v126, off, s[0:3], 0 offset:280
	s_waitcnt vmcnt(12)
	v_fmac_f64_e32 v[122:123], v[142:143], v[128:129]
	s_waitcnt vmcnt(10) lgkmcnt(2)
	v_fmac_f64_e32 v[122:123], v[144:145], v[130:131]
	buffer_load_dword v131, off, s[0:3], 0 offset:292
	buffer_load_dword v130, off, s[0:3], 0 offset:288
	s_waitcnt vmcnt(10)
	v_fmac_f64_e32 v[122:123], v[146:147], v[132:133]
	s_waitcnt vmcnt(8) lgkmcnt(1)
	v_fmac_f64_e32 v[122:123], v[148:149], v[134:135]
	s_waitcnt vmcnt(6)
	v_fmac_f64_e32 v[122:123], v[150:151], v[136:137]
	s_waitcnt vmcnt(4) lgkmcnt(0)
	v_fmac_f64_e32 v[122:123], v[152:153], v[138:139]
	s_waitcnt vmcnt(2)
	v_fmac_f64_e32 v[122:123], v[126:127], v[140:141]
	ds_read_b128 v[126:129], v124 offset:768
	s_waitcnt vmcnt(0) lgkmcnt(0)
	v_fmac_f64_e32 v[122:123], v[130:131], v[126:127]
	buffer_load_dword v127, off, s[0:3], 0 offset:300
	buffer_load_dword v126, off, s[0:3], 0 offset:296
	buffer_load_dword v131, off, s[0:3], 0 offset:308
	buffer_load_dword v130, off, s[0:3], 0 offset:304
	s_waitcnt vmcnt(2)
	v_fmac_f64_e32 v[122:123], v[126:127], v[128:129]
	ds_read_b128 v[126:129], v124 offset:784
	s_waitcnt vmcnt(0) lgkmcnt(0)
	v_fmac_f64_e32 v[122:123], v[130:131], v[126:127]
	buffer_load_dword v127, off, s[0:3], 0 offset:316
	buffer_load_dword v126, off, s[0:3], 0 offset:312
	buffer_load_dword v131, off, s[0:3], 0 offset:324
	buffer_load_dword v130, off, s[0:3], 0 offset:320
	;; [unrolled: 9-line block ×10, first 2 shown]
	s_waitcnt vmcnt(2)
	v_fmac_f64_e32 v[122:123], v[126:127], v[128:129]
	ds_read_b128 v[126:129], v124 offset:928
	s_waitcnt vmcnt(0) lgkmcnt(0)
	v_fmac_f64_e32 v[122:123], v[130:131], v[126:127]
	buffer_load_dword v127, off, s[0:3], 0 offset:460
	buffer_load_dword v126, off, s[0:3], 0 offset:456
	s_waitcnt vmcnt(0)
	v_fmac_f64_e32 v[122:123], v[126:127], v[128:129]
	buffer_load_dword v127, off, s[0:3], 0 offset:468
	buffer_load_dword v126, off, s[0:3], 0 offset:464
	ds_read_b64 v[128:129], v124 offset:944
	s_waitcnt vmcnt(0) lgkmcnt(0)
	v_fmac_f64_e32 v[122:123], v[126:127], v[128:129]
	v_add_f64 v[120:121], v[120:121], -v[122:123]
	buffer_store_dword v121, off, s[0:3], 0 offset:220
	buffer_store_dword v120, off, s[0:3], 0 offset:216
	s_and_saveexec_b64 s[4:5], vcc
	s_cbranch_execz .LBB58_309
; %bb.308:
	buffer_load_dword v120, off, s[0:3], 0 offset:208
	buffer_load_dword v121, off, s[0:3], 0 offset:212
	s_waitcnt vmcnt(0)
	ds_write_b64 v1, v[120:121]
	buffer_store_dword v124, off, s[0:3], 0 offset:208
	buffer_store_dword v124, off, s[0:3], 0 offset:212
.LBB58_309:
	s_or_b64 exec, exec, s[4:5]
	s_waitcnt lgkmcnt(0)
	; wave barrier
	s_waitcnt lgkmcnt(0)
	buffer_load_dword v120, off, s[0:3], 0 offset:208
	buffer_load_dword v121, off, s[0:3], 0 offset:212
	buffer_load_dword v122, off, s[0:3], 0 offset:216
	buffer_load_dword v123, off, s[0:3], 0 offset:220
	buffer_load_dword v130, off, s[0:3], 0 offset:224
	buffer_load_dword v131, off, s[0:3], 0 offset:228
	buffer_load_dword v132, off, s[0:3], 0 offset:232
	buffer_load_dword v133, off, s[0:3], 0 offset:236
	buffer_load_dword v134, off, s[0:3], 0 offset:240
	buffer_load_dword v135, off, s[0:3], 0 offset:244
	buffer_load_dword v136, off, s[0:3], 0 offset:248
	buffer_load_dword v137, off, s[0:3], 0 offset:252
	buffer_load_dword v138, off, s[0:3], 0 offset:256
	buffer_load_dword v139, off, s[0:3], 0 offset:260
	buffer_load_dword v140, off, s[0:3], 0 offset:264
	buffer_load_dword v141, off, s[0:3], 0 offset:268
	ds_read2_b64 v[126:129], v124 offset0:87 offset1:88
	v_cmp_lt_u32_e32 vcc, 25, v0
	s_waitcnt vmcnt(12) lgkmcnt(0)
	v_fma_f64 v[122:123], v[122:123], v[126:127], 0
	s_waitcnt vmcnt(10)
	v_fmac_f64_e32 v[122:123], v[130:131], v[128:129]
	ds_read2_b64 v[126:129], v124 offset0:89 offset1:90
	s_waitcnt vmcnt(8) lgkmcnt(0)
	v_fmac_f64_e32 v[122:123], v[132:133], v[126:127]
	s_waitcnt vmcnt(6)
	v_fmac_f64_e32 v[122:123], v[134:135], v[128:129]
	ds_read2_b64 v[126:129], v124 offset0:91 offset1:92
	s_waitcnt vmcnt(4) lgkmcnt(0)
	v_fmac_f64_e32 v[122:123], v[136:137], v[126:127]
	;; [unrolled: 5-line block ×3, first 2 shown]
	buffer_load_dword v127, off, s[0:3], 0 offset:276
	buffer_load_dword v126, off, s[0:3], 0 offset:272
	buffer_load_dword v131, off, s[0:3], 0 offset:284
	buffer_load_dword v130, off, s[0:3], 0 offset:280
	s_waitcnt vmcnt(2)
	v_fmac_f64_e32 v[122:123], v[126:127], v[128:129]
	ds_read2_b64 v[126:129], v124 offset0:95 offset1:96
	s_waitcnt vmcnt(0) lgkmcnt(0)
	v_fmac_f64_e32 v[122:123], v[130:131], v[126:127]
	buffer_load_dword v127, off, s[0:3], 0 offset:292
	buffer_load_dword v126, off, s[0:3], 0 offset:288
	buffer_load_dword v131, off, s[0:3], 0 offset:300
	buffer_load_dword v130, off, s[0:3], 0 offset:296
	s_waitcnt vmcnt(2)
	v_fmac_f64_e32 v[122:123], v[126:127], v[128:129]
	ds_read2_b64 v[126:129], v124 offset0:97 offset1:98
	s_waitcnt vmcnt(0) lgkmcnt(0)
	v_fmac_f64_e32 v[122:123], v[130:131], v[126:127]
	;; [unrolled: 9-line block ×11, first 2 shown]
	buffer_load_dword v127, off, s[0:3], 0 offset:452
	buffer_load_dword v126, off, s[0:3], 0 offset:448
	s_waitcnt vmcnt(0)
	v_fmac_f64_e32 v[122:123], v[126:127], v[128:129]
	buffer_load_dword v129, off, s[0:3], 0 offset:460
	buffer_load_dword v128, off, s[0:3], 0 offset:456
	ds_read2_b64 v[124:127], v124 offset0:117 offset1:118
	s_waitcnt vmcnt(0) lgkmcnt(0)
	v_fmac_f64_e32 v[122:123], v[128:129], v[124:125]
	buffer_load_dword v125, off, s[0:3], 0 offset:468
	buffer_load_dword v124, off, s[0:3], 0 offset:464
	s_waitcnt vmcnt(0)
	v_fmac_f64_e32 v[122:123], v[124:125], v[126:127]
	v_add_f64 v[120:121], v[120:121], -v[122:123]
	buffer_store_dword v121, off, s[0:3], 0 offset:212
	buffer_store_dword v120, off, s[0:3], 0 offset:208
	s_and_saveexec_b64 s[4:5], vcc
	s_cbranch_execz .LBB58_311
; %bb.310:
	buffer_load_dword v120, off, s[0:3], 0 offset:200
	buffer_load_dword v121, off, s[0:3], 0 offset:204
	v_mov_b32_e32 v122, 0
	buffer_store_dword v122, off, s[0:3], 0 offset:200
	buffer_store_dword v122, off, s[0:3], 0 offset:204
	s_waitcnt vmcnt(2)
	ds_write_b64 v1, v[120:121]
.LBB58_311:
	s_or_b64 exec, exec, s[4:5]
	s_waitcnt lgkmcnt(0)
	; wave barrier
	s_waitcnt lgkmcnt(0)
	buffer_load_dword v120, off, s[0:3], 0 offset:200
	buffer_load_dword v121, off, s[0:3], 0 offset:204
	;; [unrolled: 1-line block ×16, first 2 shown]
	v_mov_b32_e32 v124, 0
	ds_read_b128 v[126:129], v124 offset:688
	ds_read_b128 v[130:133], v124 offset:704
	;; [unrolled: 1-line block ×4, first 2 shown]
	v_cmp_lt_u32_e32 vcc, 24, v0
	s_waitcnt vmcnt(12) lgkmcnt(3)
	v_fma_f64 v[122:123], v[122:123], v[126:127], 0
	buffer_load_dword v127, off, s[0:3], 0 offset:268
	buffer_load_dword v126, off, s[0:3], 0 offset:264
	s_waitcnt vmcnt(12)
	v_fmac_f64_e32 v[122:123], v[142:143], v[128:129]
	s_waitcnt vmcnt(10) lgkmcnt(2)
	v_fmac_f64_e32 v[122:123], v[144:145], v[130:131]
	buffer_load_dword v131, off, s[0:3], 0 offset:276
	buffer_load_dword v130, off, s[0:3], 0 offset:272
	s_waitcnt vmcnt(10)
	v_fmac_f64_e32 v[122:123], v[146:147], v[132:133]
	s_waitcnt vmcnt(8) lgkmcnt(1)
	v_fmac_f64_e32 v[122:123], v[148:149], v[134:135]
	s_waitcnt vmcnt(6)
	v_fmac_f64_e32 v[122:123], v[150:151], v[136:137]
	s_waitcnt vmcnt(4) lgkmcnt(0)
	v_fmac_f64_e32 v[122:123], v[152:153], v[138:139]
	s_waitcnt vmcnt(2)
	v_fmac_f64_e32 v[122:123], v[126:127], v[140:141]
	ds_read_b128 v[126:129], v124 offset:752
	s_waitcnt vmcnt(0) lgkmcnt(0)
	v_fmac_f64_e32 v[122:123], v[130:131], v[126:127]
	buffer_load_dword v127, off, s[0:3], 0 offset:284
	buffer_load_dword v126, off, s[0:3], 0 offset:280
	buffer_load_dword v131, off, s[0:3], 0 offset:292
	buffer_load_dword v130, off, s[0:3], 0 offset:288
	s_waitcnt vmcnt(2)
	v_fmac_f64_e32 v[122:123], v[126:127], v[128:129]
	ds_read_b128 v[126:129], v124 offset:768
	s_waitcnt vmcnt(0) lgkmcnt(0)
	v_fmac_f64_e32 v[122:123], v[130:131], v[126:127]
	buffer_load_dword v127, off, s[0:3], 0 offset:300
	buffer_load_dword v126, off, s[0:3], 0 offset:296
	buffer_load_dword v131, off, s[0:3], 0 offset:308
	buffer_load_dword v130, off, s[0:3], 0 offset:304
	;; [unrolled: 9-line block ×11, first 2 shown]
	s_waitcnt vmcnt(2)
	v_fmac_f64_e32 v[122:123], v[126:127], v[128:129]
	ds_read_b128 v[126:129], v124 offset:928
	s_waitcnt vmcnt(0) lgkmcnt(0)
	v_fmac_f64_e32 v[122:123], v[130:131], v[126:127]
	buffer_load_dword v127, off, s[0:3], 0 offset:460
	buffer_load_dword v126, off, s[0:3], 0 offset:456
	s_waitcnt vmcnt(0)
	v_fmac_f64_e32 v[122:123], v[126:127], v[128:129]
	buffer_load_dword v127, off, s[0:3], 0 offset:468
	buffer_load_dword v126, off, s[0:3], 0 offset:464
	ds_read_b64 v[128:129], v124 offset:944
	s_waitcnt vmcnt(0) lgkmcnt(0)
	v_fmac_f64_e32 v[122:123], v[126:127], v[128:129]
	v_add_f64 v[120:121], v[120:121], -v[122:123]
	buffer_store_dword v121, off, s[0:3], 0 offset:204
	buffer_store_dword v120, off, s[0:3], 0 offset:200
	s_and_saveexec_b64 s[4:5], vcc
	s_cbranch_execz .LBB58_313
; %bb.312:
	buffer_load_dword v120, off, s[0:3], 0 offset:192
	buffer_load_dword v121, off, s[0:3], 0 offset:196
	s_waitcnt vmcnt(0)
	ds_write_b64 v1, v[120:121]
	buffer_store_dword v124, off, s[0:3], 0 offset:192
	buffer_store_dword v124, off, s[0:3], 0 offset:196
.LBB58_313:
	s_or_b64 exec, exec, s[4:5]
	s_waitcnt lgkmcnt(0)
	; wave barrier
	s_waitcnt lgkmcnt(0)
	buffer_load_dword v120, off, s[0:3], 0 offset:192
	buffer_load_dword v121, off, s[0:3], 0 offset:196
	;; [unrolled: 1-line block ×16, first 2 shown]
	ds_read2_b64 v[126:129], v124 offset0:85 offset1:86
	v_cmp_lt_u32_e32 vcc, 23, v0
	s_waitcnt vmcnt(12) lgkmcnt(0)
	v_fma_f64 v[122:123], v[122:123], v[126:127], 0
	s_waitcnt vmcnt(10)
	v_fmac_f64_e32 v[122:123], v[130:131], v[128:129]
	ds_read2_b64 v[126:129], v124 offset0:87 offset1:88
	s_waitcnt vmcnt(8) lgkmcnt(0)
	v_fmac_f64_e32 v[122:123], v[132:133], v[126:127]
	s_waitcnt vmcnt(6)
	v_fmac_f64_e32 v[122:123], v[134:135], v[128:129]
	ds_read2_b64 v[126:129], v124 offset0:89 offset1:90
	s_waitcnt vmcnt(4) lgkmcnt(0)
	v_fmac_f64_e32 v[122:123], v[136:137], v[126:127]
	;; [unrolled: 5-line block ×3, first 2 shown]
	buffer_load_dword v127, off, s[0:3], 0 offset:260
	buffer_load_dword v126, off, s[0:3], 0 offset:256
	buffer_load_dword v131, off, s[0:3], 0 offset:268
	buffer_load_dword v130, off, s[0:3], 0 offset:264
	s_waitcnt vmcnt(2)
	v_fmac_f64_e32 v[122:123], v[126:127], v[128:129]
	ds_read2_b64 v[126:129], v124 offset0:93 offset1:94
	s_waitcnt vmcnt(0) lgkmcnt(0)
	v_fmac_f64_e32 v[122:123], v[130:131], v[126:127]
	buffer_load_dword v127, off, s[0:3], 0 offset:276
	buffer_load_dword v126, off, s[0:3], 0 offset:272
	buffer_load_dword v131, off, s[0:3], 0 offset:284
	buffer_load_dword v130, off, s[0:3], 0 offset:280
	s_waitcnt vmcnt(2)
	v_fmac_f64_e32 v[122:123], v[126:127], v[128:129]
	ds_read2_b64 v[126:129], v124 offset0:95 offset1:96
	s_waitcnt vmcnt(0) lgkmcnt(0)
	v_fmac_f64_e32 v[122:123], v[130:131], v[126:127]
	buffer_load_dword v127, off, s[0:3], 0 offset:292
	buffer_load_dword v126, off, s[0:3], 0 offset:288
	buffer_load_dword v131, off, s[0:3], 0 offset:300
	buffer_load_dword v130, off, s[0:3], 0 offset:296
	s_waitcnt vmcnt(2)
	v_fmac_f64_e32 v[122:123], v[126:127], v[128:129]
	ds_read2_b64 v[126:129], v124 offset0:97 offset1:98
	s_waitcnt vmcnt(0) lgkmcnt(0)
	v_fmac_f64_e32 v[122:123], v[130:131], v[126:127]
	buffer_load_dword v127, off, s[0:3], 0 offset:308
	buffer_load_dword v126, off, s[0:3], 0 offset:304
	buffer_load_dword v131, off, s[0:3], 0 offset:316
	buffer_load_dword v130, off, s[0:3], 0 offset:312
	s_waitcnt vmcnt(2)
	v_fmac_f64_e32 v[122:123], v[126:127], v[128:129]
	ds_read2_b64 v[126:129], v124 offset0:99 offset1:100
	s_waitcnt vmcnt(0) lgkmcnt(0)
	v_fmac_f64_e32 v[122:123], v[130:131], v[126:127]
	buffer_load_dword v127, off, s[0:3], 0 offset:324
	buffer_load_dword v126, off, s[0:3], 0 offset:320
	buffer_load_dword v131, off, s[0:3], 0 offset:332
	buffer_load_dword v130, off, s[0:3], 0 offset:328
	s_waitcnt vmcnt(2)
	v_fmac_f64_e32 v[122:123], v[126:127], v[128:129]
	ds_read2_b64 v[126:129], v124 offset0:101 offset1:102
	s_waitcnt vmcnt(0) lgkmcnt(0)
	v_fmac_f64_e32 v[122:123], v[130:131], v[126:127]
	buffer_load_dword v127, off, s[0:3], 0 offset:340
	buffer_load_dword v126, off, s[0:3], 0 offset:336
	buffer_load_dword v131, off, s[0:3], 0 offset:348
	buffer_load_dword v130, off, s[0:3], 0 offset:344
	s_waitcnt vmcnt(2)
	v_fmac_f64_e32 v[122:123], v[126:127], v[128:129]
	ds_read2_b64 v[126:129], v124 offset0:103 offset1:104
	s_waitcnt vmcnt(0) lgkmcnt(0)
	v_fmac_f64_e32 v[122:123], v[130:131], v[126:127]
	buffer_load_dword v127, off, s[0:3], 0 offset:356
	buffer_load_dword v126, off, s[0:3], 0 offset:352
	buffer_load_dword v131, off, s[0:3], 0 offset:364
	buffer_load_dword v130, off, s[0:3], 0 offset:360
	s_waitcnt vmcnt(2)
	v_fmac_f64_e32 v[122:123], v[126:127], v[128:129]
	ds_read2_b64 v[126:129], v124 offset0:105 offset1:106
	s_waitcnt vmcnt(0) lgkmcnt(0)
	v_fmac_f64_e32 v[122:123], v[130:131], v[126:127]
	buffer_load_dword v127, off, s[0:3], 0 offset:372
	buffer_load_dword v126, off, s[0:3], 0 offset:368
	buffer_load_dword v131, off, s[0:3], 0 offset:380
	buffer_load_dword v130, off, s[0:3], 0 offset:376
	s_waitcnt vmcnt(2)
	v_fmac_f64_e32 v[122:123], v[126:127], v[128:129]
	ds_read2_b64 v[126:129], v124 offset0:107 offset1:108
	s_waitcnt vmcnt(0) lgkmcnt(0)
	v_fmac_f64_e32 v[122:123], v[130:131], v[126:127]
	buffer_load_dword v127, off, s[0:3], 0 offset:388
	buffer_load_dword v126, off, s[0:3], 0 offset:384
	buffer_load_dword v131, off, s[0:3], 0 offset:396
	buffer_load_dword v130, off, s[0:3], 0 offset:392
	s_waitcnt vmcnt(2)
	v_fmac_f64_e32 v[122:123], v[126:127], v[128:129]
	ds_read2_b64 v[126:129], v124 offset0:109 offset1:110
	s_waitcnt vmcnt(0) lgkmcnt(0)
	v_fmac_f64_e32 v[122:123], v[130:131], v[126:127]
	buffer_load_dword v127, off, s[0:3], 0 offset:404
	buffer_load_dword v126, off, s[0:3], 0 offset:400
	buffer_load_dword v131, off, s[0:3], 0 offset:412
	buffer_load_dword v130, off, s[0:3], 0 offset:408
	s_waitcnt vmcnt(2)
	v_fmac_f64_e32 v[122:123], v[126:127], v[128:129]
	ds_read2_b64 v[126:129], v124 offset0:111 offset1:112
	s_waitcnt vmcnt(0) lgkmcnt(0)
	v_fmac_f64_e32 v[122:123], v[130:131], v[126:127]
	buffer_load_dword v127, off, s[0:3], 0 offset:420
	buffer_load_dword v126, off, s[0:3], 0 offset:416
	buffer_load_dword v131, off, s[0:3], 0 offset:428
	buffer_load_dword v130, off, s[0:3], 0 offset:424
	s_waitcnt vmcnt(2)
	v_fmac_f64_e32 v[122:123], v[126:127], v[128:129]
	ds_read2_b64 v[126:129], v124 offset0:113 offset1:114
	s_waitcnt vmcnt(0) lgkmcnt(0)
	v_fmac_f64_e32 v[122:123], v[130:131], v[126:127]
	buffer_load_dword v127, off, s[0:3], 0 offset:436
	buffer_load_dword v126, off, s[0:3], 0 offset:432
	buffer_load_dword v131, off, s[0:3], 0 offset:444
	buffer_load_dword v130, off, s[0:3], 0 offset:440
	s_waitcnt vmcnt(2)
	v_fmac_f64_e32 v[122:123], v[126:127], v[128:129]
	ds_read2_b64 v[126:129], v124 offset0:115 offset1:116
	s_waitcnt vmcnt(0) lgkmcnt(0)
	v_fmac_f64_e32 v[122:123], v[130:131], v[126:127]
	buffer_load_dword v127, off, s[0:3], 0 offset:452
	buffer_load_dword v126, off, s[0:3], 0 offset:448
	s_waitcnt vmcnt(0)
	v_fmac_f64_e32 v[122:123], v[126:127], v[128:129]
	buffer_load_dword v129, off, s[0:3], 0 offset:460
	buffer_load_dword v128, off, s[0:3], 0 offset:456
	ds_read2_b64 v[124:127], v124 offset0:117 offset1:118
	s_waitcnt vmcnt(0) lgkmcnt(0)
	v_fmac_f64_e32 v[122:123], v[128:129], v[124:125]
	buffer_load_dword v125, off, s[0:3], 0 offset:468
	buffer_load_dword v124, off, s[0:3], 0 offset:464
	s_waitcnt vmcnt(0)
	v_fmac_f64_e32 v[122:123], v[124:125], v[126:127]
	v_add_f64 v[120:121], v[120:121], -v[122:123]
	buffer_store_dword v121, off, s[0:3], 0 offset:196
	buffer_store_dword v120, off, s[0:3], 0 offset:192
	s_and_saveexec_b64 s[4:5], vcc
	s_cbranch_execz .LBB58_315
; %bb.314:
	buffer_load_dword v120, off, s[0:3], 0 offset:184
	buffer_load_dword v121, off, s[0:3], 0 offset:188
	v_mov_b32_e32 v122, 0
	buffer_store_dword v122, off, s[0:3], 0 offset:184
	buffer_store_dword v122, off, s[0:3], 0 offset:188
	s_waitcnt vmcnt(2)
	ds_write_b64 v1, v[120:121]
.LBB58_315:
	s_or_b64 exec, exec, s[4:5]
	s_waitcnt lgkmcnt(0)
	; wave barrier
	s_waitcnt lgkmcnt(0)
	buffer_load_dword v120, off, s[0:3], 0 offset:184
	buffer_load_dword v121, off, s[0:3], 0 offset:188
	;; [unrolled: 1-line block ×16, first 2 shown]
	v_mov_b32_e32 v124, 0
	ds_read_b128 v[126:129], v124 offset:672
	ds_read_b128 v[130:133], v124 offset:688
	;; [unrolled: 1-line block ×4, first 2 shown]
	v_cmp_lt_u32_e32 vcc, 22, v0
	s_waitcnt vmcnt(12) lgkmcnt(3)
	v_fma_f64 v[122:123], v[122:123], v[126:127], 0
	buffer_load_dword v127, off, s[0:3], 0 offset:252
	buffer_load_dword v126, off, s[0:3], 0 offset:248
	s_waitcnt vmcnt(12)
	v_fmac_f64_e32 v[122:123], v[142:143], v[128:129]
	s_waitcnt vmcnt(10) lgkmcnt(2)
	v_fmac_f64_e32 v[122:123], v[144:145], v[130:131]
	buffer_load_dword v131, off, s[0:3], 0 offset:260
	buffer_load_dword v130, off, s[0:3], 0 offset:256
	s_waitcnt vmcnt(10)
	v_fmac_f64_e32 v[122:123], v[146:147], v[132:133]
	s_waitcnt vmcnt(8) lgkmcnt(1)
	v_fmac_f64_e32 v[122:123], v[148:149], v[134:135]
	s_waitcnt vmcnt(6)
	v_fmac_f64_e32 v[122:123], v[150:151], v[136:137]
	s_waitcnt vmcnt(4) lgkmcnt(0)
	v_fmac_f64_e32 v[122:123], v[152:153], v[138:139]
	s_waitcnt vmcnt(2)
	v_fmac_f64_e32 v[122:123], v[126:127], v[140:141]
	ds_read_b128 v[126:129], v124 offset:736
	s_waitcnt vmcnt(0) lgkmcnt(0)
	v_fmac_f64_e32 v[122:123], v[130:131], v[126:127]
	buffer_load_dword v127, off, s[0:3], 0 offset:268
	buffer_load_dword v126, off, s[0:3], 0 offset:264
	buffer_load_dword v131, off, s[0:3], 0 offset:276
	buffer_load_dword v130, off, s[0:3], 0 offset:272
	s_waitcnt vmcnt(2)
	v_fmac_f64_e32 v[122:123], v[126:127], v[128:129]
	ds_read_b128 v[126:129], v124 offset:752
	s_waitcnt vmcnt(0) lgkmcnt(0)
	v_fmac_f64_e32 v[122:123], v[130:131], v[126:127]
	buffer_load_dword v127, off, s[0:3], 0 offset:284
	buffer_load_dword v126, off, s[0:3], 0 offset:280
	buffer_load_dword v131, off, s[0:3], 0 offset:292
	buffer_load_dword v130, off, s[0:3], 0 offset:288
	;; [unrolled: 9-line block ×12, first 2 shown]
	s_waitcnt vmcnt(2)
	v_fmac_f64_e32 v[122:123], v[126:127], v[128:129]
	ds_read_b128 v[126:129], v124 offset:928
	s_waitcnt vmcnt(0) lgkmcnt(0)
	v_fmac_f64_e32 v[122:123], v[130:131], v[126:127]
	buffer_load_dword v127, off, s[0:3], 0 offset:460
	buffer_load_dword v126, off, s[0:3], 0 offset:456
	s_waitcnt vmcnt(0)
	v_fmac_f64_e32 v[122:123], v[126:127], v[128:129]
	buffer_load_dword v127, off, s[0:3], 0 offset:468
	buffer_load_dword v126, off, s[0:3], 0 offset:464
	ds_read_b64 v[128:129], v124 offset:944
	s_waitcnt vmcnt(0) lgkmcnt(0)
	v_fmac_f64_e32 v[122:123], v[126:127], v[128:129]
	v_add_f64 v[120:121], v[120:121], -v[122:123]
	buffer_store_dword v121, off, s[0:3], 0 offset:188
	buffer_store_dword v120, off, s[0:3], 0 offset:184
	s_and_saveexec_b64 s[4:5], vcc
	s_cbranch_execz .LBB58_317
; %bb.316:
	buffer_load_dword v120, off, s[0:3], 0 offset:176
	buffer_load_dword v121, off, s[0:3], 0 offset:180
	s_waitcnt vmcnt(0)
	ds_write_b64 v1, v[120:121]
	buffer_store_dword v124, off, s[0:3], 0 offset:176
	buffer_store_dword v124, off, s[0:3], 0 offset:180
.LBB58_317:
	s_or_b64 exec, exec, s[4:5]
	s_waitcnt lgkmcnt(0)
	; wave barrier
	s_waitcnt lgkmcnt(0)
	buffer_load_dword v120, off, s[0:3], 0 offset:176
	buffer_load_dword v121, off, s[0:3], 0 offset:180
	;; [unrolled: 1-line block ×16, first 2 shown]
	ds_read2_b64 v[126:129], v124 offset0:83 offset1:84
	v_cmp_lt_u32_e32 vcc, 21, v0
	s_waitcnt vmcnt(12) lgkmcnt(0)
	v_fma_f64 v[122:123], v[122:123], v[126:127], 0
	s_waitcnt vmcnt(10)
	v_fmac_f64_e32 v[122:123], v[130:131], v[128:129]
	ds_read2_b64 v[126:129], v124 offset0:85 offset1:86
	s_waitcnt vmcnt(8) lgkmcnt(0)
	v_fmac_f64_e32 v[122:123], v[132:133], v[126:127]
	s_waitcnt vmcnt(6)
	v_fmac_f64_e32 v[122:123], v[134:135], v[128:129]
	ds_read2_b64 v[126:129], v124 offset0:87 offset1:88
	s_waitcnt vmcnt(4) lgkmcnt(0)
	v_fmac_f64_e32 v[122:123], v[136:137], v[126:127]
	;; [unrolled: 5-line block ×3, first 2 shown]
	buffer_load_dword v127, off, s[0:3], 0 offset:244
	buffer_load_dword v126, off, s[0:3], 0 offset:240
	buffer_load_dword v131, off, s[0:3], 0 offset:252
	buffer_load_dword v130, off, s[0:3], 0 offset:248
	s_waitcnt vmcnt(2)
	v_fmac_f64_e32 v[122:123], v[126:127], v[128:129]
	ds_read2_b64 v[126:129], v124 offset0:91 offset1:92
	s_waitcnt vmcnt(0) lgkmcnt(0)
	v_fmac_f64_e32 v[122:123], v[130:131], v[126:127]
	buffer_load_dword v127, off, s[0:3], 0 offset:260
	buffer_load_dword v126, off, s[0:3], 0 offset:256
	buffer_load_dword v131, off, s[0:3], 0 offset:268
	buffer_load_dword v130, off, s[0:3], 0 offset:264
	s_waitcnt vmcnt(2)
	v_fmac_f64_e32 v[122:123], v[126:127], v[128:129]
	ds_read2_b64 v[126:129], v124 offset0:93 offset1:94
	s_waitcnt vmcnt(0) lgkmcnt(0)
	v_fmac_f64_e32 v[122:123], v[130:131], v[126:127]
	;; [unrolled: 9-line block ×13, first 2 shown]
	buffer_load_dword v127, off, s[0:3], 0 offset:452
	buffer_load_dword v126, off, s[0:3], 0 offset:448
	s_waitcnt vmcnt(0)
	v_fmac_f64_e32 v[122:123], v[126:127], v[128:129]
	buffer_load_dword v129, off, s[0:3], 0 offset:460
	buffer_load_dword v128, off, s[0:3], 0 offset:456
	ds_read2_b64 v[124:127], v124 offset0:117 offset1:118
	s_waitcnt vmcnt(0) lgkmcnt(0)
	v_fmac_f64_e32 v[122:123], v[128:129], v[124:125]
	buffer_load_dword v125, off, s[0:3], 0 offset:468
	buffer_load_dword v124, off, s[0:3], 0 offset:464
	s_waitcnt vmcnt(0)
	v_fmac_f64_e32 v[122:123], v[124:125], v[126:127]
	v_add_f64 v[120:121], v[120:121], -v[122:123]
	buffer_store_dword v121, off, s[0:3], 0 offset:180
	buffer_store_dword v120, off, s[0:3], 0 offset:176
	s_and_saveexec_b64 s[4:5], vcc
	s_cbranch_execz .LBB58_319
; %bb.318:
	buffer_load_dword v120, off, s[0:3], 0 offset:168
	buffer_load_dword v121, off, s[0:3], 0 offset:172
	v_mov_b32_e32 v122, 0
	buffer_store_dword v122, off, s[0:3], 0 offset:168
	buffer_store_dword v122, off, s[0:3], 0 offset:172
	s_waitcnt vmcnt(2)
	ds_write_b64 v1, v[120:121]
.LBB58_319:
	s_or_b64 exec, exec, s[4:5]
	s_waitcnt lgkmcnt(0)
	; wave barrier
	s_waitcnt lgkmcnt(0)
	buffer_load_dword v120, off, s[0:3], 0 offset:168
	buffer_load_dword v121, off, s[0:3], 0 offset:172
	;; [unrolled: 1-line block ×16, first 2 shown]
	v_mov_b32_e32 v124, 0
	ds_read_b128 v[126:129], v124 offset:656
	ds_read_b128 v[130:133], v124 offset:672
	;; [unrolled: 1-line block ×4, first 2 shown]
	v_cmp_lt_u32_e32 vcc, 20, v0
	s_waitcnt vmcnt(12) lgkmcnt(3)
	v_fma_f64 v[122:123], v[122:123], v[126:127], 0
	buffer_load_dword v127, off, s[0:3], 0 offset:236
	buffer_load_dword v126, off, s[0:3], 0 offset:232
	s_waitcnt vmcnt(12)
	v_fmac_f64_e32 v[122:123], v[142:143], v[128:129]
	s_waitcnt vmcnt(10) lgkmcnt(2)
	v_fmac_f64_e32 v[122:123], v[144:145], v[130:131]
	buffer_load_dword v131, off, s[0:3], 0 offset:244
	buffer_load_dword v130, off, s[0:3], 0 offset:240
	s_waitcnt vmcnt(10)
	v_fmac_f64_e32 v[122:123], v[146:147], v[132:133]
	s_waitcnt vmcnt(8) lgkmcnt(1)
	v_fmac_f64_e32 v[122:123], v[148:149], v[134:135]
	s_waitcnt vmcnt(6)
	v_fmac_f64_e32 v[122:123], v[150:151], v[136:137]
	s_waitcnt vmcnt(4) lgkmcnt(0)
	v_fmac_f64_e32 v[122:123], v[152:153], v[138:139]
	s_waitcnt vmcnt(2)
	v_fmac_f64_e32 v[122:123], v[126:127], v[140:141]
	ds_read_b128 v[126:129], v124 offset:720
	s_waitcnt vmcnt(0) lgkmcnt(0)
	v_fmac_f64_e32 v[122:123], v[130:131], v[126:127]
	buffer_load_dword v127, off, s[0:3], 0 offset:252
	buffer_load_dword v126, off, s[0:3], 0 offset:248
	buffer_load_dword v131, off, s[0:3], 0 offset:260
	buffer_load_dword v130, off, s[0:3], 0 offset:256
	s_waitcnt vmcnt(2)
	v_fmac_f64_e32 v[122:123], v[126:127], v[128:129]
	ds_read_b128 v[126:129], v124 offset:736
	s_waitcnt vmcnt(0) lgkmcnt(0)
	v_fmac_f64_e32 v[122:123], v[130:131], v[126:127]
	buffer_load_dword v127, off, s[0:3], 0 offset:268
	buffer_load_dword v126, off, s[0:3], 0 offset:264
	buffer_load_dword v131, off, s[0:3], 0 offset:276
	buffer_load_dword v130, off, s[0:3], 0 offset:272
	;; [unrolled: 9-line block ×13, first 2 shown]
	s_waitcnt vmcnt(2)
	v_fmac_f64_e32 v[122:123], v[126:127], v[128:129]
	ds_read_b128 v[126:129], v124 offset:928
	s_waitcnt vmcnt(0) lgkmcnt(0)
	v_fmac_f64_e32 v[122:123], v[130:131], v[126:127]
	buffer_load_dword v127, off, s[0:3], 0 offset:460
	buffer_load_dword v126, off, s[0:3], 0 offset:456
	s_waitcnt vmcnt(0)
	v_fmac_f64_e32 v[122:123], v[126:127], v[128:129]
	buffer_load_dword v127, off, s[0:3], 0 offset:468
	buffer_load_dword v126, off, s[0:3], 0 offset:464
	ds_read_b64 v[128:129], v124 offset:944
	s_waitcnt vmcnt(0) lgkmcnt(0)
	v_fmac_f64_e32 v[122:123], v[126:127], v[128:129]
	v_add_f64 v[120:121], v[120:121], -v[122:123]
	buffer_store_dword v121, off, s[0:3], 0 offset:172
	buffer_store_dword v120, off, s[0:3], 0 offset:168
	s_and_saveexec_b64 s[4:5], vcc
	s_cbranch_execz .LBB58_321
; %bb.320:
	buffer_load_dword v120, off, s[0:3], 0 offset:160
	buffer_load_dword v121, off, s[0:3], 0 offset:164
	s_waitcnt vmcnt(0)
	ds_write_b64 v1, v[120:121]
	buffer_store_dword v124, off, s[0:3], 0 offset:160
	buffer_store_dword v124, off, s[0:3], 0 offset:164
.LBB58_321:
	s_or_b64 exec, exec, s[4:5]
	s_waitcnt lgkmcnt(0)
	; wave barrier
	s_waitcnt lgkmcnt(0)
	buffer_load_dword v120, off, s[0:3], 0 offset:160
	buffer_load_dword v121, off, s[0:3], 0 offset:164
	;; [unrolled: 1-line block ×16, first 2 shown]
	ds_read2_b64 v[126:129], v124 offset0:81 offset1:82
	v_cmp_lt_u32_e32 vcc, 19, v0
	s_waitcnt vmcnt(12) lgkmcnt(0)
	v_fma_f64 v[122:123], v[122:123], v[126:127], 0
	s_waitcnt vmcnt(10)
	v_fmac_f64_e32 v[122:123], v[130:131], v[128:129]
	ds_read2_b64 v[126:129], v124 offset0:83 offset1:84
	s_waitcnt vmcnt(8) lgkmcnt(0)
	v_fmac_f64_e32 v[122:123], v[132:133], v[126:127]
	s_waitcnt vmcnt(6)
	v_fmac_f64_e32 v[122:123], v[134:135], v[128:129]
	ds_read2_b64 v[126:129], v124 offset0:85 offset1:86
	s_waitcnt vmcnt(4) lgkmcnt(0)
	v_fmac_f64_e32 v[122:123], v[136:137], v[126:127]
	;; [unrolled: 5-line block ×3, first 2 shown]
	buffer_load_dword v127, off, s[0:3], 0 offset:228
	buffer_load_dword v126, off, s[0:3], 0 offset:224
	buffer_load_dword v131, off, s[0:3], 0 offset:236
	buffer_load_dword v130, off, s[0:3], 0 offset:232
	s_waitcnt vmcnt(2)
	v_fmac_f64_e32 v[122:123], v[126:127], v[128:129]
	ds_read2_b64 v[126:129], v124 offset0:89 offset1:90
	s_waitcnt vmcnt(0) lgkmcnt(0)
	v_fmac_f64_e32 v[122:123], v[130:131], v[126:127]
	buffer_load_dword v127, off, s[0:3], 0 offset:244
	buffer_load_dword v126, off, s[0:3], 0 offset:240
	buffer_load_dword v131, off, s[0:3], 0 offset:252
	buffer_load_dword v130, off, s[0:3], 0 offset:248
	s_waitcnt vmcnt(2)
	v_fmac_f64_e32 v[122:123], v[126:127], v[128:129]
	ds_read2_b64 v[126:129], v124 offset0:91 offset1:92
	s_waitcnt vmcnt(0) lgkmcnt(0)
	v_fmac_f64_e32 v[122:123], v[130:131], v[126:127]
	;; [unrolled: 9-line block ×14, first 2 shown]
	buffer_load_dword v127, off, s[0:3], 0 offset:452
	buffer_load_dword v126, off, s[0:3], 0 offset:448
	s_waitcnt vmcnt(0)
	v_fmac_f64_e32 v[122:123], v[126:127], v[128:129]
	buffer_load_dword v129, off, s[0:3], 0 offset:460
	buffer_load_dword v128, off, s[0:3], 0 offset:456
	ds_read2_b64 v[124:127], v124 offset0:117 offset1:118
	s_waitcnt vmcnt(0) lgkmcnt(0)
	v_fmac_f64_e32 v[122:123], v[128:129], v[124:125]
	buffer_load_dword v125, off, s[0:3], 0 offset:468
	buffer_load_dword v124, off, s[0:3], 0 offset:464
	s_waitcnt vmcnt(0)
	v_fmac_f64_e32 v[122:123], v[124:125], v[126:127]
	v_add_f64 v[120:121], v[120:121], -v[122:123]
	buffer_store_dword v121, off, s[0:3], 0 offset:164
	buffer_store_dword v120, off, s[0:3], 0 offset:160
	s_and_saveexec_b64 s[4:5], vcc
	s_cbranch_execz .LBB58_323
; %bb.322:
	buffer_load_dword v120, off, s[0:3], 0 offset:152
	buffer_load_dword v121, off, s[0:3], 0 offset:156
	v_mov_b32_e32 v122, 0
	buffer_store_dword v122, off, s[0:3], 0 offset:152
	buffer_store_dword v122, off, s[0:3], 0 offset:156
	s_waitcnt vmcnt(2)
	ds_write_b64 v1, v[120:121]
.LBB58_323:
	s_or_b64 exec, exec, s[4:5]
	s_waitcnt lgkmcnt(0)
	; wave barrier
	s_waitcnt lgkmcnt(0)
	buffer_load_dword v120, off, s[0:3], 0 offset:152
	buffer_load_dword v121, off, s[0:3], 0 offset:156
	;; [unrolled: 1-line block ×16, first 2 shown]
	v_mov_b32_e32 v124, 0
	ds_read_b128 v[126:129], v124 offset:640
	ds_read_b128 v[130:133], v124 offset:656
	;; [unrolled: 1-line block ×4, first 2 shown]
	v_cmp_lt_u32_e32 vcc, 18, v0
	s_waitcnt vmcnt(12) lgkmcnt(3)
	v_fma_f64 v[122:123], v[122:123], v[126:127], 0
	buffer_load_dword v127, off, s[0:3], 0 offset:220
	buffer_load_dword v126, off, s[0:3], 0 offset:216
	s_waitcnt vmcnt(12)
	v_fmac_f64_e32 v[122:123], v[142:143], v[128:129]
	s_waitcnt vmcnt(10) lgkmcnt(2)
	v_fmac_f64_e32 v[122:123], v[144:145], v[130:131]
	buffer_load_dword v131, off, s[0:3], 0 offset:228
	buffer_load_dword v130, off, s[0:3], 0 offset:224
	s_waitcnt vmcnt(10)
	v_fmac_f64_e32 v[122:123], v[146:147], v[132:133]
	s_waitcnt vmcnt(8) lgkmcnt(1)
	v_fmac_f64_e32 v[122:123], v[148:149], v[134:135]
	s_waitcnt vmcnt(6)
	v_fmac_f64_e32 v[122:123], v[150:151], v[136:137]
	s_waitcnt vmcnt(4) lgkmcnt(0)
	v_fmac_f64_e32 v[122:123], v[152:153], v[138:139]
	s_waitcnt vmcnt(2)
	v_fmac_f64_e32 v[122:123], v[126:127], v[140:141]
	ds_read_b128 v[126:129], v124 offset:704
	s_waitcnt vmcnt(0) lgkmcnt(0)
	v_fmac_f64_e32 v[122:123], v[130:131], v[126:127]
	buffer_load_dword v127, off, s[0:3], 0 offset:236
	buffer_load_dword v126, off, s[0:3], 0 offset:232
	buffer_load_dword v131, off, s[0:3], 0 offset:244
	buffer_load_dword v130, off, s[0:3], 0 offset:240
	s_waitcnt vmcnt(2)
	v_fmac_f64_e32 v[122:123], v[126:127], v[128:129]
	ds_read_b128 v[126:129], v124 offset:720
	s_waitcnt vmcnt(0) lgkmcnt(0)
	v_fmac_f64_e32 v[122:123], v[130:131], v[126:127]
	buffer_load_dword v127, off, s[0:3], 0 offset:252
	buffer_load_dword v126, off, s[0:3], 0 offset:248
	buffer_load_dword v131, off, s[0:3], 0 offset:260
	buffer_load_dword v130, off, s[0:3], 0 offset:256
	;; [unrolled: 9-line block ×14, first 2 shown]
	s_waitcnt vmcnt(2)
	v_fmac_f64_e32 v[122:123], v[126:127], v[128:129]
	ds_read_b128 v[126:129], v124 offset:928
	s_waitcnt vmcnt(0) lgkmcnt(0)
	v_fmac_f64_e32 v[122:123], v[130:131], v[126:127]
	buffer_load_dword v127, off, s[0:3], 0 offset:460
	buffer_load_dword v126, off, s[0:3], 0 offset:456
	s_waitcnt vmcnt(0)
	v_fmac_f64_e32 v[122:123], v[126:127], v[128:129]
	buffer_load_dword v127, off, s[0:3], 0 offset:468
	buffer_load_dword v126, off, s[0:3], 0 offset:464
	ds_read_b64 v[128:129], v124 offset:944
	s_waitcnt vmcnt(0) lgkmcnt(0)
	v_fmac_f64_e32 v[122:123], v[126:127], v[128:129]
	v_add_f64 v[120:121], v[120:121], -v[122:123]
	buffer_store_dword v121, off, s[0:3], 0 offset:156
	buffer_store_dword v120, off, s[0:3], 0 offset:152
	s_and_saveexec_b64 s[4:5], vcc
	s_cbranch_execz .LBB58_325
; %bb.324:
	buffer_load_dword v120, off, s[0:3], 0 offset:144
	buffer_load_dword v121, off, s[0:3], 0 offset:148
	s_waitcnt vmcnt(0)
	ds_write_b64 v1, v[120:121]
	buffer_store_dword v124, off, s[0:3], 0 offset:144
	buffer_store_dword v124, off, s[0:3], 0 offset:148
.LBB58_325:
	s_or_b64 exec, exec, s[4:5]
	s_waitcnt lgkmcnt(0)
	; wave barrier
	s_waitcnt lgkmcnt(0)
	buffer_load_dword v120, off, s[0:3], 0 offset:144
	buffer_load_dword v121, off, s[0:3], 0 offset:148
	buffer_load_dword v122, off, s[0:3], 0 offset:152
	buffer_load_dword v123, off, s[0:3], 0 offset:156
	buffer_load_dword v130, off, s[0:3], 0 offset:160
	buffer_load_dword v131, off, s[0:3], 0 offset:164
	buffer_load_dword v132, off, s[0:3], 0 offset:168
	buffer_load_dword v133, off, s[0:3], 0 offset:172
	buffer_load_dword v134, off, s[0:3], 0 offset:176
	buffer_load_dword v135, off, s[0:3], 0 offset:180
	buffer_load_dword v136, off, s[0:3], 0 offset:184
	buffer_load_dword v137, off, s[0:3], 0 offset:188
	buffer_load_dword v138, off, s[0:3], 0 offset:192
	buffer_load_dword v139, off, s[0:3], 0 offset:196
	buffer_load_dword v140, off, s[0:3], 0 offset:200
	buffer_load_dword v141, off, s[0:3], 0 offset:204
	ds_read2_b64 v[126:129], v124 offset0:79 offset1:80
	v_cmp_lt_u32_e32 vcc, 17, v0
	s_waitcnt vmcnt(12) lgkmcnt(0)
	v_fma_f64 v[122:123], v[122:123], v[126:127], 0
	s_waitcnt vmcnt(10)
	v_fmac_f64_e32 v[122:123], v[130:131], v[128:129]
	ds_read2_b64 v[126:129], v124 offset0:81 offset1:82
	s_waitcnt vmcnt(8) lgkmcnt(0)
	v_fmac_f64_e32 v[122:123], v[132:133], v[126:127]
	s_waitcnt vmcnt(6)
	v_fmac_f64_e32 v[122:123], v[134:135], v[128:129]
	ds_read2_b64 v[126:129], v124 offset0:83 offset1:84
	s_waitcnt vmcnt(4) lgkmcnt(0)
	v_fmac_f64_e32 v[122:123], v[136:137], v[126:127]
	;; [unrolled: 5-line block ×3, first 2 shown]
	buffer_load_dword v127, off, s[0:3], 0 offset:212
	buffer_load_dword v126, off, s[0:3], 0 offset:208
	buffer_load_dword v131, off, s[0:3], 0 offset:220
	buffer_load_dword v130, off, s[0:3], 0 offset:216
	s_waitcnt vmcnt(2)
	v_fmac_f64_e32 v[122:123], v[126:127], v[128:129]
	ds_read2_b64 v[126:129], v124 offset0:87 offset1:88
	s_waitcnt vmcnt(0) lgkmcnt(0)
	v_fmac_f64_e32 v[122:123], v[130:131], v[126:127]
	buffer_load_dword v127, off, s[0:3], 0 offset:228
	buffer_load_dword v126, off, s[0:3], 0 offset:224
	buffer_load_dword v131, off, s[0:3], 0 offset:236
	buffer_load_dword v130, off, s[0:3], 0 offset:232
	s_waitcnt vmcnt(2)
	v_fmac_f64_e32 v[122:123], v[126:127], v[128:129]
	ds_read2_b64 v[126:129], v124 offset0:89 offset1:90
	s_waitcnt vmcnt(0) lgkmcnt(0)
	v_fmac_f64_e32 v[122:123], v[130:131], v[126:127]
	;; [unrolled: 9-line block ×15, first 2 shown]
	buffer_load_dword v127, off, s[0:3], 0 offset:452
	buffer_load_dword v126, off, s[0:3], 0 offset:448
	s_waitcnt vmcnt(0)
	v_fmac_f64_e32 v[122:123], v[126:127], v[128:129]
	buffer_load_dword v129, off, s[0:3], 0 offset:460
	buffer_load_dword v128, off, s[0:3], 0 offset:456
	ds_read2_b64 v[124:127], v124 offset0:117 offset1:118
	s_waitcnt vmcnt(0) lgkmcnt(0)
	v_fmac_f64_e32 v[122:123], v[128:129], v[124:125]
	buffer_load_dword v125, off, s[0:3], 0 offset:468
	buffer_load_dword v124, off, s[0:3], 0 offset:464
	s_waitcnt vmcnt(0)
	v_fmac_f64_e32 v[122:123], v[124:125], v[126:127]
	v_add_f64 v[120:121], v[120:121], -v[122:123]
	buffer_store_dword v121, off, s[0:3], 0 offset:148
	buffer_store_dword v120, off, s[0:3], 0 offset:144
	s_and_saveexec_b64 s[4:5], vcc
	s_cbranch_execz .LBB58_327
; %bb.326:
	buffer_load_dword v120, off, s[0:3], 0 offset:136
	buffer_load_dword v121, off, s[0:3], 0 offset:140
	v_mov_b32_e32 v122, 0
	buffer_store_dword v122, off, s[0:3], 0 offset:136
	buffer_store_dword v122, off, s[0:3], 0 offset:140
	s_waitcnt vmcnt(2)
	ds_write_b64 v1, v[120:121]
.LBB58_327:
	s_or_b64 exec, exec, s[4:5]
	s_waitcnt lgkmcnt(0)
	; wave barrier
	s_waitcnt lgkmcnt(0)
	buffer_load_dword v120, off, s[0:3], 0 offset:136
	buffer_load_dword v121, off, s[0:3], 0 offset:140
	;; [unrolled: 1-line block ×16, first 2 shown]
	v_mov_b32_e32 v124, 0
	ds_read_b128 v[126:129], v124 offset:624
	ds_read_b128 v[130:133], v124 offset:640
	;; [unrolled: 1-line block ×4, first 2 shown]
	v_cmp_lt_u32_e32 vcc, 16, v0
	s_waitcnt vmcnt(12) lgkmcnt(3)
	v_fma_f64 v[122:123], v[122:123], v[126:127], 0
	buffer_load_dword v127, off, s[0:3], 0 offset:204
	buffer_load_dword v126, off, s[0:3], 0 offset:200
	s_waitcnt vmcnt(12)
	v_fmac_f64_e32 v[122:123], v[142:143], v[128:129]
	s_waitcnt vmcnt(10) lgkmcnt(2)
	v_fmac_f64_e32 v[122:123], v[144:145], v[130:131]
	buffer_load_dword v131, off, s[0:3], 0 offset:212
	buffer_load_dword v130, off, s[0:3], 0 offset:208
	s_waitcnt vmcnt(10)
	v_fmac_f64_e32 v[122:123], v[146:147], v[132:133]
	s_waitcnt vmcnt(8) lgkmcnt(1)
	v_fmac_f64_e32 v[122:123], v[148:149], v[134:135]
	s_waitcnt vmcnt(6)
	v_fmac_f64_e32 v[122:123], v[150:151], v[136:137]
	s_waitcnt vmcnt(4) lgkmcnt(0)
	v_fmac_f64_e32 v[122:123], v[152:153], v[138:139]
	s_waitcnt vmcnt(2)
	v_fmac_f64_e32 v[122:123], v[126:127], v[140:141]
	ds_read_b128 v[126:129], v124 offset:688
	s_waitcnt vmcnt(0) lgkmcnt(0)
	v_fmac_f64_e32 v[122:123], v[130:131], v[126:127]
	buffer_load_dword v127, off, s[0:3], 0 offset:220
	buffer_load_dword v126, off, s[0:3], 0 offset:216
	buffer_load_dword v131, off, s[0:3], 0 offset:228
	buffer_load_dword v130, off, s[0:3], 0 offset:224
	s_waitcnt vmcnt(2)
	v_fmac_f64_e32 v[122:123], v[126:127], v[128:129]
	ds_read_b128 v[126:129], v124 offset:704
	s_waitcnt vmcnt(0) lgkmcnt(0)
	v_fmac_f64_e32 v[122:123], v[130:131], v[126:127]
	buffer_load_dword v127, off, s[0:3], 0 offset:236
	buffer_load_dword v126, off, s[0:3], 0 offset:232
	buffer_load_dword v131, off, s[0:3], 0 offset:244
	buffer_load_dword v130, off, s[0:3], 0 offset:240
	;; [unrolled: 9-line block ×15, first 2 shown]
	s_waitcnt vmcnt(2)
	v_fmac_f64_e32 v[122:123], v[126:127], v[128:129]
	ds_read_b128 v[126:129], v124 offset:928
	s_waitcnt vmcnt(0) lgkmcnt(0)
	v_fmac_f64_e32 v[122:123], v[130:131], v[126:127]
	buffer_load_dword v127, off, s[0:3], 0 offset:460
	buffer_load_dword v126, off, s[0:3], 0 offset:456
	s_waitcnt vmcnt(0)
	v_fmac_f64_e32 v[122:123], v[126:127], v[128:129]
	buffer_load_dword v127, off, s[0:3], 0 offset:468
	buffer_load_dword v126, off, s[0:3], 0 offset:464
	ds_read_b64 v[128:129], v124 offset:944
	s_waitcnt vmcnt(0) lgkmcnt(0)
	v_fmac_f64_e32 v[122:123], v[126:127], v[128:129]
	v_add_f64 v[120:121], v[120:121], -v[122:123]
	buffer_store_dword v121, off, s[0:3], 0 offset:140
	buffer_store_dword v120, off, s[0:3], 0 offset:136
	s_and_saveexec_b64 s[4:5], vcc
	s_cbranch_execz .LBB58_329
; %bb.328:
	buffer_load_dword v120, off, s[0:3], 0 offset:128
	buffer_load_dword v121, off, s[0:3], 0 offset:132
	s_waitcnt vmcnt(0)
	ds_write_b64 v1, v[120:121]
	buffer_store_dword v124, off, s[0:3], 0 offset:128
	buffer_store_dword v124, off, s[0:3], 0 offset:132
.LBB58_329:
	s_or_b64 exec, exec, s[4:5]
	s_waitcnt lgkmcnt(0)
	; wave barrier
	s_waitcnt lgkmcnt(0)
	buffer_load_dword v120, off, s[0:3], 0 offset:128
	buffer_load_dword v121, off, s[0:3], 0 offset:132
	;; [unrolled: 1-line block ×16, first 2 shown]
	ds_read2_b64 v[126:129], v124 offset0:77 offset1:78
	v_cmp_lt_u32_e32 vcc, 15, v0
	s_waitcnt vmcnt(12) lgkmcnt(0)
	v_fma_f64 v[122:123], v[122:123], v[126:127], 0
	s_waitcnt vmcnt(10)
	v_fmac_f64_e32 v[122:123], v[130:131], v[128:129]
	ds_read2_b64 v[126:129], v124 offset0:79 offset1:80
	s_waitcnt vmcnt(8) lgkmcnt(0)
	v_fmac_f64_e32 v[122:123], v[132:133], v[126:127]
	s_waitcnt vmcnt(6)
	v_fmac_f64_e32 v[122:123], v[134:135], v[128:129]
	ds_read2_b64 v[126:129], v124 offset0:81 offset1:82
	s_waitcnt vmcnt(4) lgkmcnt(0)
	v_fmac_f64_e32 v[122:123], v[136:137], v[126:127]
	;; [unrolled: 5-line block ×3, first 2 shown]
	buffer_load_dword v127, off, s[0:3], 0 offset:196
	buffer_load_dword v126, off, s[0:3], 0 offset:192
	buffer_load_dword v131, off, s[0:3], 0 offset:204
	buffer_load_dword v130, off, s[0:3], 0 offset:200
	s_waitcnt vmcnt(2)
	v_fmac_f64_e32 v[122:123], v[126:127], v[128:129]
	ds_read2_b64 v[126:129], v124 offset0:85 offset1:86
	s_waitcnt vmcnt(0) lgkmcnt(0)
	v_fmac_f64_e32 v[122:123], v[130:131], v[126:127]
	buffer_load_dword v127, off, s[0:3], 0 offset:212
	buffer_load_dword v126, off, s[0:3], 0 offset:208
	buffer_load_dword v131, off, s[0:3], 0 offset:220
	buffer_load_dword v130, off, s[0:3], 0 offset:216
	s_waitcnt vmcnt(2)
	v_fmac_f64_e32 v[122:123], v[126:127], v[128:129]
	ds_read2_b64 v[126:129], v124 offset0:87 offset1:88
	s_waitcnt vmcnt(0) lgkmcnt(0)
	v_fmac_f64_e32 v[122:123], v[130:131], v[126:127]
	;; [unrolled: 9-line block ×16, first 2 shown]
	buffer_load_dword v127, off, s[0:3], 0 offset:452
	buffer_load_dword v126, off, s[0:3], 0 offset:448
	s_waitcnt vmcnt(0)
	v_fmac_f64_e32 v[122:123], v[126:127], v[128:129]
	buffer_load_dword v129, off, s[0:3], 0 offset:460
	buffer_load_dword v128, off, s[0:3], 0 offset:456
	ds_read2_b64 v[124:127], v124 offset0:117 offset1:118
	s_waitcnt vmcnt(0) lgkmcnt(0)
	v_fmac_f64_e32 v[122:123], v[128:129], v[124:125]
	buffer_load_dword v125, off, s[0:3], 0 offset:468
	buffer_load_dword v124, off, s[0:3], 0 offset:464
	s_waitcnt vmcnt(0)
	v_fmac_f64_e32 v[122:123], v[124:125], v[126:127]
	v_add_f64 v[120:121], v[120:121], -v[122:123]
	buffer_store_dword v121, off, s[0:3], 0 offset:132
	buffer_store_dword v120, off, s[0:3], 0 offset:128
	s_and_saveexec_b64 s[4:5], vcc
	s_cbranch_execz .LBB58_331
; %bb.330:
	buffer_load_dword v120, off, s[0:3], 0 offset:120
	buffer_load_dword v121, off, s[0:3], 0 offset:124
	v_mov_b32_e32 v122, 0
	buffer_store_dword v122, off, s[0:3], 0 offset:120
	buffer_store_dword v122, off, s[0:3], 0 offset:124
	s_waitcnt vmcnt(2)
	ds_write_b64 v1, v[120:121]
.LBB58_331:
	s_or_b64 exec, exec, s[4:5]
	s_waitcnt lgkmcnt(0)
	; wave barrier
	s_waitcnt lgkmcnt(0)
	buffer_load_dword v120, off, s[0:3], 0 offset:120
	buffer_load_dword v121, off, s[0:3], 0 offset:124
	;; [unrolled: 1-line block ×16, first 2 shown]
	v_mov_b32_e32 v124, 0
	ds_read_b128 v[126:129], v124 offset:608
	ds_read_b128 v[130:133], v124 offset:624
	;; [unrolled: 1-line block ×4, first 2 shown]
	v_cmp_lt_u32_e32 vcc, 14, v0
	s_waitcnt vmcnt(12) lgkmcnt(3)
	v_fma_f64 v[122:123], v[122:123], v[126:127], 0
	buffer_load_dword v127, off, s[0:3], 0 offset:188
	buffer_load_dword v126, off, s[0:3], 0 offset:184
	s_waitcnt vmcnt(12)
	v_fmac_f64_e32 v[122:123], v[142:143], v[128:129]
	s_waitcnt vmcnt(10) lgkmcnt(2)
	v_fmac_f64_e32 v[122:123], v[144:145], v[130:131]
	buffer_load_dword v131, off, s[0:3], 0 offset:196
	buffer_load_dword v130, off, s[0:3], 0 offset:192
	s_waitcnt vmcnt(10)
	v_fmac_f64_e32 v[122:123], v[146:147], v[132:133]
	s_waitcnt vmcnt(8) lgkmcnt(1)
	v_fmac_f64_e32 v[122:123], v[148:149], v[134:135]
	s_waitcnt vmcnt(6)
	v_fmac_f64_e32 v[122:123], v[150:151], v[136:137]
	s_waitcnt vmcnt(4) lgkmcnt(0)
	v_fmac_f64_e32 v[122:123], v[152:153], v[138:139]
	s_waitcnt vmcnt(2)
	v_fmac_f64_e32 v[122:123], v[126:127], v[140:141]
	ds_read_b128 v[126:129], v124 offset:672
	s_waitcnt vmcnt(0) lgkmcnt(0)
	v_fmac_f64_e32 v[122:123], v[130:131], v[126:127]
	buffer_load_dword v127, off, s[0:3], 0 offset:204
	buffer_load_dword v126, off, s[0:3], 0 offset:200
	buffer_load_dword v131, off, s[0:3], 0 offset:212
	buffer_load_dword v130, off, s[0:3], 0 offset:208
	s_waitcnt vmcnt(2)
	v_fmac_f64_e32 v[122:123], v[126:127], v[128:129]
	ds_read_b128 v[126:129], v124 offset:688
	s_waitcnt vmcnt(0) lgkmcnt(0)
	v_fmac_f64_e32 v[122:123], v[130:131], v[126:127]
	buffer_load_dword v127, off, s[0:3], 0 offset:220
	buffer_load_dword v126, off, s[0:3], 0 offset:216
	buffer_load_dword v131, off, s[0:3], 0 offset:228
	buffer_load_dword v130, off, s[0:3], 0 offset:224
	;; [unrolled: 9-line block ×16, first 2 shown]
	s_waitcnt vmcnt(2)
	v_fmac_f64_e32 v[122:123], v[126:127], v[128:129]
	ds_read_b128 v[126:129], v124 offset:928
	s_waitcnt vmcnt(0) lgkmcnt(0)
	v_fmac_f64_e32 v[122:123], v[130:131], v[126:127]
	buffer_load_dword v127, off, s[0:3], 0 offset:460
	buffer_load_dword v126, off, s[0:3], 0 offset:456
	s_waitcnt vmcnt(0)
	v_fmac_f64_e32 v[122:123], v[126:127], v[128:129]
	buffer_load_dword v127, off, s[0:3], 0 offset:468
	buffer_load_dword v126, off, s[0:3], 0 offset:464
	ds_read_b64 v[128:129], v124 offset:944
	s_waitcnt vmcnt(0) lgkmcnt(0)
	v_fmac_f64_e32 v[122:123], v[126:127], v[128:129]
	v_add_f64 v[120:121], v[120:121], -v[122:123]
	buffer_store_dword v121, off, s[0:3], 0 offset:124
	buffer_store_dword v120, off, s[0:3], 0 offset:120
	s_and_saveexec_b64 s[4:5], vcc
	s_cbranch_execz .LBB58_333
; %bb.332:
	buffer_load_dword v120, off, s[0:3], 0 offset:112
	buffer_load_dword v121, off, s[0:3], 0 offset:116
	s_waitcnt vmcnt(0)
	ds_write_b64 v1, v[120:121]
	buffer_store_dword v124, off, s[0:3], 0 offset:112
	buffer_store_dword v124, off, s[0:3], 0 offset:116
.LBB58_333:
	s_or_b64 exec, exec, s[4:5]
	s_waitcnt lgkmcnt(0)
	; wave barrier
	s_waitcnt lgkmcnt(0)
	buffer_load_dword v120, off, s[0:3], 0 offset:112
	buffer_load_dword v121, off, s[0:3], 0 offset:116
	;; [unrolled: 1-line block ×16, first 2 shown]
	ds_read2_b64 v[126:129], v124 offset0:75 offset1:76
	v_cmp_lt_u32_e32 vcc, 13, v0
	s_waitcnt vmcnt(12) lgkmcnt(0)
	v_fma_f64 v[122:123], v[122:123], v[126:127], 0
	s_waitcnt vmcnt(10)
	v_fmac_f64_e32 v[122:123], v[130:131], v[128:129]
	ds_read2_b64 v[126:129], v124 offset0:77 offset1:78
	s_waitcnt vmcnt(8) lgkmcnt(0)
	v_fmac_f64_e32 v[122:123], v[132:133], v[126:127]
	s_waitcnt vmcnt(6)
	v_fmac_f64_e32 v[122:123], v[134:135], v[128:129]
	ds_read2_b64 v[126:129], v124 offset0:79 offset1:80
	s_waitcnt vmcnt(4) lgkmcnt(0)
	v_fmac_f64_e32 v[122:123], v[136:137], v[126:127]
	;; [unrolled: 5-line block ×3, first 2 shown]
	buffer_load_dword v127, off, s[0:3], 0 offset:180
	buffer_load_dword v126, off, s[0:3], 0 offset:176
	buffer_load_dword v131, off, s[0:3], 0 offset:188
	buffer_load_dword v130, off, s[0:3], 0 offset:184
	s_waitcnt vmcnt(2)
	v_fmac_f64_e32 v[122:123], v[126:127], v[128:129]
	ds_read2_b64 v[126:129], v124 offset0:83 offset1:84
	s_waitcnt vmcnt(0) lgkmcnt(0)
	v_fmac_f64_e32 v[122:123], v[130:131], v[126:127]
	buffer_load_dword v127, off, s[0:3], 0 offset:196
	buffer_load_dword v126, off, s[0:3], 0 offset:192
	buffer_load_dword v131, off, s[0:3], 0 offset:204
	buffer_load_dword v130, off, s[0:3], 0 offset:200
	s_waitcnt vmcnt(2)
	v_fmac_f64_e32 v[122:123], v[126:127], v[128:129]
	ds_read2_b64 v[126:129], v124 offset0:85 offset1:86
	s_waitcnt vmcnt(0) lgkmcnt(0)
	v_fmac_f64_e32 v[122:123], v[130:131], v[126:127]
	;; [unrolled: 9-line block ×17, first 2 shown]
	buffer_load_dword v127, off, s[0:3], 0 offset:452
	buffer_load_dword v126, off, s[0:3], 0 offset:448
	s_waitcnt vmcnt(0)
	v_fmac_f64_e32 v[122:123], v[126:127], v[128:129]
	buffer_load_dword v129, off, s[0:3], 0 offset:460
	buffer_load_dword v128, off, s[0:3], 0 offset:456
	ds_read2_b64 v[124:127], v124 offset0:117 offset1:118
	s_waitcnt vmcnt(0) lgkmcnt(0)
	v_fmac_f64_e32 v[122:123], v[128:129], v[124:125]
	buffer_load_dword v125, off, s[0:3], 0 offset:468
	buffer_load_dword v124, off, s[0:3], 0 offset:464
	s_waitcnt vmcnt(0)
	v_fmac_f64_e32 v[122:123], v[124:125], v[126:127]
	v_add_f64 v[120:121], v[120:121], -v[122:123]
	buffer_store_dword v121, off, s[0:3], 0 offset:116
	buffer_store_dword v120, off, s[0:3], 0 offset:112
	s_and_saveexec_b64 s[4:5], vcc
	s_cbranch_execz .LBB58_335
; %bb.334:
	buffer_load_dword v120, off, s[0:3], 0 offset:104
	buffer_load_dword v121, off, s[0:3], 0 offset:108
	v_mov_b32_e32 v122, 0
	buffer_store_dword v122, off, s[0:3], 0 offset:104
	buffer_store_dword v122, off, s[0:3], 0 offset:108
	s_waitcnt vmcnt(2)
	ds_write_b64 v1, v[120:121]
.LBB58_335:
	s_or_b64 exec, exec, s[4:5]
	s_waitcnt lgkmcnt(0)
	; wave barrier
	s_waitcnt lgkmcnt(0)
	buffer_load_dword v120, off, s[0:3], 0 offset:104
	buffer_load_dword v121, off, s[0:3], 0 offset:108
	;; [unrolled: 1-line block ×16, first 2 shown]
	v_mov_b32_e32 v124, 0
	ds_read_b128 v[126:129], v124 offset:592
	ds_read_b128 v[130:133], v124 offset:608
	;; [unrolled: 1-line block ×4, first 2 shown]
	v_cmp_lt_u32_e32 vcc, 12, v0
	s_waitcnt vmcnt(12) lgkmcnt(3)
	v_fma_f64 v[122:123], v[122:123], v[126:127], 0
	buffer_load_dword v127, off, s[0:3], 0 offset:172
	buffer_load_dword v126, off, s[0:3], 0 offset:168
	s_waitcnt vmcnt(12)
	v_fmac_f64_e32 v[122:123], v[142:143], v[128:129]
	s_waitcnt vmcnt(10) lgkmcnt(2)
	v_fmac_f64_e32 v[122:123], v[144:145], v[130:131]
	buffer_load_dword v131, off, s[0:3], 0 offset:180
	buffer_load_dword v130, off, s[0:3], 0 offset:176
	s_waitcnt vmcnt(10)
	v_fmac_f64_e32 v[122:123], v[146:147], v[132:133]
	s_waitcnt vmcnt(8) lgkmcnt(1)
	v_fmac_f64_e32 v[122:123], v[148:149], v[134:135]
	s_waitcnt vmcnt(6)
	v_fmac_f64_e32 v[122:123], v[150:151], v[136:137]
	s_waitcnt vmcnt(4) lgkmcnt(0)
	v_fmac_f64_e32 v[122:123], v[152:153], v[138:139]
	s_waitcnt vmcnt(2)
	v_fmac_f64_e32 v[122:123], v[126:127], v[140:141]
	ds_read_b128 v[126:129], v124 offset:656
	s_waitcnt vmcnt(0) lgkmcnt(0)
	v_fmac_f64_e32 v[122:123], v[130:131], v[126:127]
	buffer_load_dword v127, off, s[0:3], 0 offset:188
	buffer_load_dword v126, off, s[0:3], 0 offset:184
	buffer_load_dword v131, off, s[0:3], 0 offset:196
	buffer_load_dword v130, off, s[0:3], 0 offset:192
	s_waitcnt vmcnt(2)
	v_fmac_f64_e32 v[122:123], v[126:127], v[128:129]
	ds_read_b128 v[126:129], v124 offset:672
	s_waitcnt vmcnt(0) lgkmcnt(0)
	v_fmac_f64_e32 v[122:123], v[130:131], v[126:127]
	buffer_load_dword v127, off, s[0:3], 0 offset:204
	buffer_load_dword v126, off, s[0:3], 0 offset:200
	buffer_load_dword v131, off, s[0:3], 0 offset:212
	buffer_load_dword v130, off, s[0:3], 0 offset:208
	;; [unrolled: 9-line block ×17, first 2 shown]
	s_waitcnt vmcnt(2)
	v_fmac_f64_e32 v[122:123], v[126:127], v[128:129]
	ds_read_b128 v[126:129], v124 offset:928
	s_waitcnt vmcnt(0) lgkmcnt(0)
	v_fmac_f64_e32 v[122:123], v[130:131], v[126:127]
	buffer_load_dword v127, off, s[0:3], 0 offset:460
	buffer_load_dword v126, off, s[0:3], 0 offset:456
	s_waitcnt vmcnt(0)
	v_fmac_f64_e32 v[122:123], v[126:127], v[128:129]
	buffer_load_dword v127, off, s[0:3], 0 offset:468
	buffer_load_dword v126, off, s[0:3], 0 offset:464
	ds_read_b64 v[128:129], v124 offset:944
	s_waitcnt vmcnt(0) lgkmcnt(0)
	v_fmac_f64_e32 v[122:123], v[126:127], v[128:129]
	v_add_f64 v[120:121], v[120:121], -v[122:123]
	buffer_store_dword v121, off, s[0:3], 0 offset:108
	buffer_store_dword v120, off, s[0:3], 0 offset:104
	s_and_saveexec_b64 s[4:5], vcc
	s_cbranch_execz .LBB58_337
; %bb.336:
	buffer_load_dword v120, off, s[0:3], 0 offset:96
	buffer_load_dword v121, off, s[0:3], 0 offset:100
	s_waitcnt vmcnt(0)
	ds_write_b64 v1, v[120:121]
	buffer_store_dword v124, off, s[0:3], 0 offset:96
	buffer_store_dword v124, off, s[0:3], 0 offset:100
.LBB58_337:
	s_or_b64 exec, exec, s[4:5]
	s_waitcnt lgkmcnt(0)
	; wave barrier
	s_waitcnt lgkmcnt(0)
	buffer_load_dword v120, off, s[0:3], 0 offset:96
	buffer_load_dword v121, off, s[0:3], 0 offset:100
	;; [unrolled: 1-line block ×16, first 2 shown]
	ds_read2_b64 v[126:129], v124 offset0:73 offset1:74
	v_cmp_lt_u32_e32 vcc, 11, v0
	s_waitcnt vmcnt(12) lgkmcnt(0)
	v_fma_f64 v[122:123], v[122:123], v[126:127], 0
	s_waitcnt vmcnt(10)
	v_fmac_f64_e32 v[122:123], v[130:131], v[128:129]
	ds_read2_b64 v[126:129], v124 offset0:75 offset1:76
	s_waitcnt vmcnt(8) lgkmcnt(0)
	v_fmac_f64_e32 v[122:123], v[132:133], v[126:127]
	s_waitcnt vmcnt(6)
	v_fmac_f64_e32 v[122:123], v[134:135], v[128:129]
	ds_read2_b64 v[126:129], v124 offset0:77 offset1:78
	s_waitcnt vmcnt(4) lgkmcnt(0)
	v_fmac_f64_e32 v[122:123], v[136:137], v[126:127]
	;; [unrolled: 5-line block ×3, first 2 shown]
	buffer_load_dword v127, off, s[0:3], 0 offset:164
	buffer_load_dword v126, off, s[0:3], 0 offset:160
	buffer_load_dword v131, off, s[0:3], 0 offset:172
	buffer_load_dword v130, off, s[0:3], 0 offset:168
	s_waitcnt vmcnt(2)
	v_fmac_f64_e32 v[122:123], v[126:127], v[128:129]
	ds_read2_b64 v[126:129], v124 offset0:81 offset1:82
	s_waitcnt vmcnt(0) lgkmcnt(0)
	v_fmac_f64_e32 v[122:123], v[130:131], v[126:127]
	buffer_load_dword v127, off, s[0:3], 0 offset:180
	buffer_load_dword v126, off, s[0:3], 0 offset:176
	buffer_load_dword v131, off, s[0:3], 0 offset:188
	buffer_load_dword v130, off, s[0:3], 0 offset:184
	s_waitcnt vmcnt(2)
	v_fmac_f64_e32 v[122:123], v[126:127], v[128:129]
	ds_read2_b64 v[126:129], v124 offset0:83 offset1:84
	s_waitcnt vmcnt(0) lgkmcnt(0)
	v_fmac_f64_e32 v[122:123], v[130:131], v[126:127]
	buffer_load_dword v127, off, s[0:3], 0 offset:196
	buffer_load_dword v126, off, s[0:3], 0 offset:192
	buffer_load_dword v131, off, s[0:3], 0 offset:204
	buffer_load_dword v130, off, s[0:3], 0 offset:200
	s_waitcnt vmcnt(2)
	v_fmac_f64_e32 v[122:123], v[126:127], v[128:129]
	ds_read2_b64 v[126:129], v124 offset0:85 offset1:86
	s_waitcnt vmcnt(0) lgkmcnt(0)
	v_fmac_f64_e32 v[122:123], v[130:131], v[126:127]
	buffer_load_dword v127, off, s[0:3], 0 offset:212
	buffer_load_dword v126, off, s[0:3], 0 offset:208
	buffer_load_dword v131, off, s[0:3], 0 offset:220
	buffer_load_dword v130, off, s[0:3], 0 offset:216
	s_waitcnt vmcnt(2)
	v_fmac_f64_e32 v[122:123], v[126:127], v[128:129]
	ds_read2_b64 v[126:129], v124 offset0:87 offset1:88
	s_waitcnt vmcnt(0) lgkmcnt(0)
	v_fmac_f64_e32 v[122:123], v[130:131], v[126:127]
	buffer_load_dword v127, off, s[0:3], 0 offset:228
	buffer_load_dword v126, off, s[0:3], 0 offset:224
	buffer_load_dword v131, off, s[0:3], 0 offset:236
	buffer_load_dword v130, off, s[0:3], 0 offset:232
	s_waitcnt vmcnt(2)
	v_fmac_f64_e32 v[122:123], v[126:127], v[128:129]
	ds_read2_b64 v[126:129], v124 offset0:89 offset1:90
	s_waitcnt vmcnt(0) lgkmcnt(0)
	v_fmac_f64_e32 v[122:123], v[130:131], v[126:127]
	buffer_load_dword v127, off, s[0:3], 0 offset:244
	buffer_load_dword v126, off, s[0:3], 0 offset:240
	buffer_load_dword v131, off, s[0:3], 0 offset:252
	buffer_load_dword v130, off, s[0:3], 0 offset:248
	s_waitcnt vmcnt(2)
	v_fmac_f64_e32 v[122:123], v[126:127], v[128:129]
	ds_read2_b64 v[126:129], v124 offset0:91 offset1:92
	s_waitcnt vmcnt(0) lgkmcnt(0)
	v_fmac_f64_e32 v[122:123], v[130:131], v[126:127]
	buffer_load_dword v127, off, s[0:3], 0 offset:260
	buffer_load_dword v126, off, s[0:3], 0 offset:256
	buffer_load_dword v131, off, s[0:3], 0 offset:268
	buffer_load_dword v130, off, s[0:3], 0 offset:264
	s_waitcnt vmcnt(2)
	v_fmac_f64_e32 v[122:123], v[126:127], v[128:129]
	ds_read2_b64 v[126:129], v124 offset0:93 offset1:94
	s_waitcnt vmcnt(0) lgkmcnt(0)
	v_fmac_f64_e32 v[122:123], v[130:131], v[126:127]
	buffer_load_dword v127, off, s[0:3], 0 offset:276
	buffer_load_dword v126, off, s[0:3], 0 offset:272
	buffer_load_dword v131, off, s[0:3], 0 offset:284
	buffer_load_dword v130, off, s[0:3], 0 offset:280
	s_waitcnt vmcnt(2)
	v_fmac_f64_e32 v[122:123], v[126:127], v[128:129]
	ds_read2_b64 v[126:129], v124 offset0:95 offset1:96
	s_waitcnt vmcnt(0) lgkmcnt(0)
	v_fmac_f64_e32 v[122:123], v[130:131], v[126:127]
	buffer_load_dword v127, off, s[0:3], 0 offset:292
	buffer_load_dword v126, off, s[0:3], 0 offset:288
	buffer_load_dword v131, off, s[0:3], 0 offset:300
	buffer_load_dword v130, off, s[0:3], 0 offset:296
	s_waitcnt vmcnt(2)
	v_fmac_f64_e32 v[122:123], v[126:127], v[128:129]
	ds_read2_b64 v[126:129], v124 offset0:97 offset1:98
	s_waitcnt vmcnt(0) lgkmcnt(0)
	v_fmac_f64_e32 v[122:123], v[130:131], v[126:127]
	buffer_load_dword v127, off, s[0:3], 0 offset:308
	buffer_load_dword v126, off, s[0:3], 0 offset:304
	buffer_load_dword v131, off, s[0:3], 0 offset:316
	buffer_load_dword v130, off, s[0:3], 0 offset:312
	s_waitcnt vmcnt(2)
	v_fmac_f64_e32 v[122:123], v[126:127], v[128:129]
	ds_read2_b64 v[126:129], v124 offset0:99 offset1:100
	s_waitcnt vmcnt(0) lgkmcnt(0)
	v_fmac_f64_e32 v[122:123], v[130:131], v[126:127]
	buffer_load_dword v127, off, s[0:3], 0 offset:324
	buffer_load_dword v126, off, s[0:3], 0 offset:320
	buffer_load_dword v131, off, s[0:3], 0 offset:332
	buffer_load_dword v130, off, s[0:3], 0 offset:328
	s_waitcnt vmcnt(2)
	v_fmac_f64_e32 v[122:123], v[126:127], v[128:129]
	ds_read2_b64 v[126:129], v124 offset0:101 offset1:102
	s_waitcnt vmcnt(0) lgkmcnt(0)
	v_fmac_f64_e32 v[122:123], v[130:131], v[126:127]
	buffer_load_dword v127, off, s[0:3], 0 offset:340
	buffer_load_dword v126, off, s[0:3], 0 offset:336
	buffer_load_dword v131, off, s[0:3], 0 offset:348
	buffer_load_dword v130, off, s[0:3], 0 offset:344
	s_waitcnt vmcnt(2)
	v_fmac_f64_e32 v[122:123], v[126:127], v[128:129]
	ds_read2_b64 v[126:129], v124 offset0:103 offset1:104
	s_waitcnt vmcnt(0) lgkmcnt(0)
	v_fmac_f64_e32 v[122:123], v[130:131], v[126:127]
	buffer_load_dword v127, off, s[0:3], 0 offset:356
	buffer_load_dword v126, off, s[0:3], 0 offset:352
	buffer_load_dword v131, off, s[0:3], 0 offset:364
	buffer_load_dword v130, off, s[0:3], 0 offset:360
	s_waitcnt vmcnt(2)
	v_fmac_f64_e32 v[122:123], v[126:127], v[128:129]
	ds_read2_b64 v[126:129], v124 offset0:105 offset1:106
	s_waitcnt vmcnt(0) lgkmcnt(0)
	v_fmac_f64_e32 v[122:123], v[130:131], v[126:127]
	buffer_load_dword v127, off, s[0:3], 0 offset:372
	buffer_load_dword v126, off, s[0:3], 0 offset:368
	buffer_load_dword v131, off, s[0:3], 0 offset:380
	buffer_load_dword v130, off, s[0:3], 0 offset:376
	s_waitcnt vmcnt(2)
	v_fmac_f64_e32 v[122:123], v[126:127], v[128:129]
	ds_read2_b64 v[126:129], v124 offset0:107 offset1:108
	s_waitcnt vmcnt(0) lgkmcnt(0)
	v_fmac_f64_e32 v[122:123], v[130:131], v[126:127]
	buffer_load_dword v127, off, s[0:3], 0 offset:388
	buffer_load_dword v126, off, s[0:3], 0 offset:384
	buffer_load_dword v131, off, s[0:3], 0 offset:396
	buffer_load_dword v130, off, s[0:3], 0 offset:392
	s_waitcnt vmcnt(2)
	v_fmac_f64_e32 v[122:123], v[126:127], v[128:129]
	ds_read2_b64 v[126:129], v124 offset0:109 offset1:110
	s_waitcnt vmcnt(0) lgkmcnt(0)
	v_fmac_f64_e32 v[122:123], v[130:131], v[126:127]
	buffer_load_dword v127, off, s[0:3], 0 offset:404
	buffer_load_dword v126, off, s[0:3], 0 offset:400
	buffer_load_dword v131, off, s[0:3], 0 offset:412
	buffer_load_dword v130, off, s[0:3], 0 offset:408
	s_waitcnt vmcnt(2)
	v_fmac_f64_e32 v[122:123], v[126:127], v[128:129]
	ds_read2_b64 v[126:129], v124 offset0:111 offset1:112
	s_waitcnt vmcnt(0) lgkmcnt(0)
	v_fmac_f64_e32 v[122:123], v[130:131], v[126:127]
	buffer_load_dword v127, off, s[0:3], 0 offset:420
	buffer_load_dword v126, off, s[0:3], 0 offset:416
	buffer_load_dword v131, off, s[0:3], 0 offset:428
	buffer_load_dword v130, off, s[0:3], 0 offset:424
	s_waitcnt vmcnt(2)
	v_fmac_f64_e32 v[122:123], v[126:127], v[128:129]
	ds_read2_b64 v[126:129], v124 offset0:113 offset1:114
	s_waitcnt vmcnt(0) lgkmcnt(0)
	v_fmac_f64_e32 v[122:123], v[130:131], v[126:127]
	buffer_load_dword v127, off, s[0:3], 0 offset:436
	buffer_load_dword v126, off, s[0:3], 0 offset:432
	buffer_load_dword v131, off, s[0:3], 0 offset:444
	buffer_load_dword v130, off, s[0:3], 0 offset:440
	s_waitcnt vmcnt(2)
	v_fmac_f64_e32 v[122:123], v[126:127], v[128:129]
	ds_read2_b64 v[126:129], v124 offset0:115 offset1:116
	s_waitcnt vmcnt(0) lgkmcnt(0)
	v_fmac_f64_e32 v[122:123], v[130:131], v[126:127]
	buffer_load_dword v127, off, s[0:3], 0 offset:452
	buffer_load_dword v126, off, s[0:3], 0 offset:448
	s_waitcnt vmcnt(0)
	v_fmac_f64_e32 v[122:123], v[126:127], v[128:129]
	buffer_load_dword v129, off, s[0:3], 0 offset:460
	buffer_load_dword v128, off, s[0:3], 0 offset:456
	ds_read2_b64 v[124:127], v124 offset0:117 offset1:118
	s_waitcnt vmcnt(0) lgkmcnt(0)
	v_fmac_f64_e32 v[122:123], v[128:129], v[124:125]
	buffer_load_dword v125, off, s[0:3], 0 offset:468
	buffer_load_dword v124, off, s[0:3], 0 offset:464
	s_waitcnt vmcnt(0)
	v_fmac_f64_e32 v[122:123], v[124:125], v[126:127]
	v_add_f64 v[120:121], v[120:121], -v[122:123]
	buffer_store_dword v121, off, s[0:3], 0 offset:100
	buffer_store_dword v120, off, s[0:3], 0 offset:96
	s_and_saveexec_b64 s[4:5], vcc
	s_cbranch_execz .LBB58_339
; %bb.338:
	buffer_load_dword v120, off, s[0:3], 0 offset:88
	buffer_load_dword v121, off, s[0:3], 0 offset:92
	v_mov_b32_e32 v122, 0
	buffer_store_dword v122, off, s[0:3], 0 offset:88
	buffer_store_dword v122, off, s[0:3], 0 offset:92
	s_waitcnt vmcnt(2)
	ds_write_b64 v1, v[120:121]
.LBB58_339:
	s_or_b64 exec, exec, s[4:5]
	s_waitcnt lgkmcnt(0)
	; wave barrier
	s_waitcnt lgkmcnt(0)
	buffer_load_dword v120, off, s[0:3], 0 offset:88
	buffer_load_dword v121, off, s[0:3], 0 offset:92
	;; [unrolled: 1-line block ×16, first 2 shown]
	v_mov_b32_e32 v124, 0
	ds_read_b128 v[126:129], v124 offset:576
	ds_read_b128 v[130:133], v124 offset:592
	;; [unrolled: 1-line block ×4, first 2 shown]
	v_cmp_lt_u32_e32 vcc, 10, v0
	s_waitcnt vmcnt(12) lgkmcnt(3)
	v_fma_f64 v[122:123], v[122:123], v[126:127], 0
	buffer_load_dword v127, off, s[0:3], 0 offset:156
	buffer_load_dword v126, off, s[0:3], 0 offset:152
	s_waitcnt vmcnt(12)
	v_fmac_f64_e32 v[122:123], v[142:143], v[128:129]
	s_waitcnt vmcnt(10) lgkmcnt(2)
	v_fmac_f64_e32 v[122:123], v[144:145], v[130:131]
	buffer_load_dword v131, off, s[0:3], 0 offset:164
	buffer_load_dword v130, off, s[0:3], 0 offset:160
	s_waitcnt vmcnt(10)
	v_fmac_f64_e32 v[122:123], v[146:147], v[132:133]
	s_waitcnt vmcnt(8) lgkmcnt(1)
	v_fmac_f64_e32 v[122:123], v[148:149], v[134:135]
	s_waitcnt vmcnt(6)
	v_fmac_f64_e32 v[122:123], v[150:151], v[136:137]
	s_waitcnt vmcnt(4) lgkmcnt(0)
	v_fmac_f64_e32 v[122:123], v[152:153], v[138:139]
	s_waitcnt vmcnt(2)
	v_fmac_f64_e32 v[122:123], v[126:127], v[140:141]
	ds_read_b128 v[126:129], v124 offset:640
	s_waitcnt vmcnt(0) lgkmcnt(0)
	v_fmac_f64_e32 v[122:123], v[130:131], v[126:127]
	buffer_load_dword v127, off, s[0:3], 0 offset:172
	buffer_load_dword v126, off, s[0:3], 0 offset:168
	buffer_load_dword v131, off, s[0:3], 0 offset:180
	buffer_load_dword v130, off, s[0:3], 0 offset:176
	s_waitcnt vmcnt(2)
	v_fmac_f64_e32 v[122:123], v[126:127], v[128:129]
	ds_read_b128 v[126:129], v124 offset:656
	s_waitcnt vmcnt(0) lgkmcnt(0)
	v_fmac_f64_e32 v[122:123], v[130:131], v[126:127]
	buffer_load_dword v127, off, s[0:3], 0 offset:188
	buffer_load_dword v126, off, s[0:3], 0 offset:184
	buffer_load_dword v131, off, s[0:3], 0 offset:196
	buffer_load_dword v130, off, s[0:3], 0 offset:192
	;; [unrolled: 9-line block ×18, first 2 shown]
	s_waitcnt vmcnt(2)
	v_fmac_f64_e32 v[122:123], v[126:127], v[128:129]
	ds_read_b128 v[126:129], v124 offset:928
	s_waitcnt vmcnt(0) lgkmcnt(0)
	v_fmac_f64_e32 v[122:123], v[130:131], v[126:127]
	buffer_load_dword v127, off, s[0:3], 0 offset:460
	buffer_load_dword v126, off, s[0:3], 0 offset:456
	s_waitcnt vmcnt(0)
	v_fmac_f64_e32 v[122:123], v[126:127], v[128:129]
	buffer_load_dword v127, off, s[0:3], 0 offset:468
	buffer_load_dword v126, off, s[0:3], 0 offset:464
	ds_read_b64 v[128:129], v124 offset:944
	s_waitcnt vmcnt(0) lgkmcnt(0)
	v_fmac_f64_e32 v[122:123], v[126:127], v[128:129]
	v_add_f64 v[120:121], v[120:121], -v[122:123]
	buffer_store_dword v121, off, s[0:3], 0 offset:92
	buffer_store_dword v120, off, s[0:3], 0 offset:88
	s_and_saveexec_b64 s[4:5], vcc
	s_cbranch_execz .LBB58_341
; %bb.340:
	buffer_load_dword v120, off, s[0:3], 0 offset:80
	buffer_load_dword v121, off, s[0:3], 0 offset:84
	s_waitcnt vmcnt(0)
	ds_write_b64 v1, v[120:121]
	buffer_store_dword v124, off, s[0:3], 0 offset:80
	buffer_store_dword v124, off, s[0:3], 0 offset:84
.LBB58_341:
	s_or_b64 exec, exec, s[4:5]
	s_waitcnt lgkmcnt(0)
	; wave barrier
	s_waitcnt lgkmcnt(0)
	buffer_load_dword v120, off, s[0:3], 0 offset:80
	buffer_load_dword v121, off, s[0:3], 0 offset:84
	;; [unrolled: 1-line block ×16, first 2 shown]
	ds_read2_b64 v[126:129], v124 offset0:71 offset1:72
	v_cmp_lt_u32_e32 vcc, 9, v0
	s_waitcnt vmcnt(12) lgkmcnt(0)
	v_fma_f64 v[122:123], v[122:123], v[126:127], 0
	s_waitcnt vmcnt(10)
	v_fmac_f64_e32 v[122:123], v[130:131], v[128:129]
	ds_read2_b64 v[126:129], v124 offset0:73 offset1:74
	s_waitcnt vmcnt(8) lgkmcnt(0)
	v_fmac_f64_e32 v[122:123], v[132:133], v[126:127]
	s_waitcnt vmcnt(6)
	v_fmac_f64_e32 v[122:123], v[134:135], v[128:129]
	ds_read2_b64 v[126:129], v124 offset0:75 offset1:76
	s_waitcnt vmcnt(4) lgkmcnt(0)
	v_fmac_f64_e32 v[122:123], v[136:137], v[126:127]
	;; [unrolled: 5-line block ×3, first 2 shown]
	buffer_load_dword v127, off, s[0:3], 0 offset:148
	buffer_load_dword v126, off, s[0:3], 0 offset:144
	buffer_load_dword v131, off, s[0:3], 0 offset:156
	buffer_load_dword v130, off, s[0:3], 0 offset:152
	s_waitcnt vmcnt(2)
	v_fmac_f64_e32 v[122:123], v[126:127], v[128:129]
	ds_read2_b64 v[126:129], v124 offset0:79 offset1:80
	s_waitcnt vmcnt(0) lgkmcnt(0)
	v_fmac_f64_e32 v[122:123], v[130:131], v[126:127]
	buffer_load_dword v127, off, s[0:3], 0 offset:164
	buffer_load_dword v126, off, s[0:3], 0 offset:160
	buffer_load_dword v131, off, s[0:3], 0 offset:172
	buffer_load_dword v130, off, s[0:3], 0 offset:168
	s_waitcnt vmcnt(2)
	v_fmac_f64_e32 v[122:123], v[126:127], v[128:129]
	ds_read2_b64 v[126:129], v124 offset0:81 offset1:82
	s_waitcnt vmcnt(0) lgkmcnt(0)
	v_fmac_f64_e32 v[122:123], v[130:131], v[126:127]
	;; [unrolled: 9-line block ×19, first 2 shown]
	buffer_load_dword v127, off, s[0:3], 0 offset:452
	buffer_load_dword v126, off, s[0:3], 0 offset:448
	s_waitcnt vmcnt(0)
	v_fmac_f64_e32 v[122:123], v[126:127], v[128:129]
	buffer_load_dword v129, off, s[0:3], 0 offset:460
	buffer_load_dword v128, off, s[0:3], 0 offset:456
	ds_read2_b64 v[124:127], v124 offset0:117 offset1:118
	s_waitcnt vmcnt(0) lgkmcnt(0)
	v_fmac_f64_e32 v[122:123], v[128:129], v[124:125]
	buffer_load_dword v125, off, s[0:3], 0 offset:468
	buffer_load_dword v124, off, s[0:3], 0 offset:464
	s_waitcnt vmcnt(0)
	v_fmac_f64_e32 v[122:123], v[124:125], v[126:127]
	v_add_f64 v[120:121], v[120:121], -v[122:123]
	buffer_store_dword v121, off, s[0:3], 0 offset:84
	buffer_store_dword v120, off, s[0:3], 0 offset:80
	s_and_saveexec_b64 s[4:5], vcc
	s_cbranch_execz .LBB58_343
; %bb.342:
	buffer_load_dword v120, off, s[0:3], 0 offset:72
	buffer_load_dword v121, off, s[0:3], 0 offset:76
	v_mov_b32_e32 v122, 0
	buffer_store_dword v122, off, s[0:3], 0 offset:72
	buffer_store_dword v122, off, s[0:3], 0 offset:76
	s_waitcnt vmcnt(2)
	ds_write_b64 v1, v[120:121]
.LBB58_343:
	s_or_b64 exec, exec, s[4:5]
	s_waitcnt lgkmcnt(0)
	; wave barrier
	s_waitcnt lgkmcnt(0)
	buffer_load_dword v120, off, s[0:3], 0 offset:72
	buffer_load_dword v121, off, s[0:3], 0 offset:76
	;; [unrolled: 1-line block ×16, first 2 shown]
	v_mov_b32_e32 v124, 0
	ds_read_b128 v[126:129], v124 offset:560
	v_cmp_lt_u32_e32 vcc, 8, v0
	s_waitcnt vmcnt(12) lgkmcnt(0)
	v_fma_f64 v[122:123], v[122:123], v[126:127], 0
	s_waitcnt vmcnt(10)
	v_fmac_f64_e32 v[122:123], v[130:131], v[128:129]
	ds_read_b128 v[126:129], v124 offset:576
	s_waitcnt vmcnt(8) lgkmcnt(0)
	v_fmac_f64_e32 v[122:123], v[132:133], v[126:127]
	s_waitcnt vmcnt(6)
	v_fmac_f64_e32 v[122:123], v[134:135], v[128:129]
	ds_read_b128 v[126:129], v124 offset:592
	s_waitcnt vmcnt(4) lgkmcnt(0)
	v_fmac_f64_e32 v[122:123], v[136:137], v[126:127]
	;; [unrolled: 5-line block ×3, first 2 shown]
	buffer_load_dword v127, off, s[0:3], 0 offset:140
	buffer_load_dword v126, off, s[0:3], 0 offset:136
	buffer_load_dword v131, off, s[0:3], 0 offset:148
	buffer_load_dword v130, off, s[0:3], 0 offset:144
	s_waitcnt vmcnt(2)
	v_fmac_f64_e32 v[122:123], v[126:127], v[128:129]
	ds_read_b128 v[126:129], v124 offset:624
	s_waitcnt vmcnt(0) lgkmcnt(0)
	v_fmac_f64_e32 v[122:123], v[130:131], v[126:127]
	buffer_load_dword v127, off, s[0:3], 0 offset:156
	buffer_load_dword v126, off, s[0:3], 0 offset:152
	buffer_load_dword v131, off, s[0:3], 0 offset:164
	buffer_load_dword v130, off, s[0:3], 0 offset:160
	s_waitcnt vmcnt(2)
	v_fmac_f64_e32 v[122:123], v[126:127], v[128:129]
	ds_read_b128 v[126:129], v124 offset:640
	s_waitcnt vmcnt(0) lgkmcnt(0)
	v_fmac_f64_e32 v[122:123], v[130:131], v[126:127]
	;; [unrolled: 9-line block ×20, first 2 shown]
	buffer_load_dword v127, off, s[0:3], 0 offset:460
	buffer_load_dword v126, off, s[0:3], 0 offset:456
	s_waitcnt vmcnt(0)
	v_fmac_f64_e32 v[122:123], v[126:127], v[128:129]
	buffer_load_dword v127, off, s[0:3], 0 offset:468
	buffer_load_dword v126, off, s[0:3], 0 offset:464
	ds_read_b64 v[128:129], v124 offset:944
	s_waitcnt vmcnt(0) lgkmcnt(0)
	v_fmac_f64_e32 v[122:123], v[126:127], v[128:129]
	v_add_f64 v[120:121], v[120:121], -v[122:123]
	buffer_store_dword v121, off, s[0:3], 0 offset:76
	buffer_store_dword v120, off, s[0:3], 0 offset:72
	s_and_saveexec_b64 s[4:5], vcc
	s_cbranch_execz .LBB58_345
; %bb.344:
	buffer_load_dword v120, off, s[0:3], 0 offset:64
	buffer_load_dword v121, off, s[0:3], 0 offset:68
	s_waitcnt vmcnt(0)
	ds_write_b64 v1, v[120:121]
	buffer_store_dword v124, off, s[0:3], 0 offset:64
	buffer_store_dword v124, off, s[0:3], 0 offset:68
.LBB58_345:
	s_or_b64 exec, exec, s[4:5]
	s_waitcnt lgkmcnt(0)
	; wave barrier
	s_waitcnt lgkmcnt(0)
	buffer_load_dword v120, off, s[0:3], 0 offset:64
	buffer_load_dword v121, off, s[0:3], 0 offset:68
	;; [unrolled: 1-line block ×16, first 2 shown]
	ds_read2_b64 v[126:129], v124 offset0:69 offset1:70
	v_cmp_lt_u32_e32 vcc, 7, v0
	s_waitcnt vmcnt(12) lgkmcnt(0)
	v_fma_f64 v[122:123], v[122:123], v[126:127], 0
	s_waitcnt vmcnt(10)
	v_fmac_f64_e32 v[122:123], v[130:131], v[128:129]
	ds_read2_b64 v[126:129], v124 offset0:71 offset1:72
	s_waitcnt vmcnt(8) lgkmcnt(0)
	v_fmac_f64_e32 v[122:123], v[132:133], v[126:127]
	s_waitcnt vmcnt(6)
	v_fmac_f64_e32 v[122:123], v[134:135], v[128:129]
	ds_read2_b64 v[126:129], v124 offset0:73 offset1:74
	s_waitcnt vmcnt(4) lgkmcnt(0)
	v_fmac_f64_e32 v[122:123], v[136:137], v[126:127]
	;; [unrolled: 5-line block ×3, first 2 shown]
	buffer_load_dword v127, off, s[0:3], 0 offset:132
	buffer_load_dword v126, off, s[0:3], 0 offset:128
	buffer_load_dword v131, off, s[0:3], 0 offset:140
	buffer_load_dword v130, off, s[0:3], 0 offset:136
	s_waitcnt vmcnt(2)
	v_fmac_f64_e32 v[122:123], v[126:127], v[128:129]
	ds_read2_b64 v[126:129], v124 offset0:77 offset1:78
	s_waitcnt vmcnt(0) lgkmcnt(0)
	v_fmac_f64_e32 v[122:123], v[130:131], v[126:127]
	buffer_load_dword v127, off, s[0:3], 0 offset:148
	buffer_load_dword v126, off, s[0:3], 0 offset:144
	buffer_load_dword v131, off, s[0:3], 0 offset:156
	buffer_load_dword v130, off, s[0:3], 0 offset:152
	s_waitcnt vmcnt(2)
	v_fmac_f64_e32 v[122:123], v[126:127], v[128:129]
	ds_read2_b64 v[126:129], v124 offset0:79 offset1:80
	s_waitcnt vmcnt(0) lgkmcnt(0)
	v_fmac_f64_e32 v[122:123], v[130:131], v[126:127]
	;; [unrolled: 9-line block ×20, first 2 shown]
	buffer_load_dword v127, off, s[0:3], 0 offset:452
	buffer_load_dword v126, off, s[0:3], 0 offset:448
	s_waitcnt vmcnt(0)
	v_fmac_f64_e32 v[122:123], v[126:127], v[128:129]
	buffer_load_dword v129, off, s[0:3], 0 offset:460
	buffer_load_dword v128, off, s[0:3], 0 offset:456
	ds_read2_b64 v[124:127], v124 offset0:117 offset1:118
	s_waitcnt vmcnt(0) lgkmcnt(0)
	v_fmac_f64_e32 v[122:123], v[128:129], v[124:125]
	buffer_load_dword v125, off, s[0:3], 0 offset:468
	buffer_load_dword v124, off, s[0:3], 0 offset:464
	s_waitcnt vmcnt(0)
	v_fmac_f64_e32 v[122:123], v[124:125], v[126:127]
	v_add_f64 v[120:121], v[120:121], -v[122:123]
	buffer_store_dword v121, off, s[0:3], 0 offset:68
	buffer_store_dword v120, off, s[0:3], 0 offset:64
	s_and_saveexec_b64 s[4:5], vcc
	s_cbranch_execz .LBB58_347
; %bb.346:
	buffer_load_dword v120, off, s[0:3], 0 offset:56
	buffer_load_dword v121, off, s[0:3], 0 offset:60
	v_mov_b32_e32 v122, 0
	buffer_store_dword v122, off, s[0:3], 0 offset:56
	buffer_store_dword v122, off, s[0:3], 0 offset:60
	s_waitcnt vmcnt(2)
	ds_write_b64 v1, v[120:121]
.LBB58_347:
	s_or_b64 exec, exec, s[4:5]
	s_waitcnt lgkmcnt(0)
	; wave barrier
	s_waitcnt lgkmcnt(0)
	buffer_load_dword v120, off, s[0:3], 0 offset:56
	buffer_load_dword v121, off, s[0:3], 0 offset:60
	;; [unrolled: 1-line block ×16, first 2 shown]
	v_mov_b32_e32 v124, 0
	ds_read_b128 v[126:129], v124 offset:544
	v_cmp_lt_u32_e32 vcc, 6, v0
	s_waitcnt vmcnt(12) lgkmcnt(0)
	v_fma_f64 v[122:123], v[122:123], v[126:127], 0
	s_waitcnt vmcnt(10)
	v_fmac_f64_e32 v[122:123], v[130:131], v[128:129]
	ds_read_b128 v[126:129], v124 offset:560
	s_waitcnt vmcnt(8) lgkmcnt(0)
	v_fmac_f64_e32 v[122:123], v[132:133], v[126:127]
	s_waitcnt vmcnt(6)
	v_fmac_f64_e32 v[122:123], v[134:135], v[128:129]
	ds_read_b128 v[126:129], v124 offset:576
	s_waitcnt vmcnt(4) lgkmcnt(0)
	v_fmac_f64_e32 v[122:123], v[136:137], v[126:127]
	;; [unrolled: 5-line block ×3, first 2 shown]
	buffer_load_dword v127, off, s[0:3], 0 offset:124
	buffer_load_dword v126, off, s[0:3], 0 offset:120
	buffer_load_dword v131, off, s[0:3], 0 offset:132
	buffer_load_dword v130, off, s[0:3], 0 offset:128
	s_waitcnt vmcnt(2)
	v_fmac_f64_e32 v[122:123], v[126:127], v[128:129]
	ds_read_b128 v[126:129], v124 offset:608
	s_waitcnt vmcnt(0) lgkmcnt(0)
	v_fmac_f64_e32 v[122:123], v[130:131], v[126:127]
	buffer_load_dword v127, off, s[0:3], 0 offset:140
	buffer_load_dword v126, off, s[0:3], 0 offset:136
	buffer_load_dword v131, off, s[0:3], 0 offset:148
	buffer_load_dword v130, off, s[0:3], 0 offset:144
	s_waitcnt vmcnt(2)
	v_fmac_f64_e32 v[122:123], v[126:127], v[128:129]
	ds_read_b128 v[126:129], v124 offset:624
	s_waitcnt vmcnt(0) lgkmcnt(0)
	v_fmac_f64_e32 v[122:123], v[130:131], v[126:127]
	;; [unrolled: 9-line block ×21, first 2 shown]
	buffer_load_dword v127, off, s[0:3], 0 offset:460
	buffer_load_dword v126, off, s[0:3], 0 offset:456
	s_waitcnt vmcnt(0)
	v_fmac_f64_e32 v[122:123], v[126:127], v[128:129]
	buffer_load_dword v127, off, s[0:3], 0 offset:468
	buffer_load_dword v126, off, s[0:3], 0 offset:464
	ds_read_b64 v[128:129], v124 offset:944
	s_waitcnt vmcnt(0) lgkmcnt(0)
	v_fmac_f64_e32 v[122:123], v[126:127], v[128:129]
	v_add_f64 v[120:121], v[120:121], -v[122:123]
	buffer_store_dword v121, off, s[0:3], 0 offset:60
	buffer_store_dword v120, off, s[0:3], 0 offset:56
	s_and_saveexec_b64 s[4:5], vcc
	s_cbranch_execz .LBB58_349
; %bb.348:
	buffer_load_dword v120, off, s[0:3], 0 offset:48
	buffer_load_dword v121, off, s[0:3], 0 offset:52
	s_waitcnt vmcnt(0)
	ds_write_b64 v1, v[120:121]
	buffer_store_dword v124, off, s[0:3], 0 offset:48
	buffer_store_dword v124, off, s[0:3], 0 offset:52
.LBB58_349:
	s_or_b64 exec, exec, s[4:5]
	s_waitcnt lgkmcnt(0)
	; wave barrier
	s_waitcnt lgkmcnt(0)
	buffer_load_dword v120, off, s[0:3], 0 offset:48
	buffer_load_dword v121, off, s[0:3], 0 offset:52
	;; [unrolled: 1-line block ×16, first 2 shown]
	ds_read2_b64 v[126:129], v124 offset0:67 offset1:68
	v_cmp_lt_u32_e32 vcc, 5, v0
	s_waitcnt vmcnt(12) lgkmcnt(0)
	v_fma_f64 v[122:123], v[122:123], v[126:127], 0
	s_waitcnt vmcnt(10)
	v_fmac_f64_e32 v[122:123], v[130:131], v[128:129]
	ds_read2_b64 v[126:129], v124 offset0:69 offset1:70
	s_waitcnt vmcnt(8) lgkmcnt(0)
	v_fmac_f64_e32 v[122:123], v[132:133], v[126:127]
	s_waitcnt vmcnt(6)
	v_fmac_f64_e32 v[122:123], v[134:135], v[128:129]
	ds_read2_b64 v[126:129], v124 offset0:71 offset1:72
	s_waitcnt vmcnt(4) lgkmcnt(0)
	v_fmac_f64_e32 v[122:123], v[136:137], v[126:127]
	;; [unrolled: 5-line block ×3, first 2 shown]
	buffer_load_dword v127, off, s[0:3], 0 offset:116
	buffer_load_dword v126, off, s[0:3], 0 offset:112
	buffer_load_dword v131, off, s[0:3], 0 offset:124
	buffer_load_dword v130, off, s[0:3], 0 offset:120
	s_waitcnt vmcnt(2)
	v_fmac_f64_e32 v[122:123], v[126:127], v[128:129]
	ds_read2_b64 v[126:129], v124 offset0:75 offset1:76
	s_waitcnt vmcnt(0) lgkmcnt(0)
	v_fmac_f64_e32 v[122:123], v[130:131], v[126:127]
	buffer_load_dword v127, off, s[0:3], 0 offset:132
	buffer_load_dword v126, off, s[0:3], 0 offset:128
	buffer_load_dword v131, off, s[0:3], 0 offset:140
	buffer_load_dword v130, off, s[0:3], 0 offset:136
	s_waitcnt vmcnt(2)
	v_fmac_f64_e32 v[122:123], v[126:127], v[128:129]
	ds_read2_b64 v[126:129], v124 offset0:77 offset1:78
	s_waitcnt vmcnt(0) lgkmcnt(0)
	v_fmac_f64_e32 v[122:123], v[130:131], v[126:127]
	buffer_load_dword v127, off, s[0:3], 0 offset:148
	buffer_load_dword v126, off, s[0:3], 0 offset:144
	buffer_load_dword v131, off, s[0:3], 0 offset:156
	buffer_load_dword v130, off, s[0:3], 0 offset:152
	s_waitcnt vmcnt(2)
	v_fmac_f64_e32 v[122:123], v[126:127], v[128:129]
	ds_read2_b64 v[126:129], v124 offset0:79 offset1:80
	s_waitcnt vmcnt(0) lgkmcnt(0)
	v_fmac_f64_e32 v[122:123], v[130:131], v[126:127]
	buffer_load_dword v127, off, s[0:3], 0 offset:164
	buffer_load_dword v126, off, s[0:3], 0 offset:160
	buffer_load_dword v131, off, s[0:3], 0 offset:172
	buffer_load_dword v130, off, s[0:3], 0 offset:168
	s_waitcnt vmcnt(2)
	v_fmac_f64_e32 v[122:123], v[126:127], v[128:129]
	ds_read2_b64 v[126:129], v124 offset0:81 offset1:82
	s_waitcnt vmcnt(0) lgkmcnt(0)
	v_fmac_f64_e32 v[122:123], v[130:131], v[126:127]
	buffer_load_dword v127, off, s[0:3], 0 offset:180
	buffer_load_dword v126, off, s[0:3], 0 offset:176
	buffer_load_dword v131, off, s[0:3], 0 offset:188
	buffer_load_dword v130, off, s[0:3], 0 offset:184
	s_waitcnt vmcnt(2)
	v_fmac_f64_e32 v[122:123], v[126:127], v[128:129]
	ds_read2_b64 v[126:129], v124 offset0:83 offset1:84
	s_waitcnt vmcnt(0) lgkmcnt(0)
	v_fmac_f64_e32 v[122:123], v[130:131], v[126:127]
	buffer_load_dword v127, off, s[0:3], 0 offset:196
	buffer_load_dword v126, off, s[0:3], 0 offset:192
	buffer_load_dword v131, off, s[0:3], 0 offset:204
	buffer_load_dword v130, off, s[0:3], 0 offset:200
	s_waitcnt vmcnt(2)
	v_fmac_f64_e32 v[122:123], v[126:127], v[128:129]
	ds_read2_b64 v[126:129], v124 offset0:85 offset1:86
	s_waitcnt vmcnt(0) lgkmcnt(0)
	v_fmac_f64_e32 v[122:123], v[130:131], v[126:127]
	buffer_load_dword v127, off, s[0:3], 0 offset:212
	buffer_load_dword v126, off, s[0:3], 0 offset:208
	buffer_load_dword v131, off, s[0:3], 0 offset:220
	buffer_load_dword v130, off, s[0:3], 0 offset:216
	s_waitcnt vmcnt(2)
	v_fmac_f64_e32 v[122:123], v[126:127], v[128:129]
	ds_read2_b64 v[126:129], v124 offset0:87 offset1:88
	s_waitcnt vmcnt(0) lgkmcnt(0)
	v_fmac_f64_e32 v[122:123], v[130:131], v[126:127]
	buffer_load_dword v127, off, s[0:3], 0 offset:228
	buffer_load_dword v126, off, s[0:3], 0 offset:224
	buffer_load_dword v131, off, s[0:3], 0 offset:236
	buffer_load_dword v130, off, s[0:3], 0 offset:232
	s_waitcnt vmcnt(2)
	v_fmac_f64_e32 v[122:123], v[126:127], v[128:129]
	ds_read2_b64 v[126:129], v124 offset0:89 offset1:90
	s_waitcnt vmcnt(0) lgkmcnt(0)
	v_fmac_f64_e32 v[122:123], v[130:131], v[126:127]
	buffer_load_dword v127, off, s[0:3], 0 offset:244
	buffer_load_dword v126, off, s[0:3], 0 offset:240
	buffer_load_dword v131, off, s[0:3], 0 offset:252
	buffer_load_dword v130, off, s[0:3], 0 offset:248
	s_waitcnt vmcnt(2)
	v_fmac_f64_e32 v[122:123], v[126:127], v[128:129]
	ds_read2_b64 v[126:129], v124 offset0:91 offset1:92
	s_waitcnt vmcnt(0) lgkmcnt(0)
	v_fmac_f64_e32 v[122:123], v[130:131], v[126:127]
	buffer_load_dword v127, off, s[0:3], 0 offset:260
	buffer_load_dword v126, off, s[0:3], 0 offset:256
	buffer_load_dword v131, off, s[0:3], 0 offset:268
	buffer_load_dword v130, off, s[0:3], 0 offset:264
	s_waitcnt vmcnt(2)
	v_fmac_f64_e32 v[122:123], v[126:127], v[128:129]
	ds_read2_b64 v[126:129], v124 offset0:93 offset1:94
	s_waitcnt vmcnt(0) lgkmcnt(0)
	v_fmac_f64_e32 v[122:123], v[130:131], v[126:127]
	buffer_load_dword v127, off, s[0:3], 0 offset:276
	buffer_load_dword v126, off, s[0:3], 0 offset:272
	buffer_load_dword v131, off, s[0:3], 0 offset:284
	buffer_load_dword v130, off, s[0:3], 0 offset:280
	s_waitcnt vmcnt(2)
	v_fmac_f64_e32 v[122:123], v[126:127], v[128:129]
	ds_read2_b64 v[126:129], v124 offset0:95 offset1:96
	s_waitcnt vmcnt(0) lgkmcnt(0)
	v_fmac_f64_e32 v[122:123], v[130:131], v[126:127]
	buffer_load_dword v127, off, s[0:3], 0 offset:292
	buffer_load_dword v126, off, s[0:3], 0 offset:288
	buffer_load_dword v131, off, s[0:3], 0 offset:300
	buffer_load_dword v130, off, s[0:3], 0 offset:296
	s_waitcnt vmcnt(2)
	v_fmac_f64_e32 v[122:123], v[126:127], v[128:129]
	ds_read2_b64 v[126:129], v124 offset0:97 offset1:98
	s_waitcnt vmcnt(0) lgkmcnt(0)
	v_fmac_f64_e32 v[122:123], v[130:131], v[126:127]
	buffer_load_dword v127, off, s[0:3], 0 offset:308
	buffer_load_dword v126, off, s[0:3], 0 offset:304
	buffer_load_dword v131, off, s[0:3], 0 offset:316
	buffer_load_dword v130, off, s[0:3], 0 offset:312
	s_waitcnt vmcnt(2)
	v_fmac_f64_e32 v[122:123], v[126:127], v[128:129]
	ds_read2_b64 v[126:129], v124 offset0:99 offset1:100
	s_waitcnt vmcnt(0) lgkmcnt(0)
	v_fmac_f64_e32 v[122:123], v[130:131], v[126:127]
	buffer_load_dword v127, off, s[0:3], 0 offset:324
	buffer_load_dword v126, off, s[0:3], 0 offset:320
	buffer_load_dword v131, off, s[0:3], 0 offset:332
	buffer_load_dword v130, off, s[0:3], 0 offset:328
	s_waitcnt vmcnt(2)
	v_fmac_f64_e32 v[122:123], v[126:127], v[128:129]
	ds_read2_b64 v[126:129], v124 offset0:101 offset1:102
	s_waitcnt vmcnt(0) lgkmcnt(0)
	v_fmac_f64_e32 v[122:123], v[130:131], v[126:127]
	buffer_load_dword v127, off, s[0:3], 0 offset:340
	buffer_load_dword v126, off, s[0:3], 0 offset:336
	buffer_load_dword v131, off, s[0:3], 0 offset:348
	buffer_load_dword v130, off, s[0:3], 0 offset:344
	s_waitcnt vmcnt(2)
	v_fmac_f64_e32 v[122:123], v[126:127], v[128:129]
	ds_read2_b64 v[126:129], v124 offset0:103 offset1:104
	s_waitcnt vmcnt(0) lgkmcnt(0)
	v_fmac_f64_e32 v[122:123], v[130:131], v[126:127]
	buffer_load_dword v127, off, s[0:3], 0 offset:356
	buffer_load_dword v126, off, s[0:3], 0 offset:352
	buffer_load_dword v131, off, s[0:3], 0 offset:364
	buffer_load_dword v130, off, s[0:3], 0 offset:360
	s_waitcnt vmcnt(2)
	v_fmac_f64_e32 v[122:123], v[126:127], v[128:129]
	ds_read2_b64 v[126:129], v124 offset0:105 offset1:106
	s_waitcnt vmcnt(0) lgkmcnt(0)
	v_fmac_f64_e32 v[122:123], v[130:131], v[126:127]
	buffer_load_dword v127, off, s[0:3], 0 offset:372
	buffer_load_dword v126, off, s[0:3], 0 offset:368
	buffer_load_dword v131, off, s[0:3], 0 offset:380
	buffer_load_dword v130, off, s[0:3], 0 offset:376
	s_waitcnt vmcnt(2)
	v_fmac_f64_e32 v[122:123], v[126:127], v[128:129]
	ds_read2_b64 v[126:129], v124 offset0:107 offset1:108
	s_waitcnt vmcnt(0) lgkmcnt(0)
	v_fmac_f64_e32 v[122:123], v[130:131], v[126:127]
	buffer_load_dword v127, off, s[0:3], 0 offset:388
	buffer_load_dword v126, off, s[0:3], 0 offset:384
	buffer_load_dword v131, off, s[0:3], 0 offset:396
	buffer_load_dword v130, off, s[0:3], 0 offset:392
	s_waitcnt vmcnt(2)
	v_fmac_f64_e32 v[122:123], v[126:127], v[128:129]
	ds_read2_b64 v[126:129], v124 offset0:109 offset1:110
	s_waitcnt vmcnt(0) lgkmcnt(0)
	v_fmac_f64_e32 v[122:123], v[130:131], v[126:127]
	buffer_load_dword v127, off, s[0:3], 0 offset:404
	buffer_load_dword v126, off, s[0:3], 0 offset:400
	buffer_load_dword v131, off, s[0:3], 0 offset:412
	buffer_load_dword v130, off, s[0:3], 0 offset:408
	s_waitcnt vmcnt(2)
	v_fmac_f64_e32 v[122:123], v[126:127], v[128:129]
	ds_read2_b64 v[126:129], v124 offset0:111 offset1:112
	s_waitcnt vmcnt(0) lgkmcnt(0)
	v_fmac_f64_e32 v[122:123], v[130:131], v[126:127]
	buffer_load_dword v127, off, s[0:3], 0 offset:420
	buffer_load_dword v126, off, s[0:3], 0 offset:416
	buffer_load_dword v131, off, s[0:3], 0 offset:428
	buffer_load_dword v130, off, s[0:3], 0 offset:424
	s_waitcnt vmcnt(2)
	v_fmac_f64_e32 v[122:123], v[126:127], v[128:129]
	ds_read2_b64 v[126:129], v124 offset0:113 offset1:114
	s_waitcnt vmcnt(0) lgkmcnt(0)
	v_fmac_f64_e32 v[122:123], v[130:131], v[126:127]
	buffer_load_dword v127, off, s[0:3], 0 offset:436
	buffer_load_dword v126, off, s[0:3], 0 offset:432
	buffer_load_dword v131, off, s[0:3], 0 offset:444
	buffer_load_dword v130, off, s[0:3], 0 offset:440
	s_waitcnt vmcnt(2)
	v_fmac_f64_e32 v[122:123], v[126:127], v[128:129]
	ds_read2_b64 v[126:129], v124 offset0:115 offset1:116
	s_waitcnt vmcnt(0) lgkmcnt(0)
	v_fmac_f64_e32 v[122:123], v[130:131], v[126:127]
	buffer_load_dword v127, off, s[0:3], 0 offset:452
	buffer_load_dword v126, off, s[0:3], 0 offset:448
	s_waitcnt vmcnt(0)
	v_fmac_f64_e32 v[122:123], v[126:127], v[128:129]
	buffer_load_dword v129, off, s[0:3], 0 offset:460
	buffer_load_dword v128, off, s[0:3], 0 offset:456
	ds_read2_b64 v[124:127], v124 offset0:117 offset1:118
	s_waitcnt vmcnt(0) lgkmcnt(0)
	v_fmac_f64_e32 v[122:123], v[128:129], v[124:125]
	buffer_load_dword v125, off, s[0:3], 0 offset:468
	buffer_load_dword v124, off, s[0:3], 0 offset:464
	s_waitcnt vmcnt(0)
	v_fmac_f64_e32 v[122:123], v[124:125], v[126:127]
	v_add_f64 v[120:121], v[120:121], -v[122:123]
	buffer_store_dword v121, off, s[0:3], 0 offset:52
	buffer_store_dword v120, off, s[0:3], 0 offset:48
	s_and_saveexec_b64 s[4:5], vcc
	s_cbranch_execz .LBB58_351
; %bb.350:
	buffer_load_dword v120, off, s[0:3], 0 offset:40
	buffer_load_dword v121, off, s[0:3], 0 offset:44
	v_mov_b32_e32 v122, 0
	buffer_store_dword v122, off, s[0:3], 0 offset:40
	buffer_store_dword v122, off, s[0:3], 0 offset:44
	s_waitcnt vmcnt(2)
	ds_write_b64 v1, v[120:121]
.LBB58_351:
	s_or_b64 exec, exec, s[4:5]
	s_waitcnt lgkmcnt(0)
	; wave barrier
	s_waitcnt lgkmcnt(0)
	buffer_load_dword v120, off, s[0:3], 0 offset:40
	buffer_load_dword v121, off, s[0:3], 0 offset:44
	;; [unrolled: 1-line block ×16, first 2 shown]
	v_mov_b32_e32 v124, 0
	ds_read_b128 v[126:129], v124 offset:528
	v_cmp_lt_u32_e32 vcc, 4, v0
	s_waitcnt vmcnt(12) lgkmcnt(0)
	v_fma_f64 v[122:123], v[122:123], v[126:127], 0
	s_waitcnt vmcnt(10)
	v_fmac_f64_e32 v[122:123], v[130:131], v[128:129]
	ds_read_b128 v[126:129], v124 offset:544
	s_waitcnt vmcnt(8) lgkmcnt(0)
	v_fmac_f64_e32 v[122:123], v[132:133], v[126:127]
	s_waitcnt vmcnt(6)
	v_fmac_f64_e32 v[122:123], v[134:135], v[128:129]
	ds_read_b128 v[126:129], v124 offset:560
	s_waitcnt vmcnt(4) lgkmcnt(0)
	v_fmac_f64_e32 v[122:123], v[136:137], v[126:127]
	;; [unrolled: 5-line block ×3, first 2 shown]
	buffer_load_dword v127, off, s[0:3], 0 offset:108
	buffer_load_dword v126, off, s[0:3], 0 offset:104
	buffer_load_dword v131, off, s[0:3], 0 offset:116
	buffer_load_dword v130, off, s[0:3], 0 offset:112
	s_waitcnt vmcnt(2)
	v_fmac_f64_e32 v[122:123], v[126:127], v[128:129]
	ds_read_b128 v[126:129], v124 offset:592
	s_waitcnt vmcnt(0) lgkmcnt(0)
	v_fmac_f64_e32 v[122:123], v[130:131], v[126:127]
	buffer_load_dword v127, off, s[0:3], 0 offset:124
	buffer_load_dword v126, off, s[0:3], 0 offset:120
	buffer_load_dword v131, off, s[0:3], 0 offset:132
	buffer_load_dword v130, off, s[0:3], 0 offset:128
	s_waitcnt vmcnt(2)
	v_fmac_f64_e32 v[122:123], v[126:127], v[128:129]
	ds_read_b128 v[126:129], v124 offset:608
	s_waitcnt vmcnt(0) lgkmcnt(0)
	v_fmac_f64_e32 v[122:123], v[130:131], v[126:127]
	;; [unrolled: 9-line block ×22, first 2 shown]
	buffer_load_dword v127, off, s[0:3], 0 offset:460
	buffer_load_dword v126, off, s[0:3], 0 offset:456
	s_waitcnt vmcnt(0)
	v_fmac_f64_e32 v[122:123], v[126:127], v[128:129]
	buffer_load_dword v127, off, s[0:3], 0 offset:468
	buffer_load_dword v126, off, s[0:3], 0 offset:464
	ds_read_b64 v[128:129], v124 offset:944
	s_waitcnt vmcnt(0) lgkmcnt(0)
	v_fmac_f64_e32 v[122:123], v[126:127], v[128:129]
	v_add_f64 v[120:121], v[120:121], -v[122:123]
	buffer_store_dword v121, off, s[0:3], 0 offset:44
	buffer_store_dword v120, off, s[0:3], 0 offset:40
	s_and_saveexec_b64 s[4:5], vcc
	s_cbranch_execz .LBB58_353
; %bb.352:
	buffer_load_dword v120, off, s[0:3], 0 offset:32
	buffer_load_dword v121, off, s[0:3], 0 offset:36
	s_waitcnt vmcnt(0)
	ds_write_b64 v1, v[120:121]
	buffer_store_dword v124, off, s[0:3], 0 offset:32
	buffer_store_dword v124, off, s[0:3], 0 offset:36
.LBB58_353:
	s_or_b64 exec, exec, s[4:5]
	s_waitcnt lgkmcnt(0)
	; wave barrier
	s_waitcnt lgkmcnt(0)
	buffer_load_dword v120, off, s[0:3], 0 offset:32
	buffer_load_dword v121, off, s[0:3], 0 offset:36
	;; [unrolled: 1-line block ×16, first 2 shown]
	ds_read2_b64 v[126:129], v124 offset0:65 offset1:66
	v_cmp_lt_u32_e32 vcc, 3, v0
	s_waitcnt vmcnt(12) lgkmcnt(0)
	v_fma_f64 v[122:123], v[122:123], v[126:127], 0
	s_waitcnt vmcnt(10)
	v_fmac_f64_e32 v[122:123], v[130:131], v[128:129]
	ds_read2_b64 v[126:129], v124 offset0:67 offset1:68
	s_waitcnt vmcnt(8) lgkmcnt(0)
	v_fmac_f64_e32 v[122:123], v[132:133], v[126:127]
	s_waitcnt vmcnt(6)
	v_fmac_f64_e32 v[122:123], v[134:135], v[128:129]
	ds_read2_b64 v[126:129], v124 offset0:69 offset1:70
	s_waitcnt vmcnt(4) lgkmcnt(0)
	v_fmac_f64_e32 v[122:123], v[136:137], v[126:127]
	;; [unrolled: 5-line block ×3, first 2 shown]
	buffer_load_dword v127, off, s[0:3], 0 offset:100
	buffer_load_dword v126, off, s[0:3], 0 offset:96
	buffer_load_dword v131, off, s[0:3], 0 offset:108
	buffer_load_dword v130, off, s[0:3], 0 offset:104
	s_waitcnt vmcnt(2)
	v_fmac_f64_e32 v[122:123], v[126:127], v[128:129]
	ds_read2_b64 v[126:129], v124 offset0:73 offset1:74
	s_waitcnt vmcnt(0) lgkmcnt(0)
	v_fmac_f64_e32 v[122:123], v[130:131], v[126:127]
	buffer_load_dword v127, off, s[0:3], 0 offset:116
	buffer_load_dword v126, off, s[0:3], 0 offset:112
	buffer_load_dword v131, off, s[0:3], 0 offset:124
	buffer_load_dword v130, off, s[0:3], 0 offset:120
	s_waitcnt vmcnt(2)
	v_fmac_f64_e32 v[122:123], v[126:127], v[128:129]
	ds_read2_b64 v[126:129], v124 offset0:75 offset1:76
	s_waitcnt vmcnt(0) lgkmcnt(0)
	v_fmac_f64_e32 v[122:123], v[130:131], v[126:127]
	;; [unrolled: 9-line block ×22, first 2 shown]
	buffer_load_dword v127, off, s[0:3], 0 offset:452
	buffer_load_dword v126, off, s[0:3], 0 offset:448
	s_waitcnt vmcnt(0)
	v_fmac_f64_e32 v[122:123], v[126:127], v[128:129]
	buffer_load_dword v129, off, s[0:3], 0 offset:460
	buffer_load_dword v128, off, s[0:3], 0 offset:456
	ds_read2_b64 v[124:127], v124 offset0:117 offset1:118
	s_waitcnt vmcnt(0) lgkmcnt(0)
	v_fmac_f64_e32 v[122:123], v[128:129], v[124:125]
	buffer_load_dword v125, off, s[0:3], 0 offset:468
	buffer_load_dword v124, off, s[0:3], 0 offset:464
	s_waitcnt vmcnt(0)
	v_fmac_f64_e32 v[122:123], v[124:125], v[126:127]
	v_add_f64 v[120:121], v[120:121], -v[122:123]
	buffer_store_dword v121, off, s[0:3], 0 offset:36
	buffer_store_dword v120, off, s[0:3], 0 offset:32
	s_and_saveexec_b64 s[4:5], vcc
	s_cbranch_execz .LBB58_355
; %bb.354:
	buffer_load_dword v120, off, s[0:3], 0 offset:24
	buffer_load_dword v121, off, s[0:3], 0 offset:28
	v_mov_b32_e32 v122, 0
	buffer_store_dword v122, off, s[0:3], 0 offset:24
	buffer_store_dword v122, off, s[0:3], 0 offset:28
	s_waitcnt vmcnt(2)
	ds_write_b64 v1, v[120:121]
.LBB58_355:
	s_or_b64 exec, exec, s[4:5]
	s_waitcnt lgkmcnt(0)
	; wave barrier
	s_waitcnt lgkmcnt(0)
	buffer_load_dword v120, off, s[0:3], 0 offset:24
	buffer_load_dword v121, off, s[0:3], 0 offset:28
	;; [unrolled: 1-line block ×16, first 2 shown]
	v_mov_b32_e32 v124, 0
	ds_read_b128 v[126:129], v124 offset:512
	v_cmp_lt_u32_e32 vcc, 2, v0
	s_waitcnt vmcnt(12) lgkmcnt(0)
	v_fma_f64 v[122:123], v[122:123], v[126:127], 0
	s_waitcnt vmcnt(10)
	v_fmac_f64_e32 v[122:123], v[130:131], v[128:129]
	ds_read_b128 v[126:129], v124 offset:528
	s_waitcnt vmcnt(8) lgkmcnt(0)
	v_fmac_f64_e32 v[122:123], v[132:133], v[126:127]
	s_waitcnt vmcnt(6)
	v_fmac_f64_e32 v[122:123], v[134:135], v[128:129]
	ds_read_b128 v[126:129], v124 offset:544
	s_waitcnt vmcnt(4) lgkmcnt(0)
	v_fmac_f64_e32 v[122:123], v[136:137], v[126:127]
	;; [unrolled: 5-line block ×3, first 2 shown]
	buffer_load_dword v127, off, s[0:3], 0 offset:92
	buffer_load_dword v126, off, s[0:3], 0 offset:88
	buffer_load_dword v131, off, s[0:3], 0 offset:100
	buffer_load_dword v130, off, s[0:3], 0 offset:96
	s_waitcnt vmcnt(2)
	v_fmac_f64_e32 v[122:123], v[126:127], v[128:129]
	ds_read_b128 v[126:129], v124 offset:576
	s_waitcnt vmcnt(0) lgkmcnt(0)
	v_fmac_f64_e32 v[122:123], v[130:131], v[126:127]
	buffer_load_dword v127, off, s[0:3], 0 offset:108
	buffer_load_dword v126, off, s[0:3], 0 offset:104
	buffer_load_dword v131, off, s[0:3], 0 offset:116
	buffer_load_dword v130, off, s[0:3], 0 offset:112
	s_waitcnt vmcnt(2)
	v_fmac_f64_e32 v[122:123], v[126:127], v[128:129]
	ds_read_b128 v[126:129], v124 offset:592
	s_waitcnt vmcnt(0) lgkmcnt(0)
	v_fmac_f64_e32 v[122:123], v[130:131], v[126:127]
	;; [unrolled: 9-line block ×23, first 2 shown]
	buffer_load_dword v127, off, s[0:3], 0 offset:460
	buffer_load_dword v126, off, s[0:3], 0 offset:456
	s_waitcnt vmcnt(0)
	v_fmac_f64_e32 v[122:123], v[126:127], v[128:129]
	buffer_load_dword v127, off, s[0:3], 0 offset:468
	buffer_load_dword v126, off, s[0:3], 0 offset:464
	ds_read_b64 v[128:129], v124 offset:944
	s_waitcnt vmcnt(0) lgkmcnt(0)
	v_fmac_f64_e32 v[122:123], v[126:127], v[128:129]
	v_add_f64 v[120:121], v[120:121], -v[122:123]
	buffer_store_dword v121, off, s[0:3], 0 offset:28
	buffer_store_dword v120, off, s[0:3], 0 offset:24
	s_and_saveexec_b64 s[4:5], vcc
	s_cbranch_execz .LBB58_357
; %bb.356:
	buffer_load_dword v120, off, s[0:3], 0 offset:16
	buffer_load_dword v121, off, s[0:3], 0 offset:20
	s_waitcnt vmcnt(0)
	ds_write_b64 v1, v[120:121]
	buffer_store_dword v124, off, s[0:3], 0 offset:16
	buffer_store_dword v124, off, s[0:3], 0 offset:20
.LBB58_357:
	s_or_b64 exec, exec, s[4:5]
	s_waitcnt lgkmcnt(0)
	; wave barrier
	s_waitcnt lgkmcnt(0)
	buffer_load_dword v120, off, s[0:3], 0 offset:16
	buffer_load_dword v121, off, s[0:3], 0 offset:20
	buffer_load_dword v122, off, s[0:3], 0 offset:24
	buffer_load_dword v123, off, s[0:3], 0 offset:28
	buffer_load_dword v130, off, s[0:3], 0 offset:32
	buffer_load_dword v131, off, s[0:3], 0 offset:36
	buffer_load_dword v132, off, s[0:3], 0 offset:40
	buffer_load_dword v133, off, s[0:3], 0 offset:44
	buffer_load_dword v134, off, s[0:3], 0 offset:48
	buffer_load_dword v135, off, s[0:3], 0 offset:52
	buffer_load_dword v136, off, s[0:3], 0 offset:56
	buffer_load_dword v137, off, s[0:3], 0 offset:60
	buffer_load_dword v138, off, s[0:3], 0 offset:64
	buffer_load_dword v139, off, s[0:3], 0 offset:68
	buffer_load_dword v140, off, s[0:3], 0 offset:72
	buffer_load_dword v141, off, s[0:3], 0 offset:76
	ds_read2_b64 v[126:129], v124 offset0:63 offset1:64
	v_cmp_lt_u32_e32 vcc, 1, v0
	s_waitcnt vmcnt(12) lgkmcnt(0)
	v_fma_f64 v[122:123], v[122:123], v[126:127], 0
	s_waitcnt vmcnt(10)
	v_fmac_f64_e32 v[122:123], v[130:131], v[128:129]
	ds_read2_b64 v[126:129], v124 offset0:65 offset1:66
	s_waitcnt vmcnt(8) lgkmcnt(0)
	v_fmac_f64_e32 v[122:123], v[132:133], v[126:127]
	s_waitcnt vmcnt(6)
	v_fmac_f64_e32 v[122:123], v[134:135], v[128:129]
	ds_read2_b64 v[126:129], v124 offset0:67 offset1:68
	s_waitcnt vmcnt(4) lgkmcnt(0)
	v_fmac_f64_e32 v[122:123], v[136:137], v[126:127]
	s_waitcnt vmcnt(2)
	v_fmac_f64_e32 v[122:123], v[138:139], v[128:129]
	ds_read2_b64 v[126:129], v124 offset0:69 offset1:70
	s_waitcnt vmcnt(0) lgkmcnt(0)
	v_fmac_f64_e32 v[122:123], v[140:141], v[126:127]
	buffer_load_dword v127, off, s[0:3], 0 offset:84
	buffer_load_dword v126, off, s[0:3], 0 offset:80
	buffer_load_dword v131, off, s[0:3], 0 offset:92
	buffer_load_dword v130, off, s[0:3], 0 offset:88
	s_waitcnt vmcnt(2)
	v_fmac_f64_e32 v[122:123], v[126:127], v[128:129]
	ds_read2_b64 v[126:129], v124 offset0:71 offset1:72
	s_waitcnt vmcnt(0) lgkmcnt(0)
	v_fmac_f64_e32 v[122:123], v[130:131], v[126:127]
	buffer_load_dword v127, off, s[0:3], 0 offset:100
	buffer_load_dword v126, off, s[0:3], 0 offset:96
	buffer_load_dword v131, off, s[0:3], 0 offset:108
	buffer_load_dword v130, off, s[0:3], 0 offset:104
	s_waitcnt vmcnt(2)
	v_fmac_f64_e32 v[122:123], v[126:127], v[128:129]
	ds_read2_b64 v[126:129], v124 offset0:73 offset1:74
	s_waitcnt vmcnt(0) lgkmcnt(0)
	v_fmac_f64_e32 v[122:123], v[130:131], v[126:127]
	;; [unrolled: 9-line block ×23, first 2 shown]
	buffer_load_dword v127, off, s[0:3], 0 offset:452
	buffer_load_dword v126, off, s[0:3], 0 offset:448
	s_waitcnt vmcnt(0)
	v_fmac_f64_e32 v[122:123], v[126:127], v[128:129]
	buffer_load_dword v129, off, s[0:3], 0 offset:460
	buffer_load_dword v128, off, s[0:3], 0 offset:456
	ds_read2_b64 v[124:127], v124 offset0:117 offset1:118
	s_waitcnt vmcnt(0) lgkmcnt(0)
	v_fmac_f64_e32 v[122:123], v[128:129], v[124:125]
	buffer_load_dword v125, off, s[0:3], 0 offset:468
	buffer_load_dword v124, off, s[0:3], 0 offset:464
	s_waitcnt vmcnt(0)
	v_fmac_f64_e32 v[122:123], v[124:125], v[126:127]
	v_add_f64 v[120:121], v[120:121], -v[122:123]
	buffer_store_dword v121, off, s[0:3], 0 offset:20
	buffer_store_dword v120, off, s[0:3], 0 offset:16
	s_and_saveexec_b64 s[4:5], vcc
	s_cbranch_execz .LBB58_359
; %bb.358:
	buffer_load_dword v120, off, s[0:3], 0 offset:8
	buffer_load_dword v121, off, s[0:3], 0 offset:12
	v_mov_b32_e32 v122, 0
	buffer_store_dword v122, off, s[0:3], 0 offset:8
	buffer_store_dword v122, off, s[0:3], 0 offset:12
	s_waitcnt vmcnt(2)
	ds_write_b64 v1, v[120:121]
.LBB58_359:
	s_or_b64 exec, exec, s[4:5]
	s_waitcnt lgkmcnt(0)
	; wave barrier
	s_waitcnt lgkmcnt(0)
	buffer_load_dword v120, off, s[0:3], 0 offset:8
	buffer_load_dword v121, off, s[0:3], 0 offset:12
	;; [unrolled: 1-line block ×16, first 2 shown]
	v_mov_b32_e32 v124, 0
	ds_read_b128 v[126:129], v124 offset:496
	v_cmp_ne_u32_e32 vcc, 0, v0
	s_waitcnt vmcnt(12) lgkmcnt(0)
	v_fma_f64 v[122:123], v[122:123], v[126:127], 0
	s_waitcnt vmcnt(10)
	v_fmac_f64_e32 v[122:123], v[130:131], v[128:129]
	ds_read_b128 v[126:129], v124 offset:512
	s_waitcnt vmcnt(8) lgkmcnt(0)
	v_fmac_f64_e32 v[122:123], v[132:133], v[126:127]
	s_waitcnt vmcnt(6)
	v_fmac_f64_e32 v[122:123], v[134:135], v[128:129]
	ds_read_b128 v[126:129], v124 offset:528
	s_waitcnt vmcnt(4) lgkmcnt(0)
	v_fmac_f64_e32 v[122:123], v[136:137], v[126:127]
	s_waitcnt vmcnt(2)
	v_fmac_f64_e32 v[122:123], v[138:139], v[128:129]
	ds_read_b128 v[126:129], v124 offset:544
	s_waitcnt vmcnt(0) lgkmcnt(0)
	v_fmac_f64_e32 v[122:123], v[140:141], v[126:127]
	buffer_load_dword v127, off, s[0:3], 0 offset:76
	buffer_load_dword v126, off, s[0:3], 0 offset:72
	buffer_load_dword v131, off, s[0:3], 0 offset:84
	buffer_load_dword v130, off, s[0:3], 0 offset:80
	s_waitcnt vmcnt(2)
	v_fmac_f64_e32 v[122:123], v[126:127], v[128:129]
	ds_read_b128 v[126:129], v124 offset:560
	s_waitcnt vmcnt(0) lgkmcnt(0)
	v_fmac_f64_e32 v[122:123], v[130:131], v[126:127]
	buffer_load_dword v127, off, s[0:3], 0 offset:92
	buffer_load_dword v126, off, s[0:3], 0 offset:88
	buffer_load_dword v131, off, s[0:3], 0 offset:100
	buffer_load_dword v130, off, s[0:3], 0 offset:96
	s_waitcnt vmcnt(2)
	v_fmac_f64_e32 v[122:123], v[126:127], v[128:129]
	ds_read_b128 v[126:129], v124 offset:576
	s_waitcnt vmcnt(0) lgkmcnt(0)
	v_fmac_f64_e32 v[122:123], v[130:131], v[126:127]
	;; [unrolled: 9-line block ×24, first 2 shown]
	buffer_load_dword v127, off, s[0:3], 0 offset:460
	buffer_load_dword v126, off, s[0:3], 0 offset:456
	s_waitcnt vmcnt(0)
	v_fmac_f64_e32 v[122:123], v[126:127], v[128:129]
	buffer_load_dword v127, off, s[0:3], 0 offset:468
	buffer_load_dword v126, off, s[0:3], 0 offset:464
	ds_read_b64 v[128:129], v124 offset:944
	s_waitcnt vmcnt(0) lgkmcnt(0)
	v_fmac_f64_e32 v[122:123], v[126:127], v[128:129]
	v_add_f64 v[120:121], v[120:121], -v[122:123]
	buffer_store_dword v121, off, s[0:3], 0 offset:12
	buffer_store_dword v120, off, s[0:3], 0 offset:8
	s_and_saveexec_b64 s[4:5], vcc
	s_cbranch_execz .LBB58_361
; %bb.360:
	buffer_load_dword v120, off, s[0:3], 0
	buffer_load_dword v121, off, s[0:3], 0 offset:4
	s_waitcnt vmcnt(0)
	ds_write_b64 v1, v[120:121]
	buffer_store_dword v124, off, s[0:3], 0
	buffer_store_dword v124, off, s[0:3], 0 offset:4
.LBB58_361:
	s_or_b64 exec, exec, s[4:5]
	s_waitcnt lgkmcnt(0)
	; wave barrier
	s_waitcnt lgkmcnt(0)
	buffer_load_dword v0, off, s[0:3], 0
	buffer_load_dword v1, off, s[0:3], 0 offset:4
	buffer_load_dword v126, off, s[0:3], 0 offset:8
	;; [unrolled: 1-line block ×15, first 2 shown]
	ds_read2_b64 v[120:123], v124 offset0:61 offset1:62
	s_and_b64 vcc, exec, s[20:21]
	s_waitcnt vmcnt(12) lgkmcnt(0)
	v_fma_f64 v[120:121], v[126:127], v[120:121], 0
	s_waitcnt vmcnt(10)
	v_fmac_f64_e32 v[120:121], v[128:129], v[122:123]
	ds_read2_b64 v[126:129], v124 offset0:63 offset1:64
	s_waitcnt vmcnt(8) lgkmcnt(0)
	v_fmac_f64_e32 v[120:121], v[130:131], v[126:127]
	s_waitcnt vmcnt(6)
	v_fmac_f64_e32 v[120:121], v[132:133], v[128:129]
	ds_read2_b64 v[126:129], v124 offset0:65 offset1:66
	s_waitcnt vmcnt(4) lgkmcnt(0)
	v_fmac_f64_e32 v[120:121], v[134:135], v[126:127]
	s_waitcnt vmcnt(2)
	v_fmac_f64_e32 v[120:121], v[136:137], v[128:129]
	ds_read2_b64 v[126:129], v124 offset0:67 offset1:68
	buffer_load_dword v123, off, s[0:3], 0 offset:68
	buffer_load_dword v122, off, s[0:3], 0 offset:64
	s_waitcnt vmcnt(2) lgkmcnt(0)
	v_fmac_f64_e32 v[120:121], v[138:139], v[126:127]
	s_waitcnt vmcnt(0)
	v_fmac_f64_e32 v[120:121], v[122:123], v[128:129]
	buffer_load_dword v123, off, s[0:3], 0 offset:76
	buffer_load_dword v122, off, s[0:3], 0 offset:72
	ds_read2_b64 v[126:129], v124 offset0:69 offset1:70
	s_waitcnt vmcnt(0) lgkmcnt(0)
	v_fmac_f64_e32 v[120:121], v[122:123], v[126:127]
	buffer_load_dword v123, off, s[0:3], 0 offset:84
	buffer_load_dword v122, off, s[0:3], 0 offset:80
	s_waitcnt vmcnt(0)
	v_fmac_f64_e32 v[120:121], v[122:123], v[128:129]
	buffer_load_dword v123, off, s[0:3], 0 offset:92
	buffer_load_dword v122, off, s[0:3], 0 offset:88
	ds_read2_b64 v[126:129], v124 offset0:71 offset1:72
	s_waitcnt vmcnt(0) lgkmcnt(0)
	v_fmac_f64_e32 v[120:121], v[122:123], v[126:127]
	buffer_load_dword v123, off, s[0:3], 0 offset:100
	buffer_load_dword v122, off, s[0:3], 0 offset:96
	;; [unrolled: 9-line block ×25, first 2 shown]
	s_waitcnt vmcnt(0)
	v_fmac_f64_e32 v[120:121], v[124:125], v[126:127]
	v_add_f64 v[0:1], v[0:1], -v[120:121]
	buffer_store_dword v1, off, s[0:3], 0 offset:4
	buffer_store_dword v0, off, s[0:3], 0
	s_cbranch_vccz .LBB58_479
; %bb.362:
	v_pk_mov_b32 v[0:1], s[10:11], s[10:11] op_sel:[0,1]
	flat_load_dword v0, v[0:1] offset:228
	s_waitcnt vmcnt(0) lgkmcnt(0)
	v_add_u32_e32 v0, -1, v0
	v_cmp_ne_u32_e32 vcc, 57, v0
	s_and_saveexec_b64 s[4:5], vcc
	s_cbranch_execz .LBB58_364
; %bb.363:
	v_mov_b32_e32 v1, 0
	v_lshl_add_u32 v0, v0, 3, v1
	buffer_load_dword v1, v0, s[0:3], 0 offen
	buffer_load_dword v120, v0, s[0:3], 0 offen offset:4
	s_waitcnt vmcnt(1)
	buffer_store_dword v1, off, s[0:3], 0 offset:456
	s_waitcnt vmcnt(1)
	buffer_store_dword v120, off, s[0:3], 0 offset:460
	buffer_store_dword v122, v0, s[0:3], 0 offen
	buffer_store_dword v123, v0, s[0:3], 0 offen offset:4
.LBB58_364:
	s_or_b64 exec, exec, s[4:5]
	v_pk_mov_b32 v[0:1], s[10:11], s[10:11] op_sel:[0,1]
	flat_load_dword v0, v[0:1] offset:224
	s_waitcnt vmcnt(0) lgkmcnt(0)
	v_add_u32_e32 v0, -1, v0
	v_cmp_ne_u32_e32 vcc, 56, v0
	s_and_saveexec_b64 s[4:5], vcc
	s_cbranch_execz .LBB58_366
; %bb.365:
	v_mov_b32_e32 v1, 0
	v_lshl_add_u32 v0, v0, 3, v1
	buffer_load_dword v1, v0, s[0:3], 0 offen
	buffer_load_dword v120, v0, s[0:3], 0 offen offset:4
	buffer_load_dword v121, off, s[0:3], 0 offset:452
	buffer_load_dword v122, off, s[0:3], 0 offset:448
	s_waitcnt vmcnt(3)
	buffer_store_dword v1, off, s[0:3], 0 offset:448
	s_waitcnt vmcnt(3)
	buffer_store_dword v120, off, s[0:3], 0 offset:452
	s_waitcnt vmcnt(3)
	buffer_store_dword v121, v0, s[0:3], 0 offen offset:4
	s_waitcnt vmcnt(3)
	buffer_store_dword v122, v0, s[0:3], 0 offen
.LBB58_366:
	s_or_b64 exec, exec, s[4:5]
	v_pk_mov_b32 v[0:1], s[10:11], s[10:11] op_sel:[0,1]
	flat_load_dword v0, v[0:1] offset:220
	s_waitcnt vmcnt(0) lgkmcnt(0)
	v_add_u32_e32 v0, -1, v0
	v_cmp_ne_u32_e32 vcc, 55, v0
	s_and_saveexec_b64 s[4:5], vcc
	s_cbranch_execz .LBB58_368
; %bb.367:
	v_mov_b32_e32 v1, 0
	v_lshl_add_u32 v0, v0, 3, v1
	buffer_load_dword v1, v0, s[0:3], 0 offen
	buffer_load_dword v120, v0, s[0:3], 0 offen offset:4
	buffer_load_dword v121, off, s[0:3], 0 offset:440
	buffer_load_dword v122, off, s[0:3], 0 offset:444
	s_waitcnt vmcnt(3)
	buffer_store_dword v1, off, s[0:3], 0 offset:440
	s_waitcnt vmcnt(3)
	buffer_store_dword v120, off, s[0:3], 0 offset:444
	s_waitcnt vmcnt(3)
	buffer_store_dword v121, v0, s[0:3], 0 offen
	s_waitcnt vmcnt(3)
	buffer_store_dword v122, v0, s[0:3], 0 offen offset:4
.LBB58_368:
	s_or_b64 exec, exec, s[4:5]
	v_pk_mov_b32 v[0:1], s[10:11], s[10:11] op_sel:[0,1]
	flat_load_dword v0, v[0:1] offset:216
	s_waitcnt vmcnt(0) lgkmcnt(0)
	v_add_u32_e32 v0, -1, v0
	v_cmp_ne_u32_e32 vcc, 54, v0
	s_and_saveexec_b64 s[4:5], vcc
	s_cbranch_execz .LBB58_370
; %bb.369:
	v_mov_b32_e32 v1, 0
	v_lshl_add_u32 v0, v0, 3, v1
	buffer_load_dword v1, v0, s[0:3], 0 offen
	buffer_load_dword v120, v0, s[0:3], 0 offen offset:4
	buffer_load_dword v121, off, s[0:3], 0 offset:436
	buffer_load_dword v122, off, s[0:3], 0 offset:432
	s_waitcnt vmcnt(3)
	buffer_store_dword v1, off, s[0:3], 0 offset:432
	s_waitcnt vmcnt(3)
	buffer_store_dword v120, off, s[0:3], 0 offset:436
	s_waitcnt vmcnt(3)
	buffer_store_dword v121, v0, s[0:3], 0 offen offset:4
	s_waitcnt vmcnt(3)
	buffer_store_dword v122, v0, s[0:3], 0 offen
.LBB58_370:
	s_or_b64 exec, exec, s[4:5]
	v_pk_mov_b32 v[0:1], s[10:11], s[10:11] op_sel:[0,1]
	flat_load_dword v0, v[0:1] offset:212
	s_waitcnt vmcnt(0) lgkmcnt(0)
	v_add_u32_e32 v0, -1, v0
	v_cmp_ne_u32_e32 vcc, 53, v0
	s_and_saveexec_b64 s[4:5], vcc
	s_cbranch_execz .LBB58_372
; %bb.371:
	v_mov_b32_e32 v1, 0
	v_lshl_add_u32 v0, v0, 3, v1
	buffer_load_dword v1, v0, s[0:3], 0 offen
	buffer_load_dword v120, v0, s[0:3], 0 offen offset:4
	buffer_load_dword v121, off, s[0:3], 0 offset:424
	buffer_load_dword v122, off, s[0:3], 0 offset:428
	s_waitcnt vmcnt(3)
	buffer_store_dword v1, off, s[0:3], 0 offset:424
	s_waitcnt vmcnt(3)
	buffer_store_dword v120, off, s[0:3], 0 offset:428
	s_waitcnt vmcnt(3)
	buffer_store_dword v121, v0, s[0:3], 0 offen
	s_waitcnt vmcnt(3)
	buffer_store_dword v122, v0, s[0:3], 0 offen offset:4
.LBB58_372:
	;; [unrolled: 48-line block ×28, first 2 shown]
	s_or_b64 exec, exec, s[4:5]
	v_pk_mov_b32 v[0:1], s[10:11], s[10:11] op_sel:[0,1]
	flat_load_dword v120, v[0:1]
	s_nop 0
	buffer_load_dword v0, off, s[0:3], 0
	buffer_load_dword v1, off, s[0:3], 0 offset:4
	s_waitcnt vmcnt(0) lgkmcnt(0)
	v_add_u32_e32 v120, -1, v120
	v_cmp_ne_u32_e32 vcc, 0, v120
	s_and_saveexec_b64 s[4:5], vcc
	s_cbranch_execz .LBB58_478
; %bb.477:
	v_mov_b32_e32 v121, 0
	v_lshl_add_u32 v120, v120, 3, v121
	buffer_load_dword v121, v120, s[0:3], 0 offen offset:4
	buffer_load_dword v122, v120, s[0:3], 0 offen
	s_waitcnt vmcnt(1)
	buffer_store_dword v121, off, s[0:3], 0 offset:4
	s_waitcnt vmcnt(1)
	buffer_store_dword v122, off, s[0:3], 0
	buffer_store_dword v1, v120, s[0:3], 0 offen offset:4
	buffer_store_dword v0, v120, s[0:3], 0 offen
	buffer_load_dword v0, off, s[0:3], 0
	s_nop 0
	buffer_load_dword v1, off, s[0:3], 0 offset:4
.LBB58_478:
	s_or_b64 exec, exec, s[4:5]
.LBB58_479:
	s_waitcnt vmcnt(0)
	global_store_dwordx2 v[4:5], v[0:1], off
	buffer_load_dword v0, off, s[0:3], 0 offset:8
	s_nop 0
	buffer_load_dword v1, off, s[0:3], 0 offset:12
	buffer_load_dword v4, off, s[0:3], 0 offset:16
	;; [unrolled: 1-line block ×15, first 2 shown]
	s_waitcnt vmcnt(14)
	global_store_dwordx2 v[2:3], v[0:1], off
	s_waitcnt vmcnt(13)
	global_store_dwordx2 v[6:7], v[4:5], off
	;; [unrolled: 2-line block ×8, first 2 shown]
	buffer_load_dword v0, off, s[0:3], 0 offset:72
	buffer_load_dword v1, off, s[0:3], 0 offset:76
	s_waitcnt vmcnt(0)
	global_store_dwordx2 v[18:19], v[0:1], off
	buffer_load_dword v0, off, s[0:3], 0 offset:80
	s_nop 0
	buffer_load_dword v1, off, s[0:3], 0 offset:84
	s_waitcnt vmcnt(0)
	global_store_dwordx2 v[22:23], v[0:1], off
	buffer_load_dword v0, off, s[0:3], 0 offset:88
	s_nop 0
	;; [unrolled: 5-line block ×49, first 2 shown]
	buffer_load_dword v1, off, s[0:3], 0 offset:468
	s_waitcnt vmcnt(0)
	global_store_dwordx2 v[30:31], v[0:1], off
	s_endpgm
	.section	.rodata,"a",@progbits
	.p2align	6, 0x0
	.amdhsa_kernel _ZN9rocsolver6v33100L18getri_kernel_smallILi59EdPdEEvT1_iilPiilS4_bb
		.amdhsa_group_segment_fixed_size 952
		.amdhsa_private_segment_fixed_size 480
		.amdhsa_kernarg_size 60
		.amdhsa_user_sgpr_count 8
		.amdhsa_user_sgpr_private_segment_buffer 1
		.amdhsa_user_sgpr_dispatch_ptr 0
		.amdhsa_user_sgpr_queue_ptr 0
		.amdhsa_user_sgpr_kernarg_segment_ptr 1
		.amdhsa_user_sgpr_dispatch_id 0
		.amdhsa_user_sgpr_flat_scratch_init 1
		.amdhsa_user_sgpr_kernarg_preload_length 0
		.amdhsa_user_sgpr_kernarg_preload_offset 0
		.amdhsa_user_sgpr_private_segment_size 0
		.amdhsa_uses_dynamic_stack 0
		.amdhsa_system_sgpr_private_segment_wavefront_offset 1
		.amdhsa_system_sgpr_workgroup_id_x 1
		.amdhsa_system_sgpr_workgroup_id_y 0
		.amdhsa_system_sgpr_workgroup_id_z 0
		.amdhsa_system_sgpr_workgroup_info 0
		.amdhsa_system_vgpr_workitem_id 0
		.amdhsa_next_free_vgpr 166
		.amdhsa_next_free_sgpr 23
		.amdhsa_accum_offset 168
		.amdhsa_reserve_vcc 1
		.amdhsa_reserve_flat_scratch 1
		.amdhsa_float_round_mode_32 0
		.amdhsa_float_round_mode_16_64 0
		.amdhsa_float_denorm_mode_32 3
		.amdhsa_float_denorm_mode_16_64 3
		.amdhsa_dx10_clamp 1
		.amdhsa_ieee_mode 1
		.amdhsa_fp16_overflow 0
		.amdhsa_tg_split 0
		.amdhsa_exception_fp_ieee_invalid_op 0
		.amdhsa_exception_fp_denorm_src 0
		.amdhsa_exception_fp_ieee_div_zero 0
		.amdhsa_exception_fp_ieee_overflow 0
		.amdhsa_exception_fp_ieee_underflow 0
		.amdhsa_exception_fp_ieee_inexact 0
		.amdhsa_exception_int_div_zero 0
	.end_amdhsa_kernel
	.section	.text._ZN9rocsolver6v33100L18getri_kernel_smallILi59EdPdEEvT1_iilPiilS4_bb,"axG",@progbits,_ZN9rocsolver6v33100L18getri_kernel_smallILi59EdPdEEvT1_iilPiilS4_bb,comdat
.Lfunc_end58:
	.size	_ZN9rocsolver6v33100L18getri_kernel_smallILi59EdPdEEvT1_iilPiilS4_bb, .Lfunc_end58-_ZN9rocsolver6v33100L18getri_kernel_smallILi59EdPdEEvT1_iilPiilS4_bb
                                        ; -- End function
	.section	.AMDGPU.csdata,"",@progbits
; Kernel info:
; codeLenInByte = 79012
; NumSgprs: 29
; NumVgprs: 166
; NumAgprs: 0
; TotalNumVgprs: 166
; ScratchSize: 480
; MemoryBound: 1
; FloatMode: 240
; IeeeMode: 1
; LDSByteSize: 952 bytes/workgroup (compile time only)
; SGPRBlocks: 3
; VGPRBlocks: 20
; NumSGPRsForWavesPerEU: 29
; NumVGPRsForWavesPerEU: 166
; AccumOffset: 168
; Occupancy: 3
; WaveLimiterHint : 1
; COMPUTE_PGM_RSRC2:SCRATCH_EN: 1
; COMPUTE_PGM_RSRC2:USER_SGPR: 8
; COMPUTE_PGM_RSRC2:TRAP_HANDLER: 0
; COMPUTE_PGM_RSRC2:TGID_X_EN: 1
; COMPUTE_PGM_RSRC2:TGID_Y_EN: 0
; COMPUTE_PGM_RSRC2:TGID_Z_EN: 0
; COMPUTE_PGM_RSRC2:TIDIG_COMP_CNT: 0
; COMPUTE_PGM_RSRC3_GFX90A:ACCUM_OFFSET: 41
; COMPUTE_PGM_RSRC3_GFX90A:TG_SPLIT: 0
	.section	.text._ZN9rocsolver6v33100L18getri_kernel_smallILi60EdPdEEvT1_iilPiilS4_bb,"axG",@progbits,_ZN9rocsolver6v33100L18getri_kernel_smallILi60EdPdEEvT1_iilPiilS4_bb,comdat
	.globl	_ZN9rocsolver6v33100L18getri_kernel_smallILi60EdPdEEvT1_iilPiilS4_bb ; -- Begin function _ZN9rocsolver6v33100L18getri_kernel_smallILi60EdPdEEvT1_iilPiilS4_bb
	.p2align	8
	.type	_ZN9rocsolver6v33100L18getri_kernel_smallILi60EdPdEEvT1_iilPiilS4_bb,@function
_ZN9rocsolver6v33100L18getri_kernel_smallILi60EdPdEEvT1_iilPiilS4_bb: ; @_ZN9rocsolver6v33100L18getri_kernel_smallILi60EdPdEEvT1_iilPiilS4_bb
; %bb.0:
	s_add_u32 flat_scratch_lo, s6, s9
	s_addc_u32 flat_scratch_hi, s7, 0
	s_add_u32 s0, s0, s9
	s_addc_u32 s1, s1, 0
	v_cmp_gt_u32_e32 vcc, 60, v0
	s_and_saveexec_b64 s[6:7], vcc
	s_cbranch_execz .LBB59_248
; %bb.1:
	s_load_dword s22, s[4:5], 0x38
	s_load_dwordx4 s[16:19], s[4:5], 0x10
	s_load_dwordx4 s[12:15], s[4:5], 0x28
                                        ; implicit-def: $sgpr10_sgpr11
	s_waitcnt lgkmcnt(0)
	s_bitcmp1_b32 s22, 8
	s_cselect_b64 s[20:21], -1, 0
	s_ashr_i32 s9, s8, 31
	s_bfe_u32 s6, s22, 0x10008
	s_cmp_eq_u32 s6, 0
	s_cbranch_scc1 .LBB59_3
; %bb.2:
	s_load_dword s6, s[4:5], 0x20
	s_mul_i32 s7, s8, s13
	s_mul_hi_u32 s10, s8, s12
	s_mul_i32 s11, s9, s12
	s_add_i32 s10, s10, s7
	s_add_i32 s11, s10, s11
	s_mul_i32 s10, s8, s12
	s_waitcnt lgkmcnt(0)
	s_ashr_i32 s7, s6, 31
	s_lshl_b64 s[10:11], s[10:11], 2
	s_add_u32 s10, s18, s10
	s_addc_u32 s11, s19, s11
	s_lshl_b64 s[6:7], s[6:7], 2
	s_add_u32 s10, s10, s6
	s_addc_u32 s11, s11, s7
.LBB59_3:
	s_load_dwordx4 s[4:7], s[4:5], 0x0
	s_mul_i32 s12, s8, s17
	s_mul_hi_u32 s13, s8, s16
	s_add_i32 s17, s13, s12
	v_lshlrev_b32_e32 v1, 3, v0
	s_waitcnt lgkmcnt(0)
	s_ashr_i32 s13, s6, 31
	s_mov_b32 s12, s6
	s_mul_i32 s6, s9, s16
	s_add_i32 s17, s17, s6
	s_mul_i32 s16, s8, s16
	s_lshl_b64 s[16:17], s[16:17], 3
	s_add_u32 s6, s4, s16
	s_addc_u32 s16, s5, s17
	s_lshl_b64 s[4:5], s[12:13], 3
	s_add_u32 s4, s6, s4
	s_addc_u32 s5, s16, s5
	v_mov_b32_e32 v2, s5
	v_add_co_u32_e32 v4, vcc, s4, v1
	s_ashr_i32 s13, s7, 31
	s_mov_b32 s12, s7
	s_add_i32 s6, s7, s7
	v_addc_co_u32_e32 v5, vcc, 0, v2, vcc
	s_lshl_b64 s[12:13], s[12:13], 3
	v_add_u32_e32 v8, s6, v0
	v_mov_b32_e32 v3, s13
	v_add_co_u32_e32 v2, vcc, s12, v4
	v_ashrrev_i32_e32 v9, 31, v8
	v_addc_co_u32_e32 v3, vcc, v5, v3, vcc
	v_lshlrev_b64 v[6:7], 3, v[8:9]
	v_add_u32_e32 v10, s7, v8
	v_mov_b32_e32 v9, s5
	v_add_co_u32_e32 v6, vcc, s4, v6
	v_ashrrev_i32_e32 v11, 31, v10
	v_addc_co_u32_e32 v7, vcc, v9, v7, vcc
	v_lshlrev_b64 v[8:9], 3, v[10:11]
	;; [unrolled: 6-line block ×6, first 2 shown]
	v_mov_b32_e32 v19, s5
	v_add_co_u32_e32 v16, vcc, s4, v16
	v_add_u32_e32 v18, s7, v18
	v_addc_co_u32_e32 v17, vcc, v19, v17, vcc
	v_ashrrev_i32_e32 v19, 31, v18
	v_lshlrev_b64 v[20:21], 3, v[18:19]
	v_add_u32_e32 v22, s7, v18
	v_mov_b32_e32 v19, s5
	v_add_co_u32_e32 v20, vcc, s4, v20
	v_ashrrev_i32_e32 v23, 31, v22
	v_addc_co_u32_e32 v21, vcc, v19, v21, vcc
	v_lshlrev_b64 v[18:19], 3, v[22:23]
	v_add_u32_e32 v24, s7, v22
	v_mov_b32_e32 v23, s5
	v_add_co_u32_e32 v18, vcc, s4, v18
	v_ashrrev_i32_e32 v25, 31, v24
	v_addc_co_u32_e32 v19, vcc, v23, v19, vcc
	;; [unrolled: 6-line block ×4, first 2 shown]
	v_lshlrev_b64 v[26:27], 3, v[28:29]
	v_mov_b32_e32 v29, s5
	v_add_co_u32_e32 v26, vcc, s4, v26
	global_load_dwordx2 v[36:37], v1, s[4:5]
	global_load_dwordx2 v[44:45], v[2:3], off
	global_load_dwordx2 v[42:43], v[6:7], off
	;; [unrolled: 1-line block ×8, first 2 shown]
	v_addc_co_u32_e32 v27, vcc, v29, v27, vcc
	global_load_dwordx2 v[60:61], v[18:19], off
	global_load_dwordx2 v[58:59], v[22:23], off
	;; [unrolled: 1-line block ×4, first 2 shown]
	v_add_u32_e32 v30, s7, v28
	v_ashrrev_i32_e32 v31, 31, v30
	v_lshlrev_b64 v[28:29], 3, v[30:31]
	v_add_u32_e32 v32, s7, v30
	v_mov_b32_e32 v31, s5
	v_add_co_u32_e32 v28, vcc, s4, v28
	v_ashrrev_i32_e32 v33, 31, v32
	v_addc_co_u32_e32 v29, vcc, v31, v29, vcc
	v_lshlrev_b64 v[30:31], 3, v[32:33]
	v_add_u32_e32 v34, s7, v32
	v_mov_b32_e32 v33, s5
	v_add_co_u32_e32 v30, vcc, s4, v30
	v_ashrrev_i32_e32 v35, 31, v34
	v_addc_co_u32_e32 v31, vcc, v33, v31, vcc
	v_lshlrev_b64 v[32:33], 3, v[34:35]
	v_mov_b32_e32 v35, s5
	v_add_co_u32_e32 v32, vcc, s4, v32
	v_addc_co_u32_e32 v33, vcc, v35, v33, vcc
	global_load_dwordx2 v[66:67], v[28:29], off
	global_load_dwordx2 v[64:65], v[30:31], off
	;; [unrolled: 1-line block ×3, first 2 shown]
	v_add_u32_e32 v68, s7, v34
	v_add_u32_e32 v70, s7, v68
	;; [unrolled: 1-line block ×44, first 2 shown]
	v_ashrrev_i32_e32 v35, 31, v34
	v_lshlrev_b64 v[34:35], 3, v[34:35]
	v_mov_b32_e32 v69, s5
	v_add_co_u32_e32 v34, vcc, s4, v34
	v_addc_co_u32_e32 v35, vcc, v69, v35, vcc
	v_ashrrev_i32_e32 v69, 31, v68
	global_load_dwordx2 v[124:125], v[34:35], off
	s_waitcnt vmcnt(16)
	buffer_store_dword v37, off, s[0:3], 0 offset:4
	buffer_store_dword v36, off, s[0:3], 0
	s_waitcnt vmcnt(17)
	buffer_store_dword v45, off, s[0:3], 0 offset:12
	buffer_store_dword v44, off, s[0:3], 0 offset:8
	s_waitcnt vmcnt(18)
	buffer_store_dword v43, off, s[0:3], 0 offset:20
	buffer_store_dword v42, off, s[0:3], 0 offset:16
	;; [unrolled: 3-line block ×12, first 2 shown]
	v_lshlrev_b64 v[36:37], 3, v[68:69]
	v_mov_b32_e32 v38, s5
	v_add_co_u32_e32 v36, vcc, s4, v36
	v_ashrrev_i32_e32 v71, 31, v70
	v_addc_co_u32_e32 v37, vcc, v38, v37, vcc
	v_lshlrev_b64 v[38:39], 3, v[70:71]
	v_mov_b32_e32 v40, s5
	v_add_co_u32_e32 v68, vcc, s4, v38
	v_ashrrev_i32_e32 v73, 31, v72
	v_addc_co_u32_e32 v69, vcc, v40, v39, vcc
	v_lshlrev_b64 v[38:39], 3, v[72:73]
	v_add_co_u32_e32 v58, vcc, s4, v38
	v_ashrrev_i32_e32 v75, 31, v74
	v_addc_co_u32_e32 v59, vcc, v40, v39, vcc
	v_lshlrev_b64 v[38:39], 3, v[74:75]
	global_load_dwordx2 v[156:157], v[36:37], off
	v_add_co_u32_e32 v48, vcc, s4, v38
	v_ashrrev_i32_e32 v77, 31, v76
	v_addc_co_u32_e32 v49, vcc, v40, v39, vcc
	v_lshlrev_b64 v[38:39], 3, v[76:77]
	s_waitcnt vmcnt(30)
	buffer_store_dword v66, off, s[0:3], 0 offset:104
	buffer_store_dword v67, off, s[0:3], 0 offset:108
	s_waitcnt vmcnt(31)
	buffer_store_dword v65, off, s[0:3], 0 offset:116
	buffer_store_dword v64, off, s[0:3], 0 offset:112
	s_waitcnt vmcnt(32)
	buffer_store_dword v62, off, s[0:3], 0 offset:120
	buffer_store_dword v63, off, s[0:3], 0 offset:124
	v_add_co_u32_e32 v38, vcc, s4, v38
	v_addc_co_u32_e32 v39, vcc, v40, v39, vcc
	global_load_dwordx2 v[158:159], v[68:69], off
	global_load_dwordx2 v[160:161], v[58:59], off
	;; [unrolled: 1-line block ×4, first 2 shown]
	v_ashrrev_i32_e32 v79, 31, v78
	v_lshlrev_b64 v[40:41], 3, v[78:79]
	v_mov_b32_e32 v42, s5
	v_add_co_u32_e32 v70, vcc, s4, v40
	v_ashrrev_i32_e32 v81, 31, v80
	v_addc_co_u32_e32 v71, vcc, v42, v41, vcc
	v_lshlrev_b64 v[40:41], 3, v[80:81]
	v_add_co_u32_e32 v60, vcc, s4, v40
	v_ashrrev_i32_e32 v83, 31, v82
	v_addc_co_u32_e32 v61, vcc, v42, v41, vcc
	v_lshlrev_b64 v[40:41], 3, v[82:83]
	;; [unrolled: 4-line block ×4, first 2 shown]
	v_mov_b32_e32 v44, s5
	v_add_co_u32_e32 v72, vcc, s4, v42
	v_ashrrev_i32_e32 v89, 31, v88
	v_addc_co_u32_e32 v73, vcc, v44, v43, vcc
	v_lshlrev_b64 v[42:43], 3, v[88:89]
	v_add_co_u32_e32 v62, vcc, s4, v42
	v_ashrrev_i32_e32 v91, 31, v90
	v_addc_co_u32_e32 v63, vcc, v44, v43, vcc
	v_lshlrev_b64 v[42:43], 3, v[90:91]
	;; [unrolled: 4-line block ×4, first 2 shown]
	v_mov_b32_e32 v46, s5
	v_add_co_u32_e32 v74, vcc, s4, v44
	v_ashrrev_i32_e32 v97, 31, v96
	v_addc_co_u32_e32 v75, vcc, v46, v45, vcc
	v_lshlrev_b64 v[44:45], 3, v[96:97]
	v_add_co_u32_e32 v64, vcc, s4, v44
	v_ashrrev_i32_e32 v99, 31, v98
	v_addc_co_u32_e32 v65, vcc, v46, v45, vcc
	v_lshlrev_b64 v[44:45], 3, v[98:99]
	;; [unrolled: 4-line block ×3, first 2 shown]
	v_add_co_u32_e32 v44, vcc, s4, v44
	global_load_dwordx2 v[80:81], v[70:71], off
	global_load_dwordx2 v[82:83], v[60:61], off
	;; [unrolled: 1-line block ×8, first 2 shown]
	v_addc_co_u32_e32 v45, vcc, v46, v45, vcc
	global_load_dwordx2 v[94:95], v[74:75], off
	global_load_dwordx2 v[96:97], v[64:65], off
	;; [unrolled: 1-line block ×4, first 2 shown]
	v_ashrrev_i32_e32 v103, 31, v102
	v_lshlrev_b64 v[46:47], 3, v[102:103]
	v_mov_b32_e32 v56, s5
	v_add_co_u32_e32 v76, vcc, s4, v46
	v_ashrrev_i32_e32 v105, 31, v104
	v_addc_co_u32_e32 v77, vcc, v56, v47, vcc
	v_lshlrev_b64 v[46:47], 3, v[104:105]
	v_add_co_u32_e32 v78, vcc, s4, v46
	v_ashrrev_i32_e32 v109, 31, v108
	v_addc_co_u32_e32 v79, vcc, v56, v47, vcc
	v_lshlrev_b64 v[46:47], 3, v[108:109]
	;; [unrolled: 4-line block ×3, first 2 shown]
	v_mov_b32_e32 v57, s5
	v_add_co_u32_e32 v56, vcc, s4, v46
	v_ashrrev_i32_e32 v117, 31, v116
	v_addc_co_u32_e32 v57, vcc, v57, v47, vcc
	v_lshlrev_b64 v[46:47], 3, v[116:117]
	v_mov_b32_e32 v104, s5
	v_add_co_u32_e32 v46, vcc, s4, v46
	global_load_dwordx2 v[102:103], v[76:77], off
	v_addc_co_u32_e32 v47, vcc, v104, v47, vcc
	global_load_dwordx2 v[104:105], v[78:79], off
	global_load_dwordx2 v[108:109], v[66:67], off
	global_load_dwordx2 v[112:113], v[56:57], off
	v_ashrrev_i32_e32 v107, 31, v106
	s_waitcnt vmcnt(26)
	buffer_store_dword v156, off, s[0:3], 0 offset:128
	buffer_store_dword v157, off, s[0:3], 0 offset:132
	s_waitcnt vmcnt(21)
	buffer_store_dword v158, off, s[0:3], 0 offset:136
	buffer_store_dword v159, off, s[0:3], 0 offset:140
	global_load_dwordx2 v[116:117], v[46:47], off
	s_waitcnt vmcnt(23)
	buffer_store_dword v160, off, s[0:3], 0 offset:144
	buffer_store_dword v161, off, s[0:3], 0 offset:148
	s_waitcnt vmcnt(24)
	buffer_store_dword v163, off, s[0:3], 0 offset:156
	buffer_store_dword v162, off, s[0:3], 0 offset:152
	;; [unrolled: 3-line block ×19, first 2 shown]
	v_lshlrev_b64 v[80:81], 3, v[106:107]
	v_mov_b32_e32 v82, s5
	v_add_co_u32_e32 v90, vcc, s4, v80
	v_ashrrev_i32_e32 v111, 31, v110
	v_addc_co_u32_e32 v91, vcc, v82, v81, vcc
	v_lshlrev_b64 v[80:81], 3, v[110:111]
	v_mov_b32_e32 v83, s5
	v_add_co_u32_e32 v82, vcc, s4, v80
	v_ashrrev_i32_e32 v115, 31, v114
	v_addc_co_u32_e32 v83, vcc, v83, v81, vcc
	;; [unrolled: 5-line block ×4, first 2 shown]
	v_lshlrev_b64 v[84:85], 3, v[120:121]
	v_add_co_u32_e32 v102, vcc, s4, v84
	v_ashrrev_i32_e32 v123, 31, v122
	v_addc_co_u32_e32 v103, vcc, v86, v85, vcc
	v_lshlrev_b64 v[84:85], 3, v[122:123]
	v_add_co_u32_e32 v92, vcc, s4, v84
	v_ashrrev_i32_e32 v127, 31, v126
	v_addc_co_u32_e32 v93, vcc, v86, v85, vcc
	v_lshlrev_b64 v[84:85], 3, v[126:127]
	v_add_co_u32_e32 v84, vcc, s4, v84
	v_ashrrev_i32_e32 v129, 31, v128
	v_addc_co_u32_e32 v85, vcc, v86, v85, vcc
	v_lshlrev_b64 v[86:87], 3, v[128:129]
	v_mov_b32_e32 v88, s5
	v_add_co_u32_e32 v114, vcc, s4, v86
	v_ashrrev_i32_e32 v131, 31, v130
	v_addc_co_u32_e32 v115, vcc, v88, v87, vcc
	v_lshlrev_b64 v[86:87], 3, v[130:131]
	v_add_co_u32_e32 v104, vcc, s4, v86
	v_ashrrev_i32_e32 v133, 31, v132
	v_addc_co_u32_e32 v105, vcc, v88, v87, vcc
	v_lshlrev_b64 v[86:87], 3, v[132:133]
	;; [unrolled: 4-line block ×4, first 2 shown]
	global_load_dwordx2 v[156:157], v[90:91], off
	global_load_dwordx2 v[158:159], v[82:83], off
	global_load_dwordx2 v[160:161], v[80:81], off
	s_waitcnt vmcnt(41)
	buffer_store_dword v117, off, s[0:3], 0 offset:300
	buffer_store_dword v116, off, s[0:3], 0 offset:296
	v_mov_b32_e32 v96, s5
	v_add_co_u32_e32 v116, vcc, s4, v88
	v_ashrrev_i32_e32 v139, 31, v138
	v_addc_co_u32_e32 v117, vcc, v96, v89, vcc
	v_lshlrev_b64 v[88:89], 3, v[138:139]
	v_add_co_u32_e32 v106, vcc, s4, v88
	v_ashrrev_i32_e32 v141, 31, v140
	v_addc_co_u32_e32 v107, vcc, v96, v89, vcc
	v_lshlrev_b64 v[88:89], 3, v[140:141]
	v_mov_b32_e32 v97, s5
	v_add_co_u32_e32 v96, vcc, s4, v88
	v_ashrrev_i32_e32 v143, 31, v142
	v_addc_co_u32_e32 v97, vcc, v97, v89, vcc
	v_lshlrev_b64 v[88:89], 3, v[142:143]
	v_mov_b32_e32 v98, s5
	;; [unrolled: 5-line block ×3, first 2 shown]
	v_add_co_u32_e32 v118, vcc, s4, v98
	v_ashrrev_i32_e32 v147, 31, v146
	v_addc_co_u32_e32 v119, vcc, v100, v99, vcc
	v_lshlrev_b64 v[98:99], 3, v[146:147]
	v_add_co_u32_e32 v108, vcc, s4, v98
	v_ashrrev_i32_e32 v149, 31, v148
	v_addc_co_u32_e32 v109, vcc, v100, v99, vcc
	v_lshlrev_b64 v[98:99], 3, v[148:149]
	v_add_co_u32_e32 v98, vcc, s4, v98
	global_load_dwordx2 v[122:123], v[112:113], off
	global_load_dwordx2 v[126:127], v[102:103], off
	;; [unrolled: 1-line block ×12, first 2 shown]
	v_addc_co_u32_e32 v99, vcc, v100, v99, vcc
	global_load_dwordx2 v[144:145], v[118:119], off
	global_load_dwordx2 v[146:147], v[108:109], off
	;; [unrolled: 1-line block ×3, first 2 shown]
	v_ashrrev_i32_e32 v151, 31, v150
	v_lshlrev_b64 v[100:101], 3, v[150:151]
	v_mov_b32_e32 v110, s5
	v_add_co_u32_e32 v120, vcc, s4, v100
	v_ashrrev_i32_e32 v153, 31, v152
	v_addc_co_u32_e32 v121, vcc, v110, v101, vcc
	v_lshlrev_b64 v[100:101], 3, v[152:153]
	v_mov_b32_e32 v111, s5
	v_add_co_u32_e32 v110, vcc, s4, v100
	v_ashrrev_i32_e32 v155, 31, v154
	v_addc_co_u32_e32 v111, vcc, v111, v101, vcc
	v_lshlrev_b64 v[100:101], 3, v[154:155]
	v_mov_b32_e32 v150, s5
	v_add_co_u32_e32 v100, vcc, s4, v100
	v_addc_co_u32_e32 v101, vcc, v150, v101, vcc
	global_load_dwordx2 v[150:151], v[120:121], off
	global_load_dwordx2 v[152:153], v[110:111], off
	;; [unrolled: 1-line block ×3, first 2 shown]
	s_bitcmp0_b32 s22, 0
	s_mov_b64 s[6:7], -1
	s_waitcnt vmcnt(22)
	buffer_store_dword v157, off, s[0:3], 0 offset:308
	buffer_store_dword v156, off, s[0:3], 0 offset:304
	s_waitcnt vmcnt(23)
	buffer_store_dword v158, off, s[0:3], 0 offset:312
	buffer_store_dword v159, off, s[0:3], 0 offset:316
	;; [unrolled: 3-line block ×21, first 2 shown]
	buffer_store_dword v124, off, s[0:3], 0 offset:472
	buffer_store_dword v125, off, s[0:3], 0 offset:476
	s_cbranch_scc1 .LBB59_246
; %bb.4:
	v_cmp_eq_u32_e64 s[4:5], 0, v0
	s_and_saveexec_b64 s[6:7], s[4:5]
	s_cbranch_execz .LBB59_6
; %bb.5:
	v_mov_b32_e32 v122, 0
	ds_write_b32 v122, v122 offset:960
.LBB59_6:
	s_or_b64 exec, exec, s[6:7]
	v_mov_b32_e32 v122, 0
	v_lshl_add_u32 v122, v0, 3, v122
	s_waitcnt lgkmcnt(0)
	; wave barrier
	s_waitcnt lgkmcnt(0)
	buffer_load_dword v124, v122, s[0:3], 0 offen
	buffer_load_dword v125, v122, s[0:3], 0 offen offset:4
	s_waitcnt vmcnt(0)
	v_cmp_eq_f64_e32 vcc, 0, v[124:125]
	s_and_saveexec_b64 s[12:13], vcc
	s_cbranch_execz .LBB59_10
; %bb.7:
	v_mov_b32_e32 v123, 0
	ds_read_b32 v125, v123 offset:960
	v_add_u32_e32 v124, 1, v0
	s_waitcnt lgkmcnt(0)
	v_readfirstlane_b32 s6, v125
	s_cmp_eq_u32 s6, 0
	s_cselect_b64 s[16:17], -1, 0
	v_cmp_gt_i32_e32 vcc, s6, v124
	s_or_b64 s[16:17], s[16:17], vcc
	s_and_b64 exec, exec, s[16:17]
	s_cbranch_execz .LBB59_10
; %bb.8:
	s_mov_b64 s[16:17], 0
	v_mov_b32_e32 v125, s6
.LBB59_9:                               ; =>This Inner Loop Header: Depth=1
	ds_cmpst_rtn_b32 v125, v123, v125, v124 offset:960
	s_waitcnt lgkmcnt(0)
	v_cmp_ne_u32_e32 vcc, 0, v125
	v_cmp_le_i32_e64 s[6:7], v125, v124
	s_and_b64 s[6:7], vcc, s[6:7]
	s_and_b64 s[6:7], exec, s[6:7]
	s_or_b64 s[16:17], s[6:7], s[16:17]
	s_andn2_b64 exec, exec, s[16:17]
	s_cbranch_execnz .LBB59_9
.LBB59_10:
	s_or_b64 exec, exec, s[12:13]
	v_mov_b32_e32 v124, 0
	s_waitcnt lgkmcnt(0)
	; wave barrier
	ds_read_b32 v123, v124 offset:960
	s_and_saveexec_b64 s[6:7], s[4:5]
	s_cbranch_execz .LBB59_12
; %bb.11:
	s_lshl_b64 s[12:13], s[8:9], 2
	s_add_u32 s12, s14, s12
	s_addc_u32 s13, s15, s13
	s_waitcnt lgkmcnt(0)
	global_store_dword v124, v123, s[12:13]
.LBB59_12:
	s_or_b64 exec, exec, s[6:7]
	s_waitcnt lgkmcnt(0)
	v_cmp_ne_u32_e32 vcc, 0, v123
	s_mov_b64 s[6:7], 0
	s_cbranch_vccnz .LBB59_246
; %bb.13:
	buffer_load_dword v124, v122, s[0:3], 0 offen
	buffer_load_dword v125, v122, s[0:3], 0 offen offset:4
	s_waitcnt vmcnt(0)
	v_div_scale_f64 v[126:127], s[6:7], v[124:125], v[124:125], 1.0
	v_rcp_f64_e32 v[128:129], v[126:127]
	v_div_scale_f64 v[130:131], vcc, 1.0, v[124:125], 1.0
	v_fma_f64 v[132:133], -v[126:127], v[128:129], 1.0
	v_fmac_f64_e32 v[128:129], v[128:129], v[132:133]
	v_fma_f64 v[132:133], -v[126:127], v[128:129], 1.0
	v_fmac_f64_e32 v[128:129], v[128:129], v[132:133]
	v_mul_f64 v[132:133], v[130:131], v[128:129]
	v_fma_f64 v[126:127], -v[126:127], v[132:133], v[130:131]
	v_div_fmas_f64 v[126:127], v[126:127], v[128:129], v[132:133]
	v_div_fixup_f64 v[126:127], v[126:127], v[124:125], 1.0
	buffer_store_dword v127, v122, s[0:3], 0 offen offset:4
	buffer_store_dword v126, v122, s[0:3], 0 offen
	buffer_load_dword v129, off, s[0:3], 0 offset:12
	buffer_load_dword v128, off, s[0:3], 0 offset:8
	v_add_u32_e32 v124, 0x1e0, v1
	v_xor_b32_e32 v127, 0x80000000, v127
	s_waitcnt vmcnt(0)
	ds_write2_b64 v1, v[126:127], v[128:129] offset1:60
	s_waitcnt lgkmcnt(0)
	; wave barrier
	s_waitcnt lgkmcnt(0)
	s_and_saveexec_b64 s[6:7], s[4:5]
	s_cbranch_execz .LBB59_15
; %bb.14:
	buffer_load_dword v126, v122, s[0:3], 0 offen
	buffer_load_dword v127, v122, s[0:3], 0 offen offset:4
	v_mov_b32_e32 v123, 0
	ds_read_b64 v[128:129], v124
	ds_read_b64 v[130:131], v123 offset:8
	s_waitcnt vmcnt(0) lgkmcnt(1)
	v_fma_f64 v[126:127], v[126:127], v[128:129], 0
	s_waitcnt lgkmcnt(0)
	v_mul_f64 v[126:127], v[126:127], v[130:131]
	buffer_store_dword v126, off, s[0:3], 0 offset:8
	buffer_store_dword v127, off, s[0:3], 0 offset:12
.LBB59_15:
	s_or_b64 exec, exec, s[6:7]
	s_waitcnt lgkmcnt(0)
	; wave barrier
	buffer_load_dword v126, off, s[0:3], 0 offset:16
	buffer_load_dword v127, off, s[0:3], 0 offset:20
	v_cmp_gt_u32_e32 vcc, 2, v0
	s_waitcnt vmcnt(0)
	ds_write_b64 v124, v[126:127]
	s_waitcnt lgkmcnt(0)
	; wave barrier
	s_waitcnt lgkmcnt(0)
	s_and_saveexec_b64 s[6:7], vcc
	s_cbranch_execz .LBB59_17
; %bb.16:
	buffer_load_dword v123, v122, s[0:3], 0 offen offset:4
	buffer_load_dword v130, off, s[0:3], 0 offset:8
	s_nop 0
	buffer_load_dword v122, v122, s[0:3], 0 offen
	s_nop 0
	buffer_load_dword v131, off, s[0:3], 0 offset:12
	ds_read_b64 v[132:133], v124
	v_mov_b32_e32 v125, 0
	ds_read2_b64 v[126:129], v125 offset0:2 offset1:61
	s_waitcnt vmcnt(1) lgkmcnt(1)
	v_fma_f64 v[122:123], v[122:123], v[132:133], 0
	s_waitcnt vmcnt(0) lgkmcnt(0)
	v_fma_f64 v[128:129], v[130:131], v[128:129], v[122:123]
	v_cndmask_b32_e64 v123, v123, v129, s[4:5]
	v_cndmask_b32_e64 v122, v122, v128, s[4:5]
	v_mul_f64 v[122:123], v[122:123], v[126:127]
	buffer_store_dword v123, off, s[0:3], 0 offset:20
	buffer_store_dword v122, off, s[0:3], 0 offset:16
.LBB59_17:
	s_or_b64 exec, exec, s[6:7]
	s_waitcnt lgkmcnt(0)
	; wave barrier
	buffer_load_dword v122, off, s[0:3], 0 offset:24
	buffer_load_dword v123, off, s[0:3], 0 offset:28
	v_cmp_gt_u32_e32 vcc, 3, v0
	v_add_u32_e32 v125, -1, v0
	s_waitcnt vmcnt(0)
	ds_write_b64 v124, v[122:123]
	s_waitcnt lgkmcnt(0)
	; wave barrier
	s_waitcnt lgkmcnt(0)
	s_and_saveexec_b64 s[4:5], vcc
	s_cbranch_execz .LBB59_21
; %bb.18:
	v_add_u32_e32 v126, -1, v0
	v_add_u32_e32 v127, 0x1e0, v1
	v_add_u32_e32 v128, 0, v1
	s_mov_b64 s[6:7], 0
	v_pk_mov_b32 v[122:123], 0, 0
.LBB59_19:                              ; =>This Inner Loop Header: Depth=1
	buffer_load_dword v130, v128, s[0:3], 0 offen
	buffer_load_dword v131, v128, s[0:3], 0 offen offset:4
	ds_read_b64 v[132:133], v127
	v_add_u32_e32 v126, 1, v126
	v_cmp_lt_u32_e32 vcc, 1, v126
	v_add_u32_e32 v127, 8, v127
	v_add_u32_e32 v128, 8, v128
	s_or_b64 s[6:7], vcc, s[6:7]
	s_waitcnt vmcnt(0) lgkmcnt(0)
	v_fmac_f64_e32 v[122:123], v[130:131], v[132:133]
	s_andn2_b64 exec, exec, s[6:7]
	s_cbranch_execnz .LBB59_19
; %bb.20:
	s_or_b64 exec, exec, s[6:7]
	v_mov_b32_e32 v126, 0
	ds_read_b64 v[126:127], v126 offset:24
	s_waitcnt lgkmcnt(0)
	v_mul_f64 v[122:123], v[122:123], v[126:127]
	buffer_store_dword v123, off, s[0:3], 0 offset:28
	buffer_store_dword v122, off, s[0:3], 0 offset:24
.LBB59_21:
	s_or_b64 exec, exec, s[4:5]
	s_waitcnt lgkmcnt(0)
	; wave barrier
	buffer_load_dword v122, off, s[0:3], 0 offset:32
	buffer_load_dword v123, off, s[0:3], 0 offset:36
	v_cmp_gt_u32_e32 vcc, 4, v0
	s_waitcnt vmcnt(0)
	ds_write_b64 v124, v[122:123]
	s_waitcnt lgkmcnt(0)
	; wave barrier
	s_waitcnt lgkmcnt(0)
	s_and_saveexec_b64 s[4:5], vcc
	s_cbranch_execz .LBB59_25
; %bb.22:
	v_add_u32_e32 v126, -1, v0
	v_add_u32_e32 v127, 0x1e0, v1
	v_add_u32_e32 v128, 0, v1
	s_mov_b64 s[6:7], 0
	v_pk_mov_b32 v[122:123], 0, 0
.LBB59_23:                              ; =>This Inner Loop Header: Depth=1
	buffer_load_dword v130, v128, s[0:3], 0 offen
	buffer_load_dword v131, v128, s[0:3], 0 offen offset:4
	ds_read_b64 v[132:133], v127
	v_add_u32_e32 v126, 1, v126
	v_cmp_lt_u32_e32 vcc, 2, v126
	v_add_u32_e32 v127, 8, v127
	v_add_u32_e32 v128, 8, v128
	s_or_b64 s[6:7], vcc, s[6:7]
	s_waitcnt vmcnt(0) lgkmcnt(0)
	v_fmac_f64_e32 v[122:123], v[130:131], v[132:133]
	s_andn2_b64 exec, exec, s[6:7]
	s_cbranch_execnz .LBB59_23
; %bb.24:
	s_or_b64 exec, exec, s[6:7]
	v_mov_b32_e32 v126, 0
	ds_read_b64 v[126:127], v126 offset:32
	s_waitcnt lgkmcnt(0)
	v_mul_f64 v[122:123], v[122:123], v[126:127]
	buffer_store_dword v123, off, s[0:3], 0 offset:36
	buffer_store_dword v122, off, s[0:3], 0 offset:32
.LBB59_25:
	s_or_b64 exec, exec, s[4:5]
	s_waitcnt lgkmcnt(0)
	; wave barrier
	buffer_load_dword v122, off, s[0:3], 0 offset:40
	buffer_load_dword v123, off, s[0:3], 0 offset:44
	v_cmp_gt_u32_e32 vcc, 5, v0
	;; [unrolled: 41-line block ×21, first 2 shown]
	s_waitcnt vmcnt(0)
	ds_write_b64 v124, v[122:123]
	s_waitcnt lgkmcnt(0)
	; wave barrier
	s_waitcnt lgkmcnt(0)
	s_and_saveexec_b64 s[4:5], vcc
	s_cbranch_execz .LBB59_105
; %bb.102:
	v_add_u32_e32 v126, -1, v0
	v_add_u32_e32 v127, 0x1e0, v1
	v_add_u32_e32 v128, 0, v1
	s_mov_b64 s[6:7], 0
	v_pk_mov_b32 v[122:123], 0, 0
.LBB59_103:                             ; =>This Inner Loop Header: Depth=1
	buffer_load_dword v130, v128, s[0:3], 0 offen
	buffer_load_dword v131, v128, s[0:3], 0 offen offset:4
	ds_read_b64 v[132:133], v127
	v_add_u32_e32 v126, 1, v126
	v_cmp_lt_u32_e32 vcc, 22, v126
	v_add_u32_e32 v127, 8, v127
	v_add_u32_e32 v128, 8, v128
	s_or_b64 s[6:7], vcc, s[6:7]
	s_waitcnt vmcnt(0) lgkmcnt(0)
	v_fmac_f64_e32 v[122:123], v[130:131], v[132:133]
	s_andn2_b64 exec, exec, s[6:7]
	s_cbranch_execnz .LBB59_103
; %bb.104:
	s_or_b64 exec, exec, s[6:7]
	v_mov_b32_e32 v126, 0
	ds_read_b64 v[126:127], v126 offset:192
	s_waitcnt lgkmcnt(0)
	v_mul_f64 v[122:123], v[122:123], v[126:127]
	buffer_store_dword v123, off, s[0:3], 0 offset:196
	buffer_store_dword v122, off, s[0:3], 0 offset:192
.LBB59_105:
	s_or_b64 exec, exec, s[4:5]
	s_waitcnt lgkmcnt(0)
	; wave barrier
	buffer_load_dword v122, off, s[0:3], 0 offset:200
	buffer_load_dword v123, off, s[0:3], 0 offset:204
	v_cmp_gt_u32_e32 vcc, 25, v0
	s_waitcnt vmcnt(0)
	ds_write_b64 v124, v[122:123]
	s_waitcnt lgkmcnt(0)
	; wave barrier
	s_waitcnt lgkmcnt(0)
	s_and_saveexec_b64 s[4:5], vcc
	s_cbranch_execz .LBB59_109
; %bb.106:
	v_add_u32_e32 v126, -1, v0
	v_add_u32_e32 v127, 0x1e0, v1
	v_add_u32_e32 v128, 0, v1
	s_mov_b64 s[6:7], 0
	v_pk_mov_b32 v[122:123], 0, 0
.LBB59_107:                             ; =>This Inner Loop Header: Depth=1
	buffer_load_dword v130, v128, s[0:3], 0 offen
	buffer_load_dword v131, v128, s[0:3], 0 offen offset:4
	ds_read_b64 v[132:133], v127
	v_add_u32_e32 v126, 1, v126
	v_cmp_lt_u32_e32 vcc, 23, v126
	v_add_u32_e32 v127, 8, v127
	v_add_u32_e32 v128, 8, v128
	s_or_b64 s[6:7], vcc, s[6:7]
	s_waitcnt vmcnt(0) lgkmcnt(0)
	v_fmac_f64_e32 v[122:123], v[130:131], v[132:133]
	s_andn2_b64 exec, exec, s[6:7]
	s_cbranch_execnz .LBB59_107
; %bb.108:
	s_or_b64 exec, exec, s[6:7]
	v_mov_b32_e32 v126, 0
	ds_read_b64 v[126:127], v126 offset:200
	s_waitcnt lgkmcnt(0)
	v_mul_f64 v[122:123], v[122:123], v[126:127]
	buffer_store_dword v123, off, s[0:3], 0 offset:204
	buffer_store_dword v122, off, s[0:3], 0 offset:200
.LBB59_109:
	s_or_b64 exec, exec, s[4:5]
	s_waitcnt lgkmcnt(0)
	; wave barrier
	buffer_load_dword v122, off, s[0:3], 0 offset:208
	buffer_load_dword v123, off, s[0:3], 0 offset:212
	v_cmp_gt_u32_e32 vcc, 26, v0
	;; [unrolled: 41-line block ×34, first 2 shown]
	s_waitcnt vmcnt(0)
	ds_write_b64 v124, v[122:123]
	s_waitcnt lgkmcnt(0)
	; wave barrier
	s_waitcnt lgkmcnt(0)
	s_and_saveexec_b64 s[4:5], vcc
	s_cbranch_execz .LBB59_241
; %bb.238:
	v_add_u32_e32 v126, -1, v0
	v_add_u32_e32 v127, 0x1e0, v1
	v_add_u32_e32 v128, 0, v1
	s_mov_b64 s[6:7], 0
	v_pk_mov_b32 v[122:123], 0, 0
.LBB59_239:                             ; =>This Inner Loop Header: Depth=1
	buffer_load_dword v130, v128, s[0:3], 0 offen
	buffer_load_dword v131, v128, s[0:3], 0 offen offset:4
	ds_read_b64 v[132:133], v127
	v_add_u32_e32 v126, 1, v126
	v_cmp_lt_u32_e32 vcc, 56, v126
	v_add_u32_e32 v127, 8, v127
	v_add_u32_e32 v128, 8, v128
	s_or_b64 s[6:7], vcc, s[6:7]
	s_waitcnt vmcnt(0) lgkmcnt(0)
	v_fmac_f64_e32 v[122:123], v[130:131], v[132:133]
	s_andn2_b64 exec, exec, s[6:7]
	s_cbranch_execnz .LBB59_239
; %bb.240:
	s_or_b64 exec, exec, s[6:7]
	v_mov_b32_e32 v126, 0
	ds_read_b64 v[126:127], v126 offset:464
	s_waitcnt lgkmcnt(0)
	v_mul_f64 v[122:123], v[122:123], v[126:127]
	buffer_store_dword v123, off, s[0:3], 0 offset:468
	buffer_store_dword v122, off, s[0:3], 0 offset:464
.LBB59_241:
	s_or_b64 exec, exec, s[4:5]
	s_waitcnt lgkmcnt(0)
	; wave barrier
	buffer_load_dword v122, off, s[0:3], 0 offset:472
	buffer_load_dword v123, off, s[0:3], 0 offset:476
	v_cmp_ne_u32_e32 vcc, 59, v0
	s_waitcnt vmcnt(0)
	ds_write_b64 v124, v[122:123]
	s_waitcnt lgkmcnt(0)
	; wave barrier
	s_waitcnt lgkmcnt(0)
	s_and_saveexec_b64 s[4:5], vcc
	s_cbranch_execz .LBB59_245
; %bb.242:
	v_add_u32_e32 v124, 0x1e0, v1
	v_add_u32_e32 v1, 0, v1
	s_mov_b64 s[6:7], 0
	v_pk_mov_b32 v[122:123], 0, 0
.LBB59_243:                             ; =>This Inner Loop Header: Depth=1
	buffer_load_dword v126, v1, s[0:3], 0 offen
	buffer_load_dword v127, v1, s[0:3], 0 offen offset:4
	ds_read_b64 v[128:129], v124
	v_add_u32_e32 v125, 1, v125
	v_cmp_lt_u32_e32 vcc, 57, v125
	v_add_u32_e32 v124, 8, v124
	v_add_u32_e32 v1, 8, v1
	s_or_b64 s[6:7], vcc, s[6:7]
	s_waitcnt vmcnt(0) lgkmcnt(0)
	v_fmac_f64_e32 v[122:123], v[126:127], v[128:129]
	s_andn2_b64 exec, exec, s[6:7]
	s_cbranch_execnz .LBB59_243
; %bb.244:
	s_or_b64 exec, exec, s[6:7]
	v_mov_b32_e32 v1, 0
	ds_read_b64 v[124:125], v1 offset:472
	s_waitcnt lgkmcnt(0)
	v_mul_f64 v[122:123], v[122:123], v[124:125]
	buffer_store_dword v123, off, s[0:3], 0 offset:476
	buffer_store_dword v122, off, s[0:3], 0 offset:472
.LBB59_245:
	s_or_b64 exec, exec, s[4:5]
	s_mov_b64 s[6:7], -1
	s_waitcnt lgkmcnt(0)
	; wave barrier
.LBB59_246:
	s_and_b64 vcc, exec, s[6:7]
	s_cbranch_vccz .LBB59_248
; %bb.247:
	s_lshl_b64 s[4:5], s[8:9], 2
	s_add_u32 s4, s14, s4
	s_addc_u32 s5, s15, s5
	v_mov_b32_e32 v1, 0
	global_load_dword v1, v1, s[4:5]
	s_waitcnt vmcnt(0)
	v_cmp_ne_u32_e32 vcc, 0, v1
	s_cbranch_vccz .LBB59_249
.LBB59_248:
	s_endpgm
.LBB59_249:
	v_mov_b32_e32 v1, 0x1e0
	v_lshl_add_u32 v1, v0, 3, v1
	v_cmp_eq_u32_e32 vcc, 59, v0
	s_and_saveexec_b64 s[4:5], vcc
	s_cbranch_execz .LBB59_251
; %bb.250:
	buffer_load_dword v122, off, s[0:3], 0 offset:464
	buffer_load_dword v123, off, s[0:3], 0 offset:468
	v_mov_b32_e32 v124, 0
	buffer_store_dword v124, off, s[0:3], 0 offset:464
	buffer_store_dword v124, off, s[0:3], 0 offset:468
	s_waitcnt vmcnt(2)
	ds_write_b64 v1, v[122:123]
.LBB59_251:
	s_or_b64 exec, exec, s[4:5]
	s_waitcnt lgkmcnt(0)
	; wave barrier
	s_waitcnt lgkmcnt(0)
	buffer_load_dword v124, off, s[0:3], 0 offset:472
	buffer_load_dword v125, off, s[0:3], 0 offset:476
	buffer_load_dword v126, off, s[0:3], 0 offset:464
	buffer_load_dword v127, off, s[0:3], 0 offset:468
	v_mov_b32_e32 v122, 0
	ds_read_b64 v[128:129], v122 offset:952
	v_cmp_lt_u32_e32 vcc, 57, v0
	s_waitcnt vmcnt(2) lgkmcnt(0)
	v_fma_f64 v[124:125], v[124:125], v[128:129], 0
	s_waitcnt vmcnt(0)
	v_add_f64 v[124:125], v[126:127], -v[124:125]
	buffer_store_dword v124, off, s[0:3], 0 offset:464
	buffer_store_dword v125, off, s[0:3], 0 offset:468
	s_and_saveexec_b64 s[4:5], vcc
	s_cbranch_execz .LBB59_253
; %bb.252:
	buffer_load_dword v124, off, s[0:3], 0 offset:456
	buffer_load_dword v125, off, s[0:3], 0 offset:460
	s_waitcnt vmcnt(0)
	ds_write_b64 v1, v[124:125]
	buffer_store_dword v122, off, s[0:3], 0 offset:456
	buffer_store_dword v122, off, s[0:3], 0 offset:460
.LBB59_253:
	s_or_b64 exec, exec, s[4:5]
	s_waitcnt lgkmcnt(0)
	; wave barrier
	s_waitcnt lgkmcnt(0)
	buffer_load_dword v126, off, s[0:3], 0 offset:464
	buffer_load_dword v127, off, s[0:3], 0 offset:468
	buffer_load_dword v128, off, s[0:3], 0 offset:472
	buffer_load_dword v129, off, s[0:3], 0 offset:476
	buffer_load_dword v130, off, s[0:3], 0 offset:456
	buffer_load_dword v131, off, s[0:3], 0 offset:460
	ds_read_b128 v[122:125], v122 offset:944
	v_cmp_lt_u32_e32 vcc, 56, v0
	s_waitcnt vmcnt(4) lgkmcnt(0)
	v_fma_f64 v[122:123], v[126:127], v[122:123], 0
	s_waitcnt vmcnt(2)
	v_fmac_f64_e32 v[122:123], v[128:129], v[124:125]
	s_waitcnt vmcnt(0)
	v_add_f64 v[122:123], v[130:131], -v[122:123]
	buffer_store_dword v122, off, s[0:3], 0 offset:456
	buffer_store_dword v123, off, s[0:3], 0 offset:460
	s_and_saveexec_b64 s[4:5], vcc
	s_cbranch_execz .LBB59_255
; %bb.254:
	buffer_load_dword v122, off, s[0:3], 0 offset:448
	buffer_load_dword v123, off, s[0:3], 0 offset:452
	v_mov_b32_e32 v124, 0
	buffer_store_dword v124, off, s[0:3], 0 offset:448
	buffer_store_dword v124, off, s[0:3], 0 offset:452
	s_waitcnt vmcnt(2)
	ds_write_b64 v1, v[122:123]
.LBB59_255:
	s_or_b64 exec, exec, s[4:5]
	s_waitcnt lgkmcnt(0)
	; wave barrier
	s_waitcnt lgkmcnt(0)
	buffer_load_dword v128, off, s[0:3], 0 offset:456
	buffer_load_dword v129, off, s[0:3], 0 offset:460
	;; [unrolled: 1-line block ×8, first 2 shown]
	v_mov_b32_e32 v122, 0
	ds_read2_b64 v[124:127], v122 offset0:117 offset1:118
	ds_read_b64 v[136:137], v122 offset:952
	v_cmp_lt_u32_e32 vcc, 55, v0
	s_waitcnt vmcnt(6) lgkmcnt(1)
	v_fma_f64 v[124:125], v[128:129], v[124:125], 0
	s_waitcnt vmcnt(4)
	v_fmac_f64_e32 v[124:125], v[130:131], v[126:127]
	s_waitcnt vmcnt(2) lgkmcnt(0)
	v_fmac_f64_e32 v[124:125], v[132:133], v[136:137]
	s_waitcnt vmcnt(0)
	v_add_f64 v[124:125], v[134:135], -v[124:125]
	buffer_store_dword v124, off, s[0:3], 0 offset:448
	buffer_store_dword v125, off, s[0:3], 0 offset:452
	s_and_saveexec_b64 s[4:5], vcc
	s_cbranch_execz .LBB59_257
; %bb.256:
	buffer_load_dword v124, off, s[0:3], 0 offset:440
	buffer_load_dword v125, off, s[0:3], 0 offset:444
	s_waitcnt vmcnt(0)
	ds_write_b64 v1, v[124:125]
	buffer_store_dword v122, off, s[0:3], 0 offset:440
	buffer_store_dword v122, off, s[0:3], 0 offset:444
.LBB59_257:
	s_or_b64 exec, exec, s[4:5]
	s_waitcnt lgkmcnt(0)
	; wave barrier
	s_waitcnt lgkmcnt(0)
	buffer_load_dword v132, off, s[0:3], 0 offset:448
	buffer_load_dword v133, off, s[0:3], 0 offset:452
	;; [unrolled: 1-line block ×10, first 2 shown]
	ds_read_b128 v[124:127], v122 offset:928
	ds_read_b128 v[128:131], v122 offset:944
	v_cmp_lt_u32_e32 vcc, 54, v0
	s_waitcnt vmcnt(8) lgkmcnt(1)
	v_fma_f64 v[122:123], v[132:133], v[124:125], 0
	s_waitcnt vmcnt(6)
	v_fmac_f64_e32 v[122:123], v[134:135], v[126:127]
	s_waitcnt vmcnt(4) lgkmcnt(0)
	v_fmac_f64_e32 v[122:123], v[136:137], v[128:129]
	s_waitcnt vmcnt(2)
	v_fmac_f64_e32 v[122:123], v[138:139], v[130:131]
	s_waitcnt vmcnt(0)
	v_add_f64 v[122:123], v[140:141], -v[122:123]
	buffer_store_dword v122, off, s[0:3], 0 offset:440
	buffer_store_dword v123, off, s[0:3], 0 offset:444
	s_and_saveexec_b64 s[4:5], vcc
	s_cbranch_execz .LBB59_259
; %bb.258:
	buffer_load_dword v122, off, s[0:3], 0 offset:432
	buffer_load_dword v123, off, s[0:3], 0 offset:436
	v_mov_b32_e32 v124, 0
	buffer_store_dword v124, off, s[0:3], 0 offset:432
	buffer_store_dword v124, off, s[0:3], 0 offset:436
	s_waitcnt vmcnt(2)
	ds_write_b64 v1, v[122:123]
.LBB59_259:
	s_or_b64 exec, exec, s[4:5]
	s_waitcnt lgkmcnt(0)
	; wave barrier
	s_waitcnt lgkmcnt(0)
	buffer_load_dword v132, off, s[0:3], 0 offset:440
	buffer_load_dword v133, off, s[0:3], 0 offset:444
	;; [unrolled: 1-line block ×12, first 2 shown]
	v_mov_b32_e32 v122, 0
	ds_read2_b64 v[124:127], v122 offset0:115 offset1:116
	ds_read2_b64 v[128:131], v122 offset0:117 offset1:118
	ds_read_b64 v[144:145], v122 offset:952
	v_cmp_lt_u32_e32 vcc, 53, v0
	s_waitcnt vmcnt(10) lgkmcnt(2)
	v_fma_f64 v[124:125], v[132:133], v[124:125], 0
	s_waitcnt vmcnt(8)
	v_fmac_f64_e32 v[124:125], v[134:135], v[126:127]
	s_waitcnt vmcnt(6) lgkmcnt(1)
	v_fmac_f64_e32 v[124:125], v[136:137], v[128:129]
	s_waitcnt vmcnt(4)
	v_fmac_f64_e32 v[124:125], v[138:139], v[130:131]
	s_waitcnt vmcnt(2) lgkmcnt(0)
	v_fmac_f64_e32 v[124:125], v[140:141], v[144:145]
	s_waitcnt vmcnt(0)
	v_add_f64 v[124:125], v[142:143], -v[124:125]
	buffer_store_dword v124, off, s[0:3], 0 offset:432
	buffer_store_dword v125, off, s[0:3], 0 offset:436
	s_and_saveexec_b64 s[4:5], vcc
	s_cbranch_execz .LBB59_261
; %bb.260:
	buffer_load_dword v124, off, s[0:3], 0 offset:424
	buffer_load_dword v125, off, s[0:3], 0 offset:428
	s_waitcnt vmcnt(0)
	ds_write_b64 v1, v[124:125]
	buffer_store_dword v122, off, s[0:3], 0 offset:424
	buffer_store_dword v122, off, s[0:3], 0 offset:428
.LBB59_261:
	s_or_b64 exec, exec, s[4:5]
	s_waitcnt lgkmcnt(0)
	; wave barrier
	s_waitcnt lgkmcnt(0)
	buffer_load_dword v136, off, s[0:3], 0 offset:432
	buffer_load_dword v137, off, s[0:3], 0 offset:436
	;; [unrolled: 1-line block ×14, first 2 shown]
	ds_read_b128 v[124:127], v122 offset:912
	ds_read_b128 v[128:131], v122 offset:928
	;; [unrolled: 1-line block ×3, first 2 shown]
	v_cmp_lt_u32_e32 vcc, 52, v0
	s_waitcnt vmcnt(12) lgkmcnt(2)
	v_fma_f64 v[122:123], v[136:137], v[124:125], 0
	s_waitcnt vmcnt(10)
	v_fmac_f64_e32 v[122:123], v[138:139], v[126:127]
	s_waitcnt vmcnt(8) lgkmcnt(1)
	v_fmac_f64_e32 v[122:123], v[140:141], v[128:129]
	s_waitcnt vmcnt(6)
	v_fmac_f64_e32 v[122:123], v[142:143], v[130:131]
	s_waitcnt vmcnt(4) lgkmcnt(0)
	v_fmac_f64_e32 v[122:123], v[144:145], v[132:133]
	s_waitcnt vmcnt(2)
	v_fmac_f64_e32 v[122:123], v[146:147], v[134:135]
	s_waitcnt vmcnt(0)
	v_add_f64 v[122:123], v[148:149], -v[122:123]
	buffer_store_dword v122, off, s[0:3], 0 offset:424
	buffer_store_dword v123, off, s[0:3], 0 offset:428
	s_and_saveexec_b64 s[4:5], vcc
	s_cbranch_execz .LBB59_263
; %bb.262:
	buffer_load_dword v122, off, s[0:3], 0 offset:416
	buffer_load_dword v123, off, s[0:3], 0 offset:420
	v_mov_b32_e32 v124, 0
	buffer_store_dword v124, off, s[0:3], 0 offset:416
	buffer_store_dword v124, off, s[0:3], 0 offset:420
	s_waitcnt vmcnt(2)
	ds_write_b64 v1, v[122:123]
.LBB59_263:
	s_or_b64 exec, exec, s[4:5]
	s_waitcnt lgkmcnt(0)
	; wave barrier
	s_waitcnt lgkmcnt(0)
	buffer_load_dword v136, off, s[0:3], 0 offset:424
	buffer_load_dword v137, off, s[0:3], 0 offset:428
	;; [unrolled: 1-line block ×16, first 2 shown]
	v_mov_b32_e32 v122, 0
	ds_read2_b64 v[124:127], v122 offset0:113 offset1:114
	ds_read2_b64 v[128:131], v122 offset0:115 offset1:116
	;; [unrolled: 1-line block ×3, first 2 shown]
	ds_read_b64 v[152:153], v122 offset:952
	v_cmp_lt_u32_e32 vcc, 51, v0
	s_waitcnt vmcnt(14) lgkmcnt(3)
	v_fma_f64 v[124:125], v[136:137], v[124:125], 0
	s_waitcnt vmcnt(12)
	v_fmac_f64_e32 v[124:125], v[138:139], v[126:127]
	s_waitcnt vmcnt(10) lgkmcnt(2)
	v_fmac_f64_e32 v[124:125], v[140:141], v[128:129]
	s_waitcnt vmcnt(8)
	v_fmac_f64_e32 v[124:125], v[142:143], v[130:131]
	s_waitcnt vmcnt(6) lgkmcnt(1)
	v_fmac_f64_e32 v[124:125], v[144:145], v[132:133]
	;; [unrolled: 4-line block ×3, first 2 shown]
	s_waitcnt vmcnt(0)
	v_add_f64 v[124:125], v[150:151], -v[124:125]
	buffer_store_dword v124, off, s[0:3], 0 offset:416
	buffer_store_dword v125, off, s[0:3], 0 offset:420
	s_and_saveexec_b64 s[4:5], vcc
	s_cbranch_execz .LBB59_265
; %bb.264:
	buffer_load_dword v124, off, s[0:3], 0 offset:408
	buffer_load_dword v125, off, s[0:3], 0 offset:412
	s_waitcnt vmcnt(0)
	ds_write_b64 v1, v[124:125]
	buffer_store_dword v122, off, s[0:3], 0 offset:408
	buffer_store_dword v122, off, s[0:3], 0 offset:412
.LBB59_265:
	s_or_b64 exec, exec, s[4:5]
	s_waitcnt lgkmcnt(0)
	; wave barrier
	s_waitcnt lgkmcnt(0)
	buffer_load_dword v140, off, s[0:3], 0 offset:416
	buffer_load_dword v141, off, s[0:3], 0 offset:420
	;; [unrolled: 1-line block ×18, first 2 shown]
	ds_read_b128 v[124:127], v122 offset:896
	ds_read_b128 v[128:131], v122 offset:912
	;; [unrolled: 1-line block ×4, first 2 shown]
	v_cmp_lt_u32_e32 vcc, 50, v0
	s_waitcnt vmcnt(16) lgkmcnt(3)
	v_fma_f64 v[122:123], v[140:141], v[124:125], 0
	s_waitcnt vmcnt(14)
	v_fmac_f64_e32 v[122:123], v[142:143], v[126:127]
	s_waitcnt vmcnt(12) lgkmcnt(2)
	v_fmac_f64_e32 v[122:123], v[144:145], v[128:129]
	s_waitcnt vmcnt(10)
	v_fmac_f64_e32 v[122:123], v[146:147], v[130:131]
	s_waitcnt vmcnt(8) lgkmcnt(1)
	v_fmac_f64_e32 v[122:123], v[148:149], v[132:133]
	;; [unrolled: 4-line block ×3, first 2 shown]
	s_waitcnt vmcnt(2)
	v_fmac_f64_e32 v[122:123], v[154:155], v[138:139]
	s_waitcnt vmcnt(0)
	v_add_f64 v[122:123], v[156:157], -v[122:123]
	buffer_store_dword v122, off, s[0:3], 0 offset:408
	buffer_store_dword v123, off, s[0:3], 0 offset:412
	s_and_saveexec_b64 s[4:5], vcc
	s_cbranch_execz .LBB59_267
; %bb.266:
	buffer_load_dword v122, off, s[0:3], 0 offset:400
	buffer_load_dword v123, off, s[0:3], 0 offset:404
	v_mov_b32_e32 v124, 0
	buffer_store_dword v124, off, s[0:3], 0 offset:400
	buffer_store_dword v124, off, s[0:3], 0 offset:404
	s_waitcnt vmcnt(2)
	ds_write_b64 v1, v[122:123]
.LBB59_267:
	s_or_b64 exec, exec, s[4:5]
	s_waitcnt lgkmcnt(0)
	; wave barrier
	s_waitcnt lgkmcnt(0)
	buffer_load_dword v140, off, s[0:3], 0 offset:408
	buffer_load_dword v141, off, s[0:3], 0 offset:412
	;; [unrolled: 1-line block ×20, first 2 shown]
	v_mov_b32_e32 v122, 0
	ds_read2_b64 v[124:127], v122 offset0:111 offset1:112
	ds_read2_b64 v[128:131], v122 offset0:113 offset1:114
	;; [unrolled: 1-line block ×4, first 2 shown]
	ds_read_b64 v[160:161], v122 offset:952
	v_cmp_lt_u32_e32 vcc, 49, v0
	s_waitcnt vmcnt(18) lgkmcnt(4)
	v_fma_f64 v[124:125], v[140:141], v[124:125], 0
	s_waitcnt vmcnt(16)
	v_fmac_f64_e32 v[124:125], v[142:143], v[126:127]
	s_waitcnt vmcnt(14) lgkmcnt(3)
	v_fmac_f64_e32 v[124:125], v[144:145], v[128:129]
	s_waitcnt vmcnt(12)
	v_fmac_f64_e32 v[124:125], v[146:147], v[130:131]
	s_waitcnt vmcnt(10) lgkmcnt(2)
	v_fmac_f64_e32 v[124:125], v[148:149], v[132:133]
	;; [unrolled: 4-line block ×3, first 2 shown]
	s_waitcnt vmcnt(2)
	v_fmac_f64_e32 v[124:125], v[156:157], v[138:139]
	s_waitcnt lgkmcnt(0)
	v_fmac_f64_e32 v[124:125], v[154:155], v[160:161]
	s_waitcnt vmcnt(0)
	v_add_f64 v[124:125], v[158:159], -v[124:125]
	buffer_store_dword v124, off, s[0:3], 0 offset:400
	buffer_store_dword v125, off, s[0:3], 0 offset:404
	s_and_saveexec_b64 s[4:5], vcc
	s_cbranch_execz .LBB59_269
; %bb.268:
	buffer_load_dword v124, off, s[0:3], 0 offset:392
	buffer_load_dword v125, off, s[0:3], 0 offset:396
	s_waitcnt vmcnt(0)
	ds_write_b64 v1, v[124:125]
	buffer_store_dword v122, off, s[0:3], 0 offset:392
	buffer_store_dword v122, off, s[0:3], 0 offset:396
.LBB59_269:
	s_or_b64 exec, exec, s[4:5]
	s_waitcnt lgkmcnt(0)
	; wave barrier
	s_waitcnt lgkmcnt(0)
	buffer_load_dword v144, off, s[0:3], 0 offset:400
	buffer_load_dword v145, off, s[0:3], 0 offset:404
	;; [unrolled: 1-line block ×22, first 2 shown]
	ds_read_b128 v[124:127], v122 offset:880
	ds_read_b128 v[128:131], v122 offset:896
	;; [unrolled: 1-line block ×5, first 2 shown]
	v_cmp_lt_u32_e32 vcc, 48, v0
	s_waitcnt vmcnt(20) lgkmcnt(4)
	v_fma_f64 v[122:123], v[144:145], v[124:125], 0
	s_waitcnt vmcnt(18)
	v_fmac_f64_e32 v[122:123], v[146:147], v[126:127]
	s_waitcnt vmcnt(16) lgkmcnt(3)
	v_fmac_f64_e32 v[122:123], v[148:149], v[128:129]
	s_waitcnt vmcnt(14)
	v_fmac_f64_e32 v[122:123], v[150:151], v[130:131]
	s_waitcnt vmcnt(12) lgkmcnt(2)
	v_fmac_f64_e32 v[122:123], v[152:153], v[132:133]
	s_waitcnt vmcnt(10)
	v_fmac_f64_e32 v[122:123], v[154:155], v[134:135]
	s_waitcnt vmcnt(8) lgkmcnt(1)
	v_fmac_f64_e32 v[122:123], v[156:157], v[136:137]
	s_waitcnt vmcnt(3)
	v_fmac_f64_e32 v[122:123], v[162:163], v[138:139]
	s_waitcnt lgkmcnt(0)
	v_fmac_f64_e32 v[122:123], v[160:161], v[140:141]
	s_waitcnt vmcnt(2)
	v_fmac_f64_e32 v[122:123], v[158:159], v[142:143]
	s_waitcnt vmcnt(0)
	v_add_f64 v[122:123], v[164:165], -v[122:123]
	buffer_store_dword v122, off, s[0:3], 0 offset:392
	buffer_store_dword v123, off, s[0:3], 0 offset:396
	s_and_saveexec_b64 s[4:5], vcc
	s_cbranch_execz .LBB59_271
; %bb.270:
	buffer_load_dword v122, off, s[0:3], 0 offset:384
	buffer_load_dword v123, off, s[0:3], 0 offset:388
	v_mov_b32_e32 v124, 0
	buffer_store_dword v124, off, s[0:3], 0 offset:384
	buffer_store_dword v124, off, s[0:3], 0 offset:388
	s_waitcnt vmcnt(2)
	ds_write_b64 v1, v[122:123]
.LBB59_271:
	s_or_b64 exec, exec, s[4:5]
	s_waitcnt lgkmcnt(0)
	; wave barrier
	s_waitcnt lgkmcnt(0)
	buffer_load_dword v128, off, s[0:3], 0 offset:384
	buffer_load_dword v129, off, s[0:3], 0 offset:388
	;; [unrolled: 1-line block ×16, first 2 shown]
	v_mov_b32_e32 v122, 0
	ds_read2_b64 v[124:127], v122 offset0:109 offset1:110
	v_cmp_lt_u32_e32 vcc, 47, v0
	s_waitcnt vmcnt(12) lgkmcnt(0)
	v_fma_f64 v[130:131], v[130:131], v[124:125], 0
	s_waitcnt vmcnt(10)
	v_fmac_f64_e32 v[130:131], v[132:133], v[126:127]
	ds_read2_b64 v[124:127], v122 offset0:111 offset1:112
	s_waitcnt vmcnt(8) lgkmcnt(0)
	v_fmac_f64_e32 v[130:131], v[134:135], v[124:125]
	s_waitcnt vmcnt(6)
	v_fmac_f64_e32 v[130:131], v[136:137], v[126:127]
	ds_read2_b64 v[124:127], v122 offset0:113 offset1:114
	s_waitcnt vmcnt(4) lgkmcnt(0)
	v_fmac_f64_e32 v[130:131], v[138:139], v[124:125]
	;; [unrolled: 5-line block ×3, first 2 shown]
	buffer_load_dword v125, off, s[0:3], 0 offset:452
	buffer_load_dword v124, off, s[0:3], 0 offset:448
	;; [unrolled: 1-line block ×4, first 2 shown]
	s_waitcnt vmcnt(2)
	v_fmac_f64_e32 v[130:131], v[124:125], v[126:127]
	ds_read2_b64 v[124:127], v122 offset0:117 offset1:118
	s_waitcnt vmcnt(0) lgkmcnt(0)
	v_fmac_f64_e32 v[130:131], v[132:133], v[124:125]
	buffer_load_dword v125, off, s[0:3], 0 offset:468
	buffer_load_dword v124, off, s[0:3], 0 offset:464
	s_waitcnt vmcnt(0)
	v_fmac_f64_e32 v[130:131], v[124:125], v[126:127]
	buffer_load_dword v125, off, s[0:3], 0 offset:476
	buffer_load_dword v124, off, s[0:3], 0 offset:472
	ds_read_b64 v[126:127], v122 offset:952
	s_waitcnt vmcnt(0) lgkmcnt(0)
	v_fmac_f64_e32 v[130:131], v[124:125], v[126:127]
	v_add_f64 v[124:125], v[128:129], -v[130:131]
	buffer_store_dword v125, off, s[0:3], 0 offset:388
	buffer_store_dword v124, off, s[0:3], 0 offset:384
	s_and_saveexec_b64 s[4:5], vcc
	s_cbranch_execz .LBB59_273
; %bb.272:
	buffer_load_dword v124, off, s[0:3], 0 offset:376
	buffer_load_dword v125, off, s[0:3], 0 offset:380
	s_waitcnt vmcnt(0)
	ds_write_b64 v1, v[124:125]
	buffer_store_dword v122, off, s[0:3], 0 offset:376
	buffer_store_dword v122, off, s[0:3], 0 offset:380
.LBB59_273:
	s_or_b64 exec, exec, s[4:5]
	s_waitcnt lgkmcnt(0)
	; wave barrier
	s_waitcnt lgkmcnt(0)
	buffer_load_dword v140, off, s[0:3], 0 offset:376
	buffer_load_dword v141, off, s[0:3], 0 offset:380
	;; [unrolled: 1-line block ×16, first 2 shown]
	ds_read_b128 v[124:127], v122 offset:864
	ds_read_b128 v[128:131], v122 offset:880
	;; [unrolled: 1-line block ×4, first 2 shown]
	v_cmp_lt_u32_e32 vcc, 46, v0
	s_waitcnt vmcnt(12) lgkmcnt(3)
	v_fma_f64 v[142:143], v[142:143], v[124:125], 0
	buffer_load_dword v125, off, s[0:3], 0 offset:444
	buffer_load_dword v124, off, s[0:3], 0 offset:440
	s_waitcnt vmcnt(12)
	v_fmac_f64_e32 v[142:143], v[144:145], v[126:127]
	s_waitcnt vmcnt(10) lgkmcnt(2)
	v_fmac_f64_e32 v[142:143], v[146:147], v[128:129]
	buffer_load_dword v129, off, s[0:3], 0 offset:452
	buffer_load_dword v128, off, s[0:3], 0 offset:448
	s_waitcnt vmcnt(10)
	v_fmac_f64_e32 v[142:143], v[148:149], v[130:131]
	s_waitcnt vmcnt(8) lgkmcnt(1)
	v_fmac_f64_e32 v[142:143], v[150:151], v[132:133]
	s_waitcnt vmcnt(6)
	v_fmac_f64_e32 v[142:143], v[152:153], v[134:135]
	s_waitcnt vmcnt(4) lgkmcnt(0)
	v_fmac_f64_e32 v[142:143], v[154:155], v[136:137]
	s_waitcnt vmcnt(2)
	v_fmac_f64_e32 v[142:143], v[124:125], v[138:139]
	ds_read_b128 v[124:127], v122 offset:928
	s_waitcnt vmcnt(0) lgkmcnt(0)
	v_fmac_f64_e32 v[142:143], v[128:129], v[124:125]
	buffer_load_dword v125, off, s[0:3], 0 offset:460
	buffer_load_dword v124, off, s[0:3], 0 offset:456
	s_waitcnt vmcnt(0)
	v_fmac_f64_e32 v[142:143], v[124:125], v[126:127]
	buffer_load_dword v127, off, s[0:3], 0 offset:468
	buffer_load_dword v126, off, s[0:3], 0 offset:464
	ds_read_b128 v[122:125], v122 offset:944
	s_waitcnt vmcnt(0) lgkmcnt(0)
	v_fmac_f64_e32 v[142:143], v[126:127], v[122:123]
	buffer_load_dword v123, off, s[0:3], 0 offset:476
	buffer_load_dword v122, off, s[0:3], 0 offset:472
	s_waitcnt vmcnt(0)
	v_fmac_f64_e32 v[142:143], v[122:123], v[124:125]
	v_add_f64 v[122:123], v[140:141], -v[142:143]
	buffer_store_dword v123, off, s[0:3], 0 offset:380
	buffer_store_dword v122, off, s[0:3], 0 offset:376
	s_and_saveexec_b64 s[4:5], vcc
	s_cbranch_execz .LBB59_275
; %bb.274:
	buffer_load_dword v122, off, s[0:3], 0 offset:368
	buffer_load_dword v123, off, s[0:3], 0 offset:372
	v_mov_b32_e32 v124, 0
	buffer_store_dword v124, off, s[0:3], 0 offset:368
	buffer_store_dword v124, off, s[0:3], 0 offset:372
	s_waitcnt vmcnt(2)
	ds_write_b64 v1, v[122:123]
.LBB59_275:
	s_or_b64 exec, exec, s[4:5]
	s_waitcnt lgkmcnt(0)
	; wave barrier
	s_waitcnt lgkmcnt(0)
	buffer_load_dword v128, off, s[0:3], 0 offset:368
	buffer_load_dword v129, off, s[0:3], 0 offset:372
	;; [unrolled: 1-line block ×16, first 2 shown]
	v_mov_b32_e32 v122, 0
	ds_read2_b64 v[124:127], v122 offset0:107 offset1:108
	v_cmp_lt_u32_e32 vcc, 45, v0
	s_waitcnt vmcnt(12) lgkmcnt(0)
	v_fma_f64 v[130:131], v[130:131], v[124:125], 0
	s_waitcnt vmcnt(10)
	v_fmac_f64_e32 v[130:131], v[132:133], v[126:127]
	ds_read2_b64 v[124:127], v122 offset0:109 offset1:110
	s_waitcnt vmcnt(8) lgkmcnt(0)
	v_fmac_f64_e32 v[130:131], v[134:135], v[124:125]
	s_waitcnt vmcnt(6)
	v_fmac_f64_e32 v[130:131], v[136:137], v[126:127]
	ds_read2_b64 v[124:127], v122 offset0:111 offset1:112
	s_waitcnt vmcnt(4) lgkmcnt(0)
	v_fmac_f64_e32 v[130:131], v[138:139], v[124:125]
	;; [unrolled: 5-line block ×3, first 2 shown]
	buffer_load_dword v125, off, s[0:3], 0 offset:436
	buffer_load_dword v124, off, s[0:3], 0 offset:432
	;; [unrolled: 1-line block ×4, first 2 shown]
	s_waitcnt vmcnt(2)
	v_fmac_f64_e32 v[130:131], v[124:125], v[126:127]
	ds_read2_b64 v[124:127], v122 offset0:115 offset1:116
	s_waitcnt vmcnt(0) lgkmcnt(0)
	v_fmac_f64_e32 v[130:131], v[132:133], v[124:125]
	buffer_load_dword v125, off, s[0:3], 0 offset:452
	buffer_load_dword v124, off, s[0:3], 0 offset:448
	buffer_load_dword v133, off, s[0:3], 0 offset:460
	buffer_load_dword v132, off, s[0:3], 0 offset:456
	s_waitcnt vmcnt(2)
	v_fmac_f64_e32 v[130:131], v[124:125], v[126:127]
	ds_read2_b64 v[124:127], v122 offset0:117 offset1:118
	s_waitcnt vmcnt(0) lgkmcnt(0)
	v_fmac_f64_e32 v[130:131], v[132:133], v[124:125]
	buffer_load_dword v125, off, s[0:3], 0 offset:468
	buffer_load_dword v124, off, s[0:3], 0 offset:464
	s_waitcnt vmcnt(0)
	v_fmac_f64_e32 v[130:131], v[124:125], v[126:127]
	buffer_load_dword v125, off, s[0:3], 0 offset:476
	buffer_load_dword v124, off, s[0:3], 0 offset:472
	ds_read_b64 v[126:127], v122 offset:952
	s_waitcnt vmcnt(0) lgkmcnt(0)
	v_fmac_f64_e32 v[130:131], v[124:125], v[126:127]
	v_add_f64 v[124:125], v[128:129], -v[130:131]
	buffer_store_dword v125, off, s[0:3], 0 offset:372
	buffer_store_dword v124, off, s[0:3], 0 offset:368
	s_and_saveexec_b64 s[4:5], vcc
	s_cbranch_execz .LBB59_277
; %bb.276:
	buffer_load_dword v124, off, s[0:3], 0 offset:360
	buffer_load_dword v125, off, s[0:3], 0 offset:364
	s_waitcnt vmcnt(0)
	ds_write_b64 v1, v[124:125]
	buffer_store_dword v122, off, s[0:3], 0 offset:360
	buffer_store_dword v122, off, s[0:3], 0 offset:364
.LBB59_277:
	s_or_b64 exec, exec, s[4:5]
	s_waitcnt lgkmcnt(0)
	; wave barrier
	s_waitcnt lgkmcnt(0)
	buffer_load_dword v140, off, s[0:3], 0 offset:360
	buffer_load_dword v141, off, s[0:3], 0 offset:364
	;; [unrolled: 1-line block ×16, first 2 shown]
	ds_read_b128 v[124:127], v122 offset:848
	ds_read_b128 v[128:131], v122 offset:864
	;; [unrolled: 1-line block ×4, first 2 shown]
	v_cmp_lt_u32_e32 vcc, 44, v0
	s_waitcnt vmcnt(12) lgkmcnt(3)
	v_fma_f64 v[142:143], v[142:143], v[124:125], 0
	buffer_load_dword v125, off, s[0:3], 0 offset:428
	buffer_load_dword v124, off, s[0:3], 0 offset:424
	s_waitcnt vmcnt(12)
	v_fmac_f64_e32 v[142:143], v[144:145], v[126:127]
	s_waitcnt vmcnt(10) lgkmcnt(2)
	v_fmac_f64_e32 v[142:143], v[146:147], v[128:129]
	buffer_load_dword v129, off, s[0:3], 0 offset:436
	buffer_load_dword v128, off, s[0:3], 0 offset:432
	s_waitcnt vmcnt(10)
	v_fmac_f64_e32 v[142:143], v[148:149], v[130:131]
	s_waitcnt vmcnt(8) lgkmcnt(1)
	v_fmac_f64_e32 v[142:143], v[150:151], v[132:133]
	s_waitcnt vmcnt(6)
	v_fmac_f64_e32 v[142:143], v[152:153], v[134:135]
	s_waitcnt vmcnt(4) lgkmcnt(0)
	v_fmac_f64_e32 v[142:143], v[154:155], v[136:137]
	s_waitcnt vmcnt(2)
	v_fmac_f64_e32 v[142:143], v[124:125], v[138:139]
	ds_read_b128 v[124:127], v122 offset:912
	s_waitcnt vmcnt(0) lgkmcnt(0)
	v_fmac_f64_e32 v[142:143], v[128:129], v[124:125]
	buffer_load_dword v125, off, s[0:3], 0 offset:444
	buffer_load_dword v124, off, s[0:3], 0 offset:440
	buffer_load_dword v129, off, s[0:3], 0 offset:452
	buffer_load_dword v128, off, s[0:3], 0 offset:448
	s_waitcnt vmcnt(2)
	v_fmac_f64_e32 v[142:143], v[124:125], v[126:127]
	ds_read_b128 v[124:127], v122 offset:928
	s_waitcnt vmcnt(0) lgkmcnt(0)
	v_fmac_f64_e32 v[142:143], v[128:129], v[124:125]
	buffer_load_dword v125, off, s[0:3], 0 offset:460
	buffer_load_dword v124, off, s[0:3], 0 offset:456
	s_waitcnt vmcnt(0)
	v_fmac_f64_e32 v[142:143], v[124:125], v[126:127]
	buffer_load_dword v127, off, s[0:3], 0 offset:468
	buffer_load_dword v126, off, s[0:3], 0 offset:464
	ds_read_b128 v[122:125], v122 offset:944
	s_waitcnt vmcnt(0) lgkmcnt(0)
	v_fmac_f64_e32 v[142:143], v[126:127], v[122:123]
	buffer_load_dword v123, off, s[0:3], 0 offset:476
	buffer_load_dword v122, off, s[0:3], 0 offset:472
	s_waitcnt vmcnt(0)
	v_fmac_f64_e32 v[142:143], v[122:123], v[124:125]
	v_add_f64 v[122:123], v[140:141], -v[142:143]
	buffer_store_dword v123, off, s[0:3], 0 offset:364
	buffer_store_dword v122, off, s[0:3], 0 offset:360
	s_and_saveexec_b64 s[4:5], vcc
	s_cbranch_execz .LBB59_279
; %bb.278:
	buffer_load_dword v122, off, s[0:3], 0 offset:352
	buffer_load_dword v123, off, s[0:3], 0 offset:356
	v_mov_b32_e32 v124, 0
	buffer_store_dword v124, off, s[0:3], 0 offset:352
	buffer_store_dword v124, off, s[0:3], 0 offset:356
	s_waitcnt vmcnt(2)
	ds_write_b64 v1, v[122:123]
.LBB59_279:
	s_or_b64 exec, exec, s[4:5]
	s_waitcnt lgkmcnt(0)
	; wave barrier
	s_waitcnt lgkmcnt(0)
	buffer_load_dword v128, off, s[0:3], 0 offset:352
	buffer_load_dword v129, off, s[0:3], 0 offset:356
	;; [unrolled: 1-line block ×16, first 2 shown]
	v_mov_b32_e32 v122, 0
	ds_read2_b64 v[124:127], v122 offset0:105 offset1:106
	v_cmp_lt_u32_e32 vcc, 43, v0
	s_waitcnt vmcnt(12) lgkmcnt(0)
	v_fma_f64 v[130:131], v[130:131], v[124:125], 0
	s_waitcnt vmcnt(10)
	v_fmac_f64_e32 v[130:131], v[132:133], v[126:127]
	ds_read2_b64 v[124:127], v122 offset0:107 offset1:108
	s_waitcnt vmcnt(8) lgkmcnt(0)
	v_fmac_f64_e32 v[130:131], v[134:135], v[124:125]
	s_waitcnt vmcnt(6)
	v_fmac_f64_e32 v[130:131], v[136:137], v[126:127]
	ds_read2_b64 v[124:127], v122 offset0:109 offset1:110
	s_waitcnt vmcnt(4) lgkmcnt(0)
	v_fmac_f64_e32 v[130:131], v[138:139], v[124:125]
	;; [unrolled: 5-line block ×3, first 2 shown]
	buffer_load_dword v125, off, s[0:3], 0 offset:420
	buffer_load_dword v124, off, s[0:3], 0 offset:416
	buffer_load_dword v133, off, s[0:3], 0 offset:428
	buffer_load_dword v132, off, s[0:3], 0 offset:424
	s_waitcnt vmcnt(2)
	v_fmac_f64_e32 v[130:131], v[124:125], v[126:127]
	ds_read2_b64 v[124:127], v122 offset0:113 offset1:114
	s_waitcnt vmcnt(0) lgkmcnt(0)
	v_fmac_f64_e32 v[130:131], v[132:133], v[124:125]
	buffer_load_dword v125, off, s[0:3], 0 offset:436
	buffer_load_dword v124, off, s[0:3], 0 offset:432
	buffer_load_dword v133, off, s[0:3], 0 offset:444
	buffer_load_dword v132, off, s[0:3], 0 offset:440
	s_waitcnt vmcnt(2)
	v_fmac_f64_e32 v[130:131], v[124:125], v[126:127]
	ds_read2_b64 v[124:127], v122 offset0:115 offset1:116
	s_waitcnt vmcnt(0) lgkmcnt(0)
	v_fmac_f64_e32 v[130:131], v[132:133], v[124:125]
	;; [unrolled: 9-line block ×3, first 2 shown]
	buffer_load_dword v125, off, s[0:3], 0 offset:468
	buffer_load_dword v124, off, s[0:3], 0 offset:464
	s_waitcnt vmcnt(0)
	v_fmac_f64_e32 v[130:131], v[124:125], v[126:127]
	buffer_load_dword v125, off, s[0:3], 0 offset:476
	buffer_load_dword v124, off, s[0:3], 0 offset:472
	ds_read_b64 v[126:127], v122 offset:952
	s_waitcnt vmcnt(0) lgkmcnt(0)
	v_fmac_f64_e32 v[130:131], v[124:125], v[126:127]
	v_add_f64 v[124:125], v[128:129], -v[130:131]
	buffer_store_dword v125, off, s[0:3], 0 offset:356
	buffer_store_dword v124, off, s[0:3], 0 offset:352
	s_and_saveexec_b64 s[4:5], vcc
	s_cbranch_execz .LBB59_281
; %bb.280:
	buffer_load_dword v124, off, s[0:3], 0 offset:344
	buffer_load_dword v125, off, s[0:3], 0 offset:348
	s_waitcnt vmcnt(0)
	ds_write_b64 v1, v[124:125]
	buffer_store_dword v122, off, s[0:3], 0 offset:344
	buffer_store_dword v122, off, s[0:3], 0 offset:348
.LBB59_281:
	s_or_b64 exec, exec, s[4:5]
	s_waitcnt lgkmcnt(0)
	; wave barrier
	s_waitcnt lgkmcnt(0)
	buffer_load_dword v140, off, s[0:3], 0 offset:344
	buffer_load_dword v141, off, s[0:3], 0 offset:348
	;; [unrolled: 1-line block ×16, first 2 shown]
	ds_read_b128 v[124:127], v122 offset:832
	ds_read_b128 v[128:131], v122 offset:848
	;; [unrolled: 1-line block ×4, first 2 shown]
	v_cmp_lt_u32_e32 vcc, 42, v0
	s_waitcnt vmcnt(12) lgkmcnt(3)
	v_fma_f64 v[142:143], v[142:143], v[124:125], 0
	buffer_load_dword v125, off, s[0:3], 0 offset:412
	buffer_load_dword v124, off, s[0:3], 0 offset:408
	s_waitcnt vmcnt(12)
	v_fmac_f64_e32 v[142:143], v[144:145], v[126:127]
	s_waitcnt vmcnt(10) lgkmcnt(2)
	v_fmac_f64_e32 v[142:143], v[146:147], v[128:129]
	buffer_load_dword v129, off, s[0:3], 0 offset:420
	buffer_load_dword v128, off, s[0:3], 0 offset:416
	s_waitcnt vmcnt(10)
	v_fmac_f64_e32 v[142:143], v[148:149], v[130:131]
	s_waitcnt vmcnt(8) lgkmcnt(1)
	v_fmac_f64_e32 v[142:143], v[150:151], v[132:133]
	s_waitcnt vmcnt(6)
	v_fmac_f64_e32 v[142:143], v[152:153], v[134:135]
	s_waitcnt vmcnt(4) lgkmcnt(0)
	v_fmac_f64_e32 v[142:143], v[154:155], v[136:137]
	s_waitcnt vmcnt(2)
	v_fmac_f64_e32 v[142:143], v[124:125], v[138:139]
	ds_read_b128 v[124:127], v122 offset:896
	s_waitcnt vmcnt(0) lgkmcnt(0)
	v_fmac_f64_e32 v[142:143], v[128:129], v[124:125]
	buffer_load_dword v125, off, s[0:3], 0 offset:428
	buffer_load_dword v124, off, s[0:3], 0 offset:424
	;; [unrolled: 1-line block ×4, first 2 shown]
	s_waitcnt vmcnt(2)
	v_fmac_f64_e32 v[142:143], v[124:125], v[126:127]
	ds_read_b128 v[124:127], v122 offset:912
	s_waitcnt vmcnt(0) lgkmcnt(0)
	v_fmac_f64_e32 v[142:143], v[128:129], v[124:125]
	buffer_load_dword v125, off, s[0:3], 0 offset:444
	buffer_load_dword v124, off, s[0:3], 0 offset:440
	;; [unrolled: 1-line block ×4, first 2 shown]
	s_waitcnt vmcnt(2)
	v_fmac_f64_e32 v[142:143], v[124:125], v[126:127]
	ds_read_b128 v[124:127], v122 offset:928
	s_waitcnt vmcnt(0) lgkmcnt(0)
	v_fmac_f64_e32 v[142:143], v[128:129], v[124:125]
	buffer_load_dword v125, off, s[0:3], 0 offset:460
	buffer_load_dword v124, off, s[0:3], 0 offset:456
	s_waitcnt vmcnt(0)
	v_fmac_f64_e32 v[142:143], v[124:125], v[126:127]
	buffer_load_dword v127, off, s[0:3], 0 offset:468
	buffer_load_dword v126, off, s[0:3], 0 offset:464
	ds_read_b128 v[122:125], v122 offset:944
	s_waitcnt vmcnt(0) lgkmcnt(0)
	v_fmac_f64_e32 v[142:143], v[126:127], v[122:123]
	buffer_load_dword v123, off, s[0:3], 0 offset:476
	buffer_load_dword v122, off, s[0:3], 0 offset:472
	s_waitcnt vmcnt(0)
	v_fmac_f64_e32 v[142:143], v[122:123], v[124:125]
	v_add_f64 v[122:123], v[140:141], -v[142:143]
	buffer_store_dword v123, off, s[0:3], 0 offset:348
	buffer_store_dword v122, off, s[0:3], 0 offset:344
	s_and_saveexec_b64 s[4:5], vcc
	s_cbranch_execz .LBB59_283
; %bb.282:
	buffer_load_dword v122, off, s[0:3], 0 offset:336
	buffer_load_dword v123, off, s[0:3], 0 offset:340
	v_mov_b32_e32 v124, 0
	buffer_store_dword v124, off, s[0:3], 0 offset:336
	buffer_store_dword v124, off, s[0:3], 0 offset:340
	s_waitcnt vmcnt(2)
	ds_write_b64 v1, v[122:123]
.LBB59_283:
	s_or_b64 exec, exec, s[4:5]
	s_waitcnt lgkmcnt(0)
	; wave barrier
	s_waitcnt lgkmcnt(0)
	buffer_load_dword v122, off, s[0:3], 0 offset:336
	buffer_load_dword v123, off, s[0:3], 0 offset:340
	;; [unrolled: 1-line block ×16, first 2 shown]
	v_mov_b32_e32 v126, 0
	ds_read2_b64 v[128:131], v126 offset0:103 offset1:104
	v_cmp_lt_u32_e32 vcc, 41, v0
	s_waitcnt vmcnt(12) lgkmcnt(0)
	v_fma_f64 v[124:125], v[124:125], v[128:129], 0
	s_waitcnt vmcnt(10)
	v_fmac_f64_e32 v[124:125], v[132:133], v[130:131]
	ds_read2_b64 v[128:131], v126 offset0:105 offset1:106
	s_waitcnt vmcnt(8) lgkmcnt(0)
	v_fmac_f64_e32 v[124:125], v[134:135], v[128:129]
	s_waitcnt vmcnt(6)
	v_fmac_f64_e32 v[124:125], v[136:137], v[130:131]
	ds_read2_b64 v[128:131], v126 offset0:107 offset1:108
	s_waitcnt vmcnt(4) lgkmcnt(0)
	v_fmac_f64_e32 v[124:125], v[138:139], v[128:129]
	;; [unrolled: 5-line block ×3, first 2 shown]
	buffer_load_dword v129, off, s[0:3], 0 offset:404
	buffer_load_dword v128, off, s[0:3], 0 offset:400
	buffer_load_dword v133, off, s[0:3], 0 offset:412
	buffer_load_dword v132, off, s[0:3], 0 offset:408
	s_waitcnt vmcnt(2)
	v_fmac_f64_e32 v[124:125], v[128:129], v[130:131]
	ds_read2_b64 v[128:131], v126 offset0:111 offset1:112
	s_waitcnt vmcnt(0) lgkmcnt(0)
	v_fmac_f64_e32 v[124:125], v[132:133], v[128:129]
	buffer_load_dword v129, off, s[0:3], 0 offset:420
	buffer_load_dword v128, off, s[0:3], 0 offset:416
	buffer_load_dword v133, off, s[0:3], 0 offset:428
	buffer_load_dword v132, off, s[0:3], 0 offset:424
	s_waitcnt vmcnt(2)
	v_fmac_f64_e32 v[124:125], v[128:129], v[130:131]
	ds_read2_b64 v[128:131], v126 offset0:113 offset1:114
	s_waitcnt vmcnt(0) lgkmcnt(0)
	v_fmac_f64_e32 v[124:125], v[132:133], v[128:129]
	;; [unrolled: 9-line block ×4, first 2 shown]
	buffer_load_dword v129, off, s[0:3], 0 offset:468
	buffer_load_dword v128, off, s[0:3], 0 offset:464
	s_waitcnt vmcnt(0)
	v_fmac_f64_e32 v[124:125], v[128:129], v[130:131]
	buffer_load_dword v129, off, s[0:3], 0 offset:476
	buffer_load_dword v128, off, s[0:3], 0 offset:472
	ds_read_b64 v[130:131], v126 offset:952
	s_waitcnt vmcnt(0) lgkmcnt(0)
	v_fmac_f64_e32 v[124:125], v[128:129], v[130:131]
	v_add_f64 v[122:123], v[122:123], -v[124:125]
	buffer_store_dword v123, off, s[0:3], 0 offset:340
	buffer_store_dword v122, off, s[0:3], 0 offset:336
	s_and_saveexec_b64 s[4:5], vcc
	s_cbranch_execz .LBB59_285
; %bb.284:
	buffer_load_dword v122, off, s[0:3], 0 offset:328
	buffer_load_dword v123, off, s[0:3], 0 offset:332
	s_waitcnt vmcnt(0)
	ds_write_b64 v1, v[122:123]
	buffer_store_dword v126, off, s[0:3], 0 offset:328
	buffer_store_dword v126, off, s[0:3], 0 offset:332
.LBB59_285:
	s_or_b64 exec, exec, s[4:5]
	s_waitcnt lgkmcnt(0)
	; wave barrier
	s_waitcnt lgkmcnt(0)
	buffer_load_dword v122, off, s[0:3], 0 offset:328
	buffer_load_dword v123, off, s[0:3], 0 offset:332
	;; [unrolled: 1-line block ×16, first 2 shown]
	ds_read_b128 v[128:131], v126 offset:816
	ds_read_b128 v[132:135], v126 offset:832
	;; [unrolled: 1-line block ×4, first 2 shown]
	v_cmp_lt_u32_e32 vcc, 40, v0
	s_waitcnt vmcnt(12) lgkmcnt(3)
	v_fma_f64 v[124:125], v[124:125], v[128:129], 0
	buffer_load_dword v129, off, s[0:3], 0 offset:396
	buffer_load_dword v128, off, s[0:3], 0 offset:392
	s_waitcnt vmcnt(12)
	v_fmac_f64_e32 v[124:125], v[144:145], v[130:131]
	s_waitcnt vmcnt(10) lgkmcnt(2)
	v_fmac_f64_e32 v[124:125], v[146:147], v[132:133]
	buffer_load_dword v133, off, s[0:3], 0 offset:404
	buffer_load_dword v132, off, s[0:3], 0 offset:400
	s_waitcnt vmcnt(10)
	v_fmac_f64_e32 v[124:125], v[148:149], v[134:135]
	s_waitcnt vmcnt(8) lgkmcnt(1)
	v_fmac_f64_e32 v[124:125], v[150:151], v[136:137]
	s_waitcnt vmcnt(6)
	v_fmac_f64_e32 v[124:125], v[152:153], v[138:139]
	s_waitcnt vmcnt(4) lgkmcnt(0)
	v_fmac_f64_e32 v[124:125], v[154:155], v[140:141]
	s_waitcnt vmcnt(2)
	v_fmac_f64_e32 v[124:125], v[128:129], v[142:143]
	ds_read_b128 v[128:131], v126 offset:880
	s_waitcnt vmcnt(0) lgkmcnt(0)
	v_fmac_f64_e32 v[124:125], v[132:133], v[128:129]
	buffer_load_dword v129, off, s[0:3], 0 offset:412
	buffer_load_dword v128, off, s[0:3], 0 offset:408
	buffer_load_dword v133, off, s[0:3], 0 offset:420
	buffer_load_dword v132, off, s[0:3], 0 offset:416
	s_waitcnt vmcnt(2)
	v_fmac_f64_e32 v[124:125], v[128:129], v[130:131]
	ds_read_b128 v[128:131], v126 offset:896
	s_waitcnt vmcnt(0) lgkmcnt(0)
	v_fmac_f64_e32 v[124:125], v[132:133], v[128:129]
	buffer_load_dword v129, off, s[0:3], 0 offset:428
	buffer_load_dword v128, off, s[0:3], 0 offset:424
	buffer_load_dword v133, off, s[0:3], 0 offset:436
	buffer_load_dword v132, off, s[0:3], 0 offset:432
	;; [unrolled: 9-line block ×3, first 2 shown]
	s_waitcnt vmcnt(2)
	v_fmac_f64_e32 v[124:125], v[128:129], v[130:131]
	ds_read_b128 v[128:131], v126 offset:928
	s_waitcnt vmcnt(0) lgkmcnt(0)
	v_fmac_f64_e32 v[124:125], v[132:133], v[128:129]
	buffer_load_dword v129, off, s[0:3], 0 offset:460
	buffer_load_dword v128, off, s[0:3], 0 offset:456
	s_waitcnt vmcnt(0)
	v_fmac_f64_e32 v[124:125], v[128:129], v[130:131]
	buffer_load_dword v131, off, s[0:3], 0 offset:468
	buffer_load_dword v130, off, s[0:3], 0 offset:464
	ds_read_b128 v[126:129], v126 offset:944
	s_waitcnt vmcnt(0) lgkmcnt(0)
	v_fmac_f64_e32 v[124:125], v[130:131], v[126:127]
	buffer_load_dword v127, off, s[0:3], 0 offset:476
	buffer_load_dword v126, off, s[0:3], 0 offset:472
	s_waitcnt vmcnt(0)
	v_fmac_f64_e32 v[124:125], v[126:127], v[128:129]
	v_add_f64 v[122:123], v[122:123], -v[124:125]
	buffer_store_dword v123, off, s[0:3], 0 offset:332
	buffer_store_dword v122, off, s[0:3], 0 offset:328
	s_and_saveexec_b64 s[4:5], vcc
	s_cbranch_execz .LBB59_287
; %bb.286:
	buffer_load_dword v122, off, s[0:3], 0 offset:320
	buffer_load_dword v123, off, s[0:3], 0 offset:324
	v_mov_b32_e32 v124, 0
	buffer_store_dword v124, off, s[0:3], 0 offset:320
	buffer_store_dword v124, off, s[0:3], 0 offset:324
	s_waitcnt vmcnt(2)
	ds_write_b64 v1, v[122:123]
.LBB59_287:
	s_or_b64 exec, exec, s[4:5]
	s_waitcnt lgkmcnt(0)
	; wave barrier
	s_waitcnt lgkmcnt(0)
	buffer_load_dword v122, off, s[0:3], 0 offset:320
	buffer_load_dword v123, off, s[0:3], 0 offset:324
	;; [unrolled: 1-line block ×16, first 2 shown]
	v_mov_b32_e32 v126, 0
	ds_read2_b64 v[128:131], v126 offset0:101 offset1:102
	v_cmp_lt_u32_e32 vcc, 39, v0
	s_waitcnt vmcnt(12) lgkmcnt(0)
	v_fma_f64 v[124:125], v[124:125], v[128:129], 0
	s_waitcnt vmcnt(10)
	v_fmac_f64_e32 v[124:125], v[132:133], v[130:131]
	ds_read2_b64 v[128:131], v126 offset0:103 offset1:104
	s_waitcnt vmcnt(8) lgkmcnt(0)
	v_fmac_f64_e32 v[124:125], v[134:135], v[128:129]
	s_waitcnt vmcnt(6)
	v_fmac_f64_e32 v[124:125], v[136:137], v[130:131]
	ds_read2_b64 v[128:131], v126 offset0:105 offset1:106
	s_waitcnt vmcnt(4) lgkmcnt(0)
	v_fmac_f64_e32 v[124:125], v[138:139], v[128:129]
	;; [unrolled: 5-line block ×3, first 2 shown]
	buffer_load_dword v129, off, s[0:3], 0 offset:388
	buffer_load_dword v128, off, s[0:3], 0 offset:384
	buffer_load_dword v133, off, s[0:3], 0 offset:396
	buffer_load_dword v132, off, s[0:3], 0 offset:392
	s_waitcnt vmcnt(2)
	v_fmac_f64_e32 v[124:125], v[128:129], v[130:131]
	ds_read2_b64 v[128:131], v126 offset0:109 offset1:110
	s_waitcnt vmcnt(0) lgkmcnt(0)
	v_fmac_f64_e32 v[124:125], v[132:133], v[128:129]
	buffer_load_dword v129, off, s[0:3], 0 offset:404
	buffer_load_dword v128, off, s[0:3], 0 offset:400
	buffer_load_dword v133, off, s[0:3], 0 offset:412
	buffer_load_dword v132, off, s[0:3], 0 offset:408
	s_waitcnt vmcnt(2)
	v_fmac_f64_e32 v[124:125], v[128:129], v[130:131]
	ds_read2_b64 v[128:131], v126 offset0:111 offset1:112
	s_waitcnt vmcnt(0) lgkmcnt(0)
	v_fmac_f64_e32 v[124:125], v[132:133], v[128:129]
	;; [unrolled: 9-line block ×5, first 2 shown]
	buffer_load_dword v129, off, s[0:3], 0 offset:468
	buffer_load_dword v128, off, s[0:3], 0 offset:464
	s_waitcnt vmcnt(0)
	v_fmac_f64_e32 v[124:125], v[128:129], v[130:131]
	buffer_load_dword v129, off, s[0:3], 0 offset:476
	buffer_load_dword v128, off, s[0:3], 0 offset:472
	ds_read_b64 v[130:131], v126 offset:952
	s_waitcnt vmcnt(0) lgkmcnt(0)
	v_fmac_f64_e32 v[124:125], v[128:129], v[130:131]
	v_add_f64 v[122:123], v[122:123], -v[124:125]
	buffer_store_dword v123, off, s[0:3], 0 offset:324
	buffer_store_dword v122, off, s[0:3], 0 offset:320
	s_and_saveexec_b64 s[4:5], vcc
	s_cbranch_execz .LBB59_289
; %bb.288:
	buffer_load_dword v122, off, s[0:3], 0 offset:312
	buffer_load_dword v123, off, s[0:3], 0 offset:316
	s_waitcnt vmcnt(0)
	ds_write_b64 v1, v[122:123]
	buffer_store_dword v126, off, s[0:3], 0 offset:312
	buffer_store_dword v126, off, s[0:3], 0 offset:316
.LBB59_289:
	s_or_b64 exec, exec, s[4:5]
	s_waitcnt lgkmcnt(0)
	; wave barrier
	s_waitcnt lgkmcnt(0)
	buffer_load_dword v122, off, s[0:3], 0 offset:312
	buffer_load_dword v123, off, s[0:3], 0 offset:316
	;; [unrolled: 1-line block ×16, first 2 shown]
	ds_read_b128 v[128:131], v126 offset:800
	ds_read_b128 v[132:135], v126 offset:816
	;; [unrolled: 1-line block ×4, first 2 shown]
	v_cmp_lt_u32_e32 vcc, 38, v0
	s_waitcnt vmcnt(12) lgkmcnt(3)
	v_fma_f64 v[124:125], v[124:125], v[128:129], 0
	buffer_load_dword v129, off, s[0:3], 0 offset:380
	buffer_load_dword v128, off, s[0:3], 0 offset:376
	s_waitcnt vmcnt(12)
	v_fmac_f64_e32 v[124:125], v[144:145], v[130:131]
	s_waitcnt vmcnt(10) lgkmcnt(2)
	v_fmac_f64_e32 v[124:125], v[146:147], v[132:133]
	buffer_load_dword v133, off, s[0:3], 0 offset:388
	buffer_load_dword v132, off, s[0:3], 0 offset:384
	s_waitcnt vmcnt(10)
	v_fmac_f64_e32 v[124:125], v[148:149], v[134:135]
	s_waitcnt vmcnt(8) lgkmcnt(1)
	v_fmac_f64_e32 v[124:125], v[150:151], v[136:137]
	s_waitcnt vmcnt(6)
	v_fmac_f64_e32 v[124:125], v[152:153], v[138:139]
	s_waitcnt vmcnt(4) lgkmcnt(0)
	v_fmac_f64_e32 v[124:125], v[154:155], v[140:141]
	s_waitcnt vmcnt(2)
	v_fmac_f64_e32 v[124:125], v[128:129], v[142:143]
	ds_read_b128 v[128:131], v126 offset:864
	s_waitcnt vmcnt(0) lgkmcnt(0)
	v_fmac_f64_e32 v[124:125], v[132:133], v[128:129]
	buffer_load_dword v129, off, s[0:3], 0 offset:396
	buffer_load_dword v128, off, s[0:3], 0 offset:392
	buffer_load_dword v133, off, s[0:3], 0 offset:404
	buffer_load_dword v132, off, s[0:3], 0 offset:400
	s_waitcnt vmcnt(2)
	v_fmac_f64_e32 v[124:125], v[128:129], v[130:131]
	ds_read_b128 v[128:131], v126 offset:880
	s_waitcnt vmcnt(0) lgkmcnt(0)
	v_fmac_f64_e32 v[124:125], v[132:133], v[128:129]
	buffer_load_dword v129, off, s[0:3], 0 offset:412
	buffer_load_dword v128, off, s[0:3], 0 offset:408
	buffer_load_dword v133, off, s[0:3], 0 offset:420
	buffer_load_dword v132, off, s[0:3], 0 offset:416
	s_waitcnt vmcnt(2)
	v_fmac_f64_e32 v[124:125], v[128:129], v[130:131]
	ds_read_b128 v[128:131], v126 offset:896
	s_waitcnt vmcnt(0) lgkmcnt(0)
	v_fmac_f64_e32 v[124:125], v[132:133], v[128:129]
	buffer_load_dword v129, off, s[0:3], 0 offset:428
	buffer_load_dword v128, off, s[0:3], 0 offset:424
	buffer_load_dword v133, off, s[0:3], 0 offset:436
	buffer_load_dword v132, off, s[0:3], 0 offset:432
	s_waitcnt vmcnt(2)
	v_fmac_f64_e32 v[124:125], v[128:129], v[130:131]
	ds_read_b128 v[128:131], v126 offset:912
	s_waitcnt vmcnt(0) lgkmcnt(0)
	v_fmac_f64_e32 v[124:125], v[132:133], v[128:129]
	buffer_load_dword v129, off, s[0:3], 0 offset:444
	buffer_load_dword v128, off, s[0:3], 0 offset:440
	buffer_load_dword v133, off, s[0:3], 0 offset:452
	buffer_load_dword v132, off, s[0:3], 0 offset:448
	s_waitcnt vmcnt(2)
	v_fmac_f64_e32 v[124:125], v[128:129], v[130:131]
	ds_read_b128 v[128:131], v126 offset:928
	s_waitcnt vmcnt(0) lgkmcnt(0)
	v_fmac_f64_e32 v[124:125], v[132:133], v[128:129]
	buffer_load_dword v129, off, s[0:3], 0 offset:460
	buffer_load_dword v128, off, s[0:3], 0 offset:456
	s_waitcnt vmcnt(0)
	v_fmac_f64_e32 v[124:125], v[128:129], v[130:131]
	buffer_load_dword v131, off, s[0:3], 0 offset:468
	buffer_load_dword v130, off, s[0:3], 0 offset:464
	ds_read_b128 v[126:129], v126 offset:944
	s_waitcnt vmcnt(0) lgkmcnt(0)
	v_fmac_f64_e32 v[124:125], v[130:131], v[126:127]
	buffer_load_dword v127, off, s[0:3], 0 offset:476
	buffer_load_dword v126, off, s[0:3], 0 offset:472
	s_waitcnt vmcnt(0)
	v_fmac_f64_e32 v[124:125], v[126:127], v[128:129]
	v_add_f64 v[122:123], v[122:123], -v[124:125]
	buffer_store_dword v123, off, s[0:3], 0 offset:316
	buffer_store_dword v122, off, s[0:3], 0 offset:312
	s_and_saveexec_b64 s[4:5], vcc
	s_cbranch_execz .LBB59_291
; %bb.290:
	buffer_load_dword v122, off, s[0:3], 0 offset:304
	buffer_load_dword v123, off, s[0:3], 0 offset:308
	v_mov_b32_e32 v124, 0
	buffer_store_dword v124, off, s[0:3], 0 offset:304
	buffer_store_dword v124, off, s[0:3], 0 offset:308
	s_waitcnt vmcnt(2)
	ds_write_b64 v1, v[122:123]
.LBB59_291:
	s_or_b64 exec, exec, s[4:5]
	s_waitcnt lgkmcnt(0)
	; wave barrier
	s_waitcnt lgkmcnt(0)
	buffer_load_dword v122, off, s[0:3], 0 offset:304
	buffer_load_dword v123, off, s[0:3], 0 offset:308
	;; [unrolled: 1-line block ×16, first 2 shown]
	v_mov_b32_e32 v126, 0
	ds_read2_b64 v[128:131], v126 offset0:99 offset1:100
	v_cmp_lt_u32_e32 vcc, 37, v0
	s_waitcnt vmcnt(12) lgkmcnt(0)
	v_fma_f64 v[124:125], v[124:125], v[128:129], 0
	s_waitcnt vmcnt(10)
	v_fmac_f64_e32 v[124:125], v[132:133], v[130:131]
	ds_read2_b64 v[128:131], v126 offset0:101 offset1:102
	s_waitcnt vmcnt(8) lgkmcnt(0)
	v_fmac_f64_e32 v[124:125], v[134:135], v[128:129]
	s_waitcnt vmcnt(6)
	v_fmac_f64_e32 v[124:125], v[136:137], v[130:131]
	ds_read2_b64 v[128:131], v126 offset0:103 offset1:104
	s_waitcnt vmcnt(4) lgkmcnt(0)
	v_fmac_f64_e32 v[124:125], v[138:139], v[128:129]
	s_waitcnt vmcnt(2)
	v_fmac_f64_e32 v[124:125], v[140:141], v[130:131]
	ds_read2_b64 v[128:131], v126 offset0:105 offset1:106
	s_waitcnt vmcnt(0) lgkmcnt(0)
	v_fmac_f64_e32 v[124:125], v[142:143], v[128:129]
	buffer_load_dword v129, off, s[0:3], 0 offset:372
	buffer_load_dword v128, off, s[0:3], 0 offset:368
	buffer_load_dword v133, off, s[0:3], 0 offset:380
	buffer_load_dword v132, off, s[0:3], 0 offset:376
	s_waitcnt vmcnt(2)
	v_fmac_f64_e32 v[124:125], v[128:129], v[130:131]
	ds_read2_b64 v[128:131], v126 offset0:107 offset1:108
	s_waitcnt vmcnt(0) lgkmcnt(0)
	v_fmac_f64_e32 v[124:125], v[132:133], v[128:129]
	buffer_load_dword v129, off, s[0:3], 0 offset:388
	buffer_load_dword v128, off, s[0:3], 0 offset:384
	buffer_load_dword v133, off, s[0:3], 0 offset:396
	buffer_load_dword v132, off, s[0:3], 0 offset:392
	s_waitcnt vmcnt(2)
	v_fmac_f64_e32 v[124:125], v[128:129], v[130:131]
	ds_read2_b64 v[128:131], v126 offset0:109 offset1:110
	s_waitcnt vmcnt(0) lgkmcnt(0)
	v_fmac_f64_e32 v[124:125], v[132:133], v[128:129]
	;; [unrolled: 9-line block ×6, first 2 shown]
	buffer_load_dword v129, off, s[0:3], 0 offset:468
	buffer_load_dword v128, off, s[0:3], 0 offset:464
	s_waitcnt vmcnt(0)
	v_fmac_f64_e32 v[124:125], v[128:129], v[130:131]
	buffer_load_dword v129, off, s[0:3], 0 offset:476
	buffer_load_dword v128, off, s[0:3], 0 offset:472
	ds_read_b64 v[130:131], v126 offset:952
	s_waitcnt vmcnt(0) lgkmcnt(0)
	v_fmac_f64_e32 v[124:125], v[128:129], v[130:131]
	v_add_f64 v[122:123], v[122:123], -v[124:125]
	buffer_store_dword v123, off, s[0:3], 0 offset:308
	buffer_store_dword v122, off, s[0:3], 0 offset:304
	s_and_saveexec_b64 s[4:5], vcc
	s_cbranch_execz .LBB59_293
; %bb.292:
	buffer_load_dword v122, off, s[0:3], 0 offset:296
	buffer_load_dword v123, off, s[0:3], 0 offset:300
	s_waitcnt vmcnt(0)
	ds_write_b64 v1, v[122:123]
	buffer_store_dword v126, off, s[0:3], 0 offset:296
	buffer_store_dword v126, off, s[0:3], 0 offset:300
.LBB59_293:
	s_or_b64 exec, exec, s[4:5]
	s_waitcnt lgkmcnt(0)
	; wave barrier
	s_waitcnt lgkmcnt(0)
	buffer_load_dword v122, off, s[0:3], 0 offset:296
	buffer_load_dword v123, off, s[0:3], 0 offset:300
	;; [unrolled: 1-line block ×16, first 2 shown]
	ds_read_b128 v[128:131], v126 offset:784
	ds_read_b128 v[132:135], v126 offset:800
	;; [unrolled: 1-line block ×4, first 2 shown]
	v_cmp_lt_u32_e32 vcc, 36, v0
	s_waitcnt vmcnt(12) lgkmcnt(3)
	v_fma_f64 v[124:125], v[124:125], v[128:129], 0
	buffer_load_dword v129, off, s[0:3], 0 offset:364
	buffer_load_dword v128, off, s[0:3], 0 offset:360
	s_waitcnt vmcnt(12)
	v_fmac_f64_e32 v[124:125], v[144:145], v[130:131]
	s_waitcnt vmcnt(10) lgkmcnt(2)
	v_fmac_f64_e32 v[124:125], v[146:147], v[132:133]
	buffer_load_dword v133, off, s[0:3], 0 offset:372
	buffer_load_dword v132, off, s[0:3], 0 offset:368
	s_waitcnt vmcnt(10)
	v_fmac_f64_e32 v[124:125], v[148:149], v[134:135]
	s_waitcnt vmcnt(8) lgkmcnt(1)
	v_fmac_f64_e32 v[124:125], v[150:151], v[136:137]
	s_waitcnt vmcnt(6)
	v_fmac_f64_e32 v[124:125], v[152:153], v[138:139]
	s_waitcnt vmcnt(4) lgkmcnt(0)
	v_fmac_f64_e32 v[124:125], v[154:155], v[140:141]
	s_waitcnt vmcnt(2)
	v_fmac_f64_e32 v[124:125], v[128:129], v[142:143]
	ds_read_b128 v[128:131], v126 offset:848
	s_waitcnt vmcnt(0) lgkmcnt(0)
	v_fmac_f64_e32 v[124:125], v[132:133], v[128:129]
	buffer_load_dword v129, off, s[0:3], 0 offset:380
	buffer_load_dword v128, off, s[0:3], 0 offset:376
	buffer_load_dword v133, off, s[0:3], 0 offset:388
	buffer_load_dword v132, off, s[0:3], 0 offset:384
	s_waitcnt vmcnt(2)
	v_fmac_f64_e32 v[124:125], v[128:129], v[130:131]
	ds_read_b128 v[128:131], v126 offset:864
	s_waitcnt vmcnt(0) lgkmcnt(0)
	v_fmac_f64_e32 v[124:125], v[132:133], v[128:129]
	buffer_load_dword v129, off, s[0:3], 0 offset:396
	buffer_load_dword v128, off, s[0:3], 0 offset:392
	buffer_load_dword v133, off, s[0:3], 0 offset:404
	buffer_load_dword v132, off, s[0:3], 0 offset:400
	;; [unrolled: 9-line block ×5, first 2 shown]
	s_waitcnt vmcnt(2)
	v_fmac_f64_e32 v[124:125], v[128:129], v[130:131]
	ds_read_b128 v[128:131], v126 offset:928
	s_waitcnt vmcnt(0) lgkmcnt(0)
	v_fmac_f64_e32 v[124:125], v[132:133], v[128:129]
	buffer_load_dword v129, off, s[0:3], 0 offset:460
	buffer_load_dword v128, off, s[0:3], 0 offset:456
	s_waitcnt vmcnt(0)
	v_fmac_f64_e32 v[124:125], v[128:129], v[130:131]
	buffer_load_dword v131, off, s[0:3], 0 offset:468
	buffer_load_dword v130, off, s[0:3], 0 offset:464
	ds_read_b128 v[126:129], v126 offset:944
	s_waitcnt vmcnt(0) lgkmcnt(0)
	v_fmac_f64_e32 v[124:125], v[130:131], v[126:127]
	buffer_load_dword v127, off, s[0:3], 0 offset:476
	buffer_load_dword v126, off, s[0:3], 0 offset:472
	s_waitcnt vmcnt(0)
	v_fmac_f64_e32 v[124:125], v[126:127], v[128:129]
	v_add_f64 v[122:123], v[122:123], -v[124:125]
	buffer_store_dword v123, off, s[0:3], 0 offset:300
	buffer_store_dword v122, off, s[0:3], 0 offset:296
	s_and_saveexec_b64 s[4:5], vcc
	s_cbranch_execz .LBB59_295
; %bb.294:
	buffer_load_dword v122, off, s[0:3], 0 offset:288
	buffer_load_dword v123, off, s[0:3], 0 offset:292
	v_mov_b32_e32 v124, 0
	buffer_store_dword v124, off, s[0:3], 0 offset:288
	buffer_store_dword v124, off, s[0:3], 0 offset:292
	s_waitcnt vmcnt(2)
	ds_write_b64 v1, v[122:123]
.LBB59_295:
	s_or_b64 exec, exec, s[4:5]
	s_waitcnt lgkmcnt(0)
	; wave barrier
	s_waitcnt lgkmcnt(0)
	buffer_load_dword v122, off, s[0:3], 0 offset:288
	buffer_load_dword v123, off, s[0:3], 0 offset:292
	;; [unrolled: 1-line block ×16, first 2 shown]
	v_mov_b32_e32 v126, 0
	ds_read2_b64 v[128:131], v126 offset0:97 offset1:98
	v_cmp_lt_u32_e32 vcc, 35, v0
	s_waitcnt vmcnt(12) lgkmcnt(0)
	v_fma_f64 v[124:125], v[124:125], v[128:129], 0
	s_waitcnt vmcnt(10)
	v_fmac_f64_e32 v[124:125], v[132:133], v[130:131]
	ds_read2_b64 v[128:131], v126 offset0:99 offset1:100
	s_waitcnt vmcnt(8) lgkmcnt(0)
	v_fmac_f64_e32 v[124:125], v[134:135], v[128:129]
	s_waitcnt vmcnt(6)
	v_fmac_f64_e32 v[124:125], v[136:137], v[130:131]
	ds_read2_b64 v[128:131], v126 offset0:101 offset1:102
	s_waitcnt vmcnt(4) lgkmcnt(0)
	v_fmac_f64_e32 v[124:125], v[138:139], v[128:129]
	;; [unrolled: 5-line block ×3, first 2 shown]
	buffer_load_dword v129, off, s[0:3], 0 offset:356
	buffer_load_dword v128, off, s[0:3], 0 offset:352
	buffer_load_dword v133, off, s[0:3], 0 offset:364
	buffer_load_dword v132, off, s[0:3], 0 offset:360
	s_waitcnt vmcnt(2)
	v_fmac_f64_e32 v[124:125], v[128:129], v[130:131]
	ds_read2_b64 v[128:131], v126 offset0:105 offset1:106
	s_waitcnt vmcnt(0) lgkmcnt(0)
	v_fmac_f64_e32 v[124:125], v[132:133], v[128:129]
	buffer_load_dword v129, off, s[0:3], 0 offset:372
	buffer_load_dword v128, off, s[0:3], 0 offset:368
	buffer_load_dword v133, off, s[0:3], 0 offset:380
	buffer_load_dword v132, off, s[0:3], 0 offset:376
	s_waitcnt vmcnt(2)
	v_fmac_f64_e32 v[124:125], v[128:129], v[130:131]
	ds_read2_b64 v[128:131], v126 offset0:107 offset1:108
	s_waitcnt vmcnt(0) lgkmcnt(0)
	v_fmac_f64_e32 v[124:125], v[132:133], v[128:129]
	;; [unrolled: 9-line block ×7, first 2 shown]
	buffer_load_dword v129, off, s[0:3], 0 offset:468
	buffer_load_dword v128, off, s[0:3], 0 offset:464
	s_waitcnt vmcnt(0)
	v_fmac_f64_e32 v[124:125], v[128:129], v[130:131]
	buffer_load_dword v129, off, s[0:3], 0 offset:476
	buffer_load_dword v128, off, s[0:3], 0 offset:472
	ds_read_b64 v[130:131], v126 offset:952
	s_waitcnt vmcnt(0) lgkmcnt(0)
	v_fmac_f64_e32 v[124:125], v[128:129], v[130:131]
	v_add_f64 v[122:123], v[122:123], -v[124:125]
	buffer_store_dword v123, off, s[0:3], 0 offset:292
	buffer_store_dword v122, off, s[0:3], 0 offset:288
	s_and_saveexec_b64 s[4:5], vcc
	s_cbranch_execz .LBB59_297
; %bb.296:
	buffer_load_dword v122, off, s[0:3], 0 offset:280
	buffer_load_dword v123, off, s[0:3], 0 offset:284
	s_waitcnt vmcnt(0)
	ds_write_b64 v1, v[122:123]
	buffer_store_dword v126, off, s[0:3], 0 offset:280
	buffer_store_dword v126, off, s[0:3], 0 offset:284
.LBB59_297:
	s_or_b64 exec, exec, s[4:5]
	s_waitcnt lgkmcnt(0)
	; wave barrier
	s_waitcnt lgkmcnt(0)
	buffer_load_dword v122, off, s[0:3], 0 offset:280
	buffer_load_dword v123, off, s[0:3], 0 offset:284
	;; [unrolled: 1-line block ×16, first 2 shown]
	ds_read_b128 v[128:131], v126 offset:768
	ds_read_b128 v[132:135], v126 offset:784
	;; [unrolled: 1-line block ×4, first 2 shown]
	v_cmp_lt_u32_e32 vcc, 34, v0
	s_waitcnt vmcnt(12) lgkmcnt(3)
	v_fma_f64 v[124:125], v[124:125], v[128:129], 0
	buffer_load_dword v129, off, s[0:3], 0 offset:348
	buffer_load_dword v128, off, s[0:3], 0 offset:344
	s_waitcnt vmcnt(12)
	v_fmac_f64_e32 v[124:125], v[144:145], v[130:131]
	s_waitcnt vmcnt(10) lgkmcnt(2)
	v_fmac_f64_e32 v[124:125], v[146:147], v[132:133]
	buffer_load_dword v133, off, s[0:3], 0 offset:356
	buffer_load_dword v132, off, s[0:3], 0 offset:352
	s_waitcnt vmcnt(10)
	v_fmac_f64_e32 v[124:125], v[148:149], v[134:135]
	s_waitcnt vmcnt(8) lgkmcnt(1)
	v_fmac_f64_e32 v[124:125], v[150:151], v[136:137]
	s_waitcnt vmcnt(6)
	v_fmac_f64_e32 v[124:125], v[152:153], v[138:139]
	s_waitcnt vmcnt(4) lgkmcnt(0)
	v_fmac_f64_e32 v[124:125], v[154:155], v[140:141]
	s_waitcnt vmcnt(2)
	v_fmac_f64_e32 v[124:125], v[128:129], v[142:143]
	ds_read_b128 v[128:131], v126 offset:832
	s_waitcnt vmcnt(0) lgkmcnt(0)
	v_fmac_f64_e32 v[124:125], v[132:133], v[128:129]
	buffer_load_dword v129, off, s[0:3], 0 offset:364
	buffer_load_dword v128, off, s[0:3], 0 offset:360
	buffer_load_dword v133, off, s[0:3], 0 offset:372
	buffer_load_dword v132, off, s[0:3], 0 offset:368
	s_waitcnt vmcnt(2)
	v_fmac_f64_e32 v[124:125], v[128:129], v[130:131]
	ds_read_b128 v[128:131], v126 offset:848
	s_waitcnt vmcnt(0) lgkmcnt(0)
	v_fmac_f64_e32 v[124:125], v[132:133], v[128:129]
	buffer_load_dword v129, off, s[0:3], 0 offset:380
	buffer_load_dword v128, off, s[0:3], 0 offset:376
	buffer_load_dword v133, off, s[0:3], 0 offset:388
	buffer_load_dword v132, off, s[0:3], 0 offset:384
	;; [unrolled: 9-line block ×6, first 2 shown]
	s_waitcnt vmcnt(2)
	v_fmac_f64_e32 v[124:125], v[128:129], v[130:131]
	ds_read_b128 v[128:131], v126 offset:928
	s_waitcnt vmcnt(0) lgkmcnt(0)
	v_fmac_f64_e32 v[124:125], v[132:133], v[128:129]
	buffer_load_dword v129, off, s[0:3], 0 offset:460
	buffer_load_dword v128, off, s[0:3], 0 offset:456
	s_waitcnt vmcnt(0)
	v_fmac_f64_e32 v[124:125], v[128:129], v[130:131]
	buffer_load_dword v131, off, s[0:3], 0 offset:468
	buffer_load_dword v130, off, s[0:3], 0 offset:464
	ds_read_b128 v[126:129], v126 offset:944
	s_waitcnt vmcnt(0) lgkmcnt(0)
	v_fmac_f64_e32 v[124:125], v[130:131], v[126:127]
	buffer_load_dword v127, off, s[0:3], 0 offset:476
	buffer_load_dword v126, off, s[0:3], 0 offset:472
	s_waitcnt vmcnt(0)
	v_fmac_f64_e32 v[124:125], v[126:127], v[128:129]
	v_add_f64 v[122:123], v[122:123], -v[124:125]
	buffer_store_dword v123, off, s[0:3], 0 offset:284
	buffer_store_dword v122, off, s[0:3], 0 offset:280
	s_and_saveexec_b64 s[4:5], vcc
	s_cbranch_execz .LBB59_299
; %bb.298:
	buffer_load_dword v122, off, s[0:3], 0 offset:272
	buffer_load_dword v123, off, s[0:3], 0 offset:276
	v_mov_b32_e32 v124, 0
	buffer_store_dword v124, off, s[0:3], 0 offset:272
	buffer_store_dword v124, off, s[0:3], 0 offset:276
	s_waitcnt vmcnt(2)
	ds_write_b64 v1, v[122:123]
.LBB59_299:
	s_or_b64 exec, exec, s[4:5]
	s_waitcnt lgkmcnt(0)
	; wave barrier
	s_waitcnt lgkmcnt(0)
	buffer_load_dword v122, off, s[0:3], 0 offset:272
	buffer_load_dword v123, off, s[0:3], 0 offset:276
	;; [unrolled: 1-line block ×16, first 2 shown]
	v_mov_b32_e32 v126, 0
	ds_read2_b64 v[128:131], v126 offset0:95 offset1:96
	v_cmp_lt_u32_e32 vcc, 33, v0
	s_waitcnt vmcnt(12) lgkmcnt(0)
	v_fma_f64 v[124:125], v[124:125], v[128:129], 0
	s_waitcnt vmcnt(10)
	v_fmac_f64_e32 v[124:125], v[132:133], v[130:131]
	ds_read2_b64 v[128:131], v126 offset0:97 offset1:98
	s_waitcnt vmcnt(8) lgkmcnt(0)
	v_fmac_f64_e32 v[124:125], v[134:135], v[128:129]
	s_waitcnt vmcnt(6)
	v_fmac_f64_e32 v[124:125], v[136:137], v[130:131]
	ds_read2_b64 v[128:131], v126 offset0:99 offset1:100
	s_waitcnt vmcnt(4) lgkmcnt(0)
	v_fmac_f64_e32 v[124:125], v[138:139], v[128:129]
	s_waitcnt vmcnt(2)
	v_fmac_f64_e32 v[124:125], v[140:141], v[130:131]
	ds_read2_b64 v[128:131], v126 offset0:101 offset1:102
	s_waitcnt vmcnt(0) lgkmcnt(0)
	v_fmac_f64_e32 v[124:125], v[142:143], v[128:129]
	buffer_load_dword v129, off, s[0:3], 0 offset:340
	buffer_load_dword v128, off, s[0:3], 0 offset:336
	buffer_load_dword v133, off, s[0:3], 0 offset:348
	buffer_load_dword v132, off, s[0:3], 0 offset:344
	s_waitcnt vmcnt(2)
	v_fmac_f64_e32 v[124:125], v[128:129], v[130:131]
	ds_read2_b64 v[128:131], v126 offset0:103 offset1:104
	s_waitcnt vmcnt(0) lgkmcnt(0)
	v_fmac_f64_e32 v[124:125], v[132:133], v[128:129]
	buffer_load_dword v129, off, s[0:3], 0 offset:356
	buffer_load_dword v128, off, s[0:3], 0 offset:352
	buffer_load_dword v133, off, s[0:3], 0 offset:364
	buffer_load_dword v132, off, s[0:3], 0 offset:360
	s_waitcnt vmcnt(2)
	v_fmac_f64_e32 v[124:125], v[128:129], v[130:131]
	ds_read2_b64 v[128:131], v126 offset0:105 offset1:106
	s_waitcnt vmcnt(0) lgkmcnt(0)
	v_fmac_f64_e32 v[124:125], v[132:133], v[128:129]
	;; [unrolled: 9-line block ×8, first 2 shown]
	buffer_load_dword v129, off, s[0:3], 0 offset:468
	buffer_load_dword v128, off, s[0:3], 0 offset:464
	s_waitcnt vmcnt(0)
	v_fmac_f64_e32 v[124:125], v[128:129], v[130:131]
	buffer_load_dword v129, off, s[0:3], 0 offset:476
	buffer_load_dword v128, off, s[0:3], 0 offset:472
	ds_read_b64 v[130:131], v126 offset:952
	s_waitcnt vmcnt(0) lgkmcnt(0)
	v_fmac_f64_e32 v[124:125], v[128:129], v[130:131]
	v_add_f64 v[122:123], v[122:123], -v[124:125]
	buffer_store_dword v123, off, s[0:3], 0 offset:276
	buffer_store_dword v122, off, s[0:3], 0 offset:272
	s_and_saveexec_b64 s[4:5], vcc
	s_cbranch_execz .LBB59_301
; %bb.300:
	buffer_load_dword v122, off, s[0:3], 0 offset:264
	buffer_load_dword v123, off, s[0:3], 0 offset:268
	s_waitcnt vmcnt(0)
	ds_write_b64 v1, v[122:123]
	buffer_store_dword v126, off, s[0:3], 0 offset:264
	buffer_store_dword v126, off, s[0:3], 0 offset:268
.LBB59_301:
	s_or_b64 exec, exec, s[4:5]
	s_waitcnt lgkmcnt(0)
	; wave barrier
	s_waitcnt lgkmcnt(0)
	buffer_load_dword v122, off, s[0:3], 0 offset:264
	buffer_load_dword v123, off, s[0:3], 0 offset:268
	;; [unrolled: 1-line block ×16, first 2 shown]
	ds_read_b128 v[128:131], v126 offset:752
	ds_read_b128 v[132:135], v126 offset:768
	ds_read_b128 v[136:139], v126 offset:784
	ds_read_b128 v[140:143], v126 offset:800
	v_cmp_lt_u32_e32 vcc, 32, v0
	s_waitcnt vmcnt(12) lgkmcnt(3)
	v_fma_f64 v[124:125], v[124:125], v[128:129], 0
	buffer_load_dword v129, off, s[0:3], 0 offset:332
	buffer_load_dword v128, off, s[0:3], 0 offset:328
	s_waitcnt vmcnt(12)
	v_fmac_f64_e32 v[124:125], v[144:145], v[130:131]
	s_waitcnt vmcnt(10) lgkmcnt(2)
	v_fmac_f64_e32 v[124:125], v[146:147], v[132:133]
	buffer_load_dword v133, off, s[0:3], 0 offset:340
	buffer_load_dword v132, off, s[0:3], 0 offset:336
	s_waitcnt vmcnt(10)
	v_fmac_f64_e32 v[124:125], v[148:149], v[134:135]
	s_waitcnt vmcnt(8) lgkmcnt(1)
	v_fmac_f64_e32 v[124:125], v[150:151], v[136:137]
	s_waitcnt vmcnt(6)
	v_fmac_f64_e32 v[124:125], v[152:153], v[138:139]
	s_waitcnt vmcnt(4) lgkmcnt(0)
	v_fmac_f64_e32 v[124:125], v[154:155], v[140:141]
	s_waitcnt vmcnt(2)
	v_fmac_f64_e32 v[124:125], v[128:129], v[142:143]
	ds_read_b128 v[128:131], v126 offset:816
	s_waitcnt vmcnt(0) lgkmcnt(0)
	v_fmac_f64_e32 v[124:125], v[132:133], v[128:129]
	buffer_load_dword v129, off, s[0:3], 0 offset:348
	buffer_load_dword v128, off, s[0:3], 0 offset:344
	buffer_load_dword v133, off, s[0:3], 0 offset:356
	buffer_load_dword v132, off, s[0:3], 0 offset:352
	s_waitcnt vmcnt(2)
	v_fmac_f64_e32 v[124:125], v[128:129], v[130:131]
	ds_read_b128 v[128:131], v126 offset:832
	s_waitcnt vmcnt(0) lgkmcnt(0)
	v_fmac_f64_e32 v[124:125], v[132:133], v[128:129]
	buffer_load_dword v129, off, s[0:3], 0 offset:364
	buffer_load_dword v128, off, s[0:3], 0 offset:360
	buffer_load_dword v133, off, s[0:3], 0 offset:372
	buffer_load_dword v132, off, s[0:3], 0 offset:368
	;; [unrolled: 9-line block ×7, first 2 shown]
	s_waitcnt vmcnt(2)
	v_fmac_f64_e32 v[124:125], v[128:129], v[130:131]
	ds_read_b128 v[128:131], v126 offset:928
	s_waitcnt vmcnt(0) lgkmcnt(0)
	v_fmac_f64_e32 v[124:125], v[132:133], v[128:129]
	buffer_load_dword v129, off, s[0:3], 0 offset:460
	buffer_load_dword v128, off, s[0:3], 0 offset:456
	s_waitcnt vmcnt(0)
	v_fmac_f64_e32 v[124:125], v[128:129], v[130:131]
	buffer_load_dword v131, off, s[0:3], 0 offset:468
	buffer_load_dword v130, off, s[0:3], 0 offset:464
	ds_read_b128 v[126:129], v126 offset:944
	s_waitcnt vmcnt(0) lgkmcnt(0)
	v_fmac_f64_e32 v[124:125], v[130:131], v[126:127]
	buffer_load_dword v127, off, s[0:3], 0 offset:476
	buffer_load_dword v126, off, s[0:3], 0 offset:472
	s_waitcnt vmcnt(0)
	v_fmac_f64_e32 v[124:125], v[126:127], v[128:129]
	v_add_f64 v[122:123], v[122:123], -v[124:125]
	buffer_store_dword v123, off, s[0:3], 0 offset:268
	buffer_store_dword v122, off, s[0:3], 0 offset:264
	s_and_saveexec_b64 s[4:5], vcc
	s_cbranch_execz .LBB59_303
; %bb.302:
	buffer_load_dword v122, off, s[0:3], 0 offset:256
	buffer_load_dword v123, off, s[0:3], 0 offset:260
	v_mov_b32_e32 v124, 0
	buffer_store_dword v124, off, s[0:3], 0 offset:256
	buffer_store_dword v124, off, s[0:3], 0 offset:260
	s_waitcnt vmcnt(2)
	ds_write_b64 v1, v[122:123]
.LBB59_303:
	s_or_b64 exec, exec, s[4:5]
	s_waitcnt lgkmcnt(0)
	; wave barrier
	s_waitcnt lgkmcnt(0)
	buffer_load_dword v122, off, s[0:3], 0 offset:256
	buffer_load_dword v123, off, s[0:3], 0 offset:260
	;; [unrolled: 1-line block ×16, first 2 shown]
	v_mov_b32_e32 v126, 0
	ds_read2_b64 v[128:131], v126 offset0:93 offset1:94
	v_cmp_lt_u32_e32 vcc, 31, v0
	s_waitcnt vmcnt(12) lgkmcnt(0)
	v_fma_f64 v[124:125], v[124:125], v[128:129], 0
	s_waitcnt vmcnt(10)
	v_fmac_f64_e32 v[124:125], v[132:133], v[130:131]
	ds_read2_b64 v[128:131], v126 offset0:95 offset1:96
	s_waitcnt vmcnt(8) lgkmcnt(0)
	v_fmac_f64_e32 v[124:125], v[134:135], v[128:129]
	s_waitcnt vmcnt(6)
	v_fmac_f64_e32 v[124:125], v[136:137], v[130:131]
	ds_read2_b64 v[128:131], v126 offset0:97 offset1:98
	s_waitcnt vmcnt(4) lgkmcnt(0)
	v_fmac_f64_e32 v[124:125], v[138:139], v[128:129]
	;; [unrolled: 5-line block ×3, first 2 shown]
	buffer_load_dword v129, off, s[0:3], 0 offset:324
	buffer_load_dword v128, off, s[0:3], 0 offset:320
	buffer_load_dword v133, off, s[0:3], 0 offset:332
	buffer_load_dword v132, off, s[0:3], 0 offset:328
	s_waitcnt vmcnt(2)
	v_fmac_f64_e32 v[124:125], v[128:129], v[130:131]
	ds_read2_b64 v[128:131], v126 offset0:101 offset1:102
	s_waitcnt vmcnt(0) lgkmcnt(0)
	v_fmac_f64_e32 v[124:125], v[132:133], v[128:129]
	buffer_load_dword v129, off, s[0:3], 0 offset:340
	buffer_load_dword v128, off, s[0:3], 0 offset:336
	buffer_load_dword v133, off, s[0:3], 0 offset:348
	buffer_load_dword v132, off, s[0:3], 0 offset:344
	s_waitcnt vmcnt(2)
	v_fmac_f64_e32 v[124:125], v[128:129], v[130:131]
	ds_read2_b64 v[128:131], v126 offset0:103 offset1:104
	s_waitcnt vmcnt(0) lgkmcnt(0)
	v_fmac_f64_e32 v[124:125], v[132:133], v[128:129]
	;; [unrolled: 9-line block ×9, first 2 shown]
	buffer_load_dword v129, off, s[0:3], 0 offset:468
	buffer_load_dword v128, off, s[0:3], 0 offset:464
	s_waitcnt vmcnt(0)
	v_fmac_f64_e32 v[124:125], v[128:129], v[130:131]
	buffer_load_dword v129, off, s[0:3], 0 offset:476
	buffer_load_dword v128, off, s[0:3], 0 offset:472
	ds_read_b64 v[130:131], v126 offset:952
	s_waitcnt vmcnt(0) lgkmcnt(0)
	v_fmac_f64_e32 v[124:125], v[128:129], v[130:131]
	v_add_f64 v[122:123], v[122:123], -v[124:125]
	buffer_store_dword v123, off, s[0:3], 0 offset:260
	buffer_store_dword v122, off, s[0:3], 0 offset:256
	s_and_saveexec_b64 s[4:5], vcc
	s_cbranch_execz .LBB59_305
; %bb.304:
	buffer_load_dword v122, off, s[0:3], 0 offset:248
	buffer_load_dword v123, off, s[0:3], 0 offset:252
	s_waitcnt vmcnt(0)
	ds_write_b64 v1, v[122:123]
	buffer_store_dword v126, off, s[0:3], 0 offset:248
	buffer_store_dword v126, off, s[0:3], 0 offset:252
.LBB59_305:
	s_or_b64 exec, exec, s[4:5]
	s_waitcnt lgkmcnt(0)
	; wave barrier
	s_waitcnt lgkmcnt(0)
	buffer_load_dword v122, off, s[0:3], 0 offset:248
	buffer_load_dword v123, off, s[0:3], 0 offset:252
	;; [unrolled: 1-line block ×16, first 2 shown]
	ds_read_b128 v[128:131], v126 offset:736
	ds_read_b128 v[132:135], v126 offset:752
	;; [unrolled: 1-line block ×4, first 2 shown]
	v_cmp_lt_u32_e32 vcc, 30, v0
	s_waitcnt vmcnt(12) lgkmcnt(3)
	v_fma_f64 v[124:125], v[124:125], v[128:129], 0
	buffer_load_dword v129, off, s[0:3], 0 offset:316
	buffer_load_dword v128, off, s[0:3], 0 offset:312
	s_waitcnt vmcnt(12)
	v_fmac_f64_e32 v[124:125], v[144:145], v[130:131]
	s_waitcnt vmcnt(10) lgkmcnt(2)
	v_fmac_f64_e32 v[124:125], v[146:147], v[132:133]
	buffer_load_dword v133, off, s[0:3], 0 offset:324
	buffer_load_dword v132, off, s[0:3], 0 offset:320
	s_waitcnt vmcnt(10)
	v_fmac_f64_e32 v[124:125], v[148:149], v[134:135]
	s_waitcnt vmcnt(8) lgkmcnt(1)
	v_fmac_f64_e32 v[124:125], v[150:151], v[136:137]
	s_waitcnt vmcnt(6)
	v_fmac_f64_e32 v[124:125], v[152:153], v[138:139]
	s_waitcnt vmcnt(4) lgkmcnt(0)
	v_fmac_f64_e32 v[124:125], v[154:155], v[140:141]
	s_waitcnt vmcnt(2)
	v_fmac_f64_e32 v[124:125], v[128:129], v[142:143]
	ds_read_b128 v[128:131], v126 offset:800
	s_waitcnt vmcnt(0) lgkmcnt(0)
	v_fmac_f64_e32 v[124:125], v[132:133], v[128:129]
	buffer_load_dword v129, off, s[0:3], 0 offset:332
	buffer_load_dword v128, off, s[0:3], 0 offset:328
	buffer_load_dword v133, off, s[0:3], 0 offset:340
	buffer_load_dword v132, off, s[0:3], 0 offset:336
	s_waitcnt vmcnt(2)
	v_fmac_f64_e32 v[124:125], v[128:129], v[130:131]
	ds_read_b128 v[128:131], v126 offset:816
	s_waitcnt vmcnt(0) lgkmcnt(0)
	v_fmac_f64_e32 v[124:125], v[132:133], v[128:129]
	buffer_load_dword v129, off, s[0:3], 0 offset:348
	buffer_load_dword v128, off, s[0:3], 0 offset:344
	buffer_load_dword v133, off, s[0:3], 0 offset:356
	buffer_load_dword v132, off, s[0:3], 0 offset:352
	;; [unrolled: 9-line block ×8, first 2 shown]
	s_waitcnt vmcnt(2)
	v_fmac_f64_e32 v[124:125], v[128:129], v[130:131]
	ds_read_b128 v[128:131], v126 offset:928
	s_waitcnt vmcnt(0) lgkmcnt(0)
	v_fmac_f64_e32 v[124:125], v[132:133], v[128:129]
	buffer_load_dword v129, off, s[0:3], 0 offset:460
	buffer_load_dword v128, off, s[0:3], 0 offset:456
	s_waitcnt vmcnt(0)
	v_fmac_f64_e32 v[124:125], v[128:129], v[130:131]
	buffer_load_dword v131, off, s[0:3], 0 offset:468
	buffer_load_dword v130, off, s[0:3], 0 offset:464
	ds_read_b128 v[126:129], v126 offset:944
	s_waitcnt vmcnt(0) lgkmcnt(0)
	v_fmac_f64_e32 v[124:125], v[130:131], v[126:127]
	buffer_load_dword v127, off, s[0:3], 0 offset:476
	buffer_load_dword v126, off, s[0:3], 0 offset:472
	s_waitcnt vmcnt(0)
	v_fmac_f64_e32 v[124:125], v[126:127], v[128:129]
	v_add_f64 v[122:123], v[122:123], -v[124:125]
	buffer_store_dword v123, off, s[0:3], 0 offset:252
	buffer_store_dword v122, off, s[0:3], 0 offset:248
	s_and_saveexec_b64 s[4:5], vcc
	s_cbranch_execz .LBB59_307
; %bb.306:
	buffer_load_dword v122, off, s[0:3], 0 offset:240
	buffer_load_dword v123, off, s[0:3], 0 offset:244
	v_mov_b32_e32 v124, 0
	buffer_store_dword v124, off, s[0:3], 0 offset:240
	buffer_store_dword v124, off, s[0:3], 0 offset:244
	s_waitcnt vmcnt(2)
	ds_write_b64 v1, v[122:123]
.LBB59_307:
	s_or_b64 exec, exec, s[4:5]
	s_waitcnt lgkmcnt(0)
	; wave barrier
	s_waitcnt lgkmcnt(0)
	buffer_load_dword v122, off, s[0:3], 0 offset:240
	buffer_load_dword v123, off, s[0:3], 0 offset:244
	;; [unrolled: 1-line block ×16, first 2 shown]
	v_mov_b32_e32 v126, 0
	ds_read2_b64 v[128:131], v126 offset0:91 offset1:92
	v_cmp_lt_u32_e32 vcc, 29, v0
	s_waitcnt vmcnt(12) lgkmcnt(0)
	v_fma_f64 v[124:125], v[124:125], v[128:129], 0
	s_waitcnt vmcnt(10)
	v_fmac_f64_e32 v[124:125], v[132:133], v[130:131]
	ds_read2_b64 v[128:131], v126 offset0:93 offset1:94
	s_waitcnt vmcnt(8) lgkmcnt(0)
	v_fmac_f64_e32 v[124:125], v[134:135], v[128:129]
	s_waitcnt vmcnt(6)
	v_fmac_f64_e32 v[124:125], v[136:137], v[130:131]
	ds_read2_b64 v[128:131], v126 offset0:95 offset1:96
	s_waitcnt vmcnt(4) lgkmcnt(0)
	v_fmac_f64_e32 v[124:125], v[138:139], v[128:129]
	;; [unrolled: 5-line block ×3, first 2 shown]
	buffer_load_dword v129, off, s[0:3], 0 offset:308
	buffer_load_dword v128, off, s[0:3], 0 offset:304
	buffer_load_dword v133, off, s[0:3], 0 offset:316
	buffer_load_dword v132, off, s[0:3], 0 offset:312
	s_waitcnt vmcnt(2)
	v_fmac_f64_e32 v[124:125], v[128:129], v[130:131]
	ds_read2_b64 v[128:131], v126 offset0:99 offset1:100
	s_waitcnt vmcnt(0) lgkmcnt(0)
	v_fmac_f64_e32 v[124:125], v[132:133], v[128:129]
	buffer_load_dword v129, off, s[0:3], 0 offset:324
	buffer_load_dword v128, off, s[0:3], 0 offset:320
	buffer_load_dword v133, off, s[0:3], 0 offset:332
	buffer_load_dword v132, off, s[0:3], 0 offset:328
	s_waitcnt vmcnt(2)
	v_fmac_f64_e32 v[124:125], v[128:129], v[130:131]
	ds_read2_b64 v[128:131], v126 offset0:101 offset1:102
	s_waitcnt vmcnt(0) lgkmcnt(0)
	v_fmac_f64_e32 v[124:125], v[132:133], v[128:129]
	buffer_load_dword v129, off, s[0:3], 0 offset:340
	buffer_load_dword v128, off, s[0:3], 0 offset:336
	buffer_load_dword v133, off, s[0:3], 0 offset:348
	buffer_load_dword v132, off, s[0:3], 0 offset:344
	s_waitcnt vmcnt(2)
	v_fmac_f64_e32 v[124:125], v[128:129], v[130:131]
	ds_read2_b64 v[128:131], v126 offset0:103 offset1:104
	s_waitcnt vmcnt(0) lgkmcnt(0)
	v_fmac_f64_e32 v[124:125], v[132:133], v[128:129]
	buffer_load_dword v129, off, s[0:3], 0 offset:356
	buffer_load_dword v128, off, s[0:3], 0 offset:352
	buffer_load_dword v133, off, s[0:3], 0 offset:364
	buffer_load_dword v132, off, s[0:3], 0 offset:360
	s_waitcnt vmcnt(2)
	v_fmac_f64_e32 v[124:125], v[128:129], v[130:131]
	ds_read2_b64 v[128:131], v126 offset0:105 offset1:106
	s_waitcnt vmcnt(0) lgkmcnt(0)
	v_fmac_f64_e32 v[124:125], v[132:133], v[128:129]
	buffer_load_dword v129, off, s[0:3], 0 offset:372
	buffer_load_dword v128, off, s[0:3], 0 offset:368
	buffer_load_dword v133, off, s[0:3], 0 offset:380
	buffer_load_dword v132, off, s[0:3], 0 offset:376
	s_waitcnt vmcnt(2)
	v_fmac_f64_e32 v[124:125], v[128:129], v[130:131]
	ds_read2_b64 v[128:131], v126 offset0:107 offset1:108
	s_waitcnt vmcnt(0) lgkmcnt(0)
	v_fmac_f64_e32 v[124:125], v[132:133], v[128:129]
	buffer_load_dword v129, off, s[0:3], 0 offset:388
	buffer_load_dword v128, off, s[0:3], 0 offset:384
	buffer_load_dword v133, off, s[0:3], 0 offset:396
	buffer_load_dword v132, off, s[0:3], 0 offset:392
	s_waitcnt vmcnt(2)
	v_fmac_f64_e32 v[124:125], v[128:129], v[130:131]
	ds_read2_b64 v[128:131], v126 offset0:109 offset1:110
	s_waitcnt vmcnt(0) lgkmcnt(0)
	v_fmac_f64_e32 v[124:125], v[132:133], v[128:129]
	buffer_load_dword v129, off, s[0:3], 0 offset:404
	buffer_load_dword v128, off, s[0:3], 0 offset:400
	buffer_load_dword v133, off, s[0:3], 0 offset:412
	buffer_load_dword v132, off, s[0:3], 0 offset:408
	s_waitcnt vmcnt(2)
	v_fmac_f64_e32 v[124:125], v[128:129], v[130:131]
	ds_read2_b64 v[128:131], v126 offset0:111 offset1:112
	s_waitcnt vmcnt(0) lgkmcnt(0)
	v_fmac_f64_e32 v[124:125], v[132:133], v[128:129]
	buffer_load_dword v129, off, s[0:3], 0 offset:420
	buffer_load_dword v128, off, s[0:3], 0 offset:416
	buffer_load_dword v133, off, s[0:3], 0 offset:428
	buffer_load_dword v132, off, s[0:3], 0 offset:424
	s_waitcnt vmcnt(2)
	v_fmac_f64_e32 v[124:125], v[128:129], v[130:131]
	ds_read2_b64 v[128:131], v126 offset0:113 offset1:114
	s_waitcnt vmcnt(0) lgkmcnt(0)
	v_fmac_f64_e32 v[124:125], v[132:133], v[128:129]
	buffer_load_dword v129, off, s[0:3], 0 offset:436
	buffer_load_dword v128, off, s[0:3], 0 offset:432
	buffer_load_dword v133, off, s[0:3], 0 offset:444
	buffer_load_dword v132, off, s[0:3], 0 offset:440
	s_waitcnt vmcnt(2)
	v_fmac_f64_e32 v[124:125], v[128:129], v[130:131]
	ds_read2_b64 v[128:131], v126 offset0:115 offset1:116
	s_waitcnt vmcnt(0) lgkmcnt(0)
	v_fmac_f64_e32 v[124:125], v[132:133], v[128:129]
	buffer_load_dword v129, off, s[0:3], 0 offset:452
	buffer_load_dword v128, off, s[0:3], 0 offset:448
	buffer_load_dword v133, off, s[0:3], 0 offset:460
	buffer_load_dword v132, off, s[0:3], 0 offset:456
	s_waitcnt vmcnt(2)
	v_fmac_f64_e32 v[124:125], v[128:129], v[130:131]
	ds_read2_b64 v[128:131], v126 offset0:117 offset1:118
	s_waitcnt vmcnt(0) lgkmcnt(0)
	v_fmac_f64_e32 v[124:125], v[132:133], v[128:129]
	buffer_load_dword v129, off, s[0:3], 0 offset:468
	buffer_load_dword v128, off, s[0:3], 0 offset:464
	s_waitcnt vmcnt(0)
	v_fmac_f64_e32 v[124:125], v[128:129], v[130:131]
	buffer_load_dword v129, off, s[0:3], 0 offset:476
	buffer_load_dword v128, off, s[0:3], 0 offset:472
	ds_read_b64 v[130:131], v126 offset:952
	s_waitcnt vmcnt(0) lgkmcnt(0)
	v_fmac_f64_e32 v[124:125], v[128:129], v[130:131]
	v_add_f64 v[122:123], v[122:123], -v[124:125]
	buffer_store_dword v123, off, s[0:3], 0 offset:244
	buffer_store_dword v122, off, s[0:3], 0 offset:240
	s_and_saveexec_b64 s[4:5], vcc
	s_cbranch_execz .LBB59_309
; %bb.308:
	buffer_load_dword v122, off, s[0:3], 0 offset:232
	buffer_load_dword v123, off, s[0:3], 0 offset:236
	s_waitcnt vmcnt(0)
	ds_write_b64 v1, v[122:123]
	buffer_store_dword v126, off, s[0:3], 0 offset:232
	buffer_store_dword v126, off, s[0:3], 0 offset:236
.LBB59_309:
	s_or_b64 exec, exec, s[4:5]
	s_waitcnt lgkmcnt(0)
	; wave barrier
	s_waitcnt lgkmcnt(0)
	buffer_load_dword v122, off, s[0:3], 0 offset:232
	buffer_load_dword v123, off, s[0:3], 0 offset:236
	;; [unrolled: 1-line block ×16, first 2 shown]
	ds_read_b128 v[128:131], v126 offset:720
	ds_read_b128 v[132:135], v126 offset:736
	;; [unrolled: 1-line block ×4, first 2 shown]
	v_cmp_lt_u32_e32 vcc, 28, v0
	s_waitcnt vmcnt(12) lgkmcnt(3)
	v_fma_f64 v[124:125], v[124:125], v[128:129], 0
	buffer_load_dword v129, off, s[0:3], 0 offset:300
	buffer_load_dword v128, off, s[0:3], 0 offset:296
	s_waitcnt vmcnt(12)
	v_fmac_f64_e32 v[124:125], v[144:145], v[130:131]
	s_waitcnt vmcnt(10) lgkmcnt(2)
	v_fmac_f64_e32 v[124:125], v[146:147], v[132:133]
	buffer_load_dword v133, off, s[0:3], 0 offset:308
	buffer_load_dword v132, off, s[0:3], 0 offset:304
	s_waitcnt vmcnt(10)
	v_fmac_f64_e32 v[124:125], v[148:149], v[134:135]
	s_waitcnt vmcnt(8) lgkmcnt(1)
	v_fmac_f64_e32 v[124:125], v[150:151], v[136:137]
	s_waitcnt vmcnt(6)
	v_fmac_f64_e32 v[124:125], v[152:153], v[138:139]
	s_waitcnt vmcnt(4) lgkmcnt(0)
	v_fmac_f64_e32 v[124:125], v[154:155], v[140:141]
	s_waitcnt vmcnt(2)
	v_fmac_f64_e32 v[124:125], v[128:129], v[142:143]
	ds_read_b128 v[128:131], v126 offset:784
	s_waitcnt vmcnt(0) lgkmcnt(0)
	v_fmac_f64_e32 v[124:125], v[132:133], v[128:129]
	buffer_load_dword v129, off, s[0:3], 0 offset:316
	buffer_load_dword v128, off, s[0:3], 0 offset:312
	buffer_load_dword v133, off, s[0:3], 0 offset:324
	buffer_load_dword v132, off, s[0:3], 0 offset:320
	s_waitcnt vmcnt(2)
	v_fmac_f64_e32 v[124:125], v[128:129], v[130:131]
	ds_read_b128 v[128:131], v126 offset:800
	s_waitcnt vmcnt(0) lgkmcnt(0)
	v_fmac_f64_e32 v[124:125], v[132:133], v[128:129]
	buffer_load_dword v129, off, s[0:3], 0 offset:332
	buffer_load_dword v128, off, s[0:3], 0 offset:328
	buffer_load_dword v133, off, s[0:3], 0 offset:340
	buffer_load_dword v132, off, s[0:3], 0 offset:336
	s_waitcnt vmcnt(2)
	v_fmac_f64_e32 v[124:125], v[128:129], v[130:131]
	ds_read_b128 v[128:131], v126 offset:816
	s_waitcnt vmcnt(0) lgkmcnt(0)
	v_fmac_f64_e32 v[124:125], v[132:133], v[128:129]
	buffer_load_dword v129, off, s[0:3], 0 offset:348
	buffer_load_dword v128, off, s[0:3], 0 offset:344
	buffer_load_dword v133, off, s[0:3], 0 offset:356
	buffer_load_dword v132, off, s[0:3], 0 offset:352
	s_waitcnt vmcnt(2)
	v_fmac_f64_e32 v[124:125], v[128:129], v[130:131]
	ds_read_b128 v[128:131], v126 offset:832
	s_waitcnt vmcnt(0) lgkmcnt(0)
	v_fmac_f64_e32 v[124:125], v[132:133], v[128:129]
	buffer_load_dword v129, off, s[0:3], 0 offset:364
	buffer_load_dword v128, off, s[0:3], 0 offset:360
	buffer_load_dword v133, off, s[0:3], 0 offset:372
	buffer_load_dword v132, off, s[0:3], 0 offset:368
	s_waitcnt vmcnt(2)
	v_fmac_f64_e32 v[124:125], v[128:129], v[130:131]
	ds_read_b128 v[128:131], v126 offset:848
	s_waitcnt vmcnt(0) lgkmcnt(0)
	v_fmac_f64_e32 v[124:125], v[132:133], v[128:129]
	buffer_load_dword v129, off, s[0:3], 0 offset:380
	buffer_load_dword v128, off, s[0:3], 0 offset:376
	buffer_load_dword v133, off, s[0:3], 0 offset:388
	buffer_load_dword v132, off, s[0:3], 0 offset:384
	s_waitcnt vmcnt(2)
	v_fmac_f64_e32 v[124:125], v[128:129], v[130:131]
	ds_read_b128 v[128:131], v126 offset:864
	s_waitcnt vmcnt(0) lgkmcnt(0)
	v_fmac_f64_e32 v[124:125], v[132:133], v[128:129]
	buffer_load_dword v129, off, s[0:3], 0 offset:396
	buffer_load_dword v128, off, s[0:3], 0 offset:392
	buffer_load_dword v133, off, s[0:3], 0 offset:404
	buffer_load_dword v132, off, s[0:3], 0 offset:400
	s_waitcnt vmcnt(2)
	v_fmac_f64_e32 v[124:125], v[128:129], v[130:131]
	ds_read_b128 v[128:131], v126 offset:880
	s_waitcnt vmcnt(0) lgkmcnt(0)
	v_fmac_f64_e32 v[124:125], v[132:133], v[128:129]
	buffer_load_dword v129, off, s[0:3], 0 offset:412
	buffer_load_dword v128, off, s[0:3], 0 offset:408
	buffer_load_dword v133, off, s[0:3], 0 offset:420
	buffer_load_dword v132, off, s[0:3], 0 offset:416
	s_waitcnt vmcnt(2)
	v_fmac_f64_e32 v[124:125], v[128:129], v[130:131]
	ds_read_b128 v[128:131], v126 offset:896
	s_waitcnt vmcnt(0) lgkmcnt(0)
	v_fmac_f64_e32 v[124:125], v[132:133], v[128:129]
	buffer_load_dword v129, off, s[0:3], 0 offset:428
	buffer_load_dword v128, off, s[0:3], 0 offset:424
	buffer_load_dword v133, off, s[0:3], 0 offset:436
	buffer_load_dword v132, off, s[0:3], 0 offset:432
	s_waitcnt vmcnt(2)
	v_fmac_f64_e32 v[124:125], v[128:129], v[130:131]
	ds_read_b128 v[128:131], v126 offset:912
	s_waitcnt vmcnt(0) lgkmcnt(0)
	v_fmac_f64_e32 v[124:125], v[132:133], v[128:129]
	buffer_load_dword v129, off, s[0:3], 0 offset:444
	buffer_load_dword v128, off, s[0:3], 0 offset:440
	buffer_load_dword v133, off, s[0:3], 0 offset:452
	buffer_load_dword v132, off, s[0:3], 0 offset:448
	s_waitcnt vmcnt(2)
	v_fmac_f64_e32 v[124:125], v[128:129], v[130:131]
	ds_read_b128 v[128:131], v126 offset:928
	s_waitcnt vmcnt(0) lgkmcnt(0)
	v_fmac_f64_e32 v[124:125], v[132:133], v[128:129]
	buffer_load_dword v129, off, s[0:3], 0 offset:460
	buffer_load_dword v128, off, s[0:3], 0 offset:456
	s_waitcnt vmcnt(0)
	v_fmac_f64_e32 v[124:125], v[128:129], v[130:131]
	buffer_load_dword v131, off, s[0:3], 0 offset:468
	buffer_load_dword v130, off, s[0:3], 0 offset:464
	ds_read_b128 v[126:129], v126 offset:944
	s_waitcnt vmcnt(0) lgkmcnt(0)
	v_fmac_f64_e32 v[124:125], v[130:131], v[126:127]
	buffer_load_dword v127, off, s[0:3], 0 offset:476
	buffer_load_dword v126, off, s[0:3], 0 offset:472
	s_waitcnt vmcnt(0)
	v_fmac_f64_e32 v[124:125], v[126:127], v[128:129]
	v_add_f64 v[122:123], v[122:123], -v[124:125]
	buffer_store_dword v123, off, s[0:3], 0 offset:236
	buffer_store_dword v122, off, s[0:3], 0 offset:232
	s_and_saveexec_b64 s[4:5], vcc
	s_cbranch_execz .LBB59_311
; %bb.310:
	buffer_load_dword v122, off, s[0:3], 0 offset:224
	buffer_load_dword v123, off, s[0:3], 0 offset:228
	v_mov_b32_e32 v124, 0
	buffer_store_dword v124, off, s[0:3], 0 offset:224
	buffer_store_dword v124, off, s[0:3], 0 offset:228
	s_waitcnt vmcnt(2)
	ds_write_b64 v1, v[122:123]
.LBB59_311:
	s_or_b64 exec, exec, s[4:5]
	s_waitcnt lgkmcnt(0)
	; wave barrier
	s_waitcnt lgkmcnt(0)
	buffer_load_dword v122, off, s[0:3], 0 offset:224
	buffer_load_dword v123, off, s[0:3], 0 offset:228
	;; [unrolled: 1-line block ×16, first 2 shown]
	v_mov_b32_e32 v126, 0
	ds_read2_b64 v[128:131], v126 offset0:89 offset1:90
	v_cmp_lt_u32_e32 vcc, 27, v0
	s_waitcnt vmcnt(12) lgkmcnt(0)
	v_fma_f64 v[124:125], v[124:125], v[128:129], 0
	s_waitcnt vmcnt(10)
	v_fmac_f64_e32 v[124:125], v[132:133], v[130:131]
	ds_read2_b64 v[128:131], v126 offset0:91 offset1:92
	s_waitcnt vmcnt(8) lgkmcnt(0)
	v_fmac_f64_e32 v[124:125], v[134:135], v[128:129]
	s_waitcnt vmcnt(6)
	v_fmac_f64_e32 v[124:125], v[136:137], v[130:131]
	ds_read2_b64 v[128:131], v126 offset0:93 offset1:94
	s_waitcnt vmcnt(4) lgkmcnt(0)
	v_fmac_f64_e32 v[124:125], v[138:139], v[128:129]
	;; [unrolled: 5-line block ×3, first 2 shown]
	buffer_load_dword v129, off, s[0:3], 0 offset:292
	buffer_load_dword v128, off, s[0:3], 0 offset:288
	buffer_load_dword v133, off, s[0:3], 0 offset:300
	buffer_load_dword v132, off, s[0:3], 0 offset:296
	s_waitcnt vmcnt(2)
	v_fmac_f64_e32 v[124:125], v[128:129], v[130:131]
	ds_read2_b64 v[128:131], v126 offset0:97 offset1:98
	s_waitcnt vmcnt(0) lgkmcnt(0)
	v_fmac_f64_e32 v[124:125], v[132:133], v[128:129]
	buffer_load_dword v129, off, s[0:3], 0 offset:308
	buffer_load_dword v128, off, s[0:3], 0 offset:304
	buffer_load_dword v133, off, s[0:3], 0 offset:316
	buffer_load_dword v132, off, s[0:3], 0 offset:312
	s_waitcnt vmcnt(2)
	v_fmac_f64_e32 v[124:125], v[128:129], v[130:131]
	ds_read2_b64 v[128:131], v126 offset0:99 offset1:100
	s_waitcnt vmcnt(0) lgkmcnt(0)
	v_fmac_f64_e32 v[124:125], v[132:133], v[128:129]
	;; [unrolled: 9-line block ×11, first 2 shown]
	buffer_load_dword v129, off, s[0:3], 0 offset:468
	buffer_load_dword v128, off, s[0:3], 0 offset:464
	s_waitcnt vmcnt(0)
	v_fmac_f64_e32 v[124:125], v[128:129], v[130:131]
	buffer_load_dword v129, off, s[0:3], 0 offset:476
	buffer_load_dword v128, off, s[0:3], 0 offset:472
	ds_read_b64 v[130:131], v126 offset:952
	s_waitcnt vmcnt(0) lgkmcnt(0)
	v_fmac_f64_e32 v[124:125], v[128:129], v[130:131]
	v_add_f64 v[122:123], v[122:123], -v[124:125]
	buffer_store_dword v123, off, s[0:3], 0 offset:228
	buffer_store_dword v122, off, s[0:3], 0 offset:224
	s_and_saveexec_b64 s[4:5], vcc
	s_cbranch_execz .LBB59_313
; %bb.312:
	buffer_load_dword v122, off, s[0:3], 0 offset:216
	buffer_load_dword v123, off, s[0:3], 0 offset:220
	s_waitcnt vmcnt(0)
	ds_write_b64 v1, v[122:123]
	buffer_store_dword v126, off, s[0:3], 0 offset:216
	buffer_store_dword v126, off, s[0:3], 0 offset:220
.LBB59_313:
	s_or_b64 exec, exec, s[4:5]
	s_waitcnt lgkmcnt(0)
	; wave barrier
	s_waitcnt lgkmcnt(0)
	buffer_load_dword v122, off, s[0:3], 0 offset:216
	buffer_load_dword v123, off, s[0:3], 0 offset:220
	;; [unrolled: 1-line block ×16, first 2 shown]
	ds_read_b128 v[128:131], v126 offset:704
	ds_read_b128 v[132:135], v126 offset:720
	;; [unrolled: 1-line block ×4, first 2 shown]
	v_cmp_lt_u32_e32 vcc, 26, v0
	s_waitcnt vmcnt(12) lgkmcnt(3)
	v_fma_f64 v[124:125], v[124:125], v[128:129], 0
	buffer_load_dword v129, off, s[0:3], 0 offset:284
	buffer_load_dword v128, off, s[0:3], 0 offset:280
	s_waitcnt vmcnt(12)
	v_fmac_f64_e32 v[124:125], v[144:145], v[130:131]
	s_waitcnt vmcnt(10) lgkmcnt(2)
	v_fmac_f64_e32 v[124:125], v[146:147], v[132:133]
	buffer_load_dword v133, off, s[0:3], 0 offset:292
	buffer_load_dword v132, off, s[0:3], 0 offset:288
	s_waitcnt vmcnt(10)
	v_fmac_f64_e32 v[124:125], v[148:149], v[134:135]
	s_waitcnt vmcnt(8) lgkmcnt(1)
	v_fmac_f64_e32 v[124:125], v[150:151], v[136:137]
	s_waitcnt vmcnt(6)
	v_fmac_f64_e32 v[124:125], v[152:153], v[138:139]
	s_waitcnt vmcnt(4) lgkmcnt(0)
	v_fmac_f64_e32 v[124:125], v[154:155], v[140:141]
	s_waitcnt vmcnt(2)
	v_fmac_f64_e32 v[124:125], v[128:129], v[142:143]
	ds_read_b128 v[128:131], v126 offset:768
	s_waitcnt vmcnt(0) lgkmcnt(0)
	v_fmac_f64_e32 v[124:125], v[132:133], v[128:129]
	buffer_load_dword v129, off, s[0:3], 0 offset:300
	buffer_load_dword v128, off, s[0:3], 0 offset:296
	buffer_load_dword v133, off, s[0:3], 0 offset:308
	buffer_load_dword v132, off, s[0:3], 0 offset:304
	s_waitcnt vmcnt(2)
	v_fmac_f64_e32 v[124:125], v[128:129], v[130:131]
	ds_read_b128 v[128:131], v126 offset:784
	s_waitcnt vmcnt(0) lgkmcnt(0)
	v_fmac_f64_e32 v[124:125], v[132:133], v[128:129]
	buffer_load_dword v129, off, s[0:3], 0 offset:316
	buffer_load_dword v128, off, s[0:3], 0 offset:312
	buffer_load_dword v133, off, s[0:3], 0 offset:324
	buffer_load_dword v132, off, s[0:3], 0 offset:320
	;; [unrolled: 9-line block ×10, first 2 shown]
	s_waitcnt vmcnt(2)
	v_fmac_f64_e32 v[124:125], v[128:129], v[130:131]
	ds_read_b128 v[128:131], v126 offset:928
	s_waitcnt vmcnt(0) lgkmcnt(0)
	v_fmac_f64_e32 v[124:125], v[132:133], v[128:129]
	buffer_load_dword v129, off, s[0:3], 0 offset:460
	buffer_load_dword v128, off, s[0:3], 0 offset:456
	s_waitcnt vmcnt(0)
	v_fmac_f64_e32 v[124:125], v[128:129], v[130:131]
	buffer_load_dword v131, off, s[0:3], 0 offset:468
	buffer_load_dword v130, off, s[0:3], 0 offset:464
	ds_read_b128 v[126:129], v126 offset:944
	s_waitcnt vmcnt(0) lgkmcnt(0)
	v_fmac_f64_e32 v[124:125], v[130:131], v[126:127]
	buffer_load_dword v127, off, s[0:3], 0 offset:476
	buffer_load_dword v126, off, s[0:3], 0 offset:472
	s_waitcnt vmcnt(0)
	v_fmac_f64_e32 v[124:125], v[126:127], v[128:129]
	v_add_f64 v[122:123], v[122:123], -v[124:125]
	buffer_store_dword v123, off, s[0:3], 0 offset:220
	buffer_store_dword v122, off, s[0:3], 0 offset:216
	s_and_saveexec_b64 s[4:5], vcc
	s_cbranch_execz .LBB59_315
; %bb.314:
	buffer_load_dword v122, off, s[0:3], 0 offset:208
	buffer_load_dword v123, off, s[0:3], 0 offset:212
	v_mov_b32_e32 v124, 0
	buffer_store_dword v124, off, s[0:3], 0 offset:208
	buffer_store_dword v124, off, s[0:3], 0 offset:212
	s_waitcnt vmcnt(2)
	ds_write_b64 v1, v[122:123]
.LBB59_315:
	s_or_b64 exec, exec, s[4:5]
	s_waitcnt lgkmcnt(0)
	; wave barrier
	s_waitcnt lgkmcnt(0)
	buffer_load_dword v122, off, s[0:3], 0 offset:208
	buffer_load_dword v123, off, s[0:3], 0 offset:212
	;; [unrolled: 1-line block ×16, first 2 shown]
	v_mov_b32_e32 v126, 0
	ds_read2_b64 v[128:131], v126 offset0:87 offset1:88
	v_cmp_lt_u32_e32 vcc, 25, v0
	s_waitcnt vmcnt(12) lgkmcnt(0)
	v_fma_f64 v[124:125], v[124:125], v[128:129], 0
	s_waitcnt vmcnt(10)
	v_fmac_f64_e32 v[124:125], v[132:133], v[130:131]
	ds_read2_b64 v[128:131], v126 offset0:89 offset1:90
	s_waitcnt vmcnt(8) lgkmcnt(0)
	v_fmac_f64_e32 v[124:125], v[134:135], v[128:129]
	s_waitcnt vmcnt(6)
	v_fmac_f64_e32 v[124:125], v[136:137], v[130:131]
	ds_read2_b64 v[128:131], v126 offset0:91 offset1:92
	s_waitcnt vmcnt(4) lgkmcnt(0)
	v_fmac_f64_e32 v[124:125], v[138:139], v[128:129]
	;; [unrolled: 5-line block ×3, first 2 shown]
	buffer_load_dword v129, off, s[0:3], 0 offset:276
	buffer_load_dword v128, off, s[0:3], 0 offset:272
	buffer_load_dword v133, off, s[0:3], 0 offset:284
	buffer_load_dword v132, off, s[0:3], 0 offset:280
	s_waitcnt vmcnt(2)
	v_fmac_f64_e32 v[124:125], v[128:129], v[130:131]
	ds_read2_b64 v[128:131], v126 offset0:95 offset1:96
	s_waitcnt vmcnt(0) lgkmcnt(0)
	v_fmac_f64_e32 v[124:125], v[132:133], v[128:129]
	buffer_load_dword v129, off, s[0:3], 0 offset:292
	buffer_load_dword v128, off, s[0:3], 0 offset:288
	buffer_load_dword v133, off, s[0:3], 0 offset:300
	buffer_load_dword v132, off, s[0:3], 0 offset:296
	s_waitcnt vmcnt(2)
	v_fmac_f64_e32 v[124:125], v[128:129], v[130:131]
	ds_read2_b64 v[128:131], v126 offset0:97 offset1:98
	s_waitcnt vmcnt(0) lgkmcnt(0)
	v_fmac_f64_e32 v[124:125], v[132:133], v[128:129]
	;; [unrolled: 9-line block ×12, first 2 shown]
	buffer_load_dword v129, off, s[0:3], 0 offset:468
	buffer_load_dword v128, off, s[0:3], 0 offset:464
	s_waitcnt vmcnt(0)
	v_fmac_f64_e32 v[124:125], v[128:129], v[130:131]
	buffer_load_dword v129, off, s[0:3], 0 offset:476
	buffer_load_dword v128, off, s[0:3], 0 offset:472
	ds_read_b64 v[130:131], v126 offset:952
	s_waitcnt vmcnt(0) lgkmcnt(0)
	v_fmac_f64_e32 v[124:125], v[128:129], v[130:131]
	v_add_f64 v[122:123], v[122:123], -v[124:125]
	buffer_store_dword v123, off, s[0:3], 0 offset:212
	buffer_store_dword v122, off, s[0:3], 0 offset:208
	s_and_saveexec_b64 s[4:5], vcc
	s_cbranch_execz .LBB59_317
; %bb.316:
	buffer_load_dword v122, off, s[0:3], 0 offset:200
	buffer_load_dword v123, off, s[0:3], 0 offset:204
	s_waitcnt vmcnt(0)
	ds_write_b64 v1, v[122:123]
	buffer_store_dword v126, off, s[0:3], 0 offset:200
	buffer_store_dword v126, off, s[0:3], 0 offset:204
.LBB59_317:
	s_or_b64 exec, exec, s[4:5]
	s_waitcnt lgkmcnt(0)
	; wave barrier
	s_waitcnt lgkmcnt(0)
	buffer_load_dword v122, off, s[0:3], 0 offset:200
	buffer_load_dword v123, off, s[0:3], 0 offset:204
	;; [unrolled: 1-line block ×16, first 2 shown]
	ds_read_b128 v[128:131], v126 offset:688
	ds_read_b128 v[132:135], v126 offset:704
	ds_read_b128 v[136:139], v126 offset:720
	ds_read_b128 v[140:143], v126 offset:736
	v_cmp_lt_u32_e32 vcc, 24, v0
	s_waitcnt vmcnt(12) lgkmcnt(3)
	v_fma_f64 v[124:125], v[124:125], v[128:129], 0
	buffer_load_dword v129, off, s[0:3], 0 offset:268
	buffer_load_dword v128, off, s[0:3], 0 offset:264
	s_waitcnt vmcnt(12)
	v_fmac_f64_e32 v[124:125], v[144:145], v[130:131]
	s_waitcnt vmcnt(10) lgkmcnt(2)
	v_fmac_f64_e32 v[124:125], v[146:147], v[132:133]
	buffer_load_dword v133, off, s[0:3], 0 offset:276
	buffer_load_dword v132, off, s[0:3], 0 offset:272
	s_waitcnt vmcnt(10)
	v_fmac_f64_e32 v[124:125], v[148:149], v[134:135]
	s_waitcnt vmcnt(8) lgkmcnt(1)
	v_fmac_f64_e32 v[124:125], v[150:151], v[136:137]
	s_waitcnt vmcnt(6)
	v_fmac_f64_e32 v[124:125], v[152:153], v[138:139]
	s_waitcnt vmcnt(4) lgkmcnt(0)
	v_fmac_f64_e32 v[124:125], v[154:155], v[140:141]
	s_waitcnt vmcnt(2)
	v_fmac_f64_e32 v[124:125], v[128:129], v[142:143]
	ds_read_b128 v[128:131], v126 offset:752
	s_waitcnt vmcnt(0) lgkmcnt(0)
	v_fmac_f64_e32 v[124:125], v[132:133], v[128:129]
	buffer_load_dword v129, off, s[0:3], 0 offset:284
	buffer_load_dword v128, off, s[0:3], 0 offset:280
	buffer_load_dword v133, off, s[0:3], 0 offset:292
	buffer_load_dword v132, off, s[0:3], 0 offset:288
	s_waitcnt vmcnt(2)
	v_fmac_f64_e32 v[124:125], v[128:129], v[130:131]
	ds_read_b128 v[128:131], v126 offset:768
	s_waitcnt vmcnt(0) lgkmcnt(0)
	v_fmac_f64_e32 v[124:125], v[132:133], v[128:129]
	buffer_load_dword v129, off, s[0:3], 0 offset:300
	buffer_load_dword v128, off, s[0:3], 0 offset:296
	buffer_load_dword v133, off, s[0:3], 0 offset:308
	buffer_load_dword v132, off, s[0:3], 0 offset:304
	;; [unrolled: 9-line block ×11, first 2 shown]
	s_waitcnt vmcnt(2)
	v_fmac_f64_e32 v[124:125], v[128:129], v[130:131]
	ds_read_b128 v[128:131], v126 offset:928
	s_waitcnt vmcnt(0) lgkmcnt(0)
	v_fmac_f64_e32 v[124:125], v[132:133], v[128:129]
	buffer_load_dword v129, off, s[0:3], 0 offset:460
	buffer_load_dword v128, off, s[0:3], 0 offset:456
	s_waitcnt vmcnt(0)
	v_fmac_f64_e32 v[124:125], v[128:129], v[130:131]
	buffer_load_dword v131, off, s[0:3], 0 offset:468
	buffer_load_dword v130, off, s[0:3], 0 offset:464
	ds_read_b128 v[126:129], v126 offset:944
	s_waitcnt vmcnt(0) lgkmcnt(0)
	v_fmac_f64_e32 v[124:125], v[130:131], v[126:127]
	buffer_load_dword v127, off, s[0:3], 0 offset:476
	buffer_load_dword v126, off, s[0:3], 0 offset:472
	s_waitcnt vmcnt(0)
	v_fmac_f64_e32 v[124:125], v[126:127], v[128:129]
	v_add_f64 v[122:123], v[122:123], -v[124:125]
	buffer_store_dword v123, off, s[0:3], 0 offset:204
	buffer_store_dword v122, off, s[0:3], 0 offset:200
	s_and_saveexec_b64 s[4:5], vcc
	s_cbranch_execz .LBB59_319
; %bb.318:
	buffer_load_dword v122, off, s[0:3], 0 offset:192
	buffer_load_dword v123, off, s[0:3], 0 offset:196
	v_mov_b32_e32 v124, 0
	buffer_store_dword v124, off, s[0:3], 0 offset:192
	buffer_store_dword v124, off, s[0:3], 0 offset:196
	s_waitcnt vmcnt(2)
	ds_write_b64 v1, v[122:123]
.LBB59_319:
	s_or_b64 exec, exec, s[4:5]
	s_waitcnt lgkmcnt(0)
	; wave barrier
	s_waitcnt lgkmcnt(0)
	buffer_load_dword v122, off, s[0:3], 0 offset:192
	buffer_load_dword v123, off, s[0:3], 0 offset:196
	;; [unrolled: 1-line block ×16, first 2 shown]
	v_mov_b32_e32 v126, 0
	ds_read2_b64 v[128:131], v126 offset0:85 offset1:86
	v_cmp_lt_u32_e32 vcc, 23, v0
	s_waitcnt vmcnt(12) lgkmcnt(0)
	v_fma_f64 v[124:125], v[124:125], v[128:129], 0
	s_waitcnt vmcnt(10)
	v_fmac_f64_e32 v[124:125], v[132:133], v[130:131]
	ds_read2_b64 v[128:131], v126 offset0:87 offset1:88
	s_waitcnt vmcnt(8) lgkmcnt(0)
	v_fmac_f64_e32 v[124:125], v[134:135], v[128:129]
	s_waitcnt vmcnt(6)
	v_fmac_f64_e32 v[124:125], v[136:137], v[130:131]
	ds_read2_b64 v[128:131], v126 offset0:89 offset1:90
	s_waitcnt vmcnt(4) lgkmcnt(0)
	v_fmac_f64_e32 v[124:125], v[138:139], v[128:129]
	;; [unrolled: 5-line block ×3, first 2 shown]
	buffer_load_dword v129, off, s[0:3], 0 offset:260
	buffer_load_dword v128, off, s[0:3], 0 offset:256
	buffer_load_dword v133, off, s[0:3], 0 offset:268
	buffer_load_dword v132, off, s[0:3], 0 offset:264
	s_waitcnt vmcnt(2)
	v_fmac_f64_e32 v[124:125], v[128:129], v[130:131]
	ds_read2_b64 v[128:131], v126 offset0:93 offset1:94
	s_waitcnt vmcnt(0) lgkmcnt(0)
	v_fmac_f64_e32 v[124:125], v[132:133], v[128:129]
	buffer_load_dword v129, off, s[0:3], 0 offset:276
	buffer_load_dword v128, off, s[0:3], 0 offset:272
	buffer_load_dword v133, off, s[0:3], 0 offset:284
	buffer_load_dword v132, off, s[0:3], 0 offset:280
	s_waitcnt vmcnt(2)
	v_fmac_f64_e32 v[124:125], v[128:129], v[130:131]
	ds_read2_b64 v[128:131], v126 offset0:95 offset1:96
	s_waitcnt vmcnt(0) lgkmcnt(0)
	v_fmac_f64_e32 v[124:125], v[132:133], v[128:129]
	;; [unrolled: 9-line block ×13, first 2 shown]
	buffer_load_dword v129, off, s[0:3], 0 offset:468
	buffer_load_dword v128, off, s[0:3], 0 offset:464
	s_waitcnt vmcnt(0)
	v_fmac_f64_e32 v[124:125], v[128:129], v[130:131]
	buffer_load_dword v129, off, s[0:3], 0 offset:476
	buffer_load_dword v128, off, s[0:3], 0 offset:472
	ds_read_b64 v[130:131], v126 offset:952
	s_waitcnt vmcnt(0) lgkmcnt(0)
	v_fmac_f64_e32 v[124:125], v[128:129], v[130:131]
	v_add_f64 v[122:123], v[122:123], -v[124:125]
	buffer_store_dword v123, off, s[0:3], 0 offset:196
	buffer_store_dword v122, off, s[0:3], 0 offset:192
	s_and_saveexec_b64 s[4:5], vcc
	s_cbranch_execz .LBB59_321
; %bb.320:
	buffer_load_dword v122, off, s[0:3], 0 offset:184
	buffer_load_dword v123, off, s[0:3], 0 offset:188
	s_waitcnt vmcnt(0)
	ds_write_b64 v1, v[122:123]
	buffer_store_dword v126, off, s[0:3], 0 offset:184
	buffer_store_dword v126, off, s[0:3], 0 offset:188
.LBB59_321:
	s_or_b64 exec, exec, s[4:5]
	s_waitcnt lgkmcnt(0)
	; wave barrier
	s_waitcnt lgkmcnt(0)
	buffer_load_dword v122, off, s[0:3], 0 offset:184
	buffer_load_dword v123, off, s[0:3], 0 offset:188
	;; [unrolled: 1-line block ×16, first 2 shown]
	ds_read_b128 v[128:131], v126 offset:672
	ds_read_b128 v[132:135], v126 offset:688
	;; [unrolled: 1-line block ×4, first 2 shown]
	v_cmp_lt_u32_e32 vcc, 22, v0
	s_waitcnt vmcnt(12) lgkmcnt(3)
	v_fma_f64 v[124:125], v[124:125], v[128:129], 0
	buffer_load_dword v129, off, s[0:3], 0 offset:252
	buffer_load_dword v128, off, s[0:3], 0 offset:248
	s_waitcnt vmcnt(12)
	v_fmac_f64_e32 v[124:125], v[144:145], v[130:131]
	s_waitcnt vmcnt(10) lgkmcnt(2)
	v_fmac_f64_e32 v[124:125], v[146:147], v[132:133]
	buffer_load_dword v133, off, s[0:3], 0 offset:260
	buffer_load_dword v132, off, s[0:3], 0 offset:256
	s_waitcnt vmcnt(10)
	v_fmac_f64_e32 v[124:125], v[148:149], v[134:135]
	s_waitcnt vmcnt(8) lgkmcnt(1)
	v_fmac_f64_e32 v[124:125], v[150:151], v[136:137]
	s_waitcnt vmcnt(6)
	v_fmac_f64_e32 v[124:125], v[152:153], v[138:139]
	s_waitcnt vmcnt(4) lgkmcnt(0)
	v_fmac_f64_e32 v[124:125], v[154:155], v[140:141]
	s_waitcnt vmcnt(2)
	v_fmac_f64_e32 v[124:125], v[128:129], v[142:143]
	ds_read_b128 v[128:131], v126 offset:736
	s_waitcnt vmcnt(0) lgkmcnt(0)
	v_fmac_f64_e32 v[124:125], v[132:133], v[128:129]
	buffer_load_dword v129, off, s[0:3], 0 offset:268
	buffer_load_dword v128, off, s[0:3], 0 offset:264
	buffer_load_dword v133, off, s[0:3], 0 offset:276
	buffer_load_dword v132, off, s[0:3], 0 offset:272
	s_waitcnt vmcnt(2)
	v_fmac_f64_e32 v[124:125], v[128:129], v[130:131]
	ds_read_b128 v[128:131], v126 offset:752
	s_waitcnt vmcnt(0) lgkmcnt(0)
	v_fmac_f64_e32 v[124:125], v[132:133], v[128:129]
	buffer_load_dword v129, off, s[0:3], 0 offset:284
	buffer_load_dword v128, off, s[0:3], 0 offset:280
	buffer_load_dword v133, off, s[0:3], 0 offset:292
	buffer_load_dword v132, off, s[0:3], 0 offset:288
	;; [unrolled: 9-line block ×12, first 2 shown]
	s_waitcnt vmcnt(2)
	v_fmac_f64_e32 v[124:125], v[128:129], v[130:131]
	ds_read_b128 v[128:131], v126 offset:928
	s_waitcnt vmcnt(0) lgkmcnt(0)
	v_fmac_f64_e32 v[124:125], v[132:133], v[128:129]
	buffer_load_dword v129, off, s[0:3], 0 offset:460
	buffer_load_dword v128, off, s[0:3], 0 offset:456
	s_waitcnt vmcnt(0)
	v_fmac_f64_e32 v[124:125], v[128:129], v[130:131]
	buffer_load_dword v131, off, s[0:3], 0 offset:468
	buffer_load_dword v130, off, s[0:3], 0 offset:464
	ds_read_b128 v[126:129], v126 offset:944
	s_waitcnt vmcnt(0) lgkmcnt(0)
	v_fmac_f64_e32 v[124:125], v[130:131], v[126:127]
	buffer_load_dword v127, off, s[0:3], 0 offset:476
	buffer_load_dword v126, off, s[0:3], 0 offset:472
	s_waitcnt vmcnt(0)
	v_fmac_f64_e32 v[124:125], v[126:127], v[128:129]
	v_add_f64 v[122:123], v[122:123], -v[124:125]
	buffer_store_dword v123, off, s[0:3], 0 offset:188
	buffer_store_dword v122, off, s[0:3], 0 offset:184
	s_and_saveexec_b64 s[4:5], vcc
	s_cbranch_execz .LBB59_323
; %bb.322:
	buffer_load_dword v122, off, s[0:3], 0 offset:176
	buffer_load_dword v123, off, s[0:3], 0 offset:180
	v_mov_b32_e32 v124, 0
	buffer_store_dword v124, off, s[0:3], 0 offset:176
	buffer_store_dword v124, off, s[0:3], 0 offset:180
	s_waitcnt vmcnt(2)
	ds_write_b64 v1, v[122:123]
.LBB59_323:
	s_or_b64 exec, exec, s[4:5]
	s_waitcnt lgkmcnt(0)
	; wave barrier
	s_waitcnt lgkmcnt(0)
	buffer_load_dword v122, off, s[0:3], 0 offset:176
	buffer_load_dword v123, off, s[0:3], 0 offset:180
	;; [unrolled: 1-line block ×16, first 2 shown]
	v_mov_b32_e32 v126, 0
	ds_read2_b64 v[128:131], v126 offset0:83 offset1:84
	v_cmp_lt_u32_e32 vcc, 21, v0
	s_waitcnt vmcnt(12) lgkmcnt(0)
	v_fma_f64 v[124:125], v[124:125], v[128:129], 0
	s_waitcnt vmcnt(10)
	v_fmac_f64_e32 v[124:125], v[132:133], v[130:131]
	ds_read2_b64 v[128:131], v126 offset0:85 offset1:86
	s_waitcnt vmcnt(8) lgkmcnt(0)
	v_fmac_f64_e32 v[124:125], v[134:135], v[128:129]
	s_waitcnt vmcnt(6)
	v_fmac_f64_e32 v[124:125], v[136:137], v[130:131]
	ds_read2_b64 v[128:131], v126 offset0:87 offset1:88
	s_waitcnt vmcnt(4) lgkmcnt(0)
	v_fmac_f64_e32 v[124:125], v[138:139], v[128:129]
	;; [unrolled: 5-line block ×3, first 2 shown]
	buffer_load_dword v129, off, s[0:3], 0 offset:244
	buffer_load_dword v128, off, s[0:3], 0 offset:240
	buffer_load_dword v133, off, s[0:3], 0 offset:252
	buffer_load_dword v132, off, s[0:3], 0 offset:248
	s_waitcnt vmcnt(2)
	v_fmac_f64_e32 v[124:125], v[128:129], v[130:131]
	ds_read2_b64 v[128:131], v126 offset0:91 offset1:92
	s_waitcnt vmcnt(0) lgkmcnt(0)
	v_fmac_f64_e32 v[124:125], v[132:133], v[128:129]
	buffer_load_dword v129, off, s[0:3], 0 offset:260
	buffer_load_dword v128, off, s[0:3], 0 offset:256
	buffer_load_dword v133, off, s[0:3], 0 offset:268
	buffer_load_dword v132, off, s[0:3], 0 offset:264
	s_waitcnt vmcnt(2)
	v_fmac_f64_e32 v[124:125], v[128:129], v[130:131]
	ds_read2_b64 v[128:131], v126 offset0:93 offset1:94
	s_waitcnt vmcnt(0) lgkmcnt(0)
	v_fmac_f64_e32 v[124:125], v[132:133], v[128:129]
	;; [unrolled: 9-line block ×14, first 2 shown]
	buffer_load_dword v129, off, s[0:3], 0 offset:468
	buffer_load_dword v128, off, s[0:3], 0 offset:464
	s_waitcnt vmcnt(0)
	v_fmac_f64_e32 v[124:125], v[128:129], v[130:131]
	buffer_load_dword v129, off, s[0:3], 0 offset:476
	buffer_load_dword v128, off, s[0:3], 0 offset:472
	ds_read_b64 v[130:131], v126 offset:952
	s_waitcnt vmcnt(0) lgkmcnt(0)
	v_fmac_f64_e32 v[124:125], v[128:129], v[130:131]
	v_add_f64 v[122:123], v[122:123], -v[124:125]
	buffer_store_dword v123, off, s[0:3], 0 offset:180
	buffer_store_dword v122, off, s[0:3], 0 offset:176
	s_and_saveexec_b64 s[4:5], vcc
	s_cbranch_execz .LBB59_325
; %bb.324:
	buffer_load_dword v122, off, s[0:3], 0 offset:168
	buffer_load_dword v123, off, s[0:3], 0 offset:172
	s_waitcnt vmcnt(0)
	ds_write_b64 v1, v[122:123]
	buffer_store_dword v126, off, s[0:3], 0 offset:168
	buffer_store_dword v126, off, s[0:3], 0 offset:172
.LBB59_325:
	s_or_b64 exec, exec, s[4:5]
	s_waitcnt lgkmcnt(0)
	; wave barrier
	s_waitcnt lgkmcnt(0)
	buffer_load_dword v122, off, s[0:3], 0 offset:168
	buffer_load_dword v123, off, s[0:3], 0 offset:172
	;; [unrolled: 1-line block ×16, first 2 shown]
	ds_read_b128 v[128:131], v126 offset:656
	ds_read_b128 v[132:135], v126 offset:672
	ds_read_b128 v[136:139], v126 offset:688
	ds_read_b128 v[140:143], v126 offset:704
	v_cmp_lt_u32_e32 vcc, 20, v0
	s_waitcnt vmcnt(12) lgkmcnt(3)
	v_fma_f64 v[124:125], v[124:125], v[128:129], 0
	buffer_load_dword v129, off, s[0:3], 0 offset:236
	buffer_load_dword v128, off, s[0:3], 0 offset:232
	s_waitcnt vmcnt(12)
	v_fmac_f64_e32 v[124:125], v[144:145], v[130:131]
	s_waitcnt vmcnt(10) lgkmcnt(2)
	v_fmac_f64_e32 v[124:125], v[146:147], v[132:133]
	buffer_load_dword v133, off, s[0:3], 0 offset:244
	buffer_load_dword v132, off, s[0:3], 0 offset:240
	s_waitcnt vmcnt(10)
	v_fmac_f64_e32 v[124:125], v[148:149], v[134:135]
	s_waitcnt vmcnt(8) lgkmcnt(1)
	v_fmac_f64_e32 v[124:125], v[150:151], v[136:137]
	s_waitcnt vmcnt(6)
	v_fmac_f64_e32 v[124:125], v[152:153], v[138:139]
	s_waitcnt vmcnt(4) lgkmcnt(0)
	v_fmac_f64_e32 v[124:125], v[154:155], v[140:141]
	s_waitcnt vmcnt(2)
	v_fmac_f64_e32 v[124:125], v[128:129], v[142:143]
	ds_read_b128 v[128:131], v126 offset:720
	s_waitcnt vmcnt(0) lgkmcnt(0)
	v_fmac_f64_e32 v[124:125], v[132:133], v[128:129]
	buffer_load_dword v129, off, s[0:3], 0 offset:252
	buffer_load_dword v128, off, s[0:3], 0 offset:248
	buffer_load_dword v133, off, s[0:3], 0 offset:260
	buffer_load_dword v132, off, s[0:3], 0 offset:256
	s_waitcnt vmcnt(2)
	v_fmac_f64_e32 v[124:125], v[128:129], v[130:131]
	ds_read_b128 v[128:131], v126 offset:736
	s_waitcnt vmcnt(0) lgkmcnt(0)
	v_fmac_f64_e32 v[124:125], v[132:133], v[128:129]
	buffer_load_dword v129, off, s[0:3], 0 offset:268
	buffer_load_dword v128, off, s[0:3], 0 offset:264
	buffer_load_dword v133, off, s[0:3], 0 offset:276
	buffer_load_dword v132, off, s[0:3], 0 offset:272
	;; [unrolled: 9-line block ×13, first 2 shown]
	s_waitcnt vmcnt(2)
	v_fmac_f64_e32 v[124:125], v[128:129], v[130:131]
	ds_read_b128 v[128:131], v126 offset:928
	s_waitcnt vmcnt(0) lgkmcnt(0)
	v_fmac_f64_e32 v[124:125], v[132:133], v[128:129]
	buffer_load_dword v129, off, s[0:3], 0 offset:460
	buffer_load_dword v128, off, s[0:3], 0 offset:456
	s_waitcnt vmcnt(0)
	v_fmac_f64_e32 v[124:125], v[128:129], v[130:131]
	buffer_load_dword v131, off, s[0:3], 0 offset:468
	buffer_load_dword v130, off, s[0:3], 0 offset:464
	ds_read_b128 v[126:129], v126 offset:944
	s_waitcnt vmcnt(0) lgkmcnt(0)
	v_fmac_f64_e32 v[124:125], v[130:131], v[126:127]
	buffer_load_dword v127, off, s[0:3], 0 offset:476
	buffer_load_dword v126, off, s[0:3], 0 offset:472
	s_waitcnt vmcnt(0)
	v_fmac_f64_e32 v[124:125], v[126:127], v[128:129]
	v_add_f64 v[122:123], v[122:123], -v[124:125]
	buffer_store_dword v123, off, s[0:3], 0 offset:172
	buffer_store_dword v122, off, s[0:3], 0 offset:168
	s_and_saveexec_b64 s[4:5], vcc
	s_cbranch_execz .LBB59_327
; %bb.326:
	buffer_load_dword v122, off, s[0:3], 0 offset:160
	buffer_load_dword v123, off, s[0:3], 0 offset:164
	v_mov_b32_e32 v124, 0
	buffer_store_dword v124, off, s[0:3], 0 offset:160
	buffer_store_dword v124, off, s[0:3], 0 offset:164
	s_waitcnt vmcnt(2)
	ds_write_b64 v1, v[122:123]
.LBB59_327:
	s_or_b64 exec, exec, s[4:5]
	s_waitcnt lgkmcnt(0)
	; wave barrier
	s_waitcnt lgkmcnt(0)
	buffer_load_dword v122, off, s[0:3], 0 offset:160
	buffer_load_dword v123, off, s[0:3], 0 offset:164
	;; [unrolled: 1-line block ×16, first 2 shown]
	v_mov_b32_e32 v126, 0
	ds_read2_b64 v[128:131], v126 offset0:81 offset1:82
	v_cmp_lt_u32_e32 vcc, 19, v0
	s_waitcnt vmcnt(12) lgkmcnt(0)
	v_fma_f64 v[124:125], v[124:125], v[128:129], 0
	s_waitcnt vmcnt(10)
	v_fmac_f64_e32 v[124:125], v[132:133], v[130:131]
	ds_read2_b64 v[128:131], v126 offset0:83 offset1:84
	s_waitcnt vmcnt(8) lgkmcnt(0)
	v_fmac_f64_e32 v[124:125], v[134:135], v[128:129]
	s_waitcnt vmcnt(6)
	v_fmac_f64_e32 v[124:125], v[136:137], v[130:131]
	ds_read2_b64 v[128:131], v126 offset0:85 offset1:86
	s_waitcnt vmcnt(4) lgkmcnt(0)
	v_fmac_f64_e32 v[124:125], v[138:139], v[128:129]
	;; [unrolled: 5-line block ×3, first 2 shown]
	buffer_load_dword v129, off, s[0:3], 0 offset:228
	buffer_load_dword v128, off, s[0:3], 0 offset:224
	buffer_load_dword v133, off, s[0:3], 0 offset:236
	buffer_load_dword v132, off, s[0:3], 0 offset:232
	s_waitcnt vmcnt(2)
	v_fmac_f64_e32 v[124:125], v[128:129], v[130:131]
	ds_read2_b64 v[128:131], v126 offset0:89 offset1:90
	s_waitcnt vmcnt(0) lgkmcnt(0)
	v_fmac_f64_e32 v[124:125], v[132:133], v[128:129]
	buffer_load_dword v129, off, s[0:3], 0 offset:244
	buffer_load_dword v128, off, s[0:3], 0 offset:240
	buffer_load_dword v133, off, s[0:3], 0 offset:252
	buffer_load_dword v132, off, s[0:3], 0 offset:248
	s_waitcnt vmcnt(2)
	v_fmac_f64_e32 v[124:125], v[128:129], v[130:131]
	ds_read2_b64 v[128:131], v126 offset0:91 offset1:92
	s_waitcnt vmcnt(0) lgkmcnt(0)
	v_fmac_f64_e32 v[124:125], v[132:133], v[128:129]
	buffer_load_dword v129, off, s[0:3], 0 offset:260
	buffer_load_dword v128, off, s[0:3], 0 offset:256
	buffer_load_dword v133, off, s[0:3], 0 offset:268
	buffer_load_dword v132, off, s[0:3], 0 offset:264
	s_waitcnt vmcnt(2)
	v_fmac_f64_e32 v[124:125], v[128:129], v[130:131]
	ds_read2_b64 v[128:131], v126 offset0:93 offset1:94
	s_waitcnt vmcnt(0) lgkmcnt(0)
	v_fmac_f64_e32 v[124:125], v[132:133], v[128:129]
	buffer_load_dword v129, off, s[0:3], 0 offset:276
	buffer_load_dword v128, off, s[0:3], 0 offset:272
	buffer_load_dword v133, off, s[0:3], 0 offset:284
	buffer_load_dword v132, off, s[0:3], 0 offset:280
	s_waitcnt vmcnt(2)
	v_fmac_f64_e32 v[124:125], v[128:129], v[130:131]
	ds_read2_b64 v[128:131], v126 offset0:95 offset1:96
	s_waitcnt vmcnt(0) lgkmcnt(0)
	v_fmac_f64_e32 v[124:125], v[132:133], v[128:129]
	buffer_load_dword v129, off, s[0:3], 0 offset:292
	buffer_load_dword v128, off, s[0:3], 0 offset:288
	buffer_load_dword v133, off, s[0:3], 0 offset:300
	buffer_load_dword v132, off, s[0:3], 0 offset:296
	s_waitcnt vmcnt(2)
	v_fmac_f64_e32 v[124:125], v[128:129], v[130:131]
	ds_read2_b64 v[128:131], v126 offset0:97 offset1:98
	s_waitcnt vmcnt(0) lgkmcnt(0)
	v_fmac_f64_e32 v[124:125], v[132:133], v[128:129]
	buffer_load_dword v129, off, s[0:3], 0 offset:308
	buffer_load_dword v128, off, s[0:3], 0 offset:304
	buffer_load_dword v133, off, s[0:3], 0 offset:316
	buffer_load_dword v132, off, s[0:3], 0 offset:312
	s_waitcnt vmcnt(2)
	v_fmac_f64_e32 v[124:125], v[128:129], v[130:131]
	ds_read2_b64 v[128:131], v126 offset0:99 offset1:100
	s_waitcnt vmcnt(0) lgkmcnt(0)
	v_fmac_f64_e32 v[124:125], v[132:133], v[128:129]
	buffer_load_dword v129, off, s[0:3], 0 offset:324
	buffer_load_dword v128, off, s[0:3], 0 offset:320
	buffer_load_dword v133, off, s[0:3], 0 offset:332
	buffer_load_dword v132, off, s[0:3], 0 offset:328
	s_waitcnt vmcnt(2)
	v_fmac_f64_e32 v[124:125], v[128:129], v[130:131]
	ds_read2_b64 v[128:131], v126 offset0:101 offset1:102
	s_waitcnt vmcnt(0) lgkmcnt(0)
	v_fmac_f64_e32 v[124:125], v[132:133], v[128:129]
	buffer_load_dword v129, off, s[0:3], 0 offset:340
	buffer_load_dword v128, off, s[0:3], 0 offset:336
	buffer_load_dword v133, off, s[0:3], 0 offset:348
	buffer_load_dword v132, off, s[0:3], 0 offset:344
	s_waitcnt vmcnt(2)
	v_fmac_f64_e32 v[124:125], v[128:129], v[130:131]
	ds_read2_b64 v[128:131], v126 offset0:103 offset1:104
	s_waitcnt vmcnt(0) lgkmcnt(0)
	v_fmac_f64_e32 v[124:125], v[132:133], v[128:129]
	buffer_load_dword v129, off, s[0:3], 0 offset:356
	buffer_load_dword v128, off, s[0:3], 0 offset:352
	buffer_load_dword v133, off, s[0:3], 0 offset:364
	buffer_load_dword v132, off, s[0:3], 0 offset:360
	s_waitcnt vmcnt(2)
	v_fmac_f64_e32 v[124:125], v[128:129], v[130:131]
	ds_read2_b64 v[128:131], v126 offset0:105 offset1:106
	s_waitcnt vmcnt(0) lgkmcnt(0)
	v_fmac_f64_e32 v[124:125], v[132:133], v[128:129]
	buffer_load_dword v129, off, s[0:3], 0 offset:372
	buffer_load_dword v128, off, s[0:3], 0 offset:368
	buffer_load_dword v133, off, s[0:3], 0 offset:380
	buffer_load_dword v132, off, s[0:3], 0 offset:376
	s_waitcnt vmcnt(2)
	v_fmac_f64_e32 v[124:125], v[128:129], v[130:131]
	ds_read2_b64 v[128:131], v126 offset0:107 offset1:108
	s_waitcnt vmcnt(0) lgkmcnt(0)
	v_fmac_f64_e32 v[124:125], v[132:133], v[128:129]
	buffer_load_dword v129, off, s[0:3], 0 offset:388
	buffer_load_dword v128, off, s[0:3], 0 offset:384
	buffer_load_dword v133, off, s[0:3], 0 offset:396
	buffer_load_dword v132, off, s[0:3], 0 offset:392
	s_waitcnt vmcnt(2)
	v_fmac_f64_e32 v[124:125], v[128:129], v[130:131]
	ds_read2_b64 v[128:131], v126 offset0:109 offset1:110
	s_waitcnt vmcnt(0) lgkmcnt(0)
	v_fmac_f64_e32 v[124:125], v[132:133], v[128:129]
	buffer_load_dword v129, off, s[0:3], 0 offset:404
	buffer_load_dword v128, off, s[0:3], 0 offset:400
	buffer_load_dword v133, off, s[0:3], 0 offset:412
	buffer_load_dword v132, off, s[0:3], 0 offset:408
	s_waitcnt vmcnt(2)
	v_fmac_f64_e32 v[124:125], v[128:129], v[130:131]
	ds_read2_b64 v[128:131], v126 offset0:111 offset1:112
	s_waitcnt vmcnt(0) lgkmcnt(0)
	v_fmac_f64_e32 v[124:125], v[132:133], v[128:129]
	buffer_load_dword v129, off, s[0:3], 0 offset:420
	buffer_load_dword v128, off, s[0:3], 0 offset:416
	buffer_load_dword v133, off, s[0:3], 0 offset:428
	buffer_load_dword v132, off, s[0:3], 0 offset:424
	s_waitcnt vmcnt(2)
	v_fmac_f64_e32 v[124:125], v[128:129], v[130:131]
	ds_read2_b64 v[128:131], v126 offset0:113 offset1:114
	s_waitcnt vmcnt(0) lgkmcnt(0)
	v_fmac_f64_e32 v[124:125], v[132:133], v[128:129]
	buffer_load_dword v129, off, s[0:3], 0 offset:436
	buffer_load_dword v128, off, s[0:3], 0 offset:432
	buffer_load_dword v133, off, s[0:3], 0 offset:444
	buffer_load_dword v132, off, s[0:3], 0 offset:440
	s_waitcnt vmcnt(2)
	v_fmac_f64_e32 v[124:125], v[128:129], v[130:131]
	ds_read2_b64 v[128:131], v126 offset0:115 offset1:116
	s_waitcnt vmcnt(0) lgkmcnt(0)
	v_fmac_f64_e32 v[124:125], v[132:133], v[128:129]
	buffer_load_dword v129, off, s[0:3], 0 offset:452
	buffer_load_dword v128, off, s[0:3], 0 offset:448
	buffer_load_dword v133, off, s[0:3], 0 offset:460
	buffer_load_dword v132, off, s[0:3], 0 offset:456
	s_waitcnt vmcnt(2)
	v_fmac_f64_e32 v[124:125], v[128:129], v[130:131]
	ds_read2_b64 v[128:131], v126 offset0:117 offset1:118
	s_waitcnt vmcnt(0) lgkmcnt(0)
	v_fmac_f64_e32 v[124:125], v[132:133], v[128:129]
	buffer_load_dword v129, off, s[0:3], 0 offset:468
	buffer_load_dword v128, off, s[0:3], 0 offset:464
	s_waitcnt vmcnt(0)
	v_fmac_f64_e32 v[124:125], v[128:129], v[130:131]
	buffer_load_dword v129, off, s[0:3], 0 offset:476
	buffer_load_dword v128, off, s[0:3], 0 offset:472
	ds_read_b64 v[130:131], v126 offset:952
	s_waitcnt vmcnt(0) lgkmcnt(0)
	v_fmac_f64_e32 v[124:125], v[128:129], v[130:131]
	v_add_f64 v[122:123], v[122:123], -v[124:125]
	buffer_store_dword v123, off, s[0:3], 0 offset:164
	buffer_store_dword v122, off, s[0:3], 0 offset:160
	s_and_saveexec_b64 s[4:5], vcc
	s_cbranch_execz .LBB59_329
; %bb.328:
	buffer_load_dword v122, off, s[0:3], 0 offset:152
	buffer_load_dword v123, off, s[0:3], 0 offset:156
	s_waitcnt vmcnt(0)
	ds_write_b64 v1, v[122:123]
	buffer_store_dword v126, off, s[0:3], 0 offset:152
	buffer_store_dword v126, off, s[0:3], 0 offset:156
.LBB59_329:
	s_or_b64 exec, exec, s[4:5]
	s_waitcnt lgkmcnt(0)
	; wave barrier
	s_waitcnt lgkmcnt(0)
	buffer_load_dword v122, off, s[0:3], 0 offset:152
	buffer_load_dword v123, off, s[0:3], 0 offset:156
	;; [unrolled: 1-line block ×16, first 2 shown]
	ds_read_b128 v[128:131], v126 offset:640
	ds_read_b128 v[132:135], v126 offset:656
	;; [unrolled: 1-line block ×4, first 2 shown]
	v_cmp_lt_u32_e32 vcc, 18, v0
	s_waitcnt vmcnt(12) lgkmcnt(3)
	v_fma_f64 v[124:125], v[124:125], v[128:129], 0
	buffer_load_dword v129, off, s[0:3], 0 offset:220
	buffer_load_dword v128, off, s[0:3], 0 offset:216
	s_waitcnt vmcnt(12)
	v_fmac_f64_e32 v[124:125], v[144:145], v[130:131]
	s_waitcnt vmcnt(10) lgkmcnt(2)
	v_fmac_f64_e32 v[124:125], v[146:147], v[132:133]
	buffer_load_dword v133, off, s[0:3], 0 offset:228
	buffer_load_dword v132, off, s[0:3], 0 offset:224
	s_waitcnt vmcnt(10)
	v_fmac_f64_e32 v[124:125], v[148:149], v[134:135]
	s_waitcnt vmcnt(8) lgkmcnt(1)
	v_fmac_f64_e32 v[124:125], v[150:151], v[136:137]
	s_waitcnt vmcnt(6)
	v_fmac_f64_e32 v[124:125], v[152:153], v[138:139]
	s_waitcnt vmcnt(4) lgkmcnt(0)
	v_fmac_f64_e32 v[124:125], v[154:155], v[140:141]
	s_waitcnt vmcnt(2)
	v_fmac_f64_e32 v[124:125], v[128:129], v[142:143]
	ds_read_b128 v[128:131], v126 offset:704
	s_waitcnt vmcnt(0) lgkmcnt(0)
	v_fmac_f64_e32 v[124:125], v[132:133], v[128:129]
	buffer_load_dword v129, off, s[0:3], 0 offset:236
	buffer_load_dword v128, off, s[0:3], 0 offset:232
	buffer_load_dword v133, off, s[0:3], 0 offset:244
	buffer_load_dword v132, off, s[0:3], 0 offset:240
	s_waitcnt vmcnt(2)
	v_fmac_f64_e32 v[124:125], v[128:129], v[130:131]
	ds_read_b128 v[128:131], v126 offset:720
	s_waitcnt vmcnt(0) lgkmcnt(0)
	v_fmac_f64_e32 v[124:125], v[132:133], v[128:129]
	buffer_load_dword v129, off, s[0:3], 0 offset:252
	buffer_load_dword v128, off, s[0:3], 0 offset:248
	buffer_load_dword v133, off, s[0:3], 0 offset:260
	buffer_load_dword v132, off, s[0:3], 0 offset:256
	;; [unrolled: 9-line block ×14, first 2 shown]
	s_waitcnt vmcnt(2)
	v_fmac_f64_e32 v[124:125], v[128:129], v[130:131]
	ds_read_b128 v[128:131], v126 offset:928
	s_waitcnt vmcnt(0) lgkmcnt(0)
	v_fmac_f64_e32 v[124:125], v[132:133], v[128:129]
	buffer_load_dword v129, off, s[0:3], 0 offset:460
	buffer_load_dword v128, off, s[0:3], 0 offset:456
	s_waitcnt vmcnt(0)
	v_fmac_f64_e32 v[124:125], v[128:129], v[130:131]
	buffer_load_dword v131, off, s[0:3], 0 offset:468
	buffer_load_dword v130, off, s[0:3], 0 offset:464
	ds_read_b128 v[126:129], v126 offset:944
	s_waitcnt vmcnt(0) lgkmcnt(0)
	v_fmac_f64_e32 v[124:125], v[130:131], v[126:127]
	buffer_load_dword v127, off, s[0:3], 0 offset:476
	buffer_load_dword v126, off, s[0:3], 0 offset:472
	s_waitcnt vmcnt(0)
	v_fmac_f64_e32 v[124:125], v[126:127], v[128:129]
	v_add_f64 v[122:123], v[122:123], -v[124:125]
	buffer_store_dword v123, off, s[0:3], 0 offset:156
	buffer_store_dword v122, off, s[0:3], 0 offset:152
	s_and_saveexec_b64 s[4:5], vcc
	s_cbranch_execz .LBB59_331
; %bb.330:
	buffer_load_dword v122, off, s[0:3], 0 offset:144
	buffer_load_dword v123, off, s[0:3], 0 offset:148
	v_mov_b32_e32 v124, 0
	buffer_store_dword v124, off, s[0:3], 0 offset:144
	buffer_store_dword v124, off, s[0:3], 0 offset:148
	s_waitcnt vmcnt(2)
	ds_write_b64 v1, v[122:123]
.LBB59_331:
	s_or_b64 exec, exec, s[4:5]
	s_waitcnt lgkmcnt(0)
	; wave barrier
	s_waitcnt lgkmcnt(0)
	buffer_load_dword v122, off, s[0:3], 0 offset:144
	buffer_load_dword v123, off, s[0:3], 0 offset:148
	;; [unrolled: 1-line block ×16, first 2 shown]
	v_mov_b32_e32 v126, 0
	ds_read2_b64 v[128:131], v126 offset0:79 offset1:80
	v_cmp_lt_u32_e32 vcc, 17, v0
	s_waitcnt vmcnt(12) lgkmcnt(0)
	v_fma_f64 v[124:125], v[124:125], v[128:129], 0
	s_waitcnt vmcnt(10)
	v_fmac_f64_e32 v[124:125], v[132:133], v[130:131]
	ds_read2_b64 v[128:131], v126 offset0:81 offset1:82
	s_waitcnt vmcnt(8) lgkmcnt(0)
	v_fmac_f64_e32 v[124:125], v[134:135], v[128:129]
	s_waitcnt vmcnt(6)
	v_fmac_f64_e32 v[124:125], v[136:137], v[130:131]
	ds_read2_b64 v[128:131], v126 offset0:83 offset1:84
	s_waitcnt vmcnt(4) lgkmcnt(0)
	v_fmac_f64_e32 v[124:125], v[138:139], v[128:129]
	;; [unrolled: 5-line block ×3, first 2 shown]
	buffer_load_dword v129, off, s[0:3], 0 offset:212
	buffer_load_dword v128, off, s[0:3], 0 offset:208
	buffer_load_dword v133, off, s[0:3], 0 offset:220
	buffer_load_dword v132, off, s[0:3], 0 offset:216
	s_waitcnt vmcnt(2)
	v_fmac_f64_e32 v[124:125], v[128:129], v[130:131]
	ds_read2_b64 v[128:131], v126 offset0:87 offset1:88
	s_waitcnt vmcnt(0) lgkmcnt(0)
	v_fmac_f64_e32 v[124:125], v[132:133], v[128:129]
	buffer_load_dword v129, off, s[0:3], 0 offset:228
	buffer_load_dword v128, off, s[0:3], 0 offset:224
	buffer_load_dword v133, off, s[0:3], 0 offset:236
	buffer_load_dword v132, off, s[0:3], 0 offset:232
	s_waitcnt vmcnt(2)
	v_fmac_f64_e32 v[124:125], v[128:129], v[130:131]
	ds_read2_b64 v[128:131], v126 offset0:89 offset1:90
	s_waitcnt vmcnt(0) lgkmcnt(0)
	v_fmac_f64_e32 v[124:125], v[132:133], v[128:129]
	;; [unrolled: 9-line block ×16, first 2 shown]
	buffer_load_dword v129, off, s[0:3], 0 offset:468
	buffer_load_dword v128, off, s[0:3], 0 offset:464
	s_waitcnt vmcnt(0)
	v_fmac_f64_e32 v[124:125], v[128:129], v[130:131]
	buffer_load_dword v129, off, s[0:3], 0 offset:476
	buffer_load_dword v128, off, s[0:3], 0 offset:472
	ds_read_b64 v[130:131], v126 offset:952
	s_waitcnt vmcnt(0) lgkmcnt(0)
	v_fmac_f64_e32 v[124:125], v[128:129], v[130:131]
	v_add_f64 v[122:123], v[122:123], -v[124:125]
	buffer_store_dword v123, off, s[0:3], 0 offset:148
	buffer_store_dword v122, off, s[0:3], 0 offset:144
	s_and_saveexec_b64 s[4:5], vcc
	s_cbranch_execz .LBB59_333
; %bb.332:
	buffer_load_dword v122, off, s[0:3], 0 offset:136
	buffer_load_dword v123, off, s[0:3], 0 offset:140
	s_waitcnt vmcnt(0)
	ds_write_b64 v1, v[122:123]
	buffer_store_dword v126, off, s[0:3], 0 offset:136
	buffer_store_dword v126, off, s[0:3], 0 offset:140
.LBB59_333:
	s_or_b64 exec, exec, s[4:5]
	s_waitcnt lgkmcnt(0)
	; wave barrier
	s_waitcnt lgkmcnt(0)
	buffer_load_dword v122, off, s[0:3], 0 offset:136
	buffer_load_dword v123, off, s[0:3], 0 offset:140
	;; [unrolled: 1-line block ×16, first 2 shown]
	ds_read_b128 v[128:131], v126 offset:624
	ds_read_b128 v[132:135], v126 offset:640
	;; [unrolled: 1-line block ×4, first 2 shown]
	v_cmp_lt_u32_e32 vcc, 16, v0
	s_waitcnt vmcnt(12) lgkmcnt(3)
	v_fma_f64 v[124:125], v[124:125], v[128:129], 0
	buffer_load_dword v129, off, s[0:3], 0 offset:204
	buffer_load_dword v128, off, s[0:3], 0 offset:200
	s_waitcnt vmcnt(12)
	v_fmac_f64_e32 v[124:125], v[144:145], v[130:131]
	s_waitcnt vmcnt(10) lgkmcnt(2)
	v_fmac_f64_e32 v[124:125], v[146:147], v[132:133]
	buffer_load_dword v133, off, s[0:3], 0 offset:212
	buffer_load_dword v132, off, s[0:3], 0 offset:208
	s_waitcnt vmcnt(10)
	v_fmac_f64_e32 v[124:125], v[148:149], v[134:135]
	s_waitcnt vmcnt(8) lgkmcnt(1)
	v_fmac_f64_e32 v[124:125], v[150:151], v[136:137]
	s_waitcnt vmcnt(6)
	v_fmac_f64_e32 v[124:125], v[152:153], v[138:139]
	s_waitcnt vmcnt(4) lgkmcnt(0)
	v_fmac_f64_e32 v[124:125], v[154:155], v[140:141]
	s_waitcnt vmcnt(2)
	v_fmac_f64_e32 v[124:125], v[128:129], v[142:143]
	ds_read_b128 v[128:131], v126 offset:688
	s_waitcnt vmcnt(0) lgkmcnt(0)
	v_fmac_f64_e32 v[124:125], v[132:133], v[128:129]
	buffer_load_dword v129, off, s[0:3], 0 offset:220
	buffer_load_dword v128, off, s[0:3], 0 offset:216
	buffer_load_dword v133, off, s[0:3], 0 offset:228
	buffer_load_dword v132, off, s[0:3], 0 offset:224
	s_waitcnt vmcnt(2)
	v_fmac_f64_e32 v[124:125], v[128:129], v[130:131]
	ds_read_b128 v[128:131], v126 offset:704
	s_waitcnt vmcnt(0) lgkmcnt(0)
	v_fmac_f64_e32 v[124:125], v[132:133], v[128:129]
	buffer_load_dword v129, off, s[0:3], 0 offset:236
	buffer_load_dword v128, off, s[0:3], 0 offset:232
	buffer_load_dword v133, off, s[0:3], 0 offset:244
	buffer_load_dword v132, off, s[0:3], 0 offset:240
	;; [unrolled: 9-line block ×15, first 2 shown]
	s_waitcnt vmcnt(2)
	v_fmac_f64_e32 v[124:125], v[128:129], v[130:131]
	ds_read_b128 v[128:131], v126 offset:928
	s_waitcnt vmcnt(0) lgkmcnt(0)
	v_fmac_f64_e32 v[124:125], v[132:133], v[128:129]
	buffer_load_dword v129, off, s[0:3], 0 offset:460
	buffer_load_dword v128, off, s[0:3], 0 offset:456
	s_waitcnt vmcnt(0)
	v_fmac_f64_e32 v[124:125], v[128:129], v[130:131]
	buffer_load_dword v131, off, s[0:3], 0 offset:468
	buffer_load_dword v130, off, s[0:3], 0 offset:464
	ds_read_b128 v[126:129], v126 offset:944
	s_waitcnt vmcnt(0) lgkmcnt(0)
	v_fmac_f64_e32 v[124:125], v[130:131], v[126:127]
	buffer_load_dword v127, off, s[0:3], 0 offset:476
	buffer_load_dword v126, off, s[0:3], 0 offset:472
	s_waitcnt vmcnt(0)
	v_fmac_f64_e32 v[124:125], v[126:127], v[128:129]
	v_add_f64 v[122:123], v[122:123], -v[124:125]
	buffer_store_dword v123, off, s[0:3], 0 offset:140
	buffer_store_dword v122, off, s[0:3], 0 offset:136
	s_and_saveexec_b64 s[4:5], vcc
	s_cbranch_execz .LBB59_335
; %bb.334:
	buffer_load_dword v122, off, s[0:3], 0 offset:128
	buffer_load_dword v123, off, s[0:3], 0 offset:132
	v_mov_b32_e32 v124, 0
	buffer_store_dword v124, off, s[0:3], 0 offset:128
	buffer_store_dword v124, off, s[0:3], 0 offset:132
	s_waitcnt vmcnt(2)
	ds_write_b64 v1, v[122:123]
.LBB59_335:
	s_or_b64 exec, exec, s[4:5]
	s_waitcnt lgkmcnt(0)
	; wave barrier
	s_waitcnt lgkmcnt(0)
	buffer_load_dword v122, off, s[0:3], 0 offset:128
	buffer_load_dword v123, off, s[0:3], 0 offset:132
	;; [unrolled: 1-line block ×16, first 2 shown]
	v_mov_b32_e32 v126, 0
	ds_read2_b64 v[128:131], v126 offset0:77 offset1:78
	v_cmp_lt_u32_e32 vcc, 15, v0
	s_waitcnt vmcnt(12) lgkmcnt(0)
	v_fma_f64 v[124:125], v[124:125], v[128:129], 0
	s_waitcnt vmcnt(10)
	v_fmac_f64_e32 v[124:125], v[132:133], v[130:131]
	ds_read2_b64 v[128:131], v126 offset0:79 offset1:80
	s_waitcnt vmcnt(8) lgkmcnt(0)
	v_fmac_f64_e32 v[124:125], v[134:135], v[128:129]
	s_waitcnt vmcnt(6)
	v_fmac_f64_e32 v[124:125], v[136:137], v[130:131]
	ds_read2_b64 v[128:131], v126 offset0:81 offset1:82
	s_waitcnt vmcnt(4) lgkmcnt(0)
	v_fmac_f64_e32 v[124:125], v[138:139], v[128:129]
	s_waitcnt vmcnt(2)
	v_fmac_f64_e32 v[124:125], v[140:141], v[130:131]
	ds_read2_b64 v[128:131], v126 offset0:83 offset1:84
	s_waitcnt vmcnt(0) lgkmcnt(0)
	v_fmac_f64_e32 v[124:125], v[142:143], v[128:129]
	buffer_load_dword v129, off, s[0:3], 0 offset:196
	buffer_load_dword v128, off, s[0:3], 0 offset:192
	buffer_load_dword v133, off, s[0:3], 0 offset:204
	buffer_load_dword v132, off, s[0:3], 0 offset:200
	s_waitcnt vmcnt(2)
	v_fmac_f64_e32 v[124:125], v[128:129], v[130:131]
	ds_read2_b64 v[128:131], v126 offset0:85 offset1:86
	s_waitcnt vmcnt(0) lgkmcnt(0)
	v_fmac_f64_e32 v[124:125], v[132:133], v[128:129]
	buffer_load_dword v129, off, s[0:3], 0 offset:212
	buffer_load_dword v128, off, s[0:3], 0 offset:208
	buffer_load_dword v133, off, s[0:3], 0 offset:220
	buffer_load_dword v132, off, s[0:3], 0 offset:216
	s_waitcnt vmcnt(2)
	v_fmac_f64_e32 v[124:125], v[128:129], v[130:131]
	ds_read2_b64 v[128:131], v126 offset0:87 offset1:88
	s_waitcnt vmcnt(0) lgkmcnt(0)
	v_fmac_f64_e32 v[124:125], v[132:133], v[128:129]
	;; [unrolled: 9-line block ×17, first 2 shown]
	buffer_load_dword v129, off, s[0:3], 0 offset:468
	buffer_load_dword v128, off, s[0:3], 0 offset:464
	s_waitcnt vmcnt(0)
	v_fmac_f64_e32 v[124:125], v[128:129], v[130:131]
	buffer_load_dword v129, off, s[0:3], 0 offset:476
	buffer_load_dword v128, off, s[0:3], 0 offset:472
	ds_read_b64 v[130:131], v126 offset:952
	s_waitcnt vmcnt(0) lgkmcnt(0)
	v_fmac_f64_e32 v[124:125], v[128:129], v[130:131]
	v_add_f64 v[122:123], v[122:123], -v[124:125]
	buffer_store_dword v123, off, s[0:3], 0 offset:132
	buffer_store_dword v122, off, s[0:3], 0 offset:128
	s_and_saveexec_b64 s[4:5], vcc
	s_cbranch_execz .LBB59_337
; %bb.336:
	buffer_load_dword v122, off, s[0:3], 0 offset:120
	buffer_load_dword v123, off, s[0:3], 0 offset:124
	s_waitcnt vmcnt(0)
	ds_write_b64 v1, v[122:123]
	buffer_store_dword v126, off, s[0:3], 0 offset:120
	buffer_store_dword v126, off, s[0:3], 0 offset:124
.LBB59_337:
	s_or_b64 exec, exec, s[4:5]
	s_waitcnt lgkmcnt(0)
	; wave barrier
	s_waitcnt lgkmcnt(0)
	buffer_load_dword v122, off, s[0:3], 0 offset:120
	buffer_load_dword v123, off, s[0:3], 0 offset:124
	buffer_load_dword v124, off, s[0:3], 0 offset:128
	buffer_load_dword v125, off, s[0:3], 0 offset:132
	buffer_load_dword v144, off, s[0:3], 0 offset:136
	buffer_load_dword v145, off, s[0:3], 0 offset:140
	buffer_load_dword v146, off, s[0:3], 0 offset:144
	buffer_load_dword v147, off, s[0:3], 0 offset:148
	buffer_load_dword v148, off, s[0:3], 0 offset:152
	buffer_load_dword v149, off, s[0:3], 0 offset:156
	buffer_load_dword v150, off, s[0:3], 0 offset:160
	buffer_load_dword v151, off, s[0:3], 0 offset:164
	buffer_load_dword v152, off, s[0:3], 0 offset:168
	buffer_load_dword v153, off, s[0:3], 0 offset:172
	buffer_load_dword v154, off, s[0:3], 0 offset:176
	buffer_load_dword v155, off, s[0:3], 0 offset:180
	ds_read_b128 v[128:131], v126 offset:608
	ds_read_b128 v[132:135], v126 offset:624
	ds_read_b128 v[136:139], v126 offset:640
	ds_read_b128 v[140:143], v126 offset:656
	v_cmp_lt_u32_e32 vcc, 14, v0
	s_waitcnt vmcnt(12) lgkmcnt(3)
	v_fma_f64 v[124:125], v[124:125], v[128:129], 0
	buffer_load_dword v129, off, s[0:3], 0 offset:188
	buffer_load_dword v128, off, s[0:3], 0 offset:184
	s_waitcnt vmcnt(12)
	v_fmac_f64_e32 v[124:125], v[144:145], v[130:131]
	s_waitcnt vmcnt(10) lgkmcnt(2)
	v_fmac_f64_e32 v[124:125], v[146:147], v[132:133]
	buffer_load_dword v133, off, s[0:3], 0 offset:196
	buffer_load_dword v132, off, s[0:3], 0 offset:192
	s_waitcnt vmcnt(10)
	v_fmac_f64_e32 v[124:125], v[148:149], v[134:135]
	s_waitcnt vmcnt(8) lgkmcnt(1)
	v_fmac_f64_e32 v[124:125], v[150:151], v[136:137]
	s_waitcnt vmcnt(6)
	v_fmac_f64_e32 v[124:125], v[152:153], v[138:139]
	s_waitcnt vmcnt(4) lgkmcnt(0)
	v_fmac_f64_e32 v[124:125], v[154:155], v[140:141]
	s_waitcnt vmcnt(2)
	v_fmac_f64_e32 v[124:125], v[128:129], v[142:143]
	ds_read_b128 v[128:131], v126 offset:672
	s_waitcnt vmcnt(0) lgkmcnt(0)
	v_fmac_f64_e32 v[124:125], v[132:133], v[128:129]
	buffer_load_dword v129, off, s[0:3], 0 offset:204
	buffer_load_dword v128, off, s[0:3], 0 offset:200
	buffer_load_dword v133, off, s[0:3], 0 offset:212
	buffer_load_dword v132, off, s[0:3], 0 offset:208
	s_waitcnt vmcnt(2)
	v_fmac_f64_e32 v[124:125], v[128:129], v[130:131]
	ds_read_b128 v[128:131], v126 offset:688
	s_waitcnt vmcnt(0) lgkmcnt(0)
	v_fmac_f64_e32 v[124:125], v[132:133], v[128:129]
	buffer_load_dword v129, off, s[0:3], 0 offset:220
	buffer_load_dword v128, off, s[0:3], 0 offset:216
	buffer_load_dword v133, off, s[0:3], 0 offset:228
	buffer_load_dword v132, off, s[0:3], 0 offset:224
	;; [unrolled: 9-line block ×16, first 2 shown]
	s_waitcnt vmcnt(2)
	v_fmac_f64_e32 v[124:125], v[128:129], v[130:131]
	ds_read_b128 v[128:131], v126 offset:928
	s_waitcnt vmcnt(0) lgkmcnt(0)
	v_fmac_f64_e32 v[124:125], v[132:133], v[128:129]
	buffer_load_dword v129, off, s[0:3], 0 offset:460
	buffer_load_dword v128, off, s[0:3], 0 offset:456
	s_waitcnt vmcnt(0)
	v_fmac_f64_e32 v[124:125], v[128:129], v[130:131]
	buffer_load_dword v131, off, s[0:3], 0 offset:468
	buffer_load_dword v130, off, s[0:3], 0 offset:464
	ds_read_b128 v[126:129], v126 offset:944
	s_waitcnt vmcnt(0) lgkmcnt(0)
	v_fmac_f64_e32 v[124:125], v[130:131], v[126:127]
	buffer_load_dword v127, off, s[0:3], 0 offset:476
	buffer_load_dword v126, off, s[0:3], 0 offset:472
	s_waitcnt vmcnt(0)
	v_fmac_f64_e32 v[124:125], v[126:127], v[128:129]
	v_add_f64 v[122:123], v[122:123], -v[124:125]
	buffer_store_dword v123, off, s[0:3], 0 offset:124
	buffer_store_dword v122, off, s[0:3], 0 offset:120
	s_and_saveexec_b64 s[4:5], vcc
	s_cbranch_execz .LBB59_339
; %bb.338:
	buffer_load_dword v122, off, s[0:3], 0 offset:112
	buffer_load_dword v123, off, s[0:3], 0 offset:116
	v_mov_b32_e32 v124, 0
	buffer_store_dword v124, off, s[0:3], 0 offset:112
	buffer_store_dword v124, off, s[0:3], 0 offset:116
	s_waitcnt vmcnt(2)
	ds_write_b64 v1, v[122:123]
.LBB59_339:
	s_or_b64 exec, exec, s[4:5]
	s_waitcnt lgkmcnt(0)
	; wave barrier
	s_waitcnt lgkmcnt(0)
	buffer_load_dword v122, off, s[0:3], 0 offset:112
	buffer_load_dword v123, off, s[0:3], 0 offset:116
	;; [unrolled: 1-line block ×16, first 2 shown]
	v_mov_b32_e32 v126, 0
	ds_read2_b64 v[128:131], v126 offset0:75 offset1:76
	v_cmp_lt_u32_e32 vcc, 13, v0
	s_waitcnt vmcnt(12) lgkmcnt(0)
	v_fma_f64 v[124:125], v[124:125], v[128:129], 0
	s_waitcnt vmcnt(10)
	v_fmac_f64_e32 v[124:125], v[132:133], v[130:131]
	ds_read2_b64 v[128:131], v126 offset0:77 offset1:78
	s_waitcnt vmcnt(8) lgkmcnt(0)
	v_fmac_f64_e32 v[124:125], v[134:135], v[128:129]
	s_waitcnt vmcnt(6)
	v_fmac_f64_e32 v[124:125], v[136:137], v[130:131]
	ds_read2_b64 v[128:131], v126 offset0:79 offset1:80
	s_waitcnt vmcnt(4) lgkmcnt(0)
	v_fmac_f64_e32 v[124:125], v[138:139], v[128:129]
	;; [unrolled: 5-line block ×3, first 2 shown]
	buffer_load_dword v129, off, s[0:3], 0 offset:180
	buffer_load_dword v128, off, s[0:3], 0 offset:176
	buffer_load_dword v133, off, s[0:3], 0 offset:188
	buffer_load_dword v132, off, s[0:3], 0 offset:184
	s_waitcnt vmcnt(2)
	v_fmac_f64_e32 v[124:125], v[128:129], v[130:131]
	ds_read2_b64 v[128:131], v126 offset0:83 offset1:84
	s_waitcnt vmcnt(0) lgkmcnt(0)
	v_fmac_f64_e32 v[124:125], v[132:133], v[128:129]
	buffer_load_dword v129, off, s[0:3], 0 offset:196
	buffer_load_dword v128, off, s[0:3], 0 offset:192
	buffer_load_dword v133, off, s[0:3], 0 offset:204
	buffer_load_dword v132, off, s[0:3], 0 offset:200
	s_waitcnt vmcnt(2)
	v_fmac_f64_e32 v[124:125], v[128:129], v[130:131]
	ds_read2_b64 v[128:131], v126 offset0:85 offset1:86
	s_waitcnt vmcnt(0) lgkmcnt(0)
	v_fmac_f64_e32 v[124:125], v[132:133], v[128:129]
	;; [unrolled: 9-line block ×18, first 2 shown]
	buffer_load_dword v129, off, s[0:3], 0 offset:468
	buffer_load_dword v128, off, s[0:3], 0 offset:464
	s_waitcnt vmcnt(0)
	v_fmac_f64_e32 v[124:125], v[128:129], v[130:131]
	buffer_load_dword v129, off, s[0:3], 0 offset:476
	buffer_load_dword v128, off, s[0:3], 0 offset:472
	ds_read_b64 v[130:131], v126 offset:952
	s_waitcnt vmcnt(0) lgkmcnt(0)
	v_fmac_f64_e32 v[124:125], v[128:129], v[130:131]
	v_add_f64 v[122:123], v[122:123], -v[124:125]
	buffer_store_dword v123, off, s[0:3], 0 offset:116
	buffer_store_dword v122, off, s[0:3], 0 offset:112
	s_and_saveexec_b64 s[4:5], vcc
	s_cbranch_execz .LBB59_341
; %bb.340:
	buffer_load_dword v122, off, s[0:3], 0 offset:104
	buffer_load_dword v123, off, s[0:3], 0 offset:108
	s_waitcnt vmcnt(0)
	ds_write_b64 v1, v[122:123]
	buffer_store_dword v126, off, s[0:3], 0 offset:104
	buffer_store_dword v126, off, s[0:3], 0 offset:108
.LBB59_341:
	s_or_b64 exec, exec, s[4:5]
	s_waitcnt lgkmcnt(0)
	; wave barrier
	s_waitcnt lgkmcnt(0)
	buffer_load_dword v122, off, s[0:3], 0 offset:104
	buffer_load_dword v123, off, s[0:3], 0 offset:108
	;; [unrolled: 1-line block ×16, first 2 shown]
	ds_read_b128 v[128:131], v126 offset:592
	ds_read_b128 v[132:135], v126 offset:608
	;; [unrolled: 1-line block ×4, first 2 shown]
	v_cmp_lt_u32_e32 vcc, 12, v0
	s_waitcnt vmcnt(12) lgkmcnt(3)
	v_fma_f64 v[124:125], v[124:125], v[128:129], 0
	buffer_load_dword v129, off, s[0:3], 0 offset:172
	buffer_load_dword v128, off, s[0:3], 0 offset:168
	s_waitcnt vmcnt(12)
	v_fmac_f64_e32 v[124:125], v[144:145], v[130:131]
	s_waitcnt vmcnt(10) lgkmcnt(2)
	v_fmac_f64_e32 v[124:125], v[146:147], v[132:133]
	buffer_load_dword v133, off, s[0:3], 0 offset:180
	buffer_load_dword v132, off, s[0:3], 0 offset:176
	s_waitcnt vmcnt(10)
	v_fmac_f64_e32 v[124:125], v[148:149], v[134:135]
	s_waitcnt vmcnt(8) lgkmcnt(1)
	v_fmac_f64_e32 v[124:125], v[150:151], v[136:137]
	s_waitcnt vmcnt(6)
	v_fmac_f64_e32 v[124:125], v[152:153], v[138:139]
	s_waitcnt vmcnt(4) lgkmcnt(0)
	v_fmac_f64_e32 v[124:125], v[154:155], v[140:141]
	s_waitcnt vmcnt(2)
	v_fmac_f64_e32 v[124:125], v[128:129], v[142:143]
	ds_read_b128 v[128:131], v126 offset:656
	s_waitcnt vmcnt(0) lgkmcnt(0)
	v_fmac_f64_e32 v[124:125], v[132:133], v[128:129]
	buffer_load_dword v129, off, s[0:3], 0 offset:188
	buffer_load_dword v128, off, s[0:3], 0 offset:184
	buffer_load_dword v133, off, s[0:3], 0 offset:196
	buffer_load_dword v132, off, s[0:3], 0 offset:192
	s_waitcnt vmcnt(2)
	v_fmac_f64_e32 v[124:125], v[128:129], v[130:131]
	ds_read_b128 v[128:131], v126 offset:672
	s_waitcnt vmcnt(0) lgkmcnt(0)
	v_fmac_f64_e32 v[124:125], v[132:133], v[128:129]
	buffer_load_dword v129, off, s[0:3], 0 offset:204
	buffer_load_dword v128, off, s[0:3], 0 offset:200
	buffer_load_dword v133, off, s[0:3], 0 offset:212
	buffer_load_dword v132, off, s[0:3], 0 offset:208
	;; [unrolled: 9-line block ×17, first 2 shown]
	s_waitcnt vmcnt(2)
	v_fmac_f64_e32 v[124:125], v[128:129], v[130:131]
	ds_read_b128 v[128:131], v126 offset:928
	s_waitcnt vmcnt(0) lgkmcnt(0)
	v_fmac_f64_e32 v[124:125], v[132:133], v[128:129]
	buffer_load_dword v129, off, s[0:3], 0 offset:460
	buffer_load_dword v128, off, s[0:3], 0 offset:456
	s_waitcnt vmcnt(0)
	v_fmac_f64_e32 v[124:125], v[128:129], v[130:131]
	buffer_load_dword v131, off, s[0:3], 0 offset:468
	buffer_load_dword v130, off, s[0:3], 0 offset:464
	ds_read_b128 v[126:129], v126 offset:944
	s_waitcnt vmcnt(0) lgkmcnt(0)
	v_fmac_f64_e32 v[124:125], v[130:131], v[126:127]
	buffer_load_dword v127, off, s[0:3], 0 offset:476
	buffer_load_dword v126, off, s[0:3], 0 offset:472
	s_waitcnt vmcnt(0)
	v_fmac_f64_e32 v[124:125], v[126:127], v[128:129]
	v_add_f64 v[122:123], v[122:123], -v[124:125]
	buffer_store_dword v123, off, s[0:3], 0 offset:108
	buffer_store_dword v122, off, s[0:3], 0 offset:104
	s_and_saveexec_b64 s[4:5], vcc
	s_cbranch_execz .LBB59_343
; %bb.342:
	buffer_load_dword v122, off, s[0:3], 0 offset:96
	buffer_load_dword v123, off, s[0:3], 0 offset:100
	v_mov_b32_e32 v124, 0
	buffer_store_dword v124, off, s[0:3], 0 offset:96
	buffer_store_dword v124, off, s[0:3], 0 offset:100
	s_waitcnt vmcnt(2)
	ds_write_b64 v1, v[122:123]
.LBB59_343:
	s_or_b64 exec, exec, s[4:5]
	s_waitcnt lgkmcnt(0)
	; wave barrier
	s_waitcnt lgkmcnt(0)
	buffer_load_dword v122, off, s[0:3], 0 offset:96
	buffer_load_dword v123, off, s[0:3], 0 offset:100
	;; [unrolled: 1-line block ×16, first 2 shown]
	v_mov_b32_e32 v126, 0
	ds_read2_b64 v[128:131], v126 offset0:73 offset1:74
	v_cmp_lt_u32_e32 vcc, 11, v0
	s_waitcnt vmcnt(12) lgkmcnt(0)
	v_fma_f64 v[124:125], v[124:125], v[128:129], 0
	s_waitcnt vmcnt(10)
	v_fmac_f64_e32 v[124:125], v[132:133], v[130:131]
	ds_read2_b64 v[128:131], v126 offset0:75 offset1:76
	s_waitcnt vmcnt(8) lgkmcnt(0)
	v_fmac_f64_e32 v[124:125], v[134:135], v[128:129]
	s_waitcnt vmcnt(6)
	v_fmac_f64_e32 v[124:125], v[136:137], v[130:131]
	ds_read2_b64 v[128:131], v126 offset0:77 offset1:78
	s_waitcnt vmcnt(4) lgkmcnt(0)
	v_fmac_f64_e32 v[124:125], v[138:139], v[128:129]
	;; [unrolled: 5-line block ×3, first 2 shown]
	buffer_load_dword v129, off, s[0:3], 0 offset:164
	buffer_load_dword v128, off, s[0:3], 0 offset:160
	buffer_load_dword v133, off, s[0:3], 0 offset:172
	buffer_load_dword v132, off, s[0:3], 0 offset:168
	s_waitcnt vmcnt(2)
	v_fmac_f64_e32 v[124:125], v[128:129], v[130:131]
	ds_read2_b64 v[128:131], v126 offset0:81 offset1:82
	s_waitcnt vmcnt(0) lgkmcnt(0)
	v_fmac_f64_e32 v[124:125], v[132:133], v[128:129]
	buffer_load_dword v129, off, s[0:3], 0 offset:180
	buffer_load_dword v128, off, s[0:3], 0 offset:176
	buffer_load_dword v133, off, s[0:3], 0 offset:188
	buffer_load_dword v132, off, s[0:3], 0 offset:184
	s_waitcnt vmcnt(2)
	v_fmac_f64_e32 v[124:125], v[128:129], v[130:131]
	ds_read2_b64 v[128:131], v126 offset0:83 offset1:84
	s_waitcnt vmcnt(0) lgkmcnt(0)
	v_fmac_f64_e32 v[124:125], v[132:133], v[128:129]
	;; [unrolled: 9-line block ×19, first 2 shown]
	buffer_load_dword v129, off, s[0:3], 0 offset:468
	buffer_load_dword v128, off, s[0:3], 0 offset:464
	s_waitcnt vmcnt(0)
	v_fmac_f64_e32 v[124:125], v[128:129], v[130:131]
	buffer_load_dword v129, off, s[0:3], 0 offset:476
	buffer_load_dword v128, off, s[0:3], 0 offset:472
	ds_read_b64 v[130:131], v126 offset:952
	s_waitcnt vmcnt(0) lgkmcnt(0)
	v_fmac_f64_e32 v[124:125], v[128:129], v[130:131]
	v_add_f64 v[122:123], v[122:123], -v[124:125]
	buffer_store_dword v123, off, s[0:3], 0 offset:100
	buffer_store_dword v122, off, s[0:3], 0 offset:96
	s_and_saveexec_b64 s[4:5], vcc
	s_cbranch_execz .LBB59_345
; %bb.344:
	buffer_load_dword v122, off, s[0:3], 0 offset:88
	buffer_load_dword v123, off, s[0:3], 0 offset:92
	s_waitcnt vmcnt(0)
	ds_write_b64 v1, v[122:123]
	buffer_store_dword v126, off, s[0:3], 0 offset:88
	buffer_store_dword v126, off, s[0:3], 0 offset:92
.LBB59_345:
	s_or_b64 exec, exec, s[4:5]
	s_waitcnt lgkmcnt(0)
	; wave barrier
	s_waitcnt lgkmcnt(0)
	buffer_load_dword v122, off, s[0:3], 0 offset:88
	buffer_load_dword v123, off, s[0:3], 0 offset:92
	;; [unrolled: 1-line block ×16, first 2 shown]
	ds_read_b128 v[128:131], v126 offset:576
	ds_read_b128 v[132:135], v126 offset:592
	;; [unrolled: 1-line block ×4, first 2 shown]
	v_cmp_lt_u32_e32 vcc, 10, v0
	s_waitcnt vmcnt(12) lgkmcnt(3)
	v_fma_f64 v[124:125], v[124:125], v[128:129], 0
	buffer_load_dword v129, off, s[0:3], 0 offset:156
	buffer_load_dword v128, off, s[0:3], 0 offset:152
	s_waitcnt vmcnt(12)
	v_fmac_f64_e32 v[124:125], v[144:145], v[130:131]
	s_waitcnt vmcnt(10) lgkmcnt(2)
	v_fmac_f64_e32 v[124:125], v[146:147], v[132:133]
	buffer_load_dword v133, off, s[0:3], 0 offset:164
	buffer_load_dword v132, off, s[0:3], 0 offset:160
	s_waitcnt vmcnt(10)
	v_fmac_f64_e32 v[124:125], v[148:149], v[134:135]
	s_waitcnt vmcnt(8) lgkmcnt(1)
	v_fmac_f64_e32 v[124:125], v[150:151], v[136:137]
	s_waitcnt vmcnt(6)
	v_fmac_f64_e32 v[124:125], v[152:153], v[138:139]
	s_waitcnt vmcnt(4) lgkmcnt(0)
	v_fmac_f64_e32 v[124:125], v[154:155], v[140:141]
	s_waitcnt vmcnt(2)
	v_fmac_f64_e32 v[124:125], v[128:129], v[142:143]
	ds_read_b128 v[128:131], v126 offset:640
	s_waitcnt vmcnt(0) lgkmcnt(0)
	v_fmac_f64_e32 v[124:125], v[132:133], v[128:129]
	buffer_load_dword v129, off, s[0:3], 0 offset:172
	buffer_load_dword v128, off, s[0:3], 0 offset:168
	buffer_load_dword v133, off, s[0:3], 0 offset:180
	buffer_load_dword v132, off, s[0:3], 0 offset:176
	s_waitcnt vmcnt(2)
	v_fmac_f64_e32 v[124:125], v[128:129], v[130:131]
	ds_read_b128 v[128:131], v126 offset:656
	s_waitcnt vmcnt(0) lgkmcnt(0)
	v_fmac_f64_e32 v[124:125], v[132:133], v[128:129]
	buffer_load_dword v129, off, s[0:3], 0 offset:188
	buffer_load_dword v128, off, s[0:3], 0 offset:184
	buffer_load_dword v133, off, s[0:3], 0 offset:196
	buffer_load_dword v132, off, s[0:3], 0 offset:192
	;; [unrolled: 9-line block ×18, first 2 shown]
	s_waitcnt vmcnt(2)
	v_fmac_f64_e32 v[124:125], v[128:129], v[130:131]
	ds_read_b128 v[128:131], v126 offset:928
	s_waitcnt vmcnt(0) lgkmcnt(0)
	v_fmac_f64_e32 v[124:125], v[132:133], v[128:129]
	buffer_load_dword v129, off, s[0:3], 0 offset:460
	buffer_load_dword v128, off, s[0:3], 0 offset:456
	s_waitcnt vmcnt(0)
	v_fmac_f64_e32 v[124:125], v[128:129], v[130:131]
	buffer_load_dword v131, off, s[0:3], 0 offset:468
	buffer_load_dword v130, off, s[0:3], 0 offset:464
	ds_read_b128 v[126:129], v126 offset:944
	s_waitcnt vmcnt(0) lgkmcnt(0)
	v_fmac_f64_e32 v[124:125], v[130:131], v[126:127]
	buffer_load_dword v127, off, s[0:3], 0 offset:476
	buffer_load_dword v126, off, s[0:3], 0 offset:472
	s_waitcnt vmcnt(0)
	v_fmac_f64_e32 v[124:125], v[126:127], v[128:129]
	v_add_f64 v[122:123], v[122:123], -v[124:125]
	buffer_store_dword v123, off, s[0:3], 0 offset:92
	buffer_store_dword v122, off, s[0:3], 0 offset:88
	s_and_saveexec_b64 s[4:5], vcc
	s_cbranch_execz .LBB59_347
; %bb.346:
	buffer_load_dword v122, off, s[0:3], 0 offset:80
	buffer_load_dword v123, off, s[0:3], 0 offset:84
	v_mov_b32_e32 v124, 0
	buffer_store_dword v124, off, s[0:3], 0 offset:80
	buffer_store_dword v124, off, s[0:3], 0 offset:84
	s_waitcnt vmcnt(2)
	ds_write_b64 v1, v[122:123]
.LBB59_347:
	s_or_b64 exec, exec, s[4:5]
	s_waitcnt lgkmcnt(0)
	; wave barrier
	s_waitcnt lgkmcnt(0)
	buffer_load_dword v122, off, s[0:3], 0 offset:80
	buffer_load_dword v123, off, s[0:3], 0 offset:84
	;; [unrolled: 1-line block ×16, first 2 shown]
	v_mov_b32_e32 v126, 0
	ds_read2_b64 v[128:131], v126 offset0:71 offset1:72
	v_cmp_lt_u32_e32 vcc, 9, v0
	s_waitcnt vmcnt(12) lgkmcnt(0)
	v_fma_f64 v[124:125], v[124:125], v[128:129], 0
	s_waitcnt vmcnt(10)
	v_fmac_f64_e32 v[124:125], v[132:133], v[130:131]
	ds_read2_b64 v[128:131], v126 offset0:73 offset1:74
	s_waitcnt vmcnt(8) lgkmcnt(0)
	v_fmac_f64_e32 v[124:125], v[134:135], v[128:129]
	s_waitcnt vmcnt(6)
	v_fmac_f64_e32 v[124:125], v[136:137], v[130:131]
	ds_read2_b64 v[128:131], v126 offset0:75 offset1:76
	s_waitcnt vmcnt(4) lgkmcnt(0)
	v_fmac_f64_e32 v[124:125], v[138:139], v[128:129]
	s_waitcnt vmcnt(2)
	v_fmac_f64_e32 v[124:125], v[140:141], v[130:131]
	ds_read2_b64 v[128:131], v126 offset0:77 offset1:78
	s_waitcnt vmcnt(0) lgkmcnt(0)
	v_fmac_f64_e32 v[124:125], v[142:143], v[128:129]
	buffer_load_dword v129, off, s[0:3], 0 offset:148
	buffer_load_dword v128, off, s[0:3], 0 offset:144
	buffer_load_dword v133, off, s[0:3], 0 offset:156
	buffer_load_dword v132, off, s[0:3], 0 offset:152
	s_waitcnt vmcnt(2)
	v_fmac_f64_e32 v[124:125], v[128:129], v[130:131]
	ds_read2_b64 v[128:131], v126 offset0:79 offset1:80
	s_waitcnt vmcnt(0) lgkmcnt(0)
	v_fmac_f64_e32 v[124:125], v[132:133], v[128:129]
	buffer_load_dword v129, off, s[0:3], 0 offset:164
	buffer_load_dword v128, off, s[0:3], 0 offset:160
	buffer_load_dword v133, off, s[0:3], 0 offset:172
	buffer_load_dword v132, off, s[0:3], 0 offset:168
	s_waitcnt vmcnt(2)
	v_fmac_f64_e32 v[124:125], v[128:129], v[130:131]
	ds_read2_b64 v[128:131], v126 offset0:81 offset1:82
	s_waitcnt vmcnt(0) lgkmcnt(0)
	v_fmac_f64_e32 v[124:125], v[132:133], v[128:129]
	;; [unrolled: 9-line block ×20, first 2 shown]
	buffer_load_dword v129, off, s[0:3], 0 offset:468
	buffer_load_dword v128, off, s[0:3], 0 offset:464
	s_waitcnt vmcnt(0)
	v_fmac_f64_e32 v[124:125], v[128:129], v[130:131]
	buffer_load_dword v129, off, s[0:3], 0 offset:476
	buffer_load_dword v128, off, s[0:3], 0 offset:472
	ds_read_b64 v[130:131], v126 offset:952
	s_waitcnt vmcnt(0) lgkmcnt(0)
	v_fmac_f64_e32 v[124:125], v[128:129], v[130:131]
	v_add_f64 v[122:123], v[122:123], -v[124:125]
	buffer_store_dword v123, off, s[0:3], 0 offset:84
	buffer_store_dword v122, off, s[0:3], 0 offset:80
	s_and_saveexec_b64 s[4:5], vcc
	s_cbranch_execz .LBB59_349
; %bb.348:
	buffer_load_dword v122, off, s[0:3], 0 offset:72
	buffer_load_dword v123, off, s[0:3], 0 offset:76
	s_waitcnt vmcnt(0)
	ds_write_b64 v1, v[122:123]
	buffer_store_dword v126, off, s[0:3], 0 offset:72
	buffer_store_dword v126, off, s[0:3], 0 offset:76
.LBB59_349:
	s_or_b64 exec, exec, s[4:5]
	s_waitcnt lgkmcnt(0)
	; wave barrier
	s_waitcnt lgkmcnt(0)
	buffer_load_dword v122, off, s[0:3], 0 offset:72
	buffer_load_dword v123, off, s[0:3], 0 offset:76
	;; [unrolled: 1-line block ×16, first 2 shown]
	ds_read_b128 v[128:131], v126 offset:560
	v_cmp_lt_u32_e32 vcc, 8, v0
	s_waitcnt vmcnt(12) lgkmcnt(0)
	v_fma_f64 v[124:125], v[124:125], v[128:129], 0
	s_waitcnt vmcnt(10)
	v_fmac_f64_e32 v[124:125], v[132:133], v[130:131]
	ds_read_b128 v[128:131], v126 offset:576
	s_waitcnt vmcnt(8) lgkmcnt(0)
	v_fmac_f64_e32 v[124:125], v[134:135], v[128:129]
	s_waitcnt vmcnt(6)
	v_fmac_f64_e32 v[124:125], v[136:137], v[130:131]
	ds_read_b128 v[128:131], v126 offset:592
	s_waitcnt vmcnt(4) lgkmcnt(0)
	v_fmac_f64_e32 v[124:125], v[138:139], v[128:129]
	;; [unrolled: 5-line block ×3, first 2 shown]
	buffer_load_dword v129, off, s[0:3], 0 offset:140
	buffer_load_dword v128, off, s[0:3], 0 offset:136
	buffer_load_dword v133, off, s[0:3], 0 offset:148
	buffer_load_dword v132, off, s[0:3], 0 offset:144
	s_waitcnt vmcnt(2)
	v_fmac_f64_e32 v[124:125], v[128:129], v[130:131]
	ds_read_b128 v[128:131], v126 offset:624
	s_waitcnt vmcnt(0) lgkmcnt(0)
	v_fmac_f64_e32 v[124:125], v[132:133], v[128:129]
	buffer_load_dword v129, off, s[0:3], 0 offset:156
	buffer_load_dword v128, off, s[0:3], 0 offset:152
	buffer_load_dword v133, off, s[0:3], 0 offset:164
	buffer_load_dword v132, off, s[0:3], 0 offset:160
	s_waitcnt vmcnt(2)
	v_fmac_f64_e32 v[124:125], v[128:129], v[130:131]
	ds_read_b128 v[128:131], v126 offset:640
	s_waitcnt vmcnt(0) lgkmcnt(0)
	v_fmac_f64_e32 v[124:125], v[132:133], v[128:129]
	;; [unrolled: 9-line block ×20, first 2 shown]
	buffer_load_dword v129, off, s[0:3], 0 offset:460
	buffer_load_dword v128, off, s[0:3], 0 offset:456
	s_waitcnt vmcnt(0)
	v_fmac_f64_e32 v[124:125], v[128:129], v[130:131]
	buffer_load_dword v131, off, s[0:3], 0 offset:468
	buffer_load_dword v130, off, s[0:3], 0 offset:464
	ds_read_b128 v[126:129], v126 offset:944
	s_waitcnt vmcnt(0) lgkmcnt(0)
	v_fmac_f64_e32 v[124:125], v[130:131], v[126:127]
	buffer_load_dword v127, off, s[0:3], 0 offset:476
	buffer_load_dword v126, off, s[0:3], 0 offset:472
	s_waitcnt vmcnt(0)
	v_fmac_f64_e32 v[124:125], v[126:127], v[128:129]
	v_add_f64 v[122:123], v[122:123], -v[124:125]
	buffer_store_dword v123, off, s[0:3], 0 offset:76
	buffer_store_dword v122, off, s[0:3], 0 offset:72
	s_and_saveexec_b64 s[4:5], vcc
	s_cbranch_execz .LBB59_351
; %bb.350:
	buffer_load_dword v122, off, s[0:3], 0 offset:64
	buffer_load_dword v123, off, s[0:3], 0 offset:68
	v_mov_b32_e32 v124, 0
	buffer_store_dword v124, off, s[0:3], 0 offset:64
	buffer_store_dword v124, off, s[0:3], 0 offset:68
	s_waitcnt vmcnt(2)
	ds_write_b64 v1, v[122:123]
.LBB59_351:
	s_or_b64 exec, exec, s[4:5]
	s_waitcnt lgkmcnt(0)
	; wave barrier
	s_waitcnt lgkmcnt(0)
	buffer_load_dword v122, off, s[0:3], 0 offset:64
	buffer_load_dword v123, off, s[0:3], 0 offset:68
	;; [unrolled: 1-line block ×16, first 2 shown]
	v_mov_b32_e32 v126, 0
	ds_read2_b64 v[128:131], v126 offset0:69 offset1:70
	v_cmp_lt_u32_e32 vcc, 7, v0
	s_waitcnt vmcnt(12) lgkmcnt(0)
	v_fma_f64 v[124:125], v[124:125], v[128:129], 0
	s_waitcnt vmcnt(10)
	v_fmac_f64_e32 v[124:125], v[132:133], v[130:131]
	ds_read2_b64 v[128:131], v126 offset0:71 offset1:72
	s_waitcnt vmcnt(8) lgkmcnt(0)
	v_fmac_f64_e32 v[124:125], v[134:135], v[128:129]
	s_waitcnt vmcnt(6)
	v_fmac_f64_e32 v[124:125], v[136:137], v[130:131]
	ds_read2_b64 v[128:131], v126 offset0:73 offset1:74
	s_waitcnt vmcnt(4) lgkmcnt(0)
	v_fmac_f64_e32 v[124:125], v[138:139], v[128:129]
	;; [unrolled: 5-line block ×3, first 2 shown]
	buffer_load_dword v129, off, s[0:3], 0 offset:132
	buffer_load_dword v128, off, s[0:3], 0 offset:128
	buffer_load_dword v133, off, s[0:3], 0 offset:140
	buffer_load_dword v132, off, s[0:3], 0 offset:136
	s_waitcnt vmcnt(2)
	v_fmac_f64_e32 v[124:125], v[128:129], v[130:131]
	ds_read2_b64 v[128:131], v126 offset0:77 offset1:78
	s_waitcnt vmcnt(0) lgkmcnt(0)
	v_fmac_f64_e32 v[124:125], v[132:133], v[128:129]
	buffer_load_dword v129, off, s[0:3], 0 offset:148
	buffer_load_dword v128, off, s[0:3], 0 offset:144
	buffer_load_dword v133, off, s[0:3], 0 offset:156
	buffer_load_dword v132, off, s[0:3], 0 offset:152
	s_waitcnt vmcnt(2)
	v_fmac_f64_e32 v[124:125], v[128:129], v[130:131]
	ds_read2_b64 v[128:131], v126 offset0:79 offset1:80
	s_waitcnt vmcnt(0) lgkmcnt(0)
	v_fmac_f64_e32 v[124:125], v[132:133], v[128:129]
	;; [unrolled: 9-line block ×21, first 2 shown]
	buffer_load_dword v129, off, s[0:3], 0 offset:468
	buffer_load_dword v128, off, s[0:3], 0 offset:464
	s_waitcnt vmcnt(0)
	v_fmac_f64_e32 v[124:125], v[128:129], v[130:131]
	buffer_load_dword v129, off, s[0:3], 0 offset:476
	buffer_load_dword v128, off, s[0:3], 0 offset:472
	ds_read_b64 v[130:131], v126 offset:952
	s_waitcnt vmcnt(0) lgkmcnt(0)
	v_fmac_f64_e32 v[124:125], v[128:129], v[130:131]
	v_add_f64 v[122:123], v[122:123], -v[124:125]
	buffer_store_dword v123, off, s[0:3], 0 offset:68
	buffer_store_dword v122, off, s[0:3], 0 offset:64
	s_and_saveexec_b64 s[4:5], vcc
	s_cbranch_execz .LBB59_353
; %bb.352:
	buffer_load_dword v122, off, s[0:3], 0 offset:56
	buffer_load_dword v123, off, s[0:3], 0 offset:60
	s_waitcnt vmcnt(0)
	ds_write_b64 v1, v[122:123]
	buffer_store_dword v126, off, s[0:3], 0 offset:56
	buffer_store_dword v126, off, s[0:3], 0 offset:60
.LBB59_353:
	s_or_b64 exec, exec, s[4:5]
	s_waitcnt lgkmcnt(0)
	; wave barrier
	s_waitcnt lgkmcnt(0)
	buffer_load_dword v122, off, s[0:3], 0 offset:56
	buffer_load_dword v123, off, s[0:3], 0 offset:60
	;; [unrolled: 1-line block ×16, first 2 shown]
	ds_read_b128 v[128:131], v126 offset:544
	v_cmp_lt_u32_e32 vcc, 6, v0
	s_waitcnt vmcnt(12) lgkmcnt(0)
	v_fma_f64 v[124:125], v[124:125], v[128:129], 0
	s_waitcnt vmcnt(10)
	v_fmac_f64_e32 v[124:125], v[132:133], v[130:131]
	ds_read_b128 v[128:131], v126 offset:560
	s_waitcnt vmcnt(8) lgkmcnt(0)
	v_fmac_f64_e32 v[124:125], v[134:135], v[128:129]
	s_waitcnt vmcnt(6)
	v_fmac_f64_e32 v[124:125], v[136:137], v[130:131]
	ds_read_b128 v[128:131], v126 offset:576
	s_waitcnt vmcnt(4) lgkmcnt(0)
	v_fmac_f64_e32 v[124:125], v[138:139], v[128:129]
	;; [unrolled: 5-line block ×3, first 2 shown]
	buffer_load_dword v129, off, s[0:3], 0 offset:124
	buffer_load_dword v128, off, s[0:3], 0 offset:120
	buffer_load_dword v133, off, s[0:3], 0 offset:132
	buffer_load_dword v132, off, s[0:3], 0 offset:128
	s_waitcnt vmcnt(2)
	v_fmac_f64_e32 v[124:125], v[128:129], v[130:131]
	ds_read_b128 v[128:131], v126 offset:608
	s_waitcnt vmcnt(0) lgkmcnt(0)
	v_fmac_f64_e32 v[124:125], v[132:133], v[128:129]
	buffer_load_dword v129, off, s[0:3], 0 offset:140
	buffer_load_dword v128, off, s[0:3], 0 offset:136
	buffer_load_dword v133, off, s[0:3], 0 offset:148
	buffer_load_dword v132, off, s[0:3], 0 offset:144
	s_waitcnt vmcnt(2)
	v_fmac_f64_e32 v[124:125], v[128:129], v[130:131]
	ds_read_b128 v[128:131], v126 offset:624
	s_waitcnt vmcnt(0) lgkmcnt(0)
	v_fmac_f64_e32 v[124:125], v[132:133], v[128:129]
	;; [unrolled: 9-line block ×21, first 2 shown]
	buffer_load_dword v129, off, s[0:3], 0 offset:460
	buffer_load_dword v128, off, s[0:3], 0 offset:456
	s_waitcnt vmcnt(0)
	v_fmac_f64_e32 v[124:125], v[128:129], v[130:131]
	buffer_load_dword v131, off, s[0:3], 0 offset:468
	buffer_load_dword v130, off, s[0:3], 0 offset:464
	ds_read_b128 v[126:129], v126 offset:944
	s_waitcnt vmcnt(0) lgkmcnt(0)
	v_fmac_f64_e32 v[124:125], v[130:131], v[126:127]
	buffer_load_dword v127, off, s[0:3], 0 offset:476
	buffer_load_dword v126, off, s[0:3], 0 offset:472
	s_waitcnt vmcnt(0)
	v_fmac_f64_e32 v[124:125], v[126:127], v[128:129]
	v_add_f64 v[122:123], v[122:123], -v[124:125]
	buffer_store_dword v123, off, s[0:3], 0 offset:60
	buffer_store_dword v122, off, s[0:3], 0 offset:56
	s_and_saveexec_b64 s[4:5], vcc
	s_cbranch_execz .LBB59_355
; %bb.354:
	buffer_load_dword v122, off, s[0:3], 0 offset:48
	buffer_load_dword v123, off, s[0:3], 0 offset:52
	v_mov_b32_e32 v124, 0
	buffer_store_dword v124, off, s[0:3], 0 offset:48
	buffer_store_dword v124, off, s[0:3], 0 offset:52
	s_waitcnt vmcnt(2)
	ds_write_b64 v1, v[122:123]
.LBB59_355:
	s_or_b64 exec, exec, s[4:5]
	s_waitcnt lgkmcnt(0)
	; wave barrier
	s_waitcnt lgkmcnt(0)
	buffer_load_dword v122, off, s[0:3], 0 offset:48
	buffer_load_dword v123, off, s[0:3], 0 offset:52
	;; [unrolled: 1-line block ×16, first 2 shown]
	v_mov_b32_e32 v126, 0
	ds_read2_b64 v[128:131], v126 offset0:67 offset1:68
	v_cmp_lt_u32_e32 vcc, 5, v0
	s_waitcnt vmcnt(12) lgkmcnt(0)
	v_fma_f64 v[124:125], v[124:125], v[128:129], 0
	s_waitcnt vmcnt(10)
	v_fmac_f64_e32 v[124:125], v[132:133], v[130:131]
	ds_read2_b64 v[128:131], v126 offset0:69 offset1:70
	s_waitcnt vmcnt(8) lgkmcnt(0)
	v_fmac_f64_e32 v[124:125], v[134:135], v[128:129]
	s_waitcnt vmcnt(6)
	v_fmac_f64_e32 v[124:125], v[136:137], v[130:131]
	ds_read2_b64 v[128:131], v126 offset0:71 offset1:72
	s_waitcnt vmcnt(4) lgkmcnt(0)
	v_fmac_f64_e32 v[124:125], v[138:139], v[128:129]
	;; [unrolled: 5-line block ×3, first 2 shown]
	buffer_load_dword v129, off, s[0:3], 0 offset:116
	buffer_load_dword v128, off, s[0:3], 0 offset:112
	buffer_load_dword v133, off, s[0:3], 0 offset:124
	buffer_load_dword v132, off, s[0:3], 0 offset:120
	s_waitcnt vmcnt(2)
	v_fmac_f64_e32 v[124:125], v[128:129], v[130:131]
	ds_read2_b64 v[128:131], v126 offset0:75 offset1:76
	s_waitcnt vmcnt(0) lgkmcnt(0)
	v_fmac_f64_e32 v[124:125], v[132:133], v[128:129]
	buffer_load_dword v129, off, s[0:3], 0 offset:132
	buffer_load_dword v128, off, s[0:3], 0 offset:128
	buffer_load_dword v133, off, s[0:3], 0 offset:140
	buffer_load_dword v132, off, s[0:3], 0 offset:136
	s_waitcnt vmcnt(2)
	v_fmac_f64_e32 v[124:125], v[128:129], v[130:131]
	ds_read2_b64 v[128:131], v126 offset0:77 offset1:78
	s_waitcnt vmcnt(0) lgkmcnt(0)
	v_fmac_f64_e32 v[124:125], v[132:133], v[128:129]
	;; [unrolled: 9-line block ×22, first 2 shown]
	buffer_load_dword v129, off, s[0:3], 0 offset:468
	buffer_load_dword v128, off, s[0:3], 0 offset:464
	s_waitcnt vmcnt(0)
	v_fmac_f64_e32 v[124:125], v[128:129], v[130:131]
	buffer_load_dword v129, off, s[0:3], 0 offset:476
	buffer_load_dword v128, off, s[0:3], 0 offset:472
	ds_read_b64 v[130:131], v126 offset:952
	s_waitcnt vmcnt(0) lgkmcnt(0)
	v_fmac_f64_e32 v[124:125], v[128:129], v[130:131]
	v_add_f64 v[122:123], v[122:123], -v[124:125]
	buffer_store_dword v123, off, s[0:3], 0 offset:52
	buffer_store_dword v122, off, s[0:3], 0 offset:48
	s_and_saveexec_b64 s[4:5], vcc
	s_cbranch_execz .LBB59_357
; %bb.356:
	buffer_load_dword v122, off, s[0:3], 0 offset:40
	buffer_load_dword v123, off, s[0:3], 0 offset:44
	s_waitcnt vmcnt(0)
	ds_write_b64 v1, v[122:123]
	buffer_store_dword v126, off, s[0:3], 0 offset:40
	buffer_store_dword v126, off, s[0:3], 0 offset:44
.LBB59_357:
	s_or_b64 exec, exec, s[4:5]
	s_waitcnt lgkmcnt(0)
	; wave barrier
	s_waitcnt lgkmcnt(0)
	buffer_load_dword v122, off, s[0:3], 0 offset:40
	buffer_load_dword v123, off, s[0:3], 0 offset:44
	;; [unrolled: 1-line block ×16, first 2 shown]
	ds_read_b128 v[128:131], v126 offset:528
	v_cmp_lt_u32_e32 vcc, 4, v0
	s_waitcnt vmcnt(12) lgkmcnt(0)
	v_fma_f64 v[124:125], v[124:125], v[128:129], 0
	s_waitcnt vmcnt(10)
	v_fmac_f64_e32 v[124:125], v[132:133], v[130:131]
	ds_read_b128 v[128:131], v126 offset:544
	s_waitcnt vmcnt(8) lgkmcnt(0)
	v_fmac_f64_e32 v[124:125], v[134:135], v[128:129]
	s_waitcnt vmcnt(6)
	v_fmac_f64_e32 v[124:125], v[136:137], v[130:131]
	ds_read_b128 v[128:131], v126 offset:560
	s_waitcnt vmcnt(4) lgkmcnt(0)
	v_fmac_f64_e32 v[124:125], v[138:139], v[128:129]
	;; [unrolled: 5-line block ×3, first 2 shown]
	buffer_load_dword v129, off, s[0:3], 0 offset:108
	buffer_load_dword v128, off, s[0:3], 0 offset:104
	buffer_load_dword v133, off, s[0:3], 0 offset:116
	buffer_load_dword v132, off, s[0:3], 0 offset:112
	s_waitcnt vmcnt(2)
	v_fmac_f64_e32 v[124:125], v[128:129], v[130:131]
	ds_read_b128 v[128:131], v126 offset:592
	s_waitcnt vmcnt(0) lgkmcnt(0)
	v_fmac_f64_e32 v[124:125], v[132:133], v[128:129]
	buffer_load_dword v129, off, s[0:3], 0 offset:124
	buffer_load_dword v128, off, s[0:3], 0 offset:120
	buffer_load_dword v133, off, s[0:3], 0 offset:132
	buffer_load_dword v132, off, s[0:3], 0 offset:128
	s_waitcnt vmcnt(2)
	v_fmac_f64_e32 v[124:125], v[128:129], v[130:131]
	ds_read_b128 v[128:131], v126 offset:608
	s_waitcnt vmcnt(0) lgkmcnt(0)
	v_fmac_f64_e32 v[124:125], v[132:133], v[128:129]
	;; [unrolled: 9-line block ×22, first 2 shown]
	buffer_load_dword v129, off, s[0:3], 0 offset:460
	buffer_load_dword v128, off, s[0:3], 0 offset:456
	s_waitcnt vmcnt(0)
	v_fmac_f64_e32 v[124:125], v[128:129], v[130:131]
	buffer_load_dword v131, off, s[0:3], 0 offset:468
	buffer_load_dword v130, off, s[0:3], 0 offset:464
	ds_read_b128 v[126:129], v126 offset:944
	s_waitcnt vmcnt(0) lgkmcnt(0)
	v_fmac_f64_e32 v[124:125], v[130:131], v[126:127]
	buffer_load_dword v127, off, s[0:3], 0 offset:476
	buffer_load_dword v126, off, s[0:3], 0 offset:472
	s_waitcnt vmcnt(0)
	v_fmac_f64_e32 v[124:125], v[126:127], v[128:129]
	v_add_f64 v[122:123], v[122:123], -v[124:125]
	buffer_store_dword v123, off, s[0:3], 0 offset:44
	buffer_store_dword v122, off, s[0:3], 0 offset:40
	s_and_saveexec_b64 s[4:5], vcc
	s_cbranch_execz .LBB59_359
; %bb.358:
	buffer_load_dword v122, off, s[0:3], 0 offset:32
	buffer_load_dword v123, off, s[0:3], 0 offset:36
	v_mov_b32_e32 v124, 0
	buffer_store_dword v124, off, s[0:3], 0 offset:32
	buffer_store_dword v124, off, s[0:3], 0 offset:36
	s_waitcnt vmcnt(2)
	ds_write_b64 v1, v[122:123]
.LBB59_359:
	s_or_b64 exec, exec, s[4:5]
	s_waitcnt lgkmcnt(0)
	; wave barrier
	s_waitcnt lgkmcnt(0)
	buffer_load_dword v122, off, s[0:3], 0 offset:32
	buffer_load_dword v123, off, s[0:3], 0 offset:36
	;; [unrolled: 1-line block ×16, first 2 shown]
	v_mov_b32_e32 v126, 0
	ds_read2_b64 v[128:131], v126 offset0:65 offset1:66
	v_cmp_lt_u32_e32 vcc, 3, v0
	s_waitcnt vmcnt(12) lgkmcnt(0)
	v_fma_f64 v[124:125], v[124:125], v[128:129], 0
	s_waitcnt vmcnt(10)
	v_fmac_f64_e32 v[124:125], v[132:133], v[130:131]
	ds_read2_b64 v[128:131], v126 offset0:67 offset1:68
	s_waitcnt vmcnt(8) lgkmcnt(0)
	v_fmac_f64_e32 v[124:125], v[134:135], v[128:129]
	s_waitcnt vmcnt(6)
	v_fmac_f64_e32 v[124:125], v[136:137], v[130:131]
	ds_read2_b64 v[128:131], v126 offset0:69 offset1:70
	s_waitcnt vmcnt(4) lgkmcnt(0)
	v_fmac_f64_e32 v[124:125], v[138:139], v[128:129]
	s_waitcnt vmcnt(2)
	v_fmac_f64_e32 v[124:125], v[140:141], v[130:131]
	ds_read2_b64 v[128:131], v126 offset0:71 offset1:72
	s_waitcnt vmcnt(0) lgkmcnt(0)
	v_fmac_f64_e32 v[124:125], v[142:143], v[128:129]
	buffer_load_dword v129, off, s[0:3], 0 offset:100
	buffer_load_dword v128, off, s[0:3], 0 offset:96
	buffer_load_dword v133, off, s[0:3], 0 offset:108
	buffer_load_dword v132, off, s[0:3], 0 offset:104
	s_waitcnt vmcnt(2)
	v_fmac_f64_e32 v[124:125], v[128:129], v[130:131]
	ds_read2_b64 v[128:131], v126 offset0:73 offset1:74
	s_waitcnt vmcnt(0) lgkmcnt(0)
	v_fmac_f64_e32 v[124:125], v[132:133], v[128:129]
	buffer_load_dword v129, off, s[0:3], 0 offset:116
	buffer_load_dword v128, off, s[0:3], 0 offset:112
	buffer_load_dword v133, off, s[0:3], 0 offset:124
	buffer_load_dword v132, off, s[0:3], 0 offset:120
	s_waitcnt vmcnt(2)
	v_fmac_f64_e32 v[124:125], v[128:129], v[130:131]
	ds_read2_b64 v[128:131], v126 offset0:75 offset1:76
	s_waitcnt vmcnt(0) lgkmcnt(0)
	v_fmac_f64_e32 v[124:125], v[132:133], v[128:129]
	;; [unrolled: 9-line block ×23, first 2 shown]
	buffer_load_dword v129, off, s[0:3], 0 offset:468
	buffer_load_dword v128, off, s[0:3], 0 offset:464
	s_waitcnt vmcnt(0)
	v_fmac_f64_e32 v[124:125], v[128:129], v[130:131]
	buffer_load_dword v129, off, s[0:3], 0 offset:476
	buffer_load_dword v128, off, s[0:3], 0 offset:472
	ds_read_b64 v[130:131], v126 offset:952
	s_waitcnt vmcnt(0) lgkmcnt(0)
	v_fmac_f64_e32 v[124:125], v[128:129], v[130:131]
	v_add_f64 v[122:123], v[122:123], -v[124:125]
	buffer_store_dword v123, off, s[0:3], 0 offset:36
	buffer_store_dword v122, off, s[0:3], 0 offset:32
	s_and_saveexec_b64 s[4:5], vcc
	s_cbranch_execz .LBB59_361
; %bb.360:
	buffer_load_dword v122, off, s[0:3], 0 offset:24
	buffer_load_dword v123, off, s[0:3], 0 offset:28
	s_waitcnt vmcnt(0)
	ds_write_b64 v1, v[122:123]
	buffer_store_dword v126, off, s[0:3], 0 offset:24
	buffer_store_dword v126, off, s[0:3], 0 offset:28
.LBB59_361:
	s_or_b64 exec, exec, s[4:5]
	s_waitcnt lgkmcnt(0)
	; wave barrier
	s_waitcnt lgkmcnt(0)
	buffer_load_dword v122, off, s[0:3], 0 offset:24
	buffer_load_dword v123, off, s[0:3], 0 offset:28
	;; [unrolled: 1-line block ×16, first 2 shown]
	ds_read_b128 v[128:131], v126 offset:512
	v_cmp_lt_u32_e32 vcc, 2, v0
	s_waitcnt vmcnt(12) lgkmcnt(0)
	v_fma_f64 v[124:125], v[124:125], v[128:129], 0
	s_waitcnt vmcnt(10)
	v_fmac_f64_e32 v[124:125], v[132:133], v[130:131]
	ds_read_b128 v[128:131], v126 offset:528
	s_waitcnt vmcnt(8) lgkmcnt(0)
	v_fmac_f64_e32 v[124:125], v[134:135], v[128:129]
	s_waitcnt vmcnt(6)
	v_fmac_f64_e32 v[124:125], v[136:137], v[130:131]
	ds_read_b128 v[128:131], v126 offset:544
	s_waitcnt vmcnt(4) lgkmcnt(0)
	v_fmac_f64_e32 v[124:125], v[138:139], v[128:129]
	s_waitcnt vmcnt(2)
	v_fmac_f64_e32 v[124:125], v[140:141], v[130:131]
	ds_read_b128 v[128:131], v126 offset:560
	s_waitcnt vmcnt(0) lgkmcnt(0)
	v_fmac_f64_e32 v[124:125], v[142:143], v[128:129]
	buffer_load_dword v129, off, s[0:3], 0 offset:92
	buffer_load_dword v128, off, s[0:3], 0 offset:88
	buffer_load_dword v133, off, s[0:3], 0 offset:100
	buffer_load_dword v132, off, s[0:3], 0 offset:96
	s_waitcnt vmcnt(2)
	v_fmac_f64_e32 v[124:125], v[128:129], v[130:131]
	ds_read_b128 v[128:131], v126 offset:576
	s_waitcnt vmcnt(0) lgkmcnt(0)
	v_fmac_f64_e32 v[124:125], v[132:133], v[128:129]
	buffer_load_dword v129, off, s[0:3], 0 offset:108
	buffer_load_dword v128, off, s[0:3], 0 offset:104
	buffer_load_dword v133, off, s[0:3], 0 offset:116
	buffer_load_dword v132, off, s[0:3], 0 offset:112
	s_waitcnt vmcnt(2)
	v_fmac_f64_e32 v[124:125], v[128:129], v[130:131]
	ds_read_b128 v[128:131], v126 offset:592
	s_waitcnt vmcnt(0) lgkmcnt(0)
	v_fmac_f64_e32 v[124:125], v[132:133], v[128:129]
	;; [unrolled: 9-line block ×23, first 2 shown]
	buffer_load_dword v129, off, s[0:3], 0 offset:460
	buffer_load_dword v128, off, s[0:3], 0 offset:456
	s_waitcnt vmcnt(0)
	v_fmac_f64_e32 v[124:125], v[128:129], v[130:131]
	buffer_load_dword v131, off, s[0:3], 0 offset:468
	buffer_load_dword v130, off, s[0:3], 0 offset:464
	ds_read_b128 v[126:129], v126 offset:944
	s_waitcnt vmcnt(0) lgkmcnt(0)
	v_fmac_f64_e32 v[124:125], v[130:131], v[126:127]
	buffer_load_dword v127, off, s[0:3], 0 offset:476
	buffer_load_dword v126, off, s[0:3], 0 offset:472
	s_waitcnt vmcnt(0)
	v_fmac_f64_e32 v[124:125], v[126:127], v[128:129]
	v_add_f64 v[122:123], v[122:123], -v[124:125]
	buffer_store_dword v123, off, s[0:3], 0 offset:28
	buffer_store_dword v122, off, s[0:3], 0 offset:24
	s_and_saveexec_b64 s[4:5], vcc
	s_cbranch_execz .LBB59_363
; %bb.362:
	buffer_load_dword v122, off, s[0:3], 0 offset:16
	buffer_load_dword v123, off, s[0:3], 0 offset:20
	v_mov_b32_e32 v124, 0
	buffer_store_dword v124, off, s[0:3], 0 offset:16
	buffer_store_dword v124, off, s[0:3], 0 offset:20
	s_waitcnt vmcnt(2)
	ds_write_b64 v1, v[122:123]
.LBB59_363:
	s_or_b64 exec, exec, s[4:5]
	s_waitcnt lgkmcnt(0)
	; wave barrier
	s_waitcnt lgkmcnt(0)
	buffer_load_dword v122, off, s[0:3], 0 offset:16
	buffer_load_dword v123, off, s[0:3], 0 offset:20
	;; [unrolled: 1-line block ×16, first 2 shown]
	v_mov_b32_e32 v126, 0
	ds_read2_b64 v[128:131], v126 offset0:63 offset1:64
	v_cmp_lt_u32_e32 vcc, 1, v0
	s_waitcnt vmcnt(12) lgkmcnt(0)
	v_fma_f64 v[124:125], v[124:125], v[128:129], 0
	s_waitcnt vmcnt(10)
	v_fmac_f64_e32 v[124:125], v[132:133], v[130:131]
	ds_read2_b64 v[128:131], v126 offset0:65 offset1:66
	s_waitcnt vmcnt(8) lgkmcnt(0)
	v_fmac_f64_e32 v[124:125], v[134:135], v[128:129]
	s_waitcnt vmcnt(6)
	v_fmac_f64_e32 v[124:125], v[136:137], v[130:131]
	ds_read2_b64 v[128:131], v126 offset0:67 offset1:68
	s_waitcnt vmcnt(4) lgkmcnt(0)
	v_fmac_f64_e32 v[124:125], v[138:139], v[128:129]
	;; [unrolled: 5-line block ×3, first 2 shown]
	buffer_load_dword v129, off, s[0:3], 0 offset:84
	buffer_load_dword v128, off, s[0:3], 0 offset:80
	buffer_load_dword v133, off, s[0:3], 0 offset:92
	buffer_load_dword v132, off, s[0:3], 0 offset:88
	s_waitcnt vmcnt(2)
	v_fmac_f64_e32 v[124:125], v[128:129], v[130:131]
	ds_read2_b64 v[128:131], v126 offset0:71 offset1:72
	s_waitcnt vmcnt(0) lgkmcnt(0)
	v_fmac_f64_e32 v[124:125], v[132:133], v[128:129]
	buffer_load_dword v129, off, s[0:3], 0 offset:100
	buffer_load_dword v128, off, s[0:3], 0 offset:96
	buffer_load_dword v133, off, s[0:3], 0 offset:108
	buffer_load_dword v132, off, s[0:3], 0 offset:104
	s_waitcnt vmcnt(2)
	v_fmac_f64_e32 v[124:125], v[128:129], v[130:131]
	ds_read2_b64 v[128:131], v126 offset0:73 offset1:74
	s_waitcnt vmcnt(0) lgkmcnt(0)
	v_fmac_f64_e32 v[124:125], v[132:133], v[128:129]
	;; [unrolled: 9-line block ×24, first 2 shown]
	buffer_load_dword v129, off, s[0:3], 0 offset:468
	buffer_load_dword v128, off, s[0:3], 0 offset:464
	s_waitcnt vmcnt(0)
	v_fmac_f64_e32 v[124:125], v[128:129], v[130:131]
	buffer_load_dword v129, off, s[0:3], 0 offset:476
	buffer_load_dword v128, off, s[0:3], 0 offset:472
	ds_read_b64 v[130:131], v126 offset:952
	s_waitcnt vmcnt(0) lgkmcnt(0)
	v_fmac_f64_e32 v[124:125], v[128:129], v[130:131]
	v_add_f64 v[122:123], v[122:123], -v[124:125]
	buffer_store_dword v123, off, s[0:3], 0 offset:20
	buffer_store_dword v122, off, s[0:3], 0 offset:16
	s_and_saveexec_b64 s[4:5], vcc
	s_cbranch_execz .LBB59_365
; %bb.364:
	buffer_load_dword v122, off, s[0:3], 0 offset:8
	buffer_load_dword v123, off, s[0:3], 0 offset:12
	s_waitcnt vmcnt(0)
	ds_write_b64 v1, v[122:123]
	buffer_store_dword v126, off, s[0:3], 0 offset:8
	buffer_store_dword v126, off, s[0:3], 0 offset:12
.LBB59_365:
	s_or_b64 exec, exec, s[4:5]
	s_waitcnt lgkmcnt(0)
	; wave barrier
	s_waitcnt lgkmcnt(0)
	buffer_load_dword v122, off, s[0:3], 0 offset:8
	buffer_load_dword v123, off, s[0:3], 0 offset:12
	;; [unrolled: 1-line block ×16, first 2 shown]
	ds_read_b128 v[128:131], v126 offset:496
	v_cmp_ne_u32_e32 vcc, 0, v0
	s_waitcnt vmcnt(12) lgkmcnt(0)
	v_fma_f64 v[124:125], v[124:125], v[128:129], 0
	s_waitcnt vmcnt(10)
	v_fmac_f64_e32 v[124:125], v[132:133], v[130:131]
	ds_read_b128 v[128:131], v126 offset:512
	s_waitcnt vmcnt(8) lgkmcnt(0)
	v_fmac_f64_e32 v[124:125], v[134:135], v[128:129]
	s_waitcnt vmcnt(6)
	v_fmac_f64_e32 v[124:125], v[136:137], v[130:131]
	ds_read_b128 v[128:131], v126 offset:528
	s_waitcnt vmcnt(4) lgkmcnt(0)
	v_fmac_f64_e32 v[124:125], v[138:139], v[128:129]
	s_waitcnt vmcnt(2)
	v_fmac_f64_e32 v[124:125], v[140:141], v[130:131]
	ds_read_b128 v[128:131], v126 offset:544
	s_waitcnt vmcnt(0) lgkmcnt(0)
	v_fmac_f64_e32 v[124:125], v[142:143], v[128:129]
	buffer_load_dword v129, off, s[0:3], 0 offset:76
	buffer_load_dword v128, off, s[0:3], 0 offset:72
	buffer_load_dword v133, off, s[0:3], 0 offset:84
	buffer_load_dword v132, off, s[0:3], 0 offset:80
	s_waitcnt vmcnt(2)
	v_fmac_f64_e32 v[124:125], v[128:129], v[130:131]
	ds_read_b128 v[128:131], v126 offset:560
	s_waitcnt vmcnt(0) lgkmcnt(0)
	v_fmac_f64_e32 v[124:125], v[132:133], v[128:129]
	buffer_load_dword v129, off, s[0:3], 0 offset:92
	buffer_load_dword v128, off, s[0:3], 0 offset:88
	buffer_load_dword v133, off, s[0:3], 0 offset:100
	buffer_load_dword v132, off, s[0:3], 0 offset:96
	s_waitcnt vmcnt(2)
	v_fmac_f64_e32 v[124:125], v[128:129], v[130:131]
	ds_read_b128 v[128:131], v126 offset:576
	s_waitcnt vmcnt(0) lgkmcnt(0)
	v_fmac_f64_e32 v[124:125], v[132:133], v[128:129]
	;; [unrolled: 9-line block ×24, first 2 shown]
	buffer_load_dword v129, off, s[0:3], 0 offset:460
	buffer_load_dword v128, off, s[0:3], 0 offset:456
	s_waitcnt vmcnt(0)
	v_fmac_f64_e32 v[124:125], v[128:129], v[130:131]
	buffer_load_dword v131, off, s[0:3], 0 offset:468
	buffer_load_dword v130, off, s[0:3], 0 offset:464
	ds_read_b128 v[126:129], v126 offset:944
	s_waitcnt vmcnt(0) lgkmcnt(0)
	v_fmac_f64_e32 v[124:125], v[130:131], v[126:127]
	buffer_load_dword v127, off, s[0:3], 0 offset:476
	buffer_load_dword v126, off, s[0:3], 0 offset:472
	s_waitcnt vmcnt(0)
	v_fmac_f64_e32 v[124:125], v[126:127], v[128:129]
	v_add_f64 v[122:123], v[122:123], -v[124:125]
	buffer_store_dword v123, off, s[0:3], 0 offset:12
	buffer_store_dword v122, off, s[0:3], 0 offset:8
	s_and_saveexec_b64 s[4:5], vcc
	s_cbranch_execz .LBB59_367
; %bb.366:
	buffer_load_dword v122, off, s[0:3], 0
	buffer_load_dword v123, off, s[0:3], 0 offset:4
	v_mov_b32_e32 v0, 0
	buffer_store_dword v0, off, s[0:3], 0
	buffer_store_dword v0, off, s[0:3], 0 offset:4
	s_waitcnt vmcnt(2)
	ds_write_b64 v1, v[122:123]
.LBB59_367:
	s_or_b64 exec, exec, s[4:5]
	s_waitcnt lgkmcnt(0)
	; wave barrier
	s_waitcnt lgkmcnt(0)
	buffer_load_dword v0, off, s[0:3], 0
	buffer_load_dword v1, off, s[0:3], 0 offset:4
	buffer_load_dword v128, off, s[0:3], 0 offset:8
	;; [unrolled: 1-line block ×15, first 2 shown]
	v_mov_b32_e32 v126, 0
	ds_read2_b64 v[122:125], v126 offset0:61 offset1:62
	s_and_b64 vcc, exec, s[20:21]
	s_waitcnt vmcnt(12) lgkmcnt(0)
	v_fma_f64 v[122:123], v[128:129], v[122:123], 0
	s_waitcnt vmcnt(10)
	v_fmac_f64_e32 v[122:123], v[130:131], v[124:125]
	ds_read2_b64 v[128:131], v126 offset0:63 offset1:64
	s_waitcnt vmcnt(8) lgkmcnt(0)
	v_fmac_f64_e32 v[122:123], v[132:133], v[128:129]
	s_waitcnt vmcnt(6)
	v_fmac_f64_e32 v[122:123], v[134:135], v[130:131]
	ds_read2_b64 v[128:131], v126 offset0:65 offset1:66
	s_waitcnt vmcnt(4) lgkmcnt(0)
	v_fmac_f64_e32 v[122:123], v[136:137], v[128:129]
	s_waitcnt vmcnt(2)
	v_fmac_f64_e32 v[122:123], v[138:139], v[130:131]
	ds_read2_b64 v[128:131], v126 offset0:67 offset1:68
	buffer_load_dword v125, off, s[0:3], 0 offset:68
	buffer_load_dword v124, off, s[0:3], 0 offset:64
	s_waitcnt vmcnt(2) lgkmcnt(0)
	v_fmac_f64_e32 v[122:123], v[140:141], v[128:129]
	s_waitcnt vmcnt(0)
	v_fmac_f64_e32 v[122:123], v[124:125], v[130:131]
	buffer_load_dword v125, off, s[0:3], 0 offset:76
	buffer_load_dword v124, off, s[0:3], 0 offset:72
	ds_read2_b64 v[128:131], v126 offset0:69 offset1:70
	s_waitcnt vmcnt(0) lgkmcnt(0)
	v_fmac_f64_e32 v[122:123], v[124:125], v[128:129]
	buffer_load_dword v125, off, s[0:3], 0 offset:84
	buffer_load_dword v124, off, s[0:3], 0 offset:80
	s_waitcnt vmcnt(0)
	v_fmac_f64_e32 v[122:123], v[124:125], v[130:131]
	buffer_load_dword v125, off, s[0:3], 0 offset:92
	buffer_load_dword v124, off, s[0:3], 0 offset:88
	ds_read2_b64 v[128:131], v126 offset0:71 offset1:72
	s_waitcnt vmcnt(0) lgkmcnt(0)
	v_fmac_f64_e32 v[122:123], v[124:125], v[128:129]
	buffer_load_dword v125, off, s[0:3], 0 offset:100
	buffer_load_dword v124, off, s[0:3], 0 offset:96
	;; [unrolled: 9-line block ×25, first 2 shown]
	buffer_load_dword v129, off, s[0:3], 0 offset:476
	buffer_load_dword v128, off, s[0:3], 0 offset:472
	ds_read_b64 v[126:127], v126 offset:952
	s_waitcnt vmcnt(2)
	v_fmac_f64_e32 v[122:123], v[124:125], v[130:131]
	s_waitcnt vmcnt(0) lgkmcnt(0)
	v_fmac_f64_e32 v[122:123], v[128:129], v[126:127]
	v_add_f64 v[0:1], v[0:1], -v[122:123]
	buffer_store_dword v1, off, s[0:3], 0 offset:4
	buffer_store_dword v0, off, s[0:3], 0
	s_cbranch_vccz .LBB59_487
; %bb.368:
	v_pk_mov_b32 v[0:1], s[10:11], s[10:11] op_sel:[0,1]
	flat_load_dword v0, v[0:1] offset:232
	s_waitcnt vmcnt(0) lgkmcnt(0)
	v_add_u32_e32 v0, -1, v0
	v_cmp_ne_u32_e32 vcc, 58, v0
	s_and_saveexec_b64 s[4:5], vcc
	s_cbranch_execz .LBB59_370
; %bb.369:
	v_mov_b32_e32 v1, 0
	v_lshl_add_u32 v0, v0, 3, v1
	buffer_load_dword v1, v0, s[0:3], 0 offen offset:4
	buffer_load_dword v122, v0, s[0:3], 0 offen
	s_waitcnt vmcnt(1)
	buffer_store_dword v1, off, s[0:3], 0 offset:468
	s_waitcnt vmcnt(1)
	buffer_store_dword v122, off, s[0:3], 0 offset:464
	buffer_store_dword v125, v0, s[0:3], 0 offen offset:4
	buffer_store_dword v124, v0, s[0:3], 0 offen
.LBB59_370:
	s_or_b64 exec, exec, s[4:5]
	v_pk_mov_b32 v[0:1], s[10:11], s[10:11] op_sel:[0,1]
	flat_load_dword v0, v[0:1] offset:228
	s_waitcnt vmcnt(0) lgkmcnt(0)
	v_add_u32_e32 v0, -1, v0
	v_cmp_ne_u32_e32 vcc, 57, v0
	s_and_saveexec_b64 s[4:5], vcc
	s_cbranch_execz .LBB59_372
; %bb.371:
	v_mov_b32_e32 v1, 0
	v_lshl_add_u32 v0, v0, 3, v1
	buffer_load_dword v1, v0, s[0:3], 0 offen
	buffer_load_dword v122, v0, s[0:3], 0 offen offset:4
	buffer_load_dword v123, off, s[0:3], 0 offset:456
	buffer_load_dword v124, off, s[0:3], 0 offset:460
	s_waitcnt vmcnt(3)
	buffer_store_dword v1, off, s[0:3], 0 offset:456
	s_waitcnt vmcnt(3)
	buffer_store_dword v122, off, s[0:3], 0 offset:460
	s_waitcnt vmcnt(3)
	buffer_store_dword v123, v0, s[0:3], 0 offen
	s_waitcnt vmcnt(3)
	buffer_store_dword v124, v0, s[0:3], 0 offen offset:4
.LBB59_372:
	s_or_b64 exec, exec, s[4:5]
	v_pk_mov_b32 v[0:1], s[10:11], s[10:11] op_sel:[0,1]
	flat_load_dword v0, v[0:1] offset:224
	s_waitcnt vmcnt(0) lgkmcnt(0)
	v_add_u32_e32 v0, -1, v0
	v_cmp_ne_u32_e32 vcc, 56, v0
	s_and_saveexec_b64 s[4:5], vcc
	s_cbranch_execz .LBB59_374
; %bb.373:
	v_mov_b32_e32 v1, 0
	v_lshl_add_u32 v0, v0, 3, v1
	buffer_load_dword v1, v0, s[0:3], 0 offen
	buffer_load_dword v122, v0, s[0:3], 0 offen offset:4
	buffer_load_dword v123, off, s[0:3], 0 offset:452
	buffer_load_dword v124, off, s[0:3], 0 offset:448
	s_waitcnt vmcnt(3)
	buffer_store_dword v1, off, s[0:3], 0 offset:448
	s_waitcnt vmcnt(3)
	buffer_store_dword v122, off, s[0:3], 0 offset:452
	s_waitcnt vmcnt(3)
	buffer_store_dword v123, v0, s[0:3], 0 offen offset:4
	s_waitcnt vmcnt(3)
	buffer_store_dword v124, v0, s[0:3], 0 offen
.LBB59_374:
	s_or_b64 exec, exec, s[4:5]
	v_pk_mov_b32 v[0:1], s[10:11], s[10:11] op_sel:[0,1]
	flat_load_dword v0, v[0:1] offset:220
	s_waitcnt vmcnt(0) lgkmcnt(0)
	v_add_u32_e32 v0, -1, v0
	v_cmp_ne_u32_e32 vcc, 55, v0
	s_and_saveexec_b64 s[4:5], vcc
	s_cbranch_execz .LBB59_376
; %bb.375:
	v_mov_b32_e32 v1, 0
	v_lshl_add_u32 v0, v0, 3, v1
	buffer_load_dword v1, v0, s[0:3], 0 offen
	buffer_load_dword v122, v0, s[0:3], 0 offen offset:4
	buffer_load_dword v123, off, s[0:3], 0 offset:440
	buffer_load_dword v124, off, s[0:3], 0 offset:444
	s_waitcnt vmcnt(3)
	buffer_store_dword v1, off, s[0:3], 0 offset:440
	s_waitcnt vmcnt(3)
	buffer_store_dword v122, off, s[0:3], 0 offset:444
	s_waitcnt vmcnt(3)
	buffer_store_dword v123, v0, s[0:3], 0 offen
	s_waitcnt vmcnt(3)
	buffer_store_dword v124, v0, s[0:3], 0 offen offset:4
.LBB59_376:
	s_or_b64 exec, exec, s[4:5]
	v_pk_mov_b32 v[0:1], s[10:11], s[10:11] op_sel:[0,1]
	flat_load_dword v0, v[0:1] offset:216
	s_waitcnt vmcnt(0) lgkmcnt(0)
	v_add_u32_e32 v0, -1, v0
	v_cmp_ne_u32_e32 vcc, 54, v0
	s_and_saveexec_b64 s[4:5], vcc
	s_cbranch_execz .LBB59_378
; %bb.377:
	v_mov_b32_e32 v1, 0
	v_lshl_add_u32 v0, v0, 3, v1
	buffer_load_dword v1, v0, s[0:3], 0 offen
	buffer_load_dword v122, v0, s[0:3], 0 offen offset:4
	buffer_load_dword v123, off, s[0:3], 0 offset:436
	buffer_load_dword v124, off, s[0:3], 0 offset:432
	s_waitcnt vmcnt(3)
	buffer_store_dword v1, off, s[0:3], 0 offset:432
	s_waitcnt vmcnt(3)
	buffer_store_dword v122, off, s[0:3], 0 offset:436
	s_waitcnt vmcnt(3)
	buffer_store_dword v123, v0, s[0:3], 0 offen offset:4
	s_waitcnt vmcnt(3)
	buffer_store_dword v124, v0, s[0:3], 0 offen
.LBB59_378:
	s_or_b64 exec, exec, s[4:5]
	v_pk_mov_b32 v[0:1], s[10:11], s[10:11] op_sel:[0,1]
	flat_load_dword v0, v[0:1] offset:212
	s_waitcnt vmcnt(0) lgkmcnt(0)
	v_add_u32_e32 v0, -1, v0
	v_cmp_ne_u32_e32 vcc, 53, v0
	s_and_saveexec_b64 s[4:5], vcc
	s_cbranch_execz .LBB59_380
; %bb.379:
	v_mov_b32_e32 v1, 0
	v_lshl_add_u32 v0, v0, 3, v1
	buffer_load_dword v1, v0, s[0:3], 0 offen
	buffer_load_dword v122, v0, s[0:3], 0 offen offset:4
	buffer_load_dword v123, off, s[0:3], 0 offset:424
	buffer_load_dword v124, off, s[0:3], 0 offset:428
	s_waitcnt vmcnt(3)
	buffer_store_dword v1, off, s[0:3], 0 offset:424
	s_waitcnt vmcnt(3)
	buffer_store_dword v122, off, s[0:3], 0 offset:428
	s_waitcnt vmcnt(3)
	buffer_store_dword v123, v0, s[0:3], 0 offen
	s_waitcnt vmcnt(3)
	buffer_store_dword v124, v0, s[0:3], 0 offen offset:4
.LBB59_380:
	s_or_b64 exec, exec, s[4:5]
	v_pk_mov_b32 v[0:1], s[10:11], s[10:11] op_sel:[0,1]
	flat_load_dword v0, v[0:1] offset:208
	s_waitcnt vmcnt(0) lgkmcnt(0)
	v_add_u32_e32 v0, -1, v0
	v_cmp_ne_u32_e32 vcc, 52, v0
	s_and_saveexec_b64 s[4:5], vcc
	s_cbranch_execz .LBB59_382
; %bb.381:
	v_mov_b32_e32 v1, 0
	v_lshl_add_u32 v0, v0, 3, v1
	buffer_load_dword v1, v0, s[0:3], 0 offen
	buffer_load_dword v122, v0, s[0:3], 0 offen offset:4
	buffer_load_dword v123, off, s[0:3], 0 offset:420
	buffer_load_dword v124, off, s[0:3], 0 offset:416
	s_waitcnt vmcnt(3)
	buffer_store_dword v1, off, s[0:3], 0 offset:416
	s_waitcnt vmcnt(3)
	buffer_store_dword v122, off, s[0:3], 0 offset:420
	s_waitcnt vmcnt(3)
	buffer_store_dword v123, v0, s[0:3], 0 offen offset:4
	s_waitcnt vmcnt(3)
	buffer_store_dword v124, v0, s[0:3], 0 offen
.LBB59_382:
	s_or_b64 exec, exec, s[4:5]
	v_pk_mov_b32 v[0:1], s[10:11], s[10:11] op_sel:[0,1]
	flat_load_dword v0, v[0:1] offset:204
	s_waitcnt vmcnt(0) lgkmcnt(0)
	v_add_u32_e32 v0, -1, v0
	v_cmp_ne_u32_e32 vcc, 51, v0
	s_and_saveexec_b64 s[4:5], vcc
	s_cbranch_execz .LBB59_384
; %bb.383:
	v_mov_b32_e32 v1, 0
	v_lshl_add_u32 v0, v0, 3, v1
	buffer_load_dword v1, v0, s[0:3], 0 offen
	buffer_load_dword v122, v0, s[0:3], 0 offen offset:4
	buffer_load_dword v123, off, s[0:3], 0 offset:408
	buffer_load_dword v124, off, s[0:3], 0 offset:412
	s_waitcnt vmcnt(3)
	buffer_store_dword v1, off, s[0:3], 0 offset:408
	s_waitcnt vmcnt(3)
	buffer_store_dword v122, off, s[0:3], 0 offset:412
	s_waitcnt vmcnt(3)
	buffer_store_dword v123, v0, s[0:3], 0 offen
	s_waitcnt vmcnt(3)
	buffer_store_dword v124, v0, s[0:3], 0 offen offset:4
.LBB59_384:
	s_or_b64 exec, exec, s[4:5]
	v_pk_mov_b32 v[0:1], s[10:11], s[10:11] op_sel:[0,1]
	flat_load_dword v0, v[0:1] offset:200
	s_waitcnt vmcnt(0) lgkmcnt(0)
	v_add_u32_e32 v0, -1, v0
	v_cmp_ne_u32_e32 vcc, 50, v0
	s_and_saveexec_b64 s[4:5], vcc
	s_cbranch_execz .LBB59_386
; %bb.385:
	v_mov_b32_e32 v1, 0
	v_lshl_add_u32 v0, v0, 3, v1
	buffer_load_dword v1, v0, s[0:3], 0 offen
	buffer_load_dword v122, v0, s[0:3], 0 offen offset:4
	buffer_load_dword v123, off, s[0:3], 0 offset:404
	buffer_load_dword v124, off, s[0:3], 0 offset:400
	s_waitcnt vmcnt(3)
	buffer_store_dword v1, off, s[0:3], 0 offset:400
	s_waitcnt vmcnt(3)
	buffer_store_dword v122, off, s[0:3], 0 offset:404
	s_waitcnt vmcnt(3)
	buffer_store_dword v123, v0, s[0:3], 0 offen offset:4
	s_waitcnt vmcnt(3)
	buffer_store_dword v124, v0, s[0:3], 0 offen
.LBB59_386:
	s_or_b64 exec, exec, s[4:5]
	v_pk_mov_b32 v[0:1], s[10:11], s[10:11] op_sel:[0,1]
	flat_load_dword v0, v[0:1] offset:196
	s_waitcnt vmcnt(0) lgkmcnt(0)
	v_add_u32_e32 v0, -1, v0
	v_cmp_ne_u32_e32 vcc, 49, v0
	s_and_saveexec_b64 s[4:5], vcc
	s_cbranch_execz .LBB59_388
; %bb.387:
	v_mov_b32_e32 v1, 0
	v_lshl_add_u32 v0, v0, 3, v1
	buffer_load_dword v1, v0, s[0:3], 0 offen
	buffer_load_dword v122, v0, s[0:3], 0 offen offset:4
	buffer_load_dword v123, off, s[0:3], 0 offset:392
	buffer_load_dword v124, off, s[0:3], 0 offset:396
	s_waitcnt vmcnt(3)
	buffer_store_dword v1, off, s[0:3], 0 offset:392
	s_waitcnt vmcnt(3)
	buffer_store_dword v122, off, s[0:3], 0 offset:396
	s_waitcnt vmcnt(3)
	buffer_store_dword v123, v0, s[0:3], 0 offen
	s_waitcnt vmcnt(3)
	buffer_store_dword v124, v0, s[0:3], 0 offen offset:4
.LBB59_388:
	s_or_b64 exec, exec, s[4:5]
	v_pk_mov_b32 v[0:1], s[10:11], s[10:11] op_sel:[0,1]
	flat_load_dword v0, v[0:1] offset:192
	s_waitcnt vmcnt(0) lgkmcnt(0)
	v_add_u32_e32 v0, -1, v0
	v_cmp_ne_u32_e32 vcc, 48, v0
	s_and_saveexec_b64 s[4:5], vcc
	s_cbranch_execz .LBB59_390
; %bb.389:
	v_mov_b32_e32 v1, 0
	v_lshl_add_u32 v0, v0, 3, v1
	buffer_load_dword v1, v0, s[0:3], 0 offen
	buffer_load_dword v122, v0, s[0:3], 0 offen offset:4
	buffer_load_dword v123, off, s[0:3], 0 offset:388
	buffer_load_dword v124, off, s[0:3], 0 offset:384
	s_waitcnt vmcnt(3)
	buffer_store_dword v1, off, s[0:3], 0 offset:384
	s_waitcnt vmcnt(3)
	buffer_store_dword v122, off, s[0:3], 0 offset:388
	s_waitcnt vmcnt(3)
	buffer_store_dword v123, v0, s[0:3], 0 offen offset:4
	s_waitcnt vmcnt(3)
	buffer_store_dword v124, v0, s[0:3], 0 offen
.LBB59_390:
	s_or_b64 exec, exec, s[4:5]
	v_pk_mov_b32 v[0:1], s[10:11], s[10:11] op_sel:[0,1]
	flat_load_dword v0, v[0:1] offset:188
	s_waitcnt vmcnt(0) lgkmcnt(0)
	v_add_u32_e32 v0, -1, v0
	v_cmp_ne_u32_e32 vcc, 47, v0
	s_and_saveexec_b64 s[4:5], vcc
	s_cbranch_execz .LBB59_392
; %bb.391:
	v_mov_b32_e32 v1, 0
	v_lshl_add_u32 v0, v0, 3, v1
	buffer_load_dword v1, v0, s[0:3], 0 offen
	buffer_load_dword v122, v0, s[0:3], 0 offen offset:4
	buffer_load_dword v123, off, s[0:3], 0 offset:376
	buffer_load_dword v124, off, s[0:3], 0 offset:380
	s_waitcnt vmcnt(3)
	buffer_store_dword v1, off, s[0:3], 0 offset:376
	s_waitcnt vmcnt(3)
	buffer_store_dword v122, off, s[0:3], 0 offset:380
	s_waitcnt vmcnt(3)
	buffer_store_dword v123, v0, s[0:3], 0 offen
	s_waitcnt vmcnt(3)
	buffer_store_dword v124, v0, s[0:3], 0 offen offset:4
.LBB59_392:
	s_or_b64 exec, exec, s[4:5]
	v_pk_mov_b32 v[0:1], s[10:11], s[10:11] op_sel:[0,1]
	flat_load_dword v0, v[0:1] offset:184
	s_waitcnt vmcnt(0) lgkmcnt(0)
	v_add_u32_e32 v0, -1, v0
	v_cmp_ne_u32_e32 vcc, 46, v0
	s_and_saveexec_b64 s[4:5], vcc
	s_cbranch_execz .LBB59_394
; %bb.393:
	v_mov_b32_e32 v1, 0
	v_lshl_add_u32 v0, v0, 3, v1
	buffer_load_dword v1, v0, s[0:3], 0 offen
	buffer_load_dword v122, v0, s[0:3], 0 offen offset:4
	buffer_load_dword v123, off, s[0:3], 0 offset:372
	buffer_load_dword v124, off, s[0:3], 0 offset:368
	s_waitcnt vmcnt(3)
	buffer_store_dword v1, off, s[0:3], 0 offset:368
	s_waitcnt vmcnt(3)
	buffer_store_dword v122, off, s[0:3], 0 offset:372
	s_waitcnt vmcnt(3)
	buffer_store_dword v123, v0, s[0:3], 0 offen offset:4
	s_waitcnt vmcnt(3)
	buffer_store_dword v124, v0, s[0:3], 0 offen
.LBB59_394:
	s_or_b64 exec, exec, s[4:5]
	v_pk_mov_b32 v[0:1], s[10:11], s[10:11] op_sel:[0,1]
	flat_load_dword v0, v[0:1] offset:180
	s_waitcnt vmcnt(0) lgkmcnt(0)
	v_add_u32_e32 v0, -1, v0
	v_cmp_ne_u32_e32 vcc, 45, v0
	s_and_saveexec_b64 s[4:5], vcc
	s_cbranch_execz .LBB59_396
; %bb.395:
	v_mov_b32_e32 v1, 0
	v_lshl_add_u32 v0, v0, 3, v1
	buffer_load_dword v1, v0, s[0:3], 0 offen
	buffer_load_dword v122, v0, s[0:3], 0 offen offset:4
	buffer_load_dword v123, off, s[0:3], 0 offset:360
	buffer_load_dword v124, off, s[0:3], 0 offset:364
	s_waitcnt vmcnt(3)
	buffer_store_dword v1, off, s[0:3], 0 offset:360
	s_waitcnt vmcnt(3)
	buffer_store_dword v122, off, s[0:3], 0 offset:364
	s_waitcnt vmcnt(3)
	buffer_store_dword v123, v0, s[0:3], 0 offen
	s_waitcnt vmcnt(3)
	buffer_store_dword v124, v0, s[0:3], 0 offen offset:4
.LBB59_396:
	s_or_b64 exec, exec, s[4:5]
	v_pk_mov_b32 v[0:1], s[10:11], s[10:11] op_sel:[0,1]
	flat_load_dword v0, v[0:1] offset:176
	s_waitcnt vmcnt(0) lgkmcnt(0)
	v_add_u32_e32 v0, -1, v0
	v_cmp_ne_u32_e32 vcc, 44, v0
	s_and_saveexec_b64 s[4:5], vcc
	s_cbranch_execz .LBB59_398
; %bb.397:
	v_mov_b32_e32 v1, 0
	v_lshl_add_u32 v0, v0, 3, v1
	buffer_load_dword v1, v0, s[0:3], 0 offen
	buffer_load_dword v122, v0, s[0:3], 0 offen offset:4
	buffer_load_dword v123, off, s[0:3], 0 offset:356
	buffer_load_dword v124, off, s[0:3], 0 offset:352
	s_waitcnt vmcnt(3)
	buffer_store_dword v1, off, s[0:3], 0 offset:352
	s_waitcnt vmcnt(3)
	buffer_store_dword v122, off, s[0:3], 0 offset:356
	s_waitcnt vmcnt(3)
	buffer_store_dword v123, v0, s[0:3], 0 offen offset:4
	s_waitcnt vmcnt(3)
	buffer_store_dword v124, v0, s[0:3], 0 offen
.LBB59_398:
	s_or_b64 exec, exec, s[4:5]
	v_pk_mov_b32 v[0:1], s[10:11], s[10:11] op_sel:[0,1]
	flat_load_dword v0, v[0:1] offset:172
	s_waitcnt vmcnt(0) lgkmcnt(0)
	v_add_u32_e32 v0, -1, v0
	v_cmp_ne_u32_e32 vcc, 43, v0
	s_and_saveexec_b64 s[4:5], vcc
	s_cbranch_execz .LBB59_400
; %bb.399:
	v_mov_b32_e32 v1, 0
	v_lshl_add_u32 v0, v0, 3, v1
	buffer_load_dword v1, v0, s[0:3], 0 offen
	buffer_load_dword v122, v0, s[0:3], 0 offen offset:4
	buffer_load_dword v123, off, s[0:3], 0 offset:344
	buffer_load_dword v124, off, s[0:3], 0 offset:348
	s_waitcnt vmcnt(3)
	buffer_store_dword v1, off, s[0:3], 0 offset:344
	s_waitcnt vmcnt(3)
	buffer_store_dword v122, off, s[0:3], 0 offset:348
	s_waitcnt vmcnt(3)
	buffer_store_dword v123, v0, s[0:3], 0 offen
	s_waitcnt vmcnt(3)
	buffer_store_dword v124, v0, s[0:3], 0 offen offset:4
.LBB59_400:
	s_or_b64 exec, exec, s[4:5]
	v_pk_mov_b32 v[0:1], s[10:11], s[10:11] op_sel:[0,1]
	flat_load_dword v0, v[0:1] offset:168
	s_waitcnt vmcnt(0) lgkmcnt(0)
	v_add_u32_e32 v0, -1, v0
	v_cmp_ne_u32_e32 vcc, 42, v0
	s_and_saveexec_b64 s[4:5], vcc
	s_cbranch_execz .LBB59_402
; %bb.401:
	v_mov_b32_e32 v1, 0
	v_lshl_add_u32 v0, v0, 3, v1
	buffer_load_dword v1, v0, s[0:3], 0 offen
	buffer_load_dword v122, v0, s[0:3], 0 offen offset:4
	buffer_load_dword v123, off, s[0:3], 0 offset:340
	buffer_load_dword v124, off, s[0:3], 0 offset:336
	s_waitcnt vmcnt(3)
	buffer_store_dword v1, off, s[0:3], 0 offset:336
	s_waitcnt vmcnt(3)
	buffer_store_dword v122, off, s[0:3], 0 offset:340
	s_waitcnt vmcnt(3)
	buffer_store_dword v123, v0, s[0:3], 0 offen offset:4
	s_waitcnt vmcnt(3)
	buffer_store_dword v124, v0, s[0:3], 0 offen
.LBB59_402:
	s_or_b64 exec, exec, s[4:5]
	v_pk_mov_b32 v[0:1], s[10:11], s[10:11] op_sel:[0,1]
	flat_load_dword v0, v[0:1] offset:164
	s_waitcnt vmcnt(0) lgkmcnt(0)
	v_add_u32_e32 v0, -1, v0
	v_cmp_ne_u32_e32 vcc, 41, v0
	s_and_saveexec_b64 s[4:5], vcc
	s_cbranch_execz .LBB59_404
; %bb.403:
	v_mov_b32_e32 v1, 0
	v_lshl_add_u32 v0, v0, 3, v1
	buffer_load_dword v1, v0, s[0:3], 0 offen
	buffer_load_dword v122, v0, s[0:3], 0 offen offset:4
	buffer_load_dword v123, off, s[0:3], 0 offset:328
	buffer_load_dword v124, off, s[0:3], 0 offset:332
	s_waitcnt vmcnt(3)
	buffer_store_dword v1, off, s[0:3], 0 offset:328
	s_waitcnt vmcnt(3)
	buffer_store_dword v122, off, s[0:3], 0 offset:332
	s_waitcnt vmcnt(3)
	buffer_store_dword v123, v0, s[0:3], 0 offen
	s_waitcnt vmcnt(3)
	buffer_store_dword v124, v0, s[0:3], 0 offen offset:4
.LBB59_404:
	s_or_b64 exec, exec, s[4:5]
	v_pk_mov_b32 v[0:1], s[10:11], s[10:11] op_sel:[0,1]
	flat_load_dword v0, v[0:1] offset:160
	s_waitcnt vmcnt(0) lgkmcnt(0)
	v_add_u32_e32 v0, -1, v0
	v_cmp_ne_u32_e32 vcc, 40, v0
	s_and_saveexec_b64 s[4:5], vcc
	s_cbranch_execz .LBB59_406
; %bb.405:
	v_mov_b32_e32 v1, 0
	v_lshl_add_u32 v0, v0, 3, v1
	buffer_load_dword v1, v0, s[0:3], 0 offen
	buffer_load_dword v122, v0, s[0:3], 0 offen offset:4
	buffer_load_dword v123, off, s[0:3], 0 offset:324
	buffer_load_dword v124, off, s[0:3], 0 offset:320
	s_waitcnt vmcnt(3)
	buffer_store_dword v1, off, s[0:3], 0 offset:320
	s_waitcnt vmcnt(3)
	buffer_store_dword v122, off, s[0:3], 0 offset:324
	s_waitcnt vmcnt(3)
	buffer_store_dword v123, v0, s[0:3], 0 offen offset:4
	s_waitcnt vmcnt(3)
	buffer_store_dword v124, v0, s[0:3], 0 offen
.LBB59_406:
	s_or_b64 exec, exec, s[4:5]
	v_pk_mov_b32 v[0:1], s[10:11], s[10:11] op_sel:[0,1]
	flat_load_dword v0, v[0:1] offset:156
	s_waitcnt vmcnt(0) lgkmcnt(0)
	v_add_u32_e32 v0, -1, v0
	v_cmp_ne_u32_e32 vcc, 39, v0
	s_and_saveexec_b64 s[4:5], vcc
	s_cbranch_execz .LBB59_408
; %bb.407:
	v_mov_b32_e32 v1, 0
	v_lshl_add_u32 v0, v0, 3, v1
	buffer_load_dword v1, v0, s[0:3], 0 offen
	buffer_load_dword v122, v0, s[0:3], 0 offen offset:4
	buffer_load_dword v123, off, s[0:3], 0 offset:312
	buffer_load_dword v124, off, s[0:3], 0 offset:316
	s_waitcnt vmcnt(3)
	buffer_store_dword v1, off, s[0:3], 0 offset:312
	s_waitcnt vmcnt(3)
	buffer_store_dword v122, off, s[0:3], 0 offset:316
	s_waitcnt vmcnt(3)
	buffer_store_dword v123, v0, s[0:3], 0 offen
	s_waitcnt vmcnt(3)
	buffer_store_dword v124, v0, s[0:3], 0 offen offset:4
.LBB59_408:
	s_or_b64 exec, exec, s[4:5]
	v_pk_mov_b32 v[0:1], s[10:11], s[10:11] op_sel:[0,1]
	flat_load_dword v0, v[0:1] offset:152
	s_waitcnt vmcnt(0) lgkmcnt(0)
	v_add_u32_e32 v0, -1, v0
	v_cmp_ne_u32_e32 vcc, 38, v0
	s_and_saveexec_b64 s[4:5], vcc
	s_cbranch_execz .LBB59_410
; %bb.409:
	v_mov_b32_e32 v1, 0
	v_lshl_add_u32 v0, v0, 3, v1
	buffer_load_dword v1, v0, s[0:3], 0 offen
	buffer_load_dword v122, v0, s[0:3], 0 offen offset:4
	buffer_load_dword v123, off, s[0:3], 0 offset:308
	buffer_load_dword v124, off, s[0:3], 0 offset:304
	s_waitcnt vmcnt(3)
	buffer_store_dword v1, off, s[0:3], 0 offset:304
	s_waitcnt vmcnt(3)
	buffer_store_dword v122, off, s[0:3], 0 offset:308
	s_waitcnt vmcnt(3)
	buffer_store_dword v123, v0, s[0:3], 0 offen offset:4
	s_waitcnt vmcnt(3)
	buffer_store_dword v124, v0, s[0:3], 0 offen
.LBB59_410:
	s_or_b64 exec, exec, s[4:5]
	v_pk_mov_b32 v[0:1], s[10:11], s[10:11] op_sel:[0,1]
	flat_load_dword v0, v[0:1] offset:148
	s_waitcnt vmcnt(0) lgkmcnt(0)
	v_add_u32_e32 v0, -1, v0
	v_cmp_ne_u32_e32 vcc, 37, v0
	s_and_saveexec_b64 s[4:5], vcc
	s_cbranch_execz .LBB59_412
; %bb.411:
	v_mov_b32_e32 v1, 0
	v_lshl_add_u32 v0, v0, 3, v1
	buffer_load_dword v1, v0, s[0:3], 0 offen
	buffer_load_dword v122, v0, s[0:3], 0 offen offset:4
	buffer_load_dword v123, off, s[0:3], 0 offset:296
	buffer_load_dword v124, off, s[0:3], 0 offset:300
	s_waitcnt vmcnt(3)
	buffer_store_dword v1, off, s[0:3], 0 offset:296
	s_waitcnt vmcnt(3)
	buffer_store_dword v122, off, s[0:3], 0 offset:300
	s_waitcnt vmcnt(3)
	buffer_store_dword v123, v0, s[0:3], 0 offen
	s_waitcnt vmcnt(3)
	buffer_store_dword v124, v0, s[0:3], 0 offen offset:4
.LBB59_412:
	s_or_b64 exec, exec, s[4:5]
	v_pk_mov_b32 v[0:1], s[10:11], s[10:11] op_sel:[0,1]
	flat_load_dword v0, v[0:1] offset:144
	s_waitcnt vmcnt(0) lgkmcnt(0)
	v_add_u32_e32 v0, -1, v0
	v_cmp_ne_u32_e32 vcc, 36, v0
	s_and_saveexec_b64 s[4:5], vcc
	s_cbranch_execz .LBB59_414
; %bb.413:
	v_mov_b32_e32 v1, 0
	v_lshl_add_u32 v0, v0, 3, v1
	buffer_load_dword v1, v0, s[0:3], 0 offen
	buffer_load_dword v122, v0, s[0:3], 0 offen offset:4
	buffer_load_dword v123, off, s[0:3], 0 offset:292
	buffer_load_dword v124, off, s[0:3], 0 offset:288
	s_waitcnt vmcnt(3)
	buffer_store_dword v1, off, s[0:3], 0 offset:288
	s_waitcnt vmcnt(3)
	buffer_store_dword v122, off, s[0:3], 0 offset:292
	s_waitcnt vmcnt(3)
	buffer_store_dword v123, v0, s[0:3], 0 offen offset:4
	s_waitcnt vmcnt(3)
	buffer_store_dword v124, v0, s[0:3], 0 offen
.LBB59_414:
	s_or_b64 exec, exec, s[4:5]
	v_pk_mov_b32 v[0:1], s[10:11], s[10:11] op_sel:[0,1]
	flat_load_dword v0, v[0:1] offset:140
	s_waitcnt vmcnt(0) lgkmcnt(0)
	v_add_u32_e32 v0, -1, v0
	v_cmp_ne_u32_e32 vcc, 35, v0
	s_and_saveexec_b64 s[4:5], vcc
	s_cbranch_execz .LBB59_416
; %bb.415:
	v_mov_b32_e32 v1, 0
	v_lshl_add_u32 v0, v0, 3, v1
	buffer_load_dword v1, v0, s[0:3], 0 offen
	buffer_load_dword v122, v0, s[0:3], 0 offen offset:4
	buffer_load_dword v123, off, s[0:3], 0 offset:280
	buffer_load_dword v124, off, s[0:3], 0 offset:284
	s_waitcnt vmcnt(3)
	buffer_store_dword v1, off, s[0:3], 0 offset:280
	s_waitcnt vmcnt(3)
	buffer_store_dword v122, off, s[0:3], 0 offset:284
	s_waitcnt vmcnt(3)
	buffer_store_dword v123, v0, s[0:3], 0 offen
	s_waitcnt vmcnt(3)
	buffer_store_dword v124, v0, s[0:3], 0 offen offset:4
.LBB59_416:
	s_or_b64 exec, exec, s[4:5]
	v_pk_mov_b32 v[0:1], s[10:11], s[10:11] op_sel:[0,1]
	flat_load_dword v0, v[0:1] offset:136
	s_waitcnt vmcnt(0) lgkmcnt(0)
	v_add_u32_e32 v0, -1, v0
	v_cmp_ne_u32_e32 vcc, 34, v0
	s_and_saveexec_b64 s[4:5], vcc
	s_cbranch_execz .LBB59_418
; %bb.417:
	v_mov_b32_e32 v1, 0
	v_lshl_add_u32 v0, v0, 3, v1
	buffer_load_dword v1, v0, s[0:3], 0 offen
	buffer_load_dword v122, v0, s[0:3], 0 offen offset:4
	buffer_load_dword v123, off, s[0:3], 0 offset:276
	buffer_load_dword v124, off, s[0:3], 0 offset:272
	s_waitcnt vmcnt(3)
	buffer_store_dword v1, off, s[0:3], 0 offset:272
	s_waitcnt vmcnt(3)
	buffer_store_dword v122, off, s[0:3], 0 offset:276
	s_waitcnt vmcnt(3)
	buffer_store_dword v123, v0, s[0:3], 0 offen offset:4
	s_waitcnt vmcnt(3)
	buffer_store_dword v124, v0, s[0:3], 0 offen
.LBB59_418:
	s_or_b64 exec, exec, s[4:5]
	v_pk_mov_b32 v[0:1], s[10:11], s[10:11] op_sel:[0,1]
	flat_load_dword v0, v[0:1] offset:132
	s_waitcnt vmcnt(0) lgkmcnt(0)
	v_add_u32_e32 v0, -1, v0
	v_cmp_ne_u32_e32 vcc, 33, v0
	s_and_saveexec_b64 s[4:5], vcc
	s_cbranch_execz .LBB59_420
; %bb.419:
	v_mov_b32_e32 v1, 0
	v_lshl_add_u32 v0, v0, 3, v1
	buffer_load_dword v1, v0, s[0:3], 0 offen
	buffer_load_dword v122, v0, s[0:3], 0 offen offset:4
	buffer_load_dword v123, off, s[0:3], 0 offset:264
	buffer_load_dword v124, off, s[0:3], 0 offset:268
	s_waitcnt vmcnt(3)
	buffer_store_dword v1, off, s[0:3], 0 offset:264
	s_waitcnt vmcnt(3)
	buffer_store_dword v122, off, s[0:3], 0 offset:268
	s_waitcnt vmcnt(3)
	buffer_store_dword v123, v0, s[0:3], 0 offen
	s_waitcnt vmcnt(3)
	buffer_store_dword v124, v0, s[0:3], 0 offen offset:4
.LBB59_420:
	s_or_b64 exec, exec, s[4:5]
	v_pk_mov_b32 v[0:1], s[10:11], s[10:11] op_sel:[0,1]
	flat_load_dword v0, v[0:1] offset:128
	s_waitcnt vmcnt(0) lgkmcnt(0)
	v_add_u32_e32 v0, -1, v0
	v_cmp_ne_u32_e32 vcc, 32, v0
	s_and_saveexec_b64 s[4:5], vcc
	s_cbranch_execz .LBB59_422
; %bb.421:
	v_mov_b32_e32 v1, 0
	v_lshl_add_u32 v0, v0, 3, v1
	buffer_load_dword v1, v0, s[0:3], 0 offen
	buffer_load_dword v122, v0, s[0:3], 0 offen offset:4
	buffer_load_dword v123, off, s[0:3], 0 offset:260
	buffer_load_dword v124, off, s[0:3], 0 offset:256
	s_waitcnt vmcnt(3)
	buffer_store_dword v1, off, s[0:3], 0 offset:256
	s_waitcnt vmcnt(3)
	buffer_store_dword v122, off, s[0:3], 0 offset:260
	s_waitcnt vmcnt(3)
	buffer_store_dword v123, v0, s[0:3], 0 offen offset:4
	s_waitcnt vmcnt(3)
	buffer_store_dword v124, v0, s[0:3], 0 offen
.LBB59_422:
	s_or_b64 exec, exec, s[4:5]
	v_pk_mov_b32 v[0:1], s[10:11], s[10:11] op_sel:[0,1]
	flat_load_dword v0, v[0:1] offset:124
	s_waitcnt vmcnt(0) lgkmcnt(0)
	v_add_u32_e32 v0, -1, v0
	v_cmp_ne_u32_e32 vcc, 31, v0
	s_and_saveexec_b64 s[4:5], vcc
	s_cbranch_execz .LBB59_424
; %bb.423:
	v_mov_b32_e32 v1, 0
	v_lshl_add_u32 v0, v0, 3, v1
	buffer_load_dword v1, v0, s[0:3], 0 offen
	buffer_load_dword v122, v0, s[0:3], 0 offen offset:4
	buffer_load_dword v123, off, s[0:3], 0 offset:248
	buffer_load_dword v124, off, s[0:3], 0 offset:252
	s_waitcnt vmcnt(3)
	buffer_store_dword v1, off, s[0:3], 0 offset:248
	s_waitcnt vmcnt(3)
	buffer_store_dword v122, off, s[0:3], 0 offset:252
	s_waitcnt vmcnt(3)
	buffer_store_dword v123, v0, s[0:3], 0 offen
	s_waitcnt vmcnt(3)
	buffer_store_dword v124, v0, s[0:3], 0 offen offset:4
.LBB59_424:
	s_or_b64 exec, exec, s[4:5]
	v_pk_mov_b32 v[0:1], s[10:11], s[10:11] op_sel:[0,1]
	flat_load_dword v0, v[0:1] offset:120
	s_waitcnt vmcnt(0) lgkmcnt(0)
	v_add_u32_e32 v0, -1, v0
	v_cmp_ne_u32_e32 vcc, 30, v0
	s_and_saveexec_b64 s[4:5], vcc
	s_cbranch_execz .LBB59_426
; %bb.425:
	v_mov_b32_e32 v1, 0
	v_lshl_add_u32 v0, v0, 3, v1
	buffer_load_dword v1, v0, s[0:3], 0 offen
	buffer_load_dword v122, v0, s[0:3], 0 offen offset:4
	buffer_load_dword v123, off, s[0:3], 0 offset:244
	buffer_load_dword v124, off, s[0:3], 0 offset:240
	s_waitcnt vmcnt(3)
	buffer_store_dword v1, off, s[0:3], 0 offset:240
	s_waitcnt vmcnt(3)
	buffer_store_dword v122, off, s[0:3], 0 offset:244
	s_waitcnt vmcnt(3)
	buffer_store_dword v123, v0, s[0:3], 0 offen offset:4
	s_waitcnt vmcnt(3)
	buffer_store_dword v124, v0, s[0:3], 0 offen
.LBB59_426:
	s_or_b64 exec, exec, s[4:5]
	v_pk_mov_b32 v[0:1], s[10:11], s[10:11] op_sel:[0,1]
	flat_load_dword v0, v[0:1] offset:116
	s_waitcnt vmcnt(0) lgkmcnt(0)
	v_add_u32_e32 v0, -1, v0
	v_cmp_ne_u32_e32 vcc, 29, v0
	s_and_saveexec_b64 s[4:5], vcc
	s_cbranch_execz .LBB59_428
; %bb.427:
	v_mov_b32_e32 v1, 0
	v_lshl_add_u32 v0, v0, 3, v1
	buffer_load_dword v1, v0, s[0:3], 0 offen
	buffer_load_dword v122, v0, s[0:3], 0 offen offset:4
	buffer_load_dword v123, off, s[0:3], 0 offset:232
	buffer_load_dword v124, off, s[0:3], 0 offset:236
	s_waitcnt vmcnt(3)
	buffer_store_dword v1, off, s[0:3], 0 offset:232
	s_waitcnt vmcnt(3)
	buffer_store_dword v122, off, s[0:3], 0 offset:236
	s_waitcnt vmcnt(3)
	buffer_store_dword v123, v0, s[0:3], 0 offen
	s_waitcnt vmcnt(3)
	buffer_store_dword v124, v0, s[0:3], 0 offen offset:4
.LBB59_428:
	s_or_b64 exec, exec, s[4:5]
	v_pk_mov_b32 v[0:1], s[10:11], s[10:11] op_sel:[0,1]
	flat_load_dword v0, v[0:1] offset:112
	s_waitcnt vmcnt(0) lgkmcnt(0)
	v_add_u32_e32 v0, -1, v0
	v_cmp_ne_u32_e32 vcc, 28, v0
	s_and_saveexec_b64 s[4:5], vcc
	s_cbranch_execz .LBB59_430
; %bb.429:
	v_mov_b32_e32 v1, 0
	v_lshl_add_u32 v0, v0, 3, v1
	buffer_load_dword v1, v0, s[0:3], 0 offen
	buffer_load_dword v122, v0, s[0:3], 0 offen offset:4
	buffer_load_dword v123, off, s[0:3], 0 offset:228
	buffer_load_dword v124, off, s[0:3], 0 offset:224
	s_waitcnt vmcnt(3)
	buffer_store_dword v1, off, s[0:3], 0 offset:224
	s_waitcnt vmcnt(3)
	buffer_store_dword v122, off, s[0:3], 0 offset:228
	s_waitcnt vmcnt(3)
	buffer_store_dword v123, v0, s[0:3], 0 offen offset:4
	s_waitcnt vmcnt(3)
	buffer_store_dword v124, v0, s[0:3], 0 offen
.LBB59_430:
	s_or_b64 exec, exec, s[4:5]
	v_pk_mov_b32 v[0:1], s[10:11], s[10:11] op_sel:[0,1]
	flat_load_dword v0, v[0:1] offset:108
	s_waitcnt vmcnt(0) lgkmcnt(0)
	v_add_u32_e32 v0, -1, v0
	v_cmp_ne_u32_e32 vcc, 27, v0
	s_and_saveexec_b64 s[4:5], vcc
	s_cbranch_execz .LBB59_432
; %bb.431:
	v_mov_b32_e32 v1, 0
	v_lshl_add_u32 v0, v0, 3, v1
	buffer_load_dword v1, v0, s[0:3], 0 offen
	buffer_load_dword v122, v0, s[0:3], 0 offen offset:4
	buffer_load_dword v123, off, s[0:3], 0 offset:216
	buffer_load_dword v124, off, s[0:3], 0 offset:220
	s_waitcnt vmcnt(3)
	buffer_store_dword v1, off, s[0:3], 0 offset:216
	s_waitcnt vmcnt(3)
	buffer_store_dword v122, off, s[0:3], 0 offset:220
	s_waitcnt vmcnt(3)
	buffer_store_dword v123, v0, s[0:3], 0 offen
	s_waitcnt vmcnt(3)
	buffer_store_dword v124, v0, s[0:3], 0 offen offset:4
.LBB59_432:
	s_or_b64 exec, exec, s[4:5]
	v_pk_mov_b32 v[0:1], s[10:11], s[10:11] op_sel:[0,1]
	flat_load_dword v0, v[0:1] offset:104
	s_waitcnt vmcnt(0) lgkmcnt(0)
	v_add_u32_e32 v0, -1, v0
	v_cmp_ne_u32_e32 vcc, 26, v0
	s_and_saveexec_b64 s[4:5], vcc
	s_cbranch_execz .LBB59_434
; %bb.433:
	v_mov_b32_e32 v1, 0
	v_lshl_add_u32 v0, v0, 3, v1
	buffer_load_dword v1, v0, s[0:3], 0 offen
	buffer_load_dword v122, v0, s[0:3], 0 offen offset:4
	buffer_load_dword v123, off, s[0:3], 0 offset:212
	buffer_load_dword v124, off, s[0:3], 0 offset:208
	s_waitcnt vmcnt(3)
	buffer_store_dword v1, off, s[0:3], 0 offset:208
	s_waitcnt vmcnt(3)
	buffer_store_dword v122, off, s[0:3], 0 offset:212
	s_waitcnt vmcnt(3)
	buffer_store_dword v123, v0, s[0:3], 0 offen offset:4
	s_waitcnt vmcnt(3)
	buffer_store_dword v124, v0, s[0:3], 0 offen
.LBB59_434:
	s_or_b64 exec, exec, s[4:5]
	v_pk_mov_b32 v[0:1], s[10:11], s[10:11] op_sel:[0,1]
	flat_load_dword v0, v[0:1] offset:100
	s_waitcnt vmcnt(0) lgkmcnt(0)
	v_add_u32_e32 v0, -1, v0
	v_cmp_ne_u32_e32 vcc, 25, v0
	s_and_saveexec_b64 s[4:5], vcc
	s_cbranch_execz .LBB59_436
; %bb.435:
	v_mov_b32_e32 v1, 0
	v_lshl_add_u32 v0, v0, 3, v1
	buffer_load_dword v1, v0, s[0:3], 0 offen
	buffer_load_dword v122, v0, s[0:3], 0 offen offset:4
	buffer_load_dword v123, off, s[0:3], 0 offset:200
	buffer_load_dword v124, off, s[0:3], 0 offset:204
	s_waitcnt vmcnt(3)
	buffer_store_dword v1, off, s[0:3], 0 offset:200
	s_waitcnt vmcnt(3)
	buffer_store_dword v122, off, s[0:3], 0 offset:204
	s_waitcnt vmcnt(3)
	buffer_store_dword v123, v0, s[0:3], 0 offen
	s_waitcnt vmcnt(3)
	buffer_store_dword v124, v0, s[0:3], 0 offen offset:4
.LBB59_436:
	s_or_b64 exec, exec, s[4:5]
	v_pk_mov_b32 v[0:1], s[10:11], s[10:11] op_sel:[0,1]
	flat_load_dword v0, v[0:1] offset:96
	s_waitcnt vmcnt(0) lgkmcnt(0)
	v_add_u32_e32 v0, -1, v0
	v_cmp_ne_u32_e32 vcc, 24, v0
	s_and_saveexec_b64 s[4:5], vcc
	s_cbranch_execz .LBB59_438
; %bb.437:
	v_mov_b32_e32 v1, 0
	v_lshl_add_u32 v0, v0, 3, v1
	buffer_load_dword v1, v0, s[0:3], 0 offen
	buffer_load_dword v122, v0, s[0:3], 0 offen offset:4
	buffer_load_dword v123, off, s[0:3], 0 offset:196
	buffer_load_dword v124, off, s[0:3], 0 offset:192
	s_waitcnt vmcnt(3)
	buffer_store_dword v1, off, s[0:3], 0 offset:192
	s_waitcnt vmcnt(3)
	buffer_store_dword v122, off, s[0:3], 0 offset:196
	s_waitcnt vmcnt(3)
	buffer_store_dword v123, v0, s[0:3], 0 offen offset:4
	s_waitcnt vmcnt(3)
	buffer_store_dword v124, v0, s[0:3], 0 offen
.LBB59_438:
	s_or_b64 exec, exec, s[4:5]
	v_pk_mov_b32 v[0:1], s[10:11], s[10:11] op_sel:[0,1]
	flat_load_dword v0, v[0:1] offset:92
	s_waitcnt vmcnt(0) lgkmcnt(0)
	v_add_u32_e32 v0, -1, v0
	v_cmp_ne_u32_e32 vcc, 23, v0
	s_and_saveexec_b64 s[4:5], vcc
	s_cbranch_execz .LBB59_440
; %bb.439:
	v_mov_b32_e32 v1, 0
	v_lshl_add_u32 v0, v0, 3, v1
	buffer_load_dword v1, v0, s[0:3], 0 offen
	buffer_load_dword v122, v0, s[0:3], 0 offen offset:4
	buffer_load_dword v123, off, s[0:3], 0 offset:184
	buffer_load_dword v124, off, s[0:3], 0 offset:188
	s_waitcnt vmcnt(3)
	buffer_store_dword v1, off, s[0:3], 0 offset:184
	s_waitcnt vmcnt(3)
	buffer_store_dword v122, off, s[0:3], 0 offset:188
	s_waitcnt vmcnt(3)
	buffer_store_dword v123, v0, s[0:3], 0 offen
	s_waitcnt vmcnt(3)
	buffer_store_dword v124, v0, s[0:3], 0 offen offset:4
.LBB59_440:
	s_or_b64 exec, exec, s[4:5]
	v_pk_mov_b32 v[0:1], s[10:11], s[10:11] op_sel:[0,1]
	flat_load_dword v0, v[0:1] offset:88
	s_waitcnt vmcnt(0) lgkmcnt(0)
	v_add_u32_e32 v0, -1, v0
	v_cmp_ne_u32_e32 vcc, 22, v0
	s_and_saveexec_b64 s[4:5], vcc
	s_cbranch_execz .LBB59_442
; %bb.441:
	v_mov_b32_e32 v1, 0
	v_lshl_add_u32 v0, v0, 3, v1
	buffer_load_dword v1, v0, s[0:3], 0 offen
	buffer_load_dword v122, v0, s[0:3], 0 offen offset:4
	buffer_load_dword v123, off, s[0:3], 0 offset:180
	buffer_load_dword v124, off, s[0:3], 0 offset:176
	s_waitcnt vmcnt(3)
	buffer_store_dword v1, off, s[0:3], 0 offset:176
	s_waitcnt vmcnt(3)
	buffer_store_dword v122, off, s[0:3], 0 offset:180
	s_waitcnt vmcnt(3)
	buffer_store_dword v123, v0, s[0:3], 0 offen offset:4
	s_waitcnt vmcnt(3)
	buffer_store_dword v124, v0, s[0:3], 0 offen
.LBB59_442:
	s_or_b64 exec, exec, s[4:5]
	v_pk_mov_b32 v[0:1], s[10:11], s[10:11] op_sel:[0,1]
	flat_load_dword v0, v[0:1] offset:84
	s_waitcnt vmcnt(0) lgkmcnt(0)
	v_add_u32_e32 v0, -1, v0
	v_cmp_ne_u32_e32 vcc, 21, v0
	s_and_saveexec_b64 s[4:5], vcc
	s_cbranch_execz .LBB59_444
; %bb.443:
	v_mov_b32_e32 v1, 0
	v_lshl_add_u32 v0, v0, 3, v1
	buffer_load_dword v1, v0, s[0:3], 0 offen
	buffer_load_dword v122, v0, s[0:3], 0 offen offset:4
	buffer_load_dword v123, off, s[0:3], 0 offset:168
	buffer_load_dword v124, off, s[0:3], 0 offset:172
	s_waitcnt vmcnt(3)
	buffer_store_dword v1, off, s[0:3], 0 offset:168
	s_waitcnt vmcnt(3)
	buffer_store_dword v122, off, s[0:3], 0 offset:172
	s_waitcnt vmcnt(3)
	buffer_store_dword v123, v0, s[0:3], 0 offen
	s_waitcnt vmcnt(3)
	buffer_store_dword v124, v0, s[0:3], 0 offen offset:4
.LBB59_444:
	s_or_b64 exec, exec, s[4:5]
	v_pk_mov_b32 v[0:1], s[10:11], s[10:11] op_sel:[0,1]
	flat_load_dword v0, v[0:1] offset:80
	s_waitcnt vmcnt(0) lgkmcnt(0)
	v_add_u32_e32 v0, -1, v0
	v_cmp_ne_u32_e32 vcc, 20, v0
	s_and_saveexec_b64 s[4:5], vcc
	s_cbranch_execz .LBB59_446
; %bb.445:
	v_mov_b32_e32 v1, 0
	v_lshl_add_u32 v0, v0, 3, v1
	buffer_load_dword v1, v0, s[0:3], 0 offen
	buffer_load_dword v122, v0, s[0:3], 0 offen offset:4
	buffer_load_dword v123, off, s[0:3], 0 offset:164
	buffer_load_dword v124, off, s[0:3], 0 offset:160
	s_waitcnt vmcnt(3)
	buffer_store_dword v1, off, s[0:3], 0 offset:160
	s_waitcnt vmcnt(3)
	buffer_store_dword v122, off, s[0:3], 0 offset:164
	s_waitcnt vmcnt(3)
	buffer_store_dword v123, v0, s[0:3], 0 offen offset:4
	s_waitcnt vmcnt(3)
	buffer_store_dword v124, v0, s[0:3], 0 offen
.LBB59_446:
	s_or_b64 exec, exec, s[4:5]
	v_pk_mov_b32 v[0:1], s[10:11], s[10:11] op_sel:[0,1]
	flat_load_dword v0, v[0:1] offset:76
	s_waitcnt vmcnt(0) lgkmcnt(0)
	v_add_u32_e32 v0, -1, v0
	v_cmp_ne_u32_e32 vcc, 19, v0
	s_and_saveexec_b64 s[4:5], vcc
	s_cbranch_execz .LBB59_448
; %bb.447:
	v_mov_b32_e32 v1, 0
	v_lshl_add_u32 v0, v0, 3, v1
	buffer_load_dword v1, v0, s[0:3], 0 offen
	buffer_load_dword v122, v0, s[0:3], 0 offen offset:4
	buffer_load_dword v123, off, s[0:3], 0 offset:152
	buffer_load_dword v124, off, s[0:3], 0 offset:156
	s_waitcnt vmcnt(3)
	buffer_store_dword v1, off, s[0:3], 0 offset:152
	s_waitcnt vmcnt(3)
	buffer_store_dword v122, off, s[0:3], 0 offset:156
	s_waitcnt vmcnt(3)
	buffer_store_dword v123, v0, s[0:3], 0 offen
	s_waitcnt vmcnt(3)
	buffer_store_dword v124, v0, s[0:3], 0 offen offset:4
.LBB59_448:
	s_or_b64 exec, exec, s[4:5]
	v_pk_mov_b32 v[0:1], s[10:11], s[10:11] op_sel:[0,1]
	flat_load_dword v0, v[0:1] offset:72
	s_waitcnt vmcnt(0) lgkmcnt(0)
	v_add_u32_e32 v0, -1, v0
	v_cmp_ne_u32_e32 vcc, 18, v0
	s_and_saveexec_b64 s[4:5], vcc
	s_cbranch_execz .LBB59_450
; %bb.449:
	v_mov_b32_e32 v1, 0
	v_lshl_add_u32 v0, v0, 3, v1
	buffer_load_dword v1, v0, s[0:3], 0 offen
	buffer_load_dword v122, v0, s[0:3], 0 offen offset:4
	buffer_load_dword v123, off, s[0:3], 0 offset:148
	buffer_load_dword v124, off, s[0:3], 0 offset:144
	s_waitcnt vmcnt(3)
	buffer_store_dword v1, off, s[0:3], 0 offset:144
	s_waitcnt vmcnt(3)
	buffer_store_dword v122, off, s[0:3], 0 offset:148
	s_waitcnt vmcnt(3)
	buffer_store_dword v123, v0, s[0:3], 0 offen offset:4
	s_waitcnt vmcnt(3)
	buffer_store_dword v124, v0, s[0:3], 0 offen
.LBB59_450:
	s_or_b64 exec, exec, s[4:5]
	v_pk_mov_b32 v[0:1], s[10:11], s[10:11] op_sel:[0,1]
	flat_load_dword v0, v[0:1] offset:68
	s_waitcnt vmcnt(0) lgkmcnt(0)
	v_add_u32_e32 v0, -1, v0
	v_cmp_ne_u32_e32 vcc, 17, v0
	s_and_saveexec_b64 s[4:5], vcc
	s_cbranch_execz .LBB59_452
; %bb.451:
	v_mov_b32_e32 v1, 0
	v_lshl_add_u32 v0, v0, 3, v1
	buffer_load_dword v1, v0, s[0:3], 0 offen
	buffer_load_dword v122, v0, s[0:3], 0 offen offset:4
	buffer_load_dword v123, off, s[0:3], 0 offset:136
	buffer_load_dword v124, off, s[0:3], 0 offset:140
	s_waitcnt vmcnt(3)
	buffer_store_dword v1, off, s[0:3], 0 offset:136
	s_waitcnt vmcnt(3)
	buffer_store_dword v122, off, s[0:3], 0 offset:140
	s_waitcnt vmcnt(3)
	buffer_store_dword v123, v0, s[0:3], 0 offen
	s_waitcnt vmcnt(3)
	buffer_store_dword v124, v0, s[0:3], 0 offen offset:4
.LBB59_452:
	s_or_b64 exec, exec, s[4:5]
	v_pk_mov_b32 v[0:1], s[10:11], s[10:11] op_sel:[0,1]
	flat_load_dword v0, v[0:1] offset:64
	s_waitcnt vmcnt(0) lgkmcnt(0)
	v_add_u32_e32 v0, -1, v0
	v_cmp_ne_u32_e32 vcc, 16, v0
	s_and_saveexec_b64 s[4:5], vcc
	s_cbranch_execz .LBB59_454
; %bb.453:
	v_mov_b32_e32 v1, 0
	v_lshl_add_u32 v0, v0, 3, v1
	buffer_load_dword v1, v0, s[0:3], 0 offen
	buffer_load_dword v122, v0, s[0:3], 0 offen offset:4
	buffer_load_dword v123, off, s[0:3], 0 offset:132
	buffer_load_dword v124, off, s[0:3], 0 offset:128
	s_waitcnt vmcnt(3)
	buffer_store_dword v1, off, s[0:3], 0 offset:128
	s_waitcnt vmcnt(3)
	buffer_store_dword v122, off, s[0:3], 0 offset:132
	s_waitcnt vmcnt(3)
	buffer_store_dword v123, v0, s[0:3], 0 offen offset:4
	s_waitcnt vmcnt(3)
	buffer_store_dword v124, v0, s[0:3], 0 offen
.LBB59_454:
	s_or_b64 exec, exec, s[4:5]
	v_pk_mov_b32 v[0:1], s[10:11], s[10:11] op_sel:[0,1]
	flat_load_dword v0, v[0:1] offset:60
	s_waitcnt vmcnt(0) lgkmcnt(0)
	v_add_u32_e32 v0, -1, v0
	v_cmp_ne_u32_e32 vcc, 15, v0
	s_and_saveexec_b64 s[4:5], vcc
	s_cbranch_execz .LBB59_456
; %bb.455:
	v_mov_b32_e32 v1, 0
	v_lshl_add_u32 v0, v0, 3, v1
	buffer_load_dword v1, v0, s[0:3], 0 offen
	buffer_load_dword v122, v0, s[0:3], 0 offen offset:4
	buffer_load_dword v123, off, s[0:3], 0 offset:120
	buffer_load_dword v124, off, s[0:3], 0 offset:124
	s_waitcnt vmcnt(3)
	buffer_store_dword v1, off, s[0:3], 0 offset:120
	s_waitcnt vmcnt(3)
	buffer_store_dword v122, off, s[0:3], 0 offset:124
	s_waitcnt vmcnt(3)
	buffer_store_dword v123, v0, s[0:3], 0 offen
	s_waitcnt vmcnt(3)
	buffer_store_dword v124, v0, s[0:3], 0 offen offset:4
.LBB59_456:
	s_or_b64 exec, exec, s[4:5]
	v_pk_mov_b32 v[0:1], s[10:11], s[10:11] op_sel:[0,1]
	flat_load_dword v0, v[0:1] offset:56
	s_waitcnt vmcnt(0) lgkmcnt(0)
	v_add_u32_e32 v0, -1, v0
	v_cmp_ne_u32_e32 vcc, 14, v0
	s_and_saveexec_b64 s[4:5], vcc
	s_cbranch_execz .LBB59_458
; %bb.457:
	v_mov_b32_e32 v1, 0
	v_lshl_add_u32 v0, v0, 3, v1
	buffer_load_dword v1, v0, s[0:3], 0 offen
	buffer_load_dword v122, v0, s[0:3], 0 offen offset:4
	buffer_load_dword v123, off, s[0:3], 0 offset:116
	buffer_load_dword v124, off, s[0:3], 0 offset:112
	s_waitcnt vmcnt(3)
	buffer_store_dword v1, off, s[0:3], 0 offset:112
	s_waitcnt vmcnt(3)
	buffer_store_dword v122, off, s[0:3], 0 offset:116
	s_waitcnt vmcnt(3)
	buffer_store_dword v123, v0, s[0:3], 0 offen offset:4
	s_waitcnt vmcnt(3)
	buffer_store_dword v124, v0, s[0:3], 0 offen
.LBB59_458:
	s_or_b64 exec, exec, s[4:5]
	v_pk_mov_b32 v[0:1], s[10:11], s[10:11] op_sel:[0,1]
	flat_load_dword v0, v[0:1] offset:52
	s_waitcnt vmcnt(0) lgkmcnt(0)
	v_add_u32_e32 v0, -1, v0
	v_cmp_ne_u32_e32 vcc, 13, v0
	s_and_saveexec_b64 s[4:5], vcc
	s_cbranch_execz .LBB59_460
; %bb.459:
	v_mov_b32_e32 v1, 0
	v_lshl_add_u32 v0, v0, 3, v1
	buffer_load_dword v1, v0, s[0:3], 0 offen
	buffer_load_dword v122, v0, s[0:3], 0 offen offset:4
	buffer_load_dword v123, off, s[0:3], 0 offset:104
	buffer_load_dword v124, off, s[0:3], 0 offset:108
	s_waitcnt vmcnt(3)
	buffer_store_dword v1, off, s[0:3], 0 offset:104
	s_waitcnt vmcnt(3)
	buffer_store_dword v122, off, s[0:3], 0 offset:108
	s_waitcnt vmcnt(3)
	buffer_store_dword v123, v0, s[0:3], 0 offen
	s_waitcnt vmcnt(3)
	buffer_store_dword v124, v0, s[0:3], 0 offen offset:4
.LBB59_460:
	s_or_b64 exec, exec, s[4:5]
	v_pk_mov_b32 v[0:1], s[10:11], s[10:11] op_sel:[0,1]
	flat_load_dword v0, v[0:1] offset:48
	s_waitcnt vmcnt(0) lgkmcnt(0)
	v_add_u32_e32 v0, -1, v0
	v_cmp_ne_u32_e32 vcc, 12, v0
	s_and_saveexec_b64 s[4:5], vcc
	s_cbranch_execz .LBB59_462
; %bb.461:
	v_mov_b32_e32 v1, 0
	v_lshl_add_u32 v0, v0, 3, v1
	buffer_load_dword v1, v0, s[0:3], 0 offen
	buffer_load_dword v122, v0, s[0:3], 0 offen offset:4
	buffer_load_dword v123, off, s[0:3], 0 offset:100
	buffer_load_dword v124, off, s[0:3], 0 offset:96
	s_waitcnt vmcnt(3)
	buffer_store_dword v1, off, s[0:3], 0 offset:96
	s_waitcnt vmcnt(3)
	buffer_store_dword v122, off, s[0:3], 0 offset:100
	s_waitcnt vmcnt(3)
	buffer_store_dword v123, v0, s[0:3], 0 offen offset:4
	s_waitcnt vmcnt(3)
	buffer_store_dword v124, v0, s[0:3], 0 offen
.LBB59_462:
	s_or_b64 exec, exec, s[4:5]
	v_pk_mov_b32 v[0:1], s[10:11], s[10:11] op_sel:[0,1]
	flat_load_dword v0, v[0:1] offset:44
	s_waitcnt vmcnt(0) lgkmcnt(0)
	v_add_u32_e32 v0, -1, v0
	v_cmp_ne_u32_e32 vcc, 11, v0
	s_and_saveexec_b64 s[4:5], vcc
	s_cbranch_execz .LBB59_464
; %bb.463:
	v_mov_b32_e32 v1, 0
	v_lshl_add_u32 v0, v0, 3, v1
	buffer_load_dword v1, v0, s[0:3], 0 offen
	buffer_load_dword v122, v0, s[0:3], 0 offen offset:4
	buffer_load_dword v123, off, s[0:3], 0 offset:88
	buffer_load_dword v124, off, s[0:3], 0 offset:92
	s_waitcnt vmcnt(3)
	buffer_store_dword v1, off, s[0:3], 0 offset:88
	s_waitcnt vmcnt(3)
	buffer_store_dword v122, off, s[0:3], 0 offset:92
	s_waitcnt vmcnt(3)
	buffer_store_dword v123, v0, s[0:3], 0 offen
	s_waitcnt vmcnt(3)
	buffer_store_dword v124, v0, s[0:3], 0 offen offset:4
.LBB59_464:
	s_or_b64 exec, exec, s[4:5]
	v_pk_mov_b32 v[0:1], s[10:11], s[10:11] op_sel:[0,1]
	flat_load_dword v0, v[0:1] offset:40
	s_waitcnt vmcnt(0) lgkmcnt(0)
	v_add_u32_e32 v0, -1, v0
	v_cmp_ne_u32_e32 vcc, 10, v0
	s_and_saveexec_b64 s[4:5], vcc
	s_cbranch_execz .LBB59_466
; %bb.465:
	v_mov_b32_e32 v1, 0
	v_lshl_add_u32 v0, v0, 3, v1
	buffer_load_dword v1, v0, s[0:3], 0 offen
	buffer_load_dword v122, v0, s[0:3], 0 offen offset:4
	buffer_load_dword v123, off, s[0:3], 0 offset:84
	buffer_load_dword v124, off, s[0:3], 0 offset:80
	s_waitcnt vmcnt(3)
	buffer_store_dword v1, off, s[0:3], 0 offset:80
	s_waitcnt vmcnt(3)
	buffer_store_dword v122, off, s[0:3], 0 offset:84
	s_waitcnt vmcnt(3)
	buffer_store_dword v123, v0, s[0:3], 0 offen offset:4
	s_waitcnt vmcnt(3)
	buffer_store_dword v124, v0, s[0:3], 0 offen
.LBB59_466:
	s_or_b64 exec, exec, s[4:5]
	v_pk_mov_b32 v[0:1], s[10:11], s[10:11] op_sel:[0,1]
	flat_load_dword v0, v[0:1] offset:36
	s_waitcnt vmcnt(0) lgkmcnt(0)
	v_add_u32_e32 v0, -1, v0
	v_cmp_ne_u32_e32 vcc, 9, v0
	s_and_saveexec_b64 s[4:5], vcc
	s_cbranch_execz .LBB59_468
; %bb.467:
	v_mov_b32_e32 v1, 0
	v_lshl_add_u32 v0, v0, 3, v1
	buffer_load_dword v1, v0, s[0:3], 0 offen
	buffer_load_dword v122, v0, s[0:3], 0 offen offset:4
	buffer_load_dword v123, off, s[0:3], 0 offset:72
	buffer_load_dword v124, off, s[0:3], 0 offset:76
	s_waitcnt vmcnt(3)
	buffer_store_dword v1, off, s[0:3], 0 offset:72
	s_waitcnt vmcnt(3)
	buffer_store_dword v122, off, s[0:3], 0 offset:76
	s_waitcnt vmcnt(3)
	buffer_store_dword v123, v0, s[0:3], 0 offen
	s_waitcnt vmcnt(3)
	buffer_store_dword v124, v0, s[0:3], 0 offen offset:4
.LBB59_468:
	s_or_b64 exec, exec, s[4:5]
	v_pk_mov_b32 v[0:1], s[10:11], s[10:11] op_sel:[0,1]
	flat_load_dword v0, v[0:1] offset:32
	s_waitcnt vmcnt(0) lgkmcnt(0)
	v_add_u32_e32 v0, -1, v0
	v_cmp_ne_u32_e32 vcc, 8, v0
	s_and_saveexec_b64 s[4:5], vcc
	s_cbranch_execz .LBB59_470
; %bb.469:
	v_mov_b32_e32 v1, 0
	v_lshl_add_u32 v0, v0, 3, v1
	buffer_load_dword v1, v0, s[0:3], 0 offen
	buffer_load_dword v122, v0, s[0:3], 0 offen offset:4
	buffer_load_dword v123, off, s[0:3], 0 offset:68
	buffer_load_dword v124, off, s[0:3], 0 offset:64
	s_waitcnt vmcnt(3)
	buffer_store_dword v1, off, s[0:3], 0 offset:64
	s_waitcnt vmcnt(3)
	buffer_store_dword v122, off, s[0:3], 0 offset:68
	s_waitcnt vmcnt(3)
	buffer_store_dword v123, v0, s[0:3], 0 offen offset:4
	s_waitcnt vmcnt(3)
	buffer_store_dword v124, v0, s[0:3], 0 offen
.LBB59_470:
	s_or_b64 exec, exec, s[4:5]
	v_pk_mov_b32 v[0:1], s[10:11], s[10:11] op_sel:[0,1]
	flat_load_dword v0, v[0:1] offset:28
	s_waitcnt vmcnt(0) lgkmcnt(0)
	v_add_u32_e32 v0, -1, v0
	v_cmp_ne_u32_e32 vcc, 7, v0
	s_and_saveexec_b64 s[4:5], vcc
	s_cbranch_execz .LBB59_472
; %bb.471:
	v_mov_b32_e32 v1, 0
	v_lshl_add_u32 v0, v0, 3, v1
	buffer_load_dword v1, v0, s[0:3], 0 offen
	buffer_load_dword v122, v0, s[0:3], 0 offen offset:4
	buffer_load_dword v123, off, s[0:3], 0 offset:56
	buffer_load_dword v124, off, s[0:3], 0 offset:60
	s_waitcnt vmcnt(3)
	buffer_store_dword v1, off, s[0:3], 0 offset:56
	s_waitcnt vmcnt(3)
	buffer_store_dword v122, off, s[0:3], 0 offset:60
	s_waitcnt vmcnt(3)
	buffer_store_dword v123, v0, s[0:3], 0 offen
	s_waitcnt vmcnt(3)
	buffer_store_dword v124, v0, s[0:3], 0 offen offset:4
.LBB59_472:
	s_or_b64 exec, exec, s[4:5]
	v_pk_mov_b32 v[0:1], s[10:11], s[10:11] op_sel:[0,1]
	flat_load_dword v0, v[0:1] offset:24
	s_waitcnt vmcnt(0) lgkmcnt(0)
	v_add_u32_e32 v0, -1, v0
	v_cmp_ne_u32_e32 vcc, 6, v0
	s_and_saveexec_b64 s[4:5], vcc
	s_cbranch_execz .LBB59_474
; %bb.473:
	v_mov_b32_e32 v1, 0
	v_lshl_add_u32 v0, v0, 3, v1
	buffer_load_dword v1, v0, s[0:3], 0 offen
	buffer_load_dword v122, v0, s[0:3], 0 offen offset:4
	buffer_load_dword v123, off, s[0:3], 0 offset:52
	buffer_load_dword v124, off, s[0:3], 0 offset:48
	s_waitcnt vmcnt(3)
	buffer_store_dword v1, off, s[0:3], 0 offset:48
	s_waitcnt vmcnt(3)
	buffer_store_dword v122, off, s[0:3], 0 offset:52
	s_waitcnt vmcnt(3)
	buffer_store_dword v123, v0, s[0:3], 0 offen offset:4
	s_waitcnt vmcnt(3)
	buffer_store_dword v124, v0, s[0:3], 0 offen
.LBB59_474:
	s_or_b64 exec, exec, s[4:5]
	v_pk_mov_b32 v[0:1], s[10:11], s[10:11] op_sel:[0,1]
	flat_load_dword v0, v[0:1] offset:20
	s_waitcnt vmcnt(0) lgkmcnt(0)
	v_add_u32_e32 v0, -1, v0
	v_cmp_ne_u32_e32 vcc, 5, v0
	s_and_saveexec_b64 s[4:5], vcc
	s_cbranch_execz .LBB59_476
; %bb.475:
	v_mov_b32_e32 v1, 0
	v_lshl_add_u32 v0, v0, 3, v1
	buffer_load_dword v1, v0, s[0:3], 0 offen
	buffer_load_dword v122, v0, s[0:3], 0 offen offset:4
	buffer_load_dword v123, off, s[0:3], 0 offset:40
	buffer_load_dword v124, off, s[0:3], 0 offset:44
	s_waitcnt vmcnt(3)
	buffer_store_dword v1, off, s[0:3], 0 offset:40
	s_waitcnt vmcnt(3)
	buffer_store_dword v122, off, s[0:3], 0 offset:44
	s_waitcnt vmcnt(3)
	buffer_store_dword v123, v0, s[0:3], 0 offen
	s_waitcnt vmcnt(3)
	buffer_store_dword v124, v0, s[0:3], 0 offen offset:4
.LBB59_476:
	s_or_b64 exec, exec, s[4:5]
	v_pk_mov_b32 v[0:1], s[10:11], s[10:11] op_sel:[0,1]
	flat_load_dword v0, v[0:1] offset:16
	s_waitcnt vmcnt(0) lgkmcnt(0)
	v_add_u32_e32 v0, -1, v0
	v_cmp_ne_u32_e32 vcc, 4, v0
	s_and_saveexec_b64 s[4:5], vcc
	s_cbranch_execz .LBB59_478
; %bb.477:
	v_mov_b32_e32 v1, 0
	v_lshl_add_u32 v0, v0, 3, v1
	buffer_load_dword v1, v0, s[0:3], 0 offen
	buffer_load_dword v122, v0, s[0:3], 0 offen offset:4
	buffer_load_dword v123, off, s[0:3], 0 offset:36
	buffer_load_dword v124, off, s[0:3], 0 offset:32
	s_waitcnt vmcnt(3)
	buffer_store_dword v1, off, s[0:3], 0 offset:32
	s_waitcnt vmcnt(3)
	buffer_store_dword v122, off, s[0:3], 0 offset:36
	s_waitcnt vmcnt(3)
	buffer_store_dword v123, v0, s[0:3], 0 offen offset:4
	s_waitcnt vmcnt(3)
	buffer_store_dword v124, v0, s[0:3], 0 offen
.LBB59_478:
	s_or_b64 exec, exec, s[4:5]
	v_pk_mov_b32 v[0:1], s[10:11], s[10:11] op_sel:[0,1]
	flat_load_dword v0, v[0:1] offset:12
	s_waitcnt vmcnt(0) lgkmcnt(0)
	v_add_u32_e32 v0, -1, v0
	v_cmp_ne_u32_e32 vcc, 3, v0
	s_and_saveexec_b64 s[4:5], vcc
	s_cbranch_execz .LBB59_480
; %bb.479:
	v_mov_b32_e32 v1, 0
	v_lshl_add_u32 v0, v0, 3, v1
	buffer_load_dword v1, v0, s[0:3], 0 offen
	buffer_load_dword v122, v0, s[0:3], 0 offen offset:4
	buffer_load_dword v123, off, s[0:3], 0 offset:24
	buffer_load_dword v124, off, s[0:3], 0 offset:28
	s_waitcnt vmcnt(3)
	buffer_store_dword v1, off, s[0:3], 0 offset:24
	s_waitcnt vmcnt(3)
	buffer_store_dword v122, off, s[0:3], 0 offset:28
	s_waitcnt vmcnt(3)
	buffer_store_dword v123, v0, s[0:3], 0 offen
	s_waitcnt vmcnt(3)
	buffer_store_dword v124, v0, s[0:3], 0 offen offset:4
.LBB59_480:
	s_or_b64 exec, exec, s[4:5]
	v_pk_mov_b32 v[0:1], s[10:11], s[10:11] op_sel:[0,1]
	flat_load_dword v0, v[0:1] offset:8
	s_waitcnt vmcnt(0) lgkmcnt(0)
	v_add_u32_e32 v0, -1, v0
	v_cmp_ne_u32_e32 vcc, 2, v0
	s_and_saveexec_b64 s[4:5], vcc
	s_cbranch_execz .LBB59_482
; %bb.481:
	v_mov_b32_e32 v1, 0
	v_lshl_add_u32 v0, v0, 3, v1
	buffer_load_dword v1, v0, s[0:3], 0 offen
	buffer_load_dword v122, v0, s[0:3], 0 offen offset:4
	buffer_load_dword v123, off, s[0:3], 0 offset:20
	buffer_load_dword v124, off, s[0:3], 0 offset:16
	s_waitcnt vmcnt(3)
	buffer_store_dword v1, off, s[0:3], 0 offset:16
	s_waitcnt vmcnt(3)
	buffer_store_dword v122, off, s[0:3], 0 offset:20
	s_waitcnt vmcnt(3)
	buffer_store_dword v123, v0, s[0:3], 0 offen offset:4
	s_waitcnt vmcnt(3)
	buffer_store_dword v124, v0, s[0:3], 0 offen
.LBB59_482:
	s_or_b64 exec, exec, s[4:5]
	v_pk_mov_b32 v[0:1], s[10:11], s[10:11] op_sel:[0,1]
	flat_load_dword v0, v[0:1] offset:4
	s_waitcnt vmcnt(0) lgkmcnt(0)
	v_add_u32_e32 v0, -1, v0
	v_cmp_ne_u32_e32 vcc, 1, v0
	s_and_saveexec_b64 s[4:5], vcc
	s_cbranch_execz .LBB59_484
; %bb.483:
	v_mov_b32_e32 v1, 0
	v_lshl_add_u32 v0, v0, 3, v1
	buffer_load_dword v1, v0, s[0:3], 0 offen
	buffer_load_dword v122, v0, s[0:3], 0 offen offset:4
	buffer_load_dword v123, off, s[0:3], 0 offset:8
	buffer_load_dword v124, off, s[0:3], 0 offset:12
	s_waitcnt vmcnt(3)
	buffer_store_dword v1, off, s[0:3], 0 offset:8
	s_waitcnt vmcnt(3)
	buffer_store_dword v122, off, s[0:3], 0 offset:12
	s_waitcnt vmcnt(3)
	buffer_store_dword v123, v0, s[0:3], 0 offen
	s_waitcnt vmcnt(3)
	buffer_store_dword v124, v0, s[0:3], 0 offen offset:4
.LBB59_484:
	s_or_b64 exec, exec, s[4:5]
	v_pk_mov_b32 v[0:1], s[10:11], s[10:11] op_sel:[0,1]
	flat_load_dword v122, v[0:1]
	s_nop 0
	buffer_load_dword v0, off, s[0:3], 0
	buffer_load_dword v1, off, s[0:3], 0 offset:4
	s_waitcnt vmcnt(0) lgkmcnt(0)
	v_add_u32_e32 v122, -1, v122
	v_cmp_ne_u32_e32 vcc, 0, v122
	s_and_saveexec_b64 s[4:5], vcc
	s_cbranch_execz .LBB59_486
; %bb.485:
	v_mov_b32_e32 v123, 0
	v_lshl_add_u32 v122, v122, 3, v123
	buffer_load_dword v123, v122, s[0:3], 0 offen offset:4
	buffer_load_dword v124, v122, s[0:3], 0 offen
	s_waitcnt vmcnt(1)
	buffer_store_dword v123, off, s[0:3], 0 offset:4
	s_waitcnt vmcnt(1)
	buffer_store_dword v124, off, s[0:3], 0
	buffer_store_dword v1, v122, s[0:3], 0 offen offset:4
	buffer_store_dword v0, v122, s[0:3], 0 offen
	buffer_load_dword v0, off, s[0:3], 0
	s_nop 0
	buffer_load_dword v1, off, s[0:3], 0 offset:4
.LBB59_486:
	s_or_b64 exec, exec, s[4:5]
.LBB59_487:
	s_waitcnt vmcnt(0)
	global_store_dwordx2 v[4:5], v[0:1], off
	buffer_load_dword v0, off, s[0:3], 0 offset:8
	s_nop 0
	buffer_load_dword v1, off, s[0:3], 0 offset:12
	buffer_load_dword v4, off, s[0:3], 0 offset:16
	;; [unrolled: 1-line block ×15, first 2 shown]
	s_waitcnt vmcnt(14)
	global_store_dwordx2 v[2:3], v[0:1], off
	s_waitcnt vmcnt(13)
	global_store_dwordx2 v[6:7], v[4:5], off
	s_waitcnt vmcnt(12)
	global_store_dwordx2 v[8:9], v[122:123], off
	s_waitcnt vmcnt(11)
	global_store_dwordx2 v[10:11], v[124:125], off
	s_waitcnt vmcnt(10)
	global_store_dwordx2 v[12:13], v[126:127], off
	s_waitcnt vmcnt(9)
	global_store_dwordx2 v[14:15], v[128:129], off
	s_waitcnt vmcnt(8)
	global_store_dwordx2 v[16:17], v[130:131], off
	s_waitcnt vmcnt(7)
	global_store_dwordx2 v[20:21], v[132:133], off
	buffer_load_dword v0, off, s[0:3], 0 offset:72
	buffer_load_dword v1, off, s[0:3], 0 offset:76
	s_waitcnt vmcnt(0)
	global_store_dwordx2 v[18:19], v[0:1], off
	buffer_load_dword v0, off, s[0:3], 0 offset:80
	s_nop 0
	buffer_load_dword v1, off, s[0:3], 0 offset:84
	s_waitcnt vmcnt(0)
	global_store_dwordx2 v[22:23], v[0:1], off
	buffer_load_dword v0, off, s[0:3], 0 offset:88
	s_nop 0
	;; [unrolled: 5-line block ×50, first 2 shown]
	buffer_load_dword v1, off, s[0:3], 0 offset:476
	s_waitcnt vmcnt(0)
	global_store_dwordx2 v[34:35], v[0:1], off
	s_endpgm
	.section	.rodata,"a",@progbits
	.p2align	6, 0x0
	.amdhsa_kernel _ZN9rocsolver6v33100L18getri_kernel_smallILi60EdPdEEvT1_iilPiilS4_bb
		.amdhsa_group_segment_fixed_size 968
		.amdhsa_private_segment_fixed_size 496
		.amdhsa_kernarg_size 60
		.amdhsa_user_sgpr_count 8
		.amdhsa_user_sgpr_private_segment_buffer 1
		.amdhsa_user_sgpr_dispatch_ptr 0
		.amdhsa_user_sgpr_queue_ptr 0
		.amdhsa_user_sgpr_kernarg_segment_ptr 1
		.amdhsa_user_sgpr_dispatch_id 0
		.amdhsa_user_sgpr_flat_scratch_init 1
		.amdhsa_user_sgpr_kernarg_preload_length 0
		.amdhsa_user_sgpr_kernarg_preload_offset 0
		.amdhsa_user_sgpr_private_segment_size 0
		.amdhsa_uses_dynamic_stack 0
		.amdhsa_system_sgpr_private_segment_wavefront_offset 1
		.amdhsa_system_sgpr_workgroup_id_x 1
		.amdhsa_system_sgpr_workgroup_id_y 0
		.amdhsa_system_sgpr_workgroup_id_z 0
		.amdhsa_system_sgpr_workgroup_info 0
		.amdhsa_system_vgpr_workitem_id 0
		.amdhsa_next_free_vgpr 168
		.amdhsa_next_free_sgpr 23
		.amdhsa_accum_offset 168
		.amdhsa_reserve_vcc 1
		.amdhsa_reserve_flat_scratch 1
		.amdhsa_float_round_mode_32 0
		.amdhsa_float_round_mode_16_64 0
		.amdhsa_float_denorm_mode_32 3
		.amdhsa_float_denorm_mode_16_64 3
		.amdhsa_dx10_clamp 1
		.amdhsa_ieee_mode 1
		.amdhsa_fp16_overflow 0
		.amdhsa_tg_split 0
		.amdhsa_exception_fp_ieee_invalid_op 0
		.amdhsa_exception_fp_denorm_src 0
		.amdhsa_exception_fp_ieee_div_zero 0
		.amdhsa_exception_fp_ieee_overflow 0
		.amdhsa_exception_fp_ieee_underflow 0
		.amdhsa_exception_fp_ieee_inexact 0
		.amdhsa_exception_int_div_zero 0
	.end_amdhsa_kernel
	.section	.text._ZN9rocsolver6v33100L18getri_kernel_smallILi60EdPdEEvT1_iilPiilS4_bb,"axG",@progbits,_ZN9rocsolver6v33100L18getri_kernel_smallILi60EdPdEEvT1_iilPiilS4_bb,comdat
.Lfunc_end59:
	.size	_ZN9rocsolver6v33100L18getri_kernel_smallILi60EdPdEEvT1_iilPiilS4_bb, .Lfunc_end59-_ZN9rocsolver6v33100L18getri_kernel_smallILi60EdPdEEvT1_iilPiilS4_bb
                                        ; -- End function
	.section	.AMDGPU.csdata,"",@progbits
; Kernel info:
; codeLenInByte = 81184
; NumSgprs: 29
; NumVgprs: 168
; NumAgprs: 0
; TotalNumVgprs: 168
; ScratchSize: 496
; MemoryBound: 1
; FloatMode: 240
; IeeeMode: 1
; LDSByteSize: 968 bytes/workgroup (compile time only)
; SGPRBlocks: 3
; VGPRBlocks: 20
; NumSGPRsForWavesPerEU: 29
; NumVGPRsForWavesPerEU: 168
; AccumOffset: 168
; Occupancy: 3
; WaveLimiterHint : 1
; COMPUTE_PGM_RSRC2:SCRATCH_EN: 1
; COMPUTE_PGM_RSRC2:USER_SGPR: 8
; COMPUTE_PGM_RSRC2:TRAP_HANDLER: 0
; COMPUTE_PGM_RSRC2:TGID_X_EN: 1
; COMPUTE_PGM_RSRC2:TGID_Y_EN: 0
; COMPUTE_PGM_RSRC2:TGID_Z_EN: 0
; COMPUTE_PGM_RSRC2:TIDIG_COMP_CNT: 0
; COMPUTE_PGM_RSRC3_GFX90A:ACCUM_OFFSET: 41
; COMPUTE_PGM_RSRC3_GFX90A:TG_SPLIT: 0
	.section	.text._ZN9rocsolver6v33100L18getri_kernel_smallILi61EdPdEEvT1_iilPiilS4_bb,"axG",@progbits,_ZN9rocsolver6v33100L18getri_kernel_smallILi61EdPdEEvT1_iilPiilS4_bb,comdat
	.globl	_ZN9rocsolver6v33100L18getri_kernel_smallILi61EdPdEEvT1_iilPiilS4_bb ; -- Begin function _ZN9rocsolver6v33100L18getri_kernel_smallILi61EdPdEEvT1_iilPiilS4_bb
	.p2align	8
	.type	_ZN9rocsolver6v33100L18getri_kernel_smallILi61EdPdEEvT1_iilPiilS4_bb,@function
_ZN9rocsolver6v33100L18getri_kernel_smallILi61EdPdEEvT1_iilPiilS4_bb: ; @_ZN9rocsolver6v33100L18getri_kernel_smallILi61EdPdEEvT1_iilPiilS4_bb
; %bb.0:
	s_add_u32 flat_scratch_lo, s6, s9
	s_addc_u32 flat_scratch_hi, s7, 0
	s_add_u32 s0, s0, s9
	s_addc_u32 s1, s1, 0
	v_cmp_gt_u32_e32 vcc, 61, v0
	s_and_saveexec_b64 s[6:7], vcc
	s_cbranch_execz .LBB60_252
; %bb.1:
	s_load_dword s22, s[4:5], 0x38
	s_load_dwordx4 s[16:19], s[4:5], 0x10
	s_load_dwordx4 s[12:15], s[4:5], 0x28
                                        ; implicit-def: $sgpr10_sgpr11
	s_waitcnt lgkmcnt(0)
	s_bitcmp1_b32 s22, 8
	s_cselect_b64 s[20:21], -1, 0
	s_ashr_i32 s9, s8, 31
	s_bfe_u32 s6, s22, 0x10008
	s_cmp_eq_u32 s6, 0
	s_cbranch_scc1 .LBB60_3
; %bb.2:
	s_load_dword s6, s[4:5], 0x20
	s_mul_i32 s7, s8, s13
	s_mul_hi_u32 s10, s8, s12
	s_mul_i32 s11, s9, s12
	s_add_i32 s10, s10, s7
	s_add_i32 s11, s10, s11
	s_mul_i32 s10, s8, s12
	s_waitcnt lgkmcnt(0)
	s_ashr_i32 s7, s6, 31
	s_lshl_b64 s[10:11], s[10:11], 2
	s_add_u32 s10, s18, s10
	s_addc_u32 s11, s19, s11
	s_lshl_b64 s[6:7], s[6:7], 2
	s_add_u32 s10, s10, s6
	s_addc_u32 s11, s11, s7
.LBB60_3:
	s_load_dwordx4 s[4:7], s[4:5], 0x0
	s_mul_i32 s12, s8, s17
	s_mul_hi_u32 s13, s8, s16
	s_add_i32 s17, s13, s12
	v_lshlrev_b32_e32 v1, 3, v0
	s_waitcnt lgkmcnt(0)
	s_ashr_i32 s13, s6, 31
	s_mov_b32 s12, s6
	s_mul_i32 s6, s9, s16
	s_add_i32 s17, s17, s6
	s_mul_i32 s16, s8, s16
	s_lshl_b64 s[16:17], s[16:17], 3
	s_add_u32 s6, s4, s16
	s_addc_u32 s16, s5, s17
	s_lshl_b64 s[4:5], s[12:13], 3
	s_add_u32 s4, s6, s4
	s_addc_u32 s5, s16, s5
	v_mov_b32_e32 v2, s5
	v_add_co_u32_e32 v4, vcc, s4, v1
	s_ashr_i32 s13, s7, 31
	s_mov_b32 s12, s7
	s_add_i32 s6, s7, s7
	v_addc_co_u32_e32 v5, vcc, 0, v2, vcc
	s_lshl_b64 s[12:13], s[12:13], 3
	v_add_u32_e32 v8, s6, v0
	v_mov_b32_e32 v3, s13
	v_add_co_u32_e32 v2, vcc, s12, v4
	v_ashrrev_i32_e32 v9, 31, v8
	v_addc_co_u32_e32 v3, vcc, v5, v3, vcc
	v_lshlrev_b64 v[6:7], 3, v[8:9]
	v_mov_b32_e32 v9, s5
	v_add_co_u32_e32 v6, vcc, s4, v6
	global_load_dwordx2 v[18:19], v1, s[4:5]
	v_addc_co_u32_e32 v7, vcc, v9, v7, vcc
	global_load_dwordx2 v[20:21], v[2:3], off
	global_load_dwordx2 v[22:23], v[6:7], off
	v_add_u32_e32 v10, s7, v8
	v_ashrrev_i32_e32 v11, 31, v10
	v_lshlrev_b64 v[8:9], 3, v[10:11]
	v_mov_b32_e32 v11, s5
	v_add_co_u32_e32 v8, vcc, s4, v8
	v_addc_co_u32_e32 v9, vcc, v11, v9, vcc
	global_load_dwordx2 v[24:25], v[8:9], off
	v_add_u32_e32 v10, s7, v10
	v_ashrrev_i32_e32 v11, 31, v10
	v_add_u32_e32 v12, s7, v10
	v_lshlrev_b64 v[10:11], 3, v[10:11]
	v_mov_b32_e32 v15, s5
	v_ashrrev_i32_e32 v13, 31, v12
	v_add_co_u32_e32 v10, vcc, s4, v10
	v_add_u32_e32 v14, s7, v12
	v_addc_co_u32_e32 v11, vcc, v15, v11, vcc
	global_load_dwordx2 v[82:83], v[10:11], off
	v_lshlrev_b64 v[12:13], 3, v[12:13]
	v_mov_b32_e32 v17, s5
	v_ashrrev_i32_e32 v15, 31, v14
	v_add_co_u32_e32 v12, vcc, s4, v12
	v_add_u32_e32 v16, s7, v14
	v_addc_co_u32_e32 v13, vcc, v17, v13, vcc
	v_lshlrev_b64 v[14:15], 3, v[14:15]
	v_mov_b32_e32 v27, s5
	v_ashrrev_i32_e32 v17, 31, v16
	v_add_co_u32_e32 v14, vcc, s4, v14
	v_add_u32_e32 v26, s7, v16
	v_addc_co_u32_e32 v15, vcc, v27, v15, vcc
	v_lshlrev_b64 v[16:17], 3, v[16:17]
	v_mov_b32_e32 v28, s5
	v_ashrrev_i32_e32 v27, 31, v26
	v_add_co_u32_e32 v16, vcc, s4, v16
	v_addc_co_u32_e32 v17, vcc, v28, v17, vcc
	v_lshlrev_b64 v[28:29], 3, v[26:27]
	v_mov_b32_e32 v30, s5
	v_mov_b32_e32 v160, s5
	s_bitcmp0_b32 s22, 0
	s_waitcnt vmcnt(4)
	buffer_store_dword v19, off, s[0:3], 0 offset:4
	buffer_store_dword v18, off, s[0:3], 0
	s_waitcnt vmcnt(5)
	buffer_store_dword v21, off, s[0:3], 0 offset:12
	buffer_store_dword v20, off, s[0:3], 0 offset:8
	s_waitcnt vmcnt(6)
	buffer_store_dword v23, off, s[0:3], 0 offset:20
	buffer_store_dword v22, off, s[0:3], 0 offset:16
	;; [unrolled: 3-line block ×3, first 2 shown]
	v_add_u32_e32 v22, s7, v26
	v_add_co_u32_e32 v20, vcc, s4, v28
	v_ashrrev_i32_e32 v23, 31, v22
	v_addc_co_u32_e32 v21, vcc, v30, v29, vcc
	v_lshlrev_b64 v[18:19], 3, v[22:23]
	v_add_u32_e32 v24, s7, v22
	v_mov_b32_e32 v23, s5
	v_add_co_u32_e32 v18, vcc, s4, v18
	v_ashrrev_i32_e32 v25, 31, v24
	v_addc_co_u32_e32 v19, vcc, v23, v19, vcc
	v_lshlrev_b64 v[22:23], 3, v[24:25]
	v_add_u32_e32 v26, s7, v24
	v_mov_b32_e32 v25, s5
	;; [unrolled: 6-line block ×27, first 2 shown]
	v_add_co_u32_e32 v72, vcc, s4, v72
	v_ashrrev_i32_e32 v77, 31, v76
	v_addc_co_u32_e32 v73, vcc, v75, v73, vcc
	v_lshlrev_b64 v[74:75], 3, v[76:77]
	v_mov_b32_e32 v77, s5
	v_add_co_u32_e32 v74, vcc, s4, v74
	global_load_dwordx2 v[90:91], v[12:13], off
	global_load_dwordx2 v[88:89], v[14:15], off
	;; [unrolled: 1-line block ×28, first 2 shown]
	v_addc_co_u32_e32 v75, vcc, v77, v75, vcc
	global_load_dwordx2 v[140:141], v[68:69], off
	global_load_dwordx2 v[142:143], v[70:71], off
	;; [unrolled: 1-line block ×4, first 2 shown]
	v_add_u32_e32 v78, s7, v76
	v_ashrrev_i32_e32 v79, 31, v78
	v_lshlrev_b64 v[76:77], 3, v[78:79]
	v_add_u32_e32 v80, s7, v78
	v_mov_b32_e32 v79, s5
	v_add_co_u32_e32 v76, vcc, s4, v76
	v_ashrrev_i32_e32 v81, 31, v80
	v_addc_co_u32_e32 v77, vcc, v79, v77, vcc
	v_lshlrev_b64 v[78:79], 3, v[80:81]
	v_mov_b32_e32 v81, s5
	v_add_co_u32_e32 v78, vcc, s4, v78
	v_add_u32_e32 v152, s7, v80
	v_addc_co_u32_e32 v79, vcc, v81, v79, vcc
	global_load_dwordx2 v[148:149], v[76:77], off
	global_load_dwordx2 v[150:151], v[78:79], off
	v_ashrrev_i32_e32 v153, 31, v152
	v_lshlrev_b64 v[80:81], 3, v[152:153]
	v_mov_b32_e32 v153, s5
	v_add_co_u32_e32 v80, vcc, s4, v80
	v_addc_co_u32_e32 v81, vcc, v153, v81, vcc
	global_load_dwordx2 v[154:155], v[80:81], off
	s_waitcnt vmcnt(43)
	buffer_store_dword v83, off, s[0:3], 0 offset:36
	buffer_store_dword v82, off, s[0:3], 0 offset:32
	s_waitcnt vmcnt(36)
	buffer_store_dword v91, off, s[0:3], 0 offset:44
	buffer_store_dword v90, off, s[0:3], 0 offset:40
	;; [unrolled: 3-line block ×29, first 2 shown]
	buffer_store_dword v140, off, s[0:3], 0 offset:264
	buffer_store_dword v141, off, s[0:3], 0 offset:268
	s_waitcnt vmcnt(62)
	buffer_store_dword v142, off, s[0:3], 0 offset:272
	buffer_store_dword v143, off, s[0:3], 0 offset:276
	;; [unrolled: 1-line block ×6, first 2 shown]
	v_add_u32_e32 v84, s7, v152
	v_ashrrev_i32_e32 v85, 31, v84
	v_lshlrev_b64 v[82:83], 3, v[84:85]
	v_mov_b32_e32 v85, s5
	v_add_co_u32_e32 v82, vcc, s4, v82
	v_addc_co_u32_e32 v83, vcc, v85, v83, vcc
	global_load_dwordx2 v[140:141], v[82:83], off
	v_add_u32_e32 v86, s7, v84
	v_ashrrev_i32_e32 v87, 31, v86
	v_lshlrev_b64 v[84:85], 3, v[86:87]
	v_add_u32_e32 v88, s7, v86
	v_mov_b32_e32 v87, s5
	v_add_co_u32_e32 v84, vcc, s4, v84
	v_ashrrev_i32_e32 v89, 31, v88
	v_addc_co_u32_e32 v85, vcc, v87, v85, vcc
	v_lshlrev_b64 v[86:87], 3, v[88:89]
	v_add_u32_e32 v90, s7, v88
	v_mov_b32_e32 v89, s5
	v_add_co_u32_e32 v86, vcc, s4, v86
	v_ashrrev_i32_e32 v91, 31, v90
	v_addc_co_u32_e32 v87, vcc, v89, v87, vcc
	;; [unrolled: 6-line block ×15, first 2 shown]
	v_lshlrev_b64 v[114:115], 3, v[116:117]
	buffer_store_dword v149, off, s[0:3], 0 offset:300
	buffer_store_dword v148, off, s[0:3], 0 offset:296
	s_waitcnt vmcnt(62)
	buffer_store_dword v151, off, s[0:3], 0 offset:308
	buffer_store_dword v150, off, s[0:3], 0 offset:304
	buffer_store_dword v154, off, s[0:3], 0 offset:312
	buffer_store_dword v155, off, s[0:3], 0 offset:316
	v_mov_b32_e32 v117, s5
	v_add_co_u32_e32 v114, vcc, s4, v114
	global_load_dwordx2 v[130:131], v[84:85], off
	global_load_dwordx2 v[128:129], v[86:87], off
	;; [unrolled: 1-line block ×12, first 2 shown]
	v_addc_co_u32_e32 v115, vcc, v117, v115, vcc
	global_load_dwordx2 v[156:157], v[108:109], off
	global_load_dwordx2 v[154:155], v[110:111], off
	;; [unrolled: 1-line block ×4, first 2 shown]
	v_add_u32_e32 v116, s7, v116
	v_ashrrev_i32_e32 v117, 31, v116
	v_lshlrev_b64 v[118:119], 3, v[116:117]
	v_mov_b32_e32 v117, s5
	v_add_co_u32_e32 v118, vcc, s4, v118
	v_add_u32_e32 v116, s7, v116
	v_addc_co_u32_e32 v119, vcc, v117, v119, vcc
	v_ashrrev_i32_e32 v117, 31, v116
	v_lshlrev_b64 v[120:121], 3, v[116:117]
	v_mov_b32_e32 v117, s5
	v_add_co_u32_e32 v120, vcc, s4, v120
	v_add_u32_e32 v116, s7, v116
	v_addc_co_u32_e32 v121, vcc, v117, v121, vcc
	;; [unrolled: 6-line block ×3, first 2 shown]
	v_ashrrev_i32_e32 v117, 31, v116
	global_load_dwordx2 v[158:159], v[118:119], off
	v_lshlrev_b64 v[116:117], 3, v[116:117]
	v_add_co_u32_e32 v116, vcc, s4, v116
	v_addc_co_u32_e32 v117, vcc, v160, v117, vcc
	global_load_dwordx2 v[160:161], v[120:121], off
	global_load_dwordx2 v[162:163], v[122:123], off
	s_mov_b64 s[6:7], -1
	s_waitcnt vmcnt(25)
	buffer_store_dword v140, off, s[0:3], 0 offset:320
	buffer_store_dword v141, off, s[0:3], 0 offset:324
	global_load_dwordx2 v[140:141], v[116:117], off
	s_waitcnt vmcnt(21)
	buffer_store_dword v130, off, s[0:3], 0 offset:328
	buffer_store_dword v131, off, s[0:3], 0 offset:332
	s_waitcnt vmcnt(22)
	buffer_store_dword v128, off, s[0:3], 0 offset:336
	buffer_store_dword v129, off, s[0:3], 0 offset:340
	;; [unrolled: 3-line block ×20, first 2 shown]
	s_cbranch_scc1 .LBB60_250
; %bb.4:
	v_cmp_eq_u32_e64 s[4:5], 0, v0
	s_and_saveexec_b64 s[6:7], s[4:5]
	s_cbranch_execz .LBB60_6
; %bb.5:
	v_mov_b32_e32 v124, 0
	ds_write_b32 v124, v124 offset:488
.LBB60_6:
	s_or_b64 exec, exec, s[6:7]
	v_mov_b32_e32 v124, 0
	v_lshl_add_u32 v124, v0, 3, v124
	s_waitcnt lgkmcnt(0)
	; wave barrier
	s_waitcnt lgkmcnt(0)
	buffer_load_dword v126, v124, s[0:3], 0 offen
	buffer_load_dword v127, v124, s[0:3], 0 offen offset:4
	s_waitcnt vmcnt(0)
	v_cmp_eq_f64_e32 vcc, 0, v[126:127]
	s_and_saveexec_b64 s[12:13], vcc
	s_cbranch_execz .LBB60_10
; %bb.7:
	v_mov_b32_e32 v125, 0
	ds_read_b32 v127, v125 offset:488
	v_add_u32_e32 v126, 1, v0
	s_waitcnt lgkmcnt(0)
	v_readfirstlane_b32 s6, v127
	s_cmp_eq_u32 s6, 0
	s_cselect_b64 s[16:17], -1, 0
	v_cmp_gt_i32_e32 vcc, s6, v126
	s_or_b64 s[16:17], s[16:17], vcc
	s_and_b64 exec, exec, s[16:17]
	s_cbranch_execz .LBB60_10
; %bb.8:
	s_mov_b64 s[16:17], 0
	v_mov_b32_e32 v127, s6
.LBB60_9:                               ; =>This Inner Loop Header: Depth=1
	ds_cmpst_rtn_b32 v127, v125, v127, v126 offset:488
	s_waitcnt lgkmcnt(0)
	v_cmp_ne_u32_e32 vcc, 0, v127
	v_cmp_le_i32_e64 s[6:7], v127, v126
	s_and_b64 s[6:7], vcc, s[6:7]
	s_and_b64 s[6:7], exec, s[6:7]
	s_or_b64 s[16:17], s[6:7], s[16:17]
	s_andn2_b64 exec, exec, s[16:17]
	s_cbranch_execnz .LBB60_9
.LBB60_10:
	s_or_b64 exec, exec, s[12:13]
	v_mov_b32_e32 v126, 0
	s_waitcnt lgkmcnt(0)
	; wave barrier
	ds_read_b32 v125, v126 offset:488
	s_and_saveexec_b64 s[6:7], s[4:5]
	s_cbranch_execz .LBB60_12
; %bb.11:
	s_lshl_b64 s[12:13], s[8:9], 2
	s_add_u32 s12, s14, s12
	s_addc_u32 s13, s15, s13
	s_waitcnt lgkmcnt(0)
	global_store_dword v126, v125, s[12:13]
.LBB60_12:
	s_or_b64 exec, exec, s[6:7]
	s_waitcnt lgkmcnt(0)
	v_cmp_ne_u32_e32 vcc, 0, v125
	s_mov_b64 s[6:7], 0
	s_cbranch_vccnz .LBB60_250
; %bb.13:
	buffer_load_dword v126, v124, s[0:3], 0 offen
	buffer_load_dword v127, v124, s[0:3], 0 offen offset:4
	s_waitcnt vmcnt(0)
	v_div_scale_f64 v[128:129], s[6:7], v[126:127], v[126:127], 1.0
	v_rcp_f64_e32 v[130:131], v[128:129]
	v_div_scale_f64 v[132:133], vcc, 1.0, v[126:127], 1.0
	v_fma_f64 v[134:135], -v[128:129], v[130:131], 1.0
	v_fmac_f64_e32 v[130:131], v[130:131], v[134:135]
	v_fma_f64 v[134:135], -v[128:129], v[130:131], 1.0
	v_fmac_f64_e32 v[130:131], v[130:131], v[134:135]
	v_mul_f64 v[134:135], v[132:133], v[130:131]
	v_fma_f64 v[128:129], -v[128:129], v[134:135], v[132:133]
	v_div_fmas_f64 v[128:129], v[128:129], v[130:131], v[134:135]
	v_div_fixup_f64 v[128:129], v[128:129], v[126:127], 1.0
	buffer_store_dword v129, v124, s[0:3], 0 offen offset:4
	buffer_store_dword v128, v124, s[0:3], 0 offen
	buffer_load_dword v131, off, s[0:3], 0 offset:12
	buffer_load_dword v130, off, s[0:3], 0 offset:8
	v_add_u32_e32 v126, 0x1f0, v1
	v_xor_b32_e32 v129, 0x80000000, v129
	s_waitcnt vmcnt(0)
	ds_write2_b64 v1, v[128:129], v[130:131] offset1:62
	s_waitcnt lgkmcnt(0)
	; wave barrier
	s_waitcnt lgkmcnt(0)
	s_and_saveexec_b64 s[6:7], s[4:5]
	s_cbranch_execz .LBB60_15
; %bb.14:
	buffer_load_dword v128, v124, s[0:3], 0 offen
	buffer_load_dword v129, v124, s[0:3], 0 offen offset:4
	v_mov_b32_e32 v125, 0
	ds_read_b64 v[130:131], v126
	ds_read_b64 v[132:133], v125 offset:8
	s_waitcnt vmcnt(0) lgkmcnt(1)
	v_fma_f64 v[128:129], v[128:129], v[130:131], 0
	s_waitcnt lgkmcnt(0)
	v_mul_f64 v[128:129], v[128:129], v[132:133]
	buffer_store_dword v128, off, s[0:3], 0 offset:8
	buffer_store_dword v129, off, s[0:3], 0 offset:12
.LBB60_15:
	s_or_b64 exec, exec, s[6:7]
	s_waitcnt lgkmcnt(0)
	; wave barrier
	buffer_load_dword v128, off, s[0:3], 0 offset:16
	buffer_load_dword v129, off, s[0:3], 0 offset:20
	v_cmp_gt_u32_e32 vcc, 2, v0
	s_waitcnt vmcnt(0)
	ds_write_b64 v126, v[128:129]
	s_waitcnt lgkmcnt(0)
	; wave barrier
	s_waitcnt lgkmcnt(0)
	s_and_saveexec_b64 s[6:7], vcc
	s_cbranch_execz .LBB60_17
; %bb.16:
	buffer_load_dword v125, v124, s[0:3], 0 offen offset:4
	buffer_load_dword v132, off, s[0:3], 0 offset:8
	s_nop 0
	buffer_load_dword v124, v124, s[0:3], 0 offen
	s_nop 0
	buffer_load_dword v133, off, s[0:3], 0 offset:12
	ds_read_b64 v[134:135], v126
	v_mov_b32_e32 v127, 0
	ds_read2_b64 v[128:131], v127 offset0:2 offset1:63
	s_waitcnt vmcnt(1) lgkmcnt(1)
	v_fma_f64 v[124:125], v[124:125], v[134:135], 0
	s_waitcnt vmcnt(0) lgkmcnt(0)
	v_fma_f64 v[130:131], v[132:133], v[130:131], v[124:125]
	v_cndmask_b32_e64 v125, v125, v131, s[4:5]
	v_cndmask_b32_e64 v124, v124, v130, s[4:5]
	v_mul_f64 v[124:125], v[124:125], v[128:129]
	buffer_store_dword v125, off, s[0:3], 0 offset:20
	buffer_store_dword v124, off, s[0:3], 0 offset:16
.LBB60_17:
	s_or_b64 exec, exec, s[6:7]
	s_waitcnt lgkmcnt(0)
	; wave barrier
	buffer_load_dword v124, off, s[0:3], 0 offset:24
	buffer_load_dword v125, off, s[0:3], 0 offset:28
	v_cmp_gt_u32_e32 vcc, 3, v0
	v_add_u32_e32 v127, -1, v0
	s_waitcnt vmcnt(0)
	ds_write_b64 v126, v[124:125]
	s_waitcnt lgkmcnt(0)
	; wave barrier
	s_waitcnt lgkmcnt(0)
	s_and_saveexec_b64 s[4:5], vcc
	s_cbranch_execz .LBB60_21
; %bb.18:
	v_add_u32_e32 v128, -1, v0
	v_add_u32_e32 v129, 0x1f0, v1
	v_add_u32_e32 v130, 0, v1
	s_mov_b64 s[6:7], 0
	v_pk_mov_b32 v[124:125], 0, 0
.LBB60_19:                              ; =>This Inner Loop Header: Depth=1
	buffer_load_dword v132, v130, s[0:3], 0 offen
	buffer_load_dword v133, v130, s[0:3], 0 offen offset:4
	ds_read_b64 v[134:135], v129
	v_add_u32_e32 v128, 1, v128
	v_cmp_lt_u32_e32 vcc, 1, v128
	v_add_u32_e32 v129, 8, v129
	v_add_u32_e32 v130, 8, v130
	s_or_b64 s[6:7], vcc, s[6:7]
	s_waitcnt vmcnt(0) lgkmcnt(0)
	v_fmac_f64_e32 v[124:125], v[132:133], v[134:135]
	s_andn2_b64 exec, exec, s[6:7]
	s_cbranch_execnz .LBB60_19
; %bb.20:
	s_or_b64 exec, exec, s[6:7]
	v_mov_b32_e32 v128, 0
	ds_read_b64 v[128:129], v128 offset:24
	s_waitcnt lgkmcnt(0)
	v_mul_f64 v[124:125], v[124:125], v[128:129]
	buffer_store_dword v125, off, s[0:3], 0 offset:28
	buffer_store_dword v124, off, s[0:3], 0 offset:24
.LBB60_21:
	s_or_b64 exec, exec, s[4:5]
	s_waitcnt lgkmcnt(0)
	; wave barrier
	buffer_load_dword v124, off, s[0:3], 0 offset:32
	buffer_load_dword v125, off, s[0:3], 0 offset:36
	v_cmp_gt_u32_e32 vcc, 4, v0
	s_waitcnt vmcnt(0)
	ds_write_b64 v126, v[124:125]
	s_waitcnt lgkmcnt(0)
	; wave barrier
	s_waitcnt lgkmcnt(0)
	s_and_saveexec_b64 s[4:5], vcc
	s_cbranch_execz .LBB60_25
; %bb.22:
	v_add_u32_e32 v128, -1, v0
	v_add_u32_e32 v129, 0x1f0, v1
	v_add_u32_e32 v130, 0, v1
	s_mov_b64 s[6:7], 0
	v_pk_mov_b32 v[124:125], 0, 0
.LBB60_23:                              ; =>This Inner Loop Header: Depth=1
	buffer_load_dword v132, v130, s[0:3], 0 offen
	buffer_load_dword v133, v130, s[0:3], 0 offen offset:4
	ds_read_b64 v[134:135], v129
	v_add_u32_e32 v128, 1, v128
	v_cmp_lt_u32_e32 vcc, 2, v128
	v_add_u32_e32 v129, 8, v129
	v_add_u32_e32 v130, 8, v130
	s_or_b64 s[6:7], vcc, s[6:7]
	s_waitcnt vmcnt(0) lgkmcnt(0)
	v_fmac_f64_e32 v[124:125], v[132:133], v[134:135]
	s_andn2_b64 exec, exec, s[6:7]
	s_cbranch_execnz .LBB60_23
; %bb.24:
	s_or_b64 exec, exec, s[6:7]
	v_mov_b32_e32 v128, 0
	ds_read_b64 v[128:129], v128 offset:32
	s_waitcnt lgkmcnt(0)
	v_mul_f64 v[124:125], v[124:125], v[128:129]
	buffer_store_dword v125, off, s[0:3], 0 offset:36
	buffer_store_dword v124, off, s[0:3], 0 offset:32
.LBB60_25:
	s_or_b64 exec, exec, s[4:5]
	s_waitcnt lgkmcnt(0)
	; wave barrier
	buffer_load_dword v124, off, s[0:3], 0 offset:40
	buffer_load_dword v125, off, s[0:3], 0 offset:44
	v_cmp_gt_u32_e32 vcc, 5, v0
	;; [unrolled: 41-line block ×21, first 2 shown]
	s_waitcnt vmcnt(0)
	ds_write_b64 v126, v[124:125]
	s_waitcnt lgkmcnt(0)
	; wave barrier
	s_waitcnt lgkmcnt(0)
	s_and_saveexec_b64 s[4:5], vcc
	s_cbranch_execz .LBB60_105
; %bb.102:
	v_add_u32_e32 v128, -1, v0
	v_add_u32_e32 v129, 0x1f0, v1
	v_add_u32_e32 v130, 0, v1
	s_mov_b64 s[6:7], 0
	v_pk_mov_b32 v[124:125], 0, 0
.LBB60_103:                             ; =>This Inner Loop Header: Depth=1
	buffer_load_dword v132, v130, s[0:3], 0 offen
	buffer_load_dword v133, v130, s[0:3], 0 offen offset:4
	ds_read_b64 v[134:135], v129
	v_add_u32_e32 v128, 1, v128
	v_cmp_lt_u32_e32 vcc, 22, v128
	v_add_u32_e32 v129, 8, v129
	v_add_u32_e32 v130, 8, v130
	s_or_b64 s[6:7], vcc, s[6:7]
	s_waitcnt vmcnt(0) lgkmcnt(0)
	v_fmac_f64_e32 v[124:125], v[132:133], v[134:135]
	s_andn2_b64 exec, exec, s[6:7]
	s_cbranch_execnz .LBB60_103
; %bb.104:
	s_or_b64 exec, exec, s[6:7]
	v_mov_b32_e32 v128, 0
	ds_read_b64 v[128:129], v128 offset:192
	s_waitcnt lgkmcnt(0)
	v_mul_f64 v[124:125], v[124:125], v[128:129]
	buffer_store_dword v125, off, s[0:3], 0 offset:196
	buffer_store_dword v124, off, s[0:3], 0 offset:192
.LBB60_105:
	s_or_b64 exec, exec, s[4:5]
	s_waitcnt lgkmcnt(0)
	; wave barrier
	buffer_load_dword v124, off, s[0:3], 0 offset:200
	buffer_load_dword v125, off, s[0:3], 0 offset:204
	v_cmp_gt_u32_e32 vcc, 25, v0
	s_waitcnt vmcnt(0)
	ds_write_b64 v126, v[124:125]
	s_waitcnt lgkmcnt(0)
	; wave barrier
	s_waitcnt lgkmcnt(0)
	s_and_saveexec_b64 s[4:5], vcc
	s_cbranch_execz .LBB60_109
; %bb.106:
	v_add_u32_e32 v128, -1, v0
	v_add_u32_e32 v129, 0x1f0, v1
	v_add_u32_e32 v130, 0, v1
	s_mov_b64 s[6:7], 0
	v_pk_mov_b32 v[124:125], 0, 0
.LBB60_107:                             ; =>This Inner Loop Header: Depth=1
	buffer_load_dword v132, v130, s[0:3], 0 offen
	buffer_load_dword v133, v130, s[0:3], 0 offen offset:4
	ds_read_b64 v[134:135], v129
	v_add_u32_e32 v128, 1, v128
	v_cmp_lt_u32_e32 vcc, 23, v128
	v_add_u32_e32 v129, 8, v129
	v_add_u32_e32 v130, 8, v130
	s_or_b64 s[6:7], vcc, s[6:7]
	s_waitcnt vmcnt(0) lgkmcnt(0)
	v_fmac_f64_e32 v[124:125], v[132:133], v[134:135]
	s_andn2_b64 exec, exec, s[6:7]
	s_cbranch_execnz .LBB60_107
; %bb.108:
	s_or_b64 exec, exec, s[6:7]
	v_mov_b32_e32 v128, 0
	ds_read_b64 v[128:129], v128 offset:200
	s_waitcnt lgkmcnt(0)
	v_mul_f64 v[124:125], v[124:125], v[128:129]
	buffer_store_dword v125, off, s[0:3], 0 offset:204
	buffer_store_dword v124, off, s[0:3], 0 offset:200
.LBB60_109:
	s_or_b64 exec, exec, s[4:5]
	s_waitcnt lgkmcnt(0)
	; wave barrier
	buffer_load_dword v124, off, s[0:3], 0 offset:208
	buffer_load_dword v125, off, s[0:3], 0 offset:212
	v_cmp_gt_u32_e32 vcc, 26, v0
	s_waitcnt vmcnt(0)
	ds_write_b64 v126, v[124:125]
	s_waitcnt lgkmcnt(0)
	; wave barrier
	s_waitcnt lgkmcnt(0)
	s_and_saveexec_b64 s[4:5], vcc
	s_cbranch_execz .LBB60_113
; %bb.110:
	v_add_u32_e32 v128, -1, v0
	v_add_u32_e32 v129, 0x1f0, v1
	v_add_u32_e32 v130, 0, v1
	s_mov_b64 s[6:7], 0
	v_pk_mov_b32 v[124:125], 0, 0
.LBB60_111:                             ; =>This Inner Loop Header: Depth=1
	buffer_load_dword v132, v130, s[0:3], 0 offen
	buffer_load_dword v133, v130, s[0:3], 0 offen offset:4
	ds_read_b64 v[134:135], v129
	v_add_u32_e32 v128, 1, v128
	v_cmp_lt_u32_e32 vcc, 24, v128
	v_add_u32_e32 v129, 8, v129
	v_add_u32_e32 v130, 8, v130
	s_or_b64 s[6:7], vcc, s[6:7]
	s_waitcnt vmcnt(0) lgkmcnt(0)
	v_fmac_f64_e32 v[124:125], v[132:133], v[134:135]
	s_andn2_b64 exec, exec, s[6:7]
	s_cbranch_execnz .LBB60_111
; %bb.112:
	s_or_b64 exec, exec, s[6:7]
	v_mov_b32_e32 v128, 0
	ds_read_b64 v[128:129], v128 offset:208
	s_waitcnt lgkmcnt(0)
	v_mul_f64 v[124:125], v[124:125], v[128:129]
	buffer_store_dword v125, off, s[0:3], 0 offset:212
	buffer_store_dword v124, off, s[0:3], 0 offset:208
.LBB60_113:
	s_or_b64 exec, exec, s[4:5]
	s_waitcnt lgkmcnt(0)
	; wave barrier
	buffer_load_dword v124, off, s[0:3], 0 offset:216
	buffer_load_dword v125, off, s[0:3], 0 offset:220
	v_cmp_gt_u32_e32 vcc, 27, v0
	s_waitcnt vmcnt(0)
	ds_write_b64 v126, v[124:125]
	s_waitcnt lgkmcnt(0)
	; wave barrier
	s_waitcnt lgkmcnt(0)
	s_and_saveexec_b64 s[4:5], vcc
	s_cbranch_execz .LBB60_117
; %bb.114:
	v_add_u32_e32 v128, -1, v0
	v_add_u32_e32 v129, 0x1f0, v1
	v_add_u32_e32 v130, 0, v1
	s_mov_b64 s[6:7], 0
	v_pk_mov_b32 v[124:125], 0, 0
.LBB60_115:                             ; =>This Inner Loop Header: Depth=1
	buffer_load_dword v132, v130, s[0:3], 0 offen
	buffer_load_dword v133, v130, s[0:3], 0 offen offset:4
	ds_read_b64 v[134:135], v129
	v_add_u32_e32 v128, 1, v128
	v_cmp_lt_u32_e32 vcc, 25, v128
	v_add_u32_e32 v129, 8, v129
	v_add_u32_e32 v130, 8, v130
	s_or_b64 s[6:7], vcc, s[6:7]
	s_waitcnt vmcnt(0) lgkmcnt(0)
	v_fmac_f64_e32 v[124:125], v[132:133], v[134:135]
	s_andn2_b64 exec, exec, s[6:7]
	s_cbranch_execnz .LBB60_115
; %bb.116:
	s_or_b64 exec, exec, s[6:7]
	v_mov_b32_e32 v128, 0
	ds_read_b64 v[128:129], v128 offset:216
	s_waitcnt lgkmcnt(0)
	v_mul_f64 v[124:125], v[124:125], v[128:129]
	buffer_store_dword v125, off, s[0:3], 0 offset:220
	buffer_store_dword v124, off, s[0:3], 0 offset:216
.LBB60_117:
	s_or_b64 exec, exec, s[4:5]
	s_waitcnt lgkmcnt(0)
	; wave barrier
	buffer_load_dword v124, off, s[0:3], 0 offset:224
	buffer_load_dword v125, off, s[0:3], 0 offset:228
	v_cmp_gt_u32_e32 vcc, 28, v0
	s_waitcnt vmcnt(0)
	ds_write_b64 v126, v[124:125]
	s_waitcnt lgkmcnt(0)
	; wave barrier
	s_waitcnt lgkmcnt(0)
	s_and_saveexec_b64 s[4:5], vcc
	s_cbranch_execz .LBB60_121
; %bb.118:
	v_add_u32_e32 v128, -1, v0
	v_add_u32_e32 v129, 0x1f0, v1
	v_add_u32_e32 v130, 0, v1
	s_mov_b64 s[6:7], 0
	v_pk_mov_b32 v[124:125], 0, 0
.LBB60_119:                             ; =>This Inner Loop Header: Depth=1
	buffer_load_dword v132, v130, s[0:3], 0 offen
	buffer_load_dword v133, v130, s[0:3], 0 offen offset:4
	ds_read_b64 v[134:135], v129
	v_add_u32_e32 v128, 1, v128
	v_cmp_lt_u32_e32 vcc, 26, v128
	v_add_u32_e32 v129, 8, v129
	v_add_u32_e32 v130, 8, v130
	s_or_b64 s[6:7], vcc, s[6:7]
	s_waitcnt vmcnt(0) lgkmcnt(0)
	v_fmac_f64_e32 v[124:125], v[132:133], v[134:135]
	s_andn2_b64 exec, exec, s[6:7]
	s_cbranch_execnz .LBB60_119
; %bb.120:
	s_or_b64 exec, exec, s[6:7]
	v_mov_b32_e32 v128, 0
	ds_read_b64 v[128:129], v128 offset:224
	s_waitcnt lgkmcnt(0)
	v_mul_f64 v[124:125], v[124:125], v[128:129]
	buffer_store_dword v125, off, s[0:3], 0 offset:228
	buffer_store_dword v124, off, s[0:3], 0 offset:224
.LBB60_121:
	s_or_b64 exec, exec, s[4:5]
	s_waitcnt lgkmcnt(0)
	; wave barrier
	buffer_load_dword v124, off, s[0:3], 0 offset:232
	buffer_load_dword v125, off, s[0:3], 0 offset:236
	v_cmp_gt_u32_e32 vcc, 29, v0
	s_waitcnt vmcnt(0)
	ds_write_b64 v126, v[124:125]
	s_waitcnt lgkmcnt(0)
	; wave barrier
	s_waitcnt lgkmcnt(0)
	s_and_saveexec_b64 s[4:5], vcc
	s_cbranch_execz .LBB60_125
; %bb.122:
	v_add_u32_e32 v128, -1, v0
	v_add_u32_e32 v129, 0x1f0, v1
	v_add_u32_e32 v130, 0, v1
	s_mov_b64 s[6:7], 0
	v_pk_mov_b32 v[124:125], 0, 0
.LBB60_123:                             ; =>This Inner Loop Header: Depth=1
	buffer_load_dword v132, v130, s[0:3], 0 offen
	buffer_load_dword v133, v130, s[0:3], 0 offen offset:4
	ds_read_b64 v[134:135], v129
	v_add_u32_e32 v128, 1, v128
	v_cmp_lt_u32_e32 vcc, 27, v128
	v_add_u32_e32 v129, 8, v129
	v_add_u32_e32 v130, 8, v130
	s_or_b64 s[6:7], vcc, s[6:7]
	s_waitcnt vmcnt(0) lgkmcnt(0)
	v_fmac_f64_e32 v[124:125], v[132:133], v[134:135]
	s_andn2_b64 exec, exec, s[6:7]
	s_cbranch_execnz .LBB60_123
; %bb.124:
	s_or_b64 exec, exec, s[6:7]
	v_mov_b32_e32 v128, 0
	ds_read_b64 v[128:129], v128 offset:232
	s_waitcnt lgkmcnt(0)
	v_mul_f64 v[124:125], v[124:125], v[128:129]
	buffer_store_dword v125, off, s[0:3], 0 offset:236
	buffer_store_dword v124, off, s[0:3], 0 offset:232
.LBB60_125:
	s_or_b64 exec, exec, s[4:5]
	s_waitcnt lgkmcnt(0)
	; wave barrier
	buffer_load_dword v124, off, s[0:3], 0 offset:240
	buffer_load_dword v125, off, s[0:3], 0 offset:244
	v_cmp_gt_u32_e32 vcc, 30, v0
	s_waitcnt vmcnt(0)
	ds_write_b64 v126, v[124:125]
	s_waitcnt lgkmcnt(0)
	; wave barrier
	s_waitcnt lgkmcnt(0)
	s_and_saveexec_b64 s[4:5], vcc
	s_cbranch_execz .LBB60_129
; %bb.126:
	v_add_u32_e32 v128, -1, v0
	v_add_u32_e32 v129, 0x1f0, v1
	v_add_u32_e32 v130, 0, v1
	s_mov_b64 s[6:7], 0
	v_pk_mov_b32 v[124:125], 0, 0
.LBB60_127:                             ; =>This Inner Loop Header: Depth=1
	buffer_load_dword v132, v130, s[0:3], 0 offen
	buffer_load_dword v133, v130, s[0:3], 0 offen offset:4
	ds_read_b64 v[134:135], v129
	v_add_u32_e32 v128, 1, v128
	v_cmp_lt_u32_e32 vcc, 28, v128
	v_add_u32_e32 v129, 8, v129
	v_add_u32_e32 v130, 8, v130
	s_or_b64 s[6:7], vcc, s[6:7]
	s_waitcnt vmcnt(0) lgkmcnt(0)
	v_fmac_f64_e32 v[124:125], v[132:133], v[134:135]
	s_andn2_b64 exec, exec, s[6:7]
	s_cbranch_execnz .LBB60_127
; %bb.128:
	s_or_b64 exec, exec, s[6:7]
	v_mov_b32_e32 v128, 0
	ds_read_b64 v[128:129], v128 offset:240
	s_waitcnt lgkmcnt(0)
	v_mul_f64 v[124:125], v[124:125], v[128:129]
	buffer_store_dword v125, off, s[0:3], 0 offset:244
	buffer_store_dword v124, off, s[0:3], 0 offset:240
.LBB60_129:
	s_or_b64 exec, exec, s[4:5]
	s_waitcnt lgkmcnt(0)
	; wave barrier
	buffer_load_dword v124, off, s[0:3], 0 offset:248
	buffer_load_dword v125, off, s[0:3], 0 offset:252
	v_cmp_gt_u32_e32 vcc, 31, v0
	s_waitcnt vmcnt(0)
	ds_write_b64 v126, v[124:125]
	s_waitcnt lgkmcnt(0)
	; wave barrier
	s_waitcnt lgkmcnt(0)
	s_and_saveexec_b64 s[4:5], vcc
	s_cbranch_execz .LBB60_133
; %bb.130:
	v_add_u32_e32 v128, -1, v0
	v_add_u32_e32 v129, 0x1f0, v1
	v_add_u32_e32 v130, 0, v1
	s_mov_b64 s[6:7], 0
	v_pk_mov_b32 v[124:125], 0, 0
.LBB60_131:                             ; =>This Inner Loop Header: Depth=1
	buffer_load_dword v132, v130, s[0:3], 0 offen
	buffer_load_dword v133, v130, s[0:3], 0 offen offset:4
	ds_read_b64 v[134:135], v129
	v_add_u32_e32 v128, 1, v128
	v_cmp_lt_u32_e32 vcc, 29, v128
	v_add_u32_e32 v129, 8, v129
	v_add_u32_e32 v130, 8, v130
	s_or_b64 s[6:7], vcc, s[6:7]
	s_waitcnt vmcnt(0) lgkmcnt(0)
	v_fmac_f64_e32 v[124:125], v[132:133], v[134:135]
	s_andn2_b64 exec, exec, s[6:7]
	s_cbranch_execnz .LBB60_131
; %bb.132:
	s_or_b64 exec, exec, s[6:7]
	v_mov_b32_e32 v128, 0
	ds_read_b64 v[128:129], v128 offset:248
	s_waitcnt lgkmcnt(0)
	v_mul_f64 v[124:125], v[124:125], v[128:129]
	buffer_store_dword v125, off, s[0:3], 0 offset:252
	buffer_store_dword v124, off, s[0:3], 0 offset:248
.LBB60_133:
	s_or_b64 exec, exec, s[4:5]
	s_waitcnt lgkmcnt(0)
	; wave barrier
	buffer_load_dword v124, off, s[0:3], 0 offset:256
	buffer_load_dword v125, off, s[0:3], 0 offset:260
	v_cmp_gt_u32_e32 vcc, 32, v0
	s_waitcnt vmcnt(0)
	ds_write_b64 v126, v[124:125]
	s_waitcnt lgkmcnt(0)
	; wave barrier
	s_waitcnt lgkmcnt(0)
	s_and_saveexec_b64 s[4:5], vcc
	s_cbranch_execz .LBB60_137
; %bb.134:
	v_add_u32_e32 v128, -1, v0
	v_add_u32_e32 v129, 0x1f0, v1
	v_add_u32_e32 v130, 0, v1
	s_mov_b64 s[6:7], 0
	v_pk_mov_b32 v[124:125], 0, 0
.LBB60_135:                             ; =>This Inner Loop Header: Depth=1
	buffer_load_dword v132, v130, s[0:3], 0 offen
	buffer_load_dword v133, v130, s[0:3], 0 offen offset:4
	ds_read_b64 v[134:135], v129
	v_add_u32_e32 v128, 1, v128
	v_cmp_lt_u32_e32 vcc, 30, v128
	v_add_u32_e32 v129, 8, v129
	v_add_u32_e32 v130, 8, v130
	s_or_b64 s[6:7], vcc, s[6:7]
	s_waitcnt vmcnt(0) lgkmcnt(0)
	v_fmac_f64_e32 v[124:125], v[132:133], v[134:135]
	s_andn2_b64 exec, exec, s[6:7]
	s_cbranch_execnz .LBB60_135
; %bb.136:
	s_or_b64 exec, exec, s[6:7]
	v_mov_b32_e32 v128, 0
	ds_read_b64 v[128:129], v128 offset:256
	s_waitcnt lgkmcnt(0)
	v_mul_f64 v[124:125], v[124:125], v[128:129]
	buffer_store_dword v125, off, s[0:3], 0 offset:260
	buffer_store_dword v124, off, s[0:3], 0 offset:256
.LBB60_137:
	s_or_b64 exec, exec, s[4:5]
	s_waitcnt lgkmcnt(0)
	; wave barrier
	buffer_load_dword v124, off, s[0:3], 0 offset:264
	buffer_load_dword v125, off, s[0:3], 0 offset:268
	v_cmp_gt_u32_e32 vcc, 33, v0
	s_waitcnt vmcnt(0)
	ds_write_b64 v126, v[124:125]
	s_waitcnt lgkmcnt(0)
	; wave barrier
	s_waitcnt lgkmcnt(0)
	s_and_saveexec_b64 s[4:5], vcc
	s_cbranch_execz .LBB60_141
; %bb.138:
	v_add_u32_e32 v128, -1, v0
	v_add_u32_e32 v129, 0x1f0, v1
	v_add_u32_e32 v130, 0, v1
	s_mov_b64 s[6:7], 0
	v_pk_mov_b32 v[124:125], 0, 0
.LBB60_139:                             ; =>This Inner Loop Header: Depth=1
	buffer_load_dword v132, v130, s[0:3], 0 offen
	buffer_load_dword v133, v130, s[0:3], 0 offen offset:4
	ds_read_b64 v[134:135], v129
	v_add_u32_e32 v128, 1, v128
	v_cmp_lt_u32_e32 vcc, 31, v128
	v_add_u32_e32 v129, 8, v129
	v_add_u32_e32 v130, 8, v130
	s_or_b64 s[6:7], vcc, s[6:7]
	s_waitcnt vmcnt(0) lgkmcnt(0)
	v_fmac_f64_e32 v[124:125], v[132:133], v[134:135]
	s_andn2_b64 exec, exec, s[6:7]
	s_cbranch_execnz .LBB60_139
; %bb.140:
	s_or_b64 exec, exec, s[6:7]
	v_mov_b32_e32 v128, 0
	ds_read_b64 v[128:129], v128 offset:264
	s_waitcnt lgkmcnt(0)
	v_mul_f64 v[124:125], v[124:125], v[128:129]
	buffer_store_dword v125, off, s[0:3], 0 offset:268
	buffer_store_dword v124, off, s[0:3], 0 offset:264
.LBB60_141:
	s_or_b64 exec, exec, s[4:5]
	s_waitcnt lgkmcnt(0)
	; wave barrier
	buffer_load_dword v124, off, s[0:3], 0 offset:272
	buffer_load_dword v125, off, s[0:3], 0 offset:276
	v_cmp_gt_u32_e32 vcc, 34, v0
	s_waitcnt vmcnt(0)
	ds_write_b64 v126, v[124:125]
	s_waitcnt lgkmcnt(0)
	; wave barrier
	s_waitcnt lgkmcnt(0)
	s_and_saveexec_b64 s[4:5], vcc
	s_cbranch_execz .LBB60_145
; %bb.142:
	v_add_u32_e32 v128, -1, v0
	v_add_u32_e32 v129, 0x1f0, v1
	v_add_u32_e32 v130, 0, v1
	s_mov_b64 s[6:7], 0
	v_pk_mov_b32 v[124:125], 0, 0
.LBB60_143:                             ; =>This Inner Loop Header: Depth=1
	buffer_load_dword v132, v130, s[0:3], 0 offen
	buffer_load_dword v133, v130, s[0:3], 0 offen offset:4
	ds_read_b64 v[134:135], v129
	v_add_u32_e32 v128, 1, v128
	v_cmp_lt_u32_e32 vcc, 32, v128
	v_add_u32_e32 v129, 8, v129
	v_add_u32_e32 v130, 8, v130
	s_or_b64 s[6:7], vcc, s[6:7]
	s_waitcnt vmcnt(0) lgkmcnt(0)
	v_fmac_f64_e32 v[124:125], v[132:133], v[134:135]
	s_andn2_b64 exec, exec, s[6:7]
	s_cbranch_execnz .LBB60_143
; %bb.144:
	s_or_b64 exec, exec, s[6:7]
	v_mov_b32_e32 v128, 0
	ds_read_b64 v[128:129], v128 offset:272
	s_waitcnt lgkmcnt(0)
	v_mul_f64 v[124:125], v[124:125], v[128:129]
	buffer_store_dword v125, off, s[0:3], 0 offset:276
	buffer_store_dword v124, off, s[0:3], 0 offset:272
.LBB60_145:
	s_or_b64 exec, exec, s[4:5]
	s_waitcnt lgkmcnt(0)
	; wave barrier
	buffer_load_dword v124, off, s[0:3], 0 offset:280
	buffer_load_dword v125, off, s[0:3], 0 offset:284
	v_cmp_gt_u32_e32 vcc, 35, v0
	s_waitcnt vmcnt(0)
	ds_write_b64 v126, v[124:125]
	s_waitcnt lgkmcnt(0)
	; wave barrier
	s_waitcnt lgkmcnt(0)
	s_and_saveexec_b64 s[4:5], vcc
	s_cbranch_execz .LBB60_149
; %bb.146:
	v_add_u32_e32 v128, -1, v0
	v_add_u32_e32 v129, 0x1f0, v1
	v_add_u32_e32 v130, 0, v1
	s_mov_b64 s[6:7], 0
	v_pk_mov_b32 v[124:125], 0, 0
.LBB60_147:                             ; =>This Inner Loop Header: Depth=1
	buffer_load_dword v132, v130, s[0:3], 0 offen
	buffer_load_dword v133, v130, s[0:3], 0 offen offset:4
	ds_read_b64 v[134:135], v129
	v_add_u32_e32 v128, 1, v128
	v_cmp_lt_u32_e32 vcc, 33, v128
	v_add_u32_e32 v129, 8, v129
	v_add_u32_e32 v130, 8, v130
	s_or_b64 s[6:7], vcc, s[6:7]
	s_waitcnt vmcnt(0) lgkmcnt(0)
	v_fmac_f64_e32 v[124:125], v[132:133], v[134:135]
	s_andn2_b64 exec, exec, s[6:7]
	s_cbranch_execnz .LBB60_147
; %bb.148:
	s_or_b64 exec, exec, s[6:7]
	v_mov_b32_e32 v128, 0
	ds_read_b64 v[128:129], v128 offset:280
	s_waitcnt lgkmcnt(0)
	v_mul_f64 v[124:125], v[124:125], v[128:129]
	buffer_store_dword v125, off, s[0:3], 0 offset:284
	buffer_store_dword v124, off, s[0:3], 0 offset:280
.LBB60_149:
	s_or_b64 exec, exec, s[4:5]
	s_waitcnt lgkmcnt(0)
	; wave barrier
	buffer_load_dword v124, off, s[0:3], 0 offset:288
	buffer_load_dword v125, off, s[0:3], 0 offset:292
	v_cmp_gt_u32_e32 vcc, 36, v0
	s_waitcnt vmcnt(0)
	ds_write_b64 v126, v[124:125]
	s_waitcnt lgkmcnt(0)
	; wave barrier
	s_waitcnt lgkmcnt(0)
	s_and_saveexec_b64 s[4:5], vcc
	s_cbranch_execz .LBB60_153
; %bb.150:
	v_add_u32_e32 v128, -1, v0
	v_add_u32_e32 v129, 0x1f0, v1
	v_add_u32_e32 v130, 0, v1
	s_mov_b64 s[6:7], 0
	v_pk_mov_b32 v[124:125], 0, 0
.LBB60_151:                             ; =>This Inner Loop Header: Depth=1
	buffer_load_dword v132, v130, s[0:3], 0 offen
	buffer_load_dword v133, v130, s[0:3], 0 offen offset:4
	ds_read_b64 v[134:135], v129
	v_add_u32_e32 v128, 1, v128
	v_cmp_lt_u32_e32 vcc, 34, v128
	v_add_u32_e32 v129, 8, v129
	v_add_u32_e32 v130, 8, v130
	s_or_b64 s[6:7], vcc, s[6:7]
	s_waitcnt vmcnt(0) lgkmcnt(0)
	v_fmac_f64_e32 v[124:125], v[132:133], v[134:135]
	s_andn2_b64 exec, exec, s[6:7]
	s_cbranch_execnz .LBB60_151
; %bb.152:
	s_or_b64 exec, exec, s[6:7]
	v_mov_b32_e32 v128, 0
	ds_read_b64 v[128:129], v128 offset:288
	s_waitcnt lgkmcnt(0)
	v_mul_f64 v[124:125], v[124:125], v[128:129]
	buffer_store_dword v125, off, s[0:3], 0 offset:292
	buffer_store_dword v124, off, s[0:3], 0 offset:288
.LBB60_153:
	s_or_b64 exec, exec, s[4:5]
	s_waitcnt lgkmcnt(0)
	; wave barrier
	buffer_load_dword v124, off, s[0:3], 0 offset:296
	buffer_load_dword v125, off, s[0:3], 0 offset:300
	v_cmp_gt_u32_e32 vcc, 37, v0
	s_waitcnt vmcnt(0)
	ds_write_b64 v126, v[124:125]
	s_waitcnt lgkmcnt(0)
	; wave barrier
	s_waitcnt lgkmcnt(0)
	s_and_saveexec_b64 s[4:5], vcc
	s_cbranch_execz .LBB60_157
; %bb.154:
	v_add_u32_e32 v128, -1, v0
	v_add_u32_e32 v129, 0x1f0, v1
	v_add_u32_e32 v130, 0, v1
	s_mov_b64 s[6:7], 0
	v_pk_mov_b32 v[124:125], 0, 0
.LBB60_155:                             ; =>This Inner Loop Header: Depth=1
	buffer_load_dword v132, v130, s[0:3], 0 offen
	buffer_load_dword v133, v130, s[0:3], 0 offen offset:4
	ds_read_b64 v[134:135], v129
	v_add_u32_e32 v128, 1, v128
	v_cmp_lt_u32_e32 vcc, 35, v128
	v_add_u32_e32 v129, 8, v129
	v_add_u32_e32 v130, 8, v130
	s_or_b64 s[6:7], vcc, s[6:7]
	s_waitcnt vmcnt(0) lgkmcnt(0)
	v_fmac_f64_e32 v[124:125], v[132:133], v[134:135]
	s_andn2_b64 exec, exec, s[6:7]
	s_cbranch_execnz .LBB60_155
; %bb.156:
	s_or_b64 exec, exec, s[6:7]
	v_mov_b32_e32 v128, 0
	ds_read_b64 v[128:129], v128 offset:296
	s_waitcnt lgkmcnt(0)
	v_mul_f64 v[124:125], v[124:125], v[128:129]
	buffer_store_dword v125, off, s[0:3], 0 offset:300
	buffer_store_dword v124, off, s[0:3], 0 offset:296
.LBB60_157:
	s_or_b64 exec, exec, s[4:5]
	s_waitcnt lgkmcnt(0)
	; wave barrier
	buffer_load_dword v124, off, s[0:3], 0 offset:304
	buffer_load_dword v125, off, s[0:3], 0 offset:308
	v_cmp_gt_u32_e32 vcc, 38, v0
	s_waitcnt vmcnt(0)
	ds_write_b64 v126, v[124:125]
	s_waitcnt lgkmcnt(0)
	; wave barrier
	s_waitcnt lgkmcnt(0)
	s_and_saveexec_b64 s[4:5], vcc
	s_cbranch_execz .LBB60_161
; %bb.158:
	v_add_u32_e32 v128, -1, v0
	v_add_u32_e32 v129, 0x1f0, v1
	v_add_u32_e32 v130, 0, v1
	s_mov_b64 s[6:7], 0
	v_pk_mov_b32 v[124:125], 0, 0
.LBB60_159:                             ; =>This Inner Loop Header: Depth=1
	buffer_load_dword v132, v130, s[0:3], 0 offen
	buffer_load_dword v133, v130, s[0:3], 0 offen offset:4
	ds_read_b64 v[134:135], v129
	v_add_u32_e32 v128, 1, v128
	v_cmp_lt_u32_e32 vcc, 36, v128
	v_add_u32_e32 v129, 8, v129
	v_add_u32_e32 v130, 8, v130
	s_or_b64 s[6:7], vcc, s[6:7]
	s_waitcnt vmcnt(0) lgkmcnt(0)
	v_fmac_f64_e32 v[124:125], v[132:133], v[134:135]
	s_andn2_b64 exec, exec, s[6:7]
	s_cbranch_execnz .LBB60_159
; %bb.160:
	s_or_b64 exec, exec, s[6:7]
	v_mov_b32_e32 v128, 0
	ds_read_b64 v[128:129], v128 offset:304
	s_waitcnt lgkmcnt(0)
	v_mul_f64 v[124:125], v[124:125], v[128:129]
	buffer_store_dword v125, off, s[0:3], 0 offset:308
	buffer_store_dword v124, off, s[0:3], 0 offset:304
.LBB60_161:
	s_or_b64 exec, exec, s[4:5]
	s_waitcnt lgkmcnt(0)
	; wave barrier
	buffer_load_dword v124, off, s[0:3], 0 offset:312
	buffer_load_dword v125, off, s[0:3], 0 offset:316
	v_cmp_gt_u32_e32 vcc, 39, v0
	s_waitcnt vmcnt(0)
	ds_write_b64 v126, v[124:125]
	s_waitcnt lgkmcnt(0)
	; wave barrier
	s_waitcnt lgkmcnt(0)
	s_and_saveexec_b64 s[4:5], vcc
	s_cbranch_execz .LBB60_165
; %bb.162:
	v_add_u32_e32 v128, -1, v0
	v_add_u32_e32 v129, 0x1f0, v1
	v_add_u32_e32 v130, 0, v1
	s_mov_b64 s[6:7], 0
	v_pk_mov_b32 v[124:125], 0, 0
.LBB60_163:                             ; =>This Inner Loop Header: Depth=1
	buffer_load_dword v132, v130, s[0:3], 0 offen
	buffer_load_dword v133, v130, s[0:3], 0 offen offset:4
	ds_read_b64 v[134:135], v129
	v_add_u32_e32 v128, 1, v128
	v_cmp_lt_u32_e32 vcc, 37, v128
	v_add_u32_e32 v129, 8, v129
	v_add_u32_e32 v130, 8, v130
	s_or_b64 s[6:7], vcc, s[6:7]
	s_waitcnt vmcnt(0) lgkmcnt(0)
	v_fmac_f64_e32 v[124:125], v[132:133], v[134:135]
	s_andn2_b64 exec, exec, s[6:7]
	s_cbranch_execnz .LBB60_163
; %bb.164:
	s_or_b64 exec, exec, s[6:7]
	v_mov_b32_e32 v128, 0
	ds_read_b64 v[128:129], v128 offset:312
	s_waitcnt lgkmcnt(0)
	v_mul_f64 v[124:125], v[124:125], v[128:129]
	buffer_store_dword v125, off, s[0:3], 0 offset:316
	buffer_store_dword v124, off, s[0:3], 0 offset:312
.LBB60_165:
	s_or_b64 exec, exec, s[4:5]
	s_waitcnt lgkmcnt(0)
	; wave barrier
	buffer_load_dword v124, off, s[0:3], 0 offset:320
	buffer_load_dword v125, off, s[0:3], 0 offset:324
	v_cmp_gt_u32_e32 vcc, 40, v0
	s_waitcnt vmcnt(0)
	ds_write_b64 v126, v[124:125]
	s_waitcnt lgkmcnt(0)
	; wave barrier
	s_waitcnt lgkmcnt(0)
	s_and_saveexec_b64 s[4:5], vcc
	s_cbranch_execz .LBB60_169
; %bb.166:
	v_add_u32_e32 v128, -1, v0
	v_add_u32_e32 v129, 0x1f0, v1
	v_add_u32_e32 v130, 0, v1
	s_mov_b64 s[6:7], 0
	v_pk_mov_b32 v[124:125], 0, 0
.LBB60_167:                             ; =>This Inner Loop Header: Depth=1
	buffer_load_dword v132, v130, s[0:3], 0 offen
	buffer_load_dword v133, v130, s[0:3], 0 offen offset:4
	ds_read_b64 v[134:135], v129
	v_add_u32_e32 v128, 1, v128
	v_cmp_lt_u32_e32 vcc, 38, v128
	v_add_u32_e32 v129, 8, v129
	v_add_u32_e32 v130, 8, v130
	s_or_b64 s[6:7], vcc, s[6:7]
	s_waitcnt vmcnt(0) lgkmcnt(0)
	v_fmac_f64_e32 v[124:125], v[132:133], v[134:135]
	s_andn2_b64 exec, exec, s[6:7]
	s_cbranch_execnz .LBB60_167
; %bb.168:
	s_or_b64 exec, exec, s[6:7]
	v_mov_b32_e32 v128, 0
	ds_read_b64 v[128:129], v128 offset:320
	s_waitcnt lgkmcnt(0)
	v_mul_f64 v[124:125], v[124:125], v[128:129]
	buffer_store_dword v125, off, s[0:3], 0 offset:324
	buffer_store_dword v124, off, s[0:3], 0 offset:320
.LBB60_169:
	s_or_b64 exec, exec, s[4:5]
	s_waitcnt lgkmcnt(0)
	; wave barrier
	buffer_load_dword v124, off, s[0:3], 0 offset:328
	buffer_load_dword v125, off, s[0:3], 0 offset:332
	v_cmp_gt_u32_e32 vcc, 41, v0
	s_waitcnt vmcnt(0)
	ds_write_b64 v126, v[124:125]
	s_waitcnt lgkmcnt(0)
	; wave barrier
	s_waitcnt lgkmcnt(0)
	s_and_saveexec_b64 s[4:5], vcc
	s_cbranch_execz .LBB60_173
; %bb.170:
	v_add_u32_e32 v128, -1, v0
	v_add_u32_e32 v129, 0x1f0, v1
	v_add_u32_e32 v130, 0, v1
	s_mov_b64 s[6:7], 0
	v_pk_mov_b32 v[124:125], 0, 0
.LBB60_171:                             ; =>This Inner Loop Header: Depth=1
	buffer_load_dword v132, v130, s[0:3], 0 offen
	buffer_load_dword v133, v130, s[0:3], 0 offen offset:4
	ds_read_b64 v[134:135], v129
	v_add_u32_e32 v128, 1, v128
	v_cmp_lt_u32_e32 vcc, 39, v128
	v_add_u32_e32 v129, 8, v129
	v_add_u32_e32 v130, 8, v130
	s_or_b64 s[6:7], vcc, s[6:7]
	s_waitcnt vmcnt(0) lgkmcnt(0)
	v_fmac_f64_e32 v[124:125], v[132:133], v[134:135]
	s_andn2_b64 exec, exec, s[6:7]
	s_cbranch_execnz .LBB60_171
; %bb.172:
	s_or_b64 exec, exec, s[6:7]
	v_mov_b32_e32 v128, 0
	ds_read_b64 v[128:129], v128 offset:328
	s_waitcnt lgkmcnt(0)
	v_mul_f64 v[124:125], v[124:125], v[128:129]
	buffer_store_dword v125, off, s[0:3], 0 offset:332
	buffer_store_dword v124, off, s[0:3], 0 offset:328
.LBB60_173:
	s_or_b64 exec, exec, s[4:5]
	s_waitcnt lgkmcnt(0)
	; wave barrier
	buffer_load_dword v124, off, s[0:3], 0 offset:336
	buffer_load_dword v125, off, s[0:3], 0 offset:340
	v_cmp_gt_u32_e32 vcc, 42, v0
	s_waitcnt vmcnt(0)
	ds_write_b64 v126, v[124:125]
	s_waitcnt lgkmcnt(0)
	; wave barrier
	s_waitcnt lgkmcnt(0)
	s_and_saveexec_b64 s[4:5], vcc
	s_cbranch_execz .LBB60_177
; %bb.174:
	v_add_u32_e32 v128, -1, v0
	v_add_u32_e32 v129, 0x1f0, v1
	v_add_u32_e32 v130, 0, v1
	s_mov_b64 s[6:7], 0
	v_pk_mov_b32 v[124:125], 0, 0
.LBB60_175:                             ; =>This Inner Loop Header: Depth=1
	buffer_load_dword v132, v130, s[0:3], 0 offen
	buffer_load_dword v133, v130, s[0:3], 0 offen offset:4
	ds_read_b64 v[134:135], v129
	v_add_u32_e32 v128, 1, v128
	v_cmp_lt_u32_e32 vcc, 40, v128
	v_add_u32_e32 v129, 8, v129
	v_add_u32_e32 v130, 8, v130
	s_or_b64 s[6:7], vcc, s[6:7]
	s_waitcnt vmcnt(0) lgkmcnt(0)
	v_fmac_f64_e32 v[124:125], v[132:133], v[134:135]
	s_andn2_b64 exec, exec, s[6:7]
	s_cbranch_execnz .LBB60_175
; %bb.176:
	s_or_b64 exec, exec, s[6:7]
	v_mov_b32_e32 v128, 0
	ds_read_b64 v[128:129], v128 offset:336
	s_waitcnt lgkmcnt(0)
	v_mul_f64 v[124:125], v[124:125], v[128:129]
	buffer_store_dword v125, off, s[0:3], 0 offset:340
	buffer_store_dword v124, off, s[0:3], 0 offset:336
.LBB60_177:
	s_or_b64 exec, exec, s[4:5]
	s_waitcnt lgkmcnt(0)
	; wave barrier
	buffer_load_dword v124, off, s[0:3], 0 offset:344
	buffer_load_dword v125, off, s[0:3], 0 offset:348
	v_cmp_gt_u32_e32 vcc, 43, v0
	s_waitcnt vmcnt(0)
	ds_write_b64 v126, v[124:125]
	s_waitcnt lgkmcnt(0)
	; wave barrier
	s_waitcnt lgkmcnt(0)
	s_and_saveexec_b64 s[4:5], vcc
	s_cbranch_execz .LBB60_181
; %bb.178:
	v_add_u32_e32 v128, -1, v0
	v_add_u32_e32 v129, 0x1f0, v1
	v_add_u32_e32 v130, 0, v1
	s_mov_b64 s[6:7], 0
	v_pk_mov_b32 v[124:125], 0, 0
.LBB60_179:                             ; =>This Inner Loop Header: Depth=1
	buffer_load_dword v132, v130, s[0:3], 0 offen
	buffer_load_dword v133, v130, s[0:3], 0 offen offset:4
	ds_read_b64 v[134:135], v129
	v_add_u32_e32 v128, 1, v128
	v_cmp_lt_u32_e32 vcc, 41, v128
	v_add_u32_e32 v129, 8, v129
	v_add_u32_e32 v130, 8, v130
	s_or_b64 s[6:7], vcc, s[6:7]
	s_waitcnt vmcnt(0) lgkmcnt(0)
	v_fmac_f64_e32 v[124:125], v[132:133], v[134:135]
	s_andn2_b64 exec, exec, s[6:7]
	s_cbranch_execnz .LBB60_179
; %bb.180:
	s_or_b64 exec, exec, s[6:7]
	v_mov_b32_e32 v128, 0
	ds_read_b64 v[128:129], v128 offset:344
	s_waitcnt lgkmcnt(0)
	v_mul_f64 v[124:125], v[124:125], v[128:129]
	buffer_store_dword v125, off, s[0:3], 0 offset:348
	buffer_store_dword v124, off, s[0:3], 0 offset:344
.LBB60_181:
	s_or_b64 exec, exec, s[4:5]
	s_waitcnt lgkmcnt(0)
	; wave barrier
	buffer_load_dword v124, off, s[0:3], 0 offset:352
	buffer_load_dword v125, off, s[0:3], 0 offset:356
	v_cmp_gt_u32_e32 vcc, 44, v0
	s_waitcnt vmcnt(0)
	ds_write_b64 v126, v[124:125]
	s_waitcnt lgkmcnt(0)
	; wave barrier
	s_waitcnt lgkmcnt(0)
	s_and_saveexec_b64 s[4:5], vcc
	s_cbranch_execz .LBB60_185
; %bb.182:
	v_add_u32_e32 v128, -1, v0
	v_add_u32_e32 v129, 0x1f0, v1
	v_add_u32_e32 v130, 0, v1
	s_mov_b64 s[6:7], 0
	v_pk_mov_b32 v[124:125], 0, 0
.LBB60_183:                             ; =>This Inner Loop Header: Depth=1
	buffer_load_dword v132, v130, s[0:3], 0 offen
	buffer_load_dword v133, v130, s[0:3], 0 offen offset:4
	ds_read_b64 v[134:135], v129
	v_add_u32_e32 v128, 1, v128
	v_cmp_lt_u32_e32 vcc, 42, v128
	v_add_u32_e32 v129, 8, v129
	v_add_u32_e32 v130, 8, v130
	s_or_b64 s[6:7], vcc, s[6:7]
	s_waitcnt vmcnt(0) lgkmcnt(0)
	v_fmac_f64_e32 v[124:125], v[132:133], v[134:135]
	s_andn2_b64 exec, exec, s[6:7]
	s_cbranch_execnz .LBB60_183
; %bb.184:
	s_or_b64 exec, exec, s[6:7]
	v_mov_b32_e32 v128, 0
	ds_read_b64 v[128:129], v128 offset:352
	s_waitcnt lgkmcnt(0)
	v_mul_f64 v[124:125], v[124:125], v[128:129]
	buffer_store_dword v125, off, s[0:3], 0 offset:356
	buffer_store_dword v124, off, s[0:3], 0 offset:352
.LBB60_185:
	s_or_b64 exec, exec, s[4:5]
	s_waitcnt lgkmcnt(0)
	; wave barrier
	buffer_load_dword v124, off, s[0:3], 0 offset:360
	buffer_load_dword v125, off, s[0:3], 0 offset:364
	v_cmp_gt_u32_e32 vcc, 45, v0
	s_waitcnt vmcnt(0)
	ds_write_b64 v126, v[124:125]
	s_waitcnt lgkmcnt(0)
	; wave barrier
	s_waitcnt lgkmcnt(0)
	s_and_saveexec_b64 s[4:5], vcc
	s_cbranch_execz .LBB60_189
; %bb.186:
	v_add_u32_e32 v128, -1, v0
	v_add_u32_e32 v129, 0x1f0, v1
	v_add_u32_e32 v130, 0, v1
	s_mov_b64 s[6:7], 0
	v_pk_mov_b32 v[124:125], 0, 0
.LBB60_187:                             ; =>This Inner Loop Header: Depth=1
	buffer_load_dword v132, v130, s[0:3], 0 offen
	buffer_load_dword v133, v130, s[0:3], 0 offen offset:4
	ds_read_b64 v[134:135], v129
	v_add_u32_e32 v128, 1, v128
	v_cmp_lt_u32_e32 vcc, 43, v128
	v_add_u32_e32 v129, 8, v129
	v_add_u32_e32 v130, 8, v130
	s_or_b64 s[6:7], vcc, s[6:7]
	s_waitcnt vmcnt(0) lgkmcnt(0)
	v_fmac_f64_e32 v[124:125], v[132:133], v[134:135]
	s_andn2_b64 exec, exec, s[6:7]
	s_cbranch_execnz .LBB60_187
; %bb.188:
	s_or_b64 exec, exec, s[6:7]
	v_mov_b32_e32 v128, 0
	ds_read_b64 v[128:129], v128 offset:360
	s_waitcnt lgkmcnt(0)
	v_mul_f64 v[124:125], v[124:125], v[128:129]
	buffer_store_dword v125, off, s[0:3], 0 offset:364
	buffer_store_dword v124, off, s[0:3], 0 offset:360
.LBB60_189:
	s_or_b64 exec, exec, s[4:5]
	s_waitcnt lgkmcnt(0)
	; wave barrier
	buffer_load_dword v124, off, s[0:3], 0 offset:368
	buffer_load_dword v125, off, s[0:3], 0 offset:372
	v_cmp_gt_u32_e32 vcc, 46, v0
	s_waitcnt vmcnt(0)
	ds_write_b64 v126, v[124:125]
	s_waitcnt lgkmcnt(0)
	; wave barrier
	s_waitcnt lgkmcnt(0)
	s_and_saveexec_b64 s[4:5], vcc
	s_cbranch_execz .LBB60_193
; %bb.190:
	v_add_u32_e32 v128, -1, v0
	v_add_u32_e32 v129, 0x1f0, v1
	v_add_u32_e32 v130, 0, v1
	s_mov_b64 s[6:7], 0
	v_pk_mov_b32 v[124:125], 0, 0
.LBB60_191:                             ; =>This Inner Loop Header: Depth=1
	buffer_load_dword v132, v130, s[0:3], 0 offen
	buffer_load_dword v133, v130, s[0:3], 0 offen offset:4
	ds_read_b64 v[134:135], v129
	v_add_u32_e32 v128, 1, v128
	v_cmp_lt_u32_e32 vcc, 44, v128
	v_add_u32_e32 v129, 8, v129
	v_add_u32_e32 v130, 8, v130
	s_or_b64 s[6:7], vcc, s[6:7]
	s_waitcnt vmcnt(0) lgkmcnt(0)
	v_fmac_f64_e32 v[124:125], v[132:133], v[134:135]
	s_andn2_b64 exec, exec, s[6:7]
	s_cbranch_execnz .LBB60_191
; %bb.192:
	s_or_b64 exec, exec, s[6:7]
	v_mov_b32_e32 v128, 0
	ds_read_b64 v[128:129], v128 offset:368
	s_waitcnt lgkmcnt(0)
	v_mul_f64 v[124:125], v[124:125], v[128:129]
	buffer_store_dword v125, off, s[0:3], 0 offset:372
	buffer_store_dword v124, off, s[0:3], 0 offset:368
.LBB60_193:
	s_or_b64 exec, exec, s[4:5]
	s_waitcnt lgkmcnt(0)
	; wave barrier
	buffer_load_dword v124, off, s[0:3], 0 offset:376
	buffer_load_dword v125, off, s[0:3], 0 offset:380
	v_cmp_gt_u32_e32 vcc, 47, v0
	s_waitcnt vmcnt(0)
	ds_write_b64 v126, v[124:125]
	s_waitcnt lgkmcnt(0)
	; wave barrier
	s_waitcnt lgkmcnt(0)
	s_and_saveexec_b64 s[4:5], vcc
	s_cbranch_execz .LBB60_197
; %bb.194:
	v_add_u32_e32 v128, -1, v0
	v_add_u32_e32 v129, 0x1f0, v1
	v_add_u32_e32 v130, 0, v1
	s_mov_b64 s[6:7], 0
	v_pk_mov_b32 v[124:125], 0, 0
.LBB60_195:                             ; =>This Inner Loop Header: Depth=1
	buffer_load_dword v132, v130, s[0:3], 0 offen
	buffer_load_dword v133, v130, s[0:3], 0 offen offset:4
	ds_read_b64 v[134:135], v129
	v_add_u32_e32 v128, 1, v128
	v_cmp_lt_u32_e32 vcc, 45, v128
	v_add_u32_e32 v129, 8, v129
	v_add_u32_e32 v130, 8, v130
	s_or_b64 s[6:7], vcc, s[6:7]
	s_waitcnt vmcnt(0) lgkmcnt(0)
	v_fmac_f64_e32 v[124:125], v[132:133], v[134:135]
	s_andn2_b64 exec, exec, s[6:7]
	s_cbranch_execnz .LBB60_195
; %bb.196:
	s_or_b64 exec, exec, s[6:7]
	v_mov_b32_e32 v128, 0
	ds_read_b64 v[128:129], v128 offset:376
	s_waitcnt lgkmcnt(0)
	v_mul_f64 v[124:125], v[124:125], v[128:129]
	buffer_store_dword v125, off, s[0:3], 0 offset:380
	buffer_store_dword v124, off, s[0:3], 0 offset:376
.LBB60_197:
	s_or_b64 exec, exec, s[4:5]
	s_waitcnt lgkmcnt(0)
	; wave barrier
	buffer_load_dword v124, off, s[0:3], 0 offset:384
	buffer_load_dword v125, off, s[0:3], 0 offset:388
	v_cmp_gt_u32_e32 vcc, 48, v0
	s_waitcnt vmcnt(0)
	ds_write_b64 v126, v[124:125]
	s_waitcnt lgkmcnt(0)
	; wave barrier
	s_waitcnt lgkmcnt(0)
	s_and_saveexec_b64 s[4:5], vcc
	s_cbranch_execz .LBB60_201
; %bb.198:
	v_add_u32_e32 v128, -1, v0
	v_add_u32_e32 v129, 0x1f0, v1
	v_add_u32_e32 v130, 0, v1
	s_mov_b64 s[6:7], 0
	v_pk_mov_b32 v[124:125], 0, 0
.LBB60_199:                             ; =>This Inner Loop Header: Depth=1
	buffer_load_dword v132, v130, s[0:3], 0 offen
	buffer_load_dword v133, v130, s[0:3], 0 offen offset:4
	ds_read_b64 v[134:135], v129
	v_add_u32_e32 v128, 1, v128
	v_cmp_lt_u32_e32 vcc, 46, v128
	v_add_u32_e32 v129, 8, v129
	v_add_u32_e32 v130, 8, v130
	s_or_b64 s[6:7], vcc, s[6:7]
	s_waitcnt vmcnt(0) lgkmcnt(0)
	v_fmac_f64_e32 v[124:125], v[132:133], v[134:135]
	s_andn2_b64 exec, exec, s[6:7]
	s_cbranch_execnz .LBB60_199
; %bb.200:
	s_or_b64 exec, exec, s[6:7]
	v_mov_b32_e32 v128, 0
	ds_read_b64 v[128:129], v128 offset:384
	s_waitcnt lgkmcnt(0)
	v_mul_f64 v[124:125], v[124:125], v[128:129]
	buffer_store_dword v125, off, s[0:3], 0 offset:388
	buffer_store_dword v124, off, s[0:3], 0 offset:384
.LBB60_201:
	s_or_b64 exec, exec, s[4:5]
	s_waitcnt lgkmcnt(0)
	; wave barrier
	buffer_load_dword v124, off, s[0:3], 0 offset:392
	buffer_load_dword v125, off, s[0:3], 0 offset:396
	v_cmp_gt_u32_e32 vcc, 49, v0
	s_waitcnt vmcnt(0)
	ds_write_b64 v126, v[124:125]
	s_waitcnt lgkmcnt(0)
	; wave barrier
	s_waitcnt lgkmcnt(0)
	s_and_saveexec_b64 s[4:5], vcc
	s_cbranch_execz .LBB60_205
; %bb.202:
	v_add_u32_e32 v128, -1, v0
	v_add_u32_e32 v129, 0x1f0, v1
	v_add_u32_e32 v130, 0, v1
	s_mov_b64 s[6:7], 0
	v_pk_mov_b32 v[124:125], 0, 0
.LBB60_203:                             ; =>This Inner Loop Header: Depth=1
	buffer_load_dword v132, v130, s[0:3], 0 offen
	buffer_load_dword v133, v130, s[0:3], 0 offen offset:4
	ds_read_b64 v[134:135], v129
	v_add_u32_e32 v128, 1, v128
	v_cmp_lt_u32_e32 vcc, 47, v128
	v_add_u32_e32 v129, 8, v129
	v_add_u32_e32 v130, 8, v130
	s_or_b64 s[6:7], vcc, s[6:7]
	s_waitcnt vmcnt(0) lgkmcnt(0)
	v_fmac_f64_e32 v[124:125], v[132:133], v[134:135]
	s_andn2_b64 exec, exec, s[6:7]
	s_cbranch_execnz .LBB60_203
; %bb.204:
	s_or_b64 exec, exec, s[6:7]
	v_mov_b32_e32 v128, 0
	ds_read_b64 v[128:129], v128 offset:392
	s_waitcnt lgkmcnt(0)
	v_mul_f64 v[124:125], v[124:125], v[128:129]
	buffer_store_dword v125, off, s[0:3], 0 offset:396
	buffer_store_dword v124, off, s[0:3], 0 offset:392
.LBB60_205:
	s_or_b64 exec, exec, s[4:5]
	s_waitcnt lgkmcnt(0)
	; wave barrier
	buffer_load_dword v124, off, s[0:3], 0 offset:400
	buffer_load_dword v125, off, s[0:3], 0 offset:404
	v_cmp_gt_u32_e32 vcc, 50, v0
	s_waitcnt vmcnt(0)
	ds_write_b64 v126, v[124:125]
	s_waitcnt lgkmcnt(0)
	; wave barrier
	s_waitcnt lgkmcnt(0)
	s_and_saveexec_b64 s[4:5], vcc
	s_cbranch_execz .LBB60_209
; %bb.206:
	v_add_u32_e32 v128, -1, v0
	v_add_u32_e32 v129, 0x1f0, v1
	v_add_u32_e32 v130, 0, v1
	s_mov_b64 s[6:7], 0
	v_pk_mov_b32 v[124:125], 0, 0
.LBB60_207:                             ; =>This Inner Loop Header: Depth=1
	buffer_load_dword v132, v130, s[0:3], 0 offen
	buffer_load_dword v133, v130, s[0:3], 0 offen offset:4
	ds_read_b64 v[134:135], v129
	v_add_u32_e32 v128, 1, v128
	v_cmp_lt_u32_e32 vcc, 48, v128
	v_add_u32_e32 v129, 8, v129
	v_add_u32_e32 v130, 8, v130
	s_or_b64 s[6:7], vcc, s[6:7]
	s_waitcnt vmcnt(0) lgkmcnt(0)
	v_fmac_f64_e32 v[124:125], v[132:133], v[134:135]
	s_andn2_b64 exec, exec, s[6:7]
	s_cbranch_execnz .LBB60_207
; %bb.208:
	s_or_b64 exec, exec, s[6:7]
	v_mov_b32_e32 v128, 0
	ds_read_b64 v[128:129], v128 offset:400
	s_waitcnt lgkmcnt(0)
	v_mul_f64 v[124:125], v[124:125], v[128:129]
	buffer_store_dword v125, off, s[0:3], 0 offset:404
	buffer_store_dword v124, off, s[0:3], 0 offset:400
.LBB60_209:
	s_or_b64 exec, exec, s[4:5]
	s_waitcnt lgkmcnt(0)
	; wave barrier
	buffer_load_dword v124, off, s[0:3], 0 offset:408
	buffer_load_dword v125, off, s[0:3], 0 offset:412
	v_cmp_gt_u32_e32 vcc, 51, v0
	s_waitcnt vmcnt(0)
	ds_write_b64 v126, v[124:125]
	s_waitcnt lgkmcnt(0)
	; wave barrier
	s_waitcnt lgkmcnt(0)
	s_and_saveexec_b64 s[4:5], vcc
	s_cbranch_execz .LBB60_213
; %bb.210:
	v_add_u32_e32 v128, -1, v0
	v_add_u32_e32 v129, 0x1f0, v1
	v_add_u32_e32 v130, 0, v1
	s_mov_b64 s[6:7], 0
	v_pk_mov_b32 v[124:125], 0, 0
.LBB60_211:                             ; =>This Inner Loop Header: Depth=1
	buffer_load_dword v132, v130, s[0:3], 0 offen
	buffer_load_dword v133, v130, s[0:3], 0 offen offset:4
	ds_read_b64 v[134:135], v129
	v_add_u32_e32 v128, 1, v128
	v_cmp_lt_u32_e32 vcc, 49, v128
	v_add_u32_e32 v129, 8, v129
	v_add_u32_e32 v130, 8, v130
	s_or_b64 s[6:7], vcc, s[6:7]
	s_waitcnt vmcnt(0) lgkmcnt(0)
	v_fmac_f64_e32 v[124:125], v[132:133], v[134:135]
	s_andn2_b64 exec, exec, s[6:7]
	s_cbranch_execnz .LBB60_211
; %bb.212:
	s_or_b64 exec, exec, s[6:7]
	v_mov_b32_e32 v128, 0
	ds_read_b64 v[128:129], v128 offset:408
	s_waitcnt lgkmcnt(0)
	v_mul_f64 v[124:125], v[124:125], v[128:129]
	buffer_store_dword v125, off, s[0:3], 0 offset:412
	buffer_store_dword v124, off, s[0:3], 0 offset:408
.LBB60_213:
	s_or_b64 exec, exec, s[4:5]
	s_waitcnt lgkmcnt(0)
	; wave barrier
	buffer_load_dword v124, off, s[0:3], 0 offset:416
	buffer_load_dword v125, off, s[0:3], 0 offset:420
	v_cmp_gt_u32_e32 vcc, 52, v0
	s_waitcnt vmcnt(0)
	ds_write_b64 v126, v[124:125]
	s_waitcnt lgkmcnt(0)
	; wave barrier
	s_waitcnt lgkmcnt(0)
	s_and_saveexec_b64 s[4:5], vcc
	s_cbranch_execz .LBB60_217
; %bb.214:
	v_add_u32_e32 v128, -1, v0
	v_add_u32_e32 v129, 0x1f0, v1
	v_add_u32_e32 v130, 0, v1
	s_mov_b64 s[6:7], 0
	v_pk_mov_b32 v[124:125], 0, 0
.LBB60_215:                             ; =>This Inner Loop Header: Depth=1
	buffer_load_dword v132, v130, s[0:3], 0 offen
	buffer_load_dword v133, v130, s[0:3], 0 offen offset:4
	ds_read_b64 v[134:135], v129
	v_add_u32_e32 v128, 1, v128
	v_cmp_lt_u32_e32 vcc, 50, v128
	v_add_u32_e32 v129, 8, v129
	v_add_u32_e32 v130, 8, v130
	s_or_b64 s[6:7], vcc, s[6:7]
	s_waitcnt vmcnt(0) lgkmcnt(0)
	v_fmac_f64_e32 v[124:125], v[132:133], v[134:135]
	s_andn2_b64 exec, exec, s[6:7]
	s_cbranch_execnz .LBB60_215
; %bb.216:
	s_or_b64 exec, exec, s[6:7]
	v_mov_b32_e32 v128, 0
	ds_read_b64 v[128:129], v128 offset:416
	s_waitcnt lgkmcnt(0)
	v_mul_f64 v[124:125], v[124:125], v[128:129]
	buffer_store_dword v125, off, s[0:3], 0 offset:420
	buffer_store_dword v124, off, s[0:3], 0 offset:416
.LBB60_217:
	s_or_b64 exec, exec, s[4:5]
	s_waitcnt lgkmcnt(0)
	; wave barrier
	buffer_load_dword v124, off, s[0:3], 0 offset:424
	buffer_load_dword v125, off, s[0:3], 0 offset:428
	v_cmp_gt_u32_e32 vcc, 53, v0
	s_waitcnt vmcnt(0)
	ds_write_b64 v126, v[124:125]
	s_waitcnt lgkmcnt(0)
	; wave barrier
	s_waitcnt lgkmcnt(0)
	s_and_saveexec_b64 s[4:5], vcc
	s_cbranch_execz .LBB60_221
; %bb.218:
	v_add_u32_e32 v128, -1, v0
	v_add_u32_e32 v129, 0x1f0, v1
	v_add_u32_e32 v130, 0, v1
	s_mov_b64 s[6:7], 0
	v_pk_mov_b32 v[124:125], 0, 0
.LBB60_219:                             ; =>This Inner Loop Header: Depth=1
	buffer_load_dword v132, v130, s[0:3], 0 offen
	buffer_load_dword v133, v130, s[0:3], 0 offen offset:4
	ds_read_b64 v[134:135], v129
	v_add_u32_e32 v128, 1, v128
	v_cmp_lt_u32_e32 vcc, 51, v128
	v_add_u32_e32 v129, 8, v129
	v_add_u32_e32 v130, 8, v130
	s_or_b64 s[6:7], vcc, s[6:7]
	s_waitcnt vmcnt(0) lgkmcnt(0)
	v_fmac_f64_e32 v[124:125], v[132:133], v[134:135]
	s_andn2_b64 exec, exec, s[6:7]
	s_cbranch_execnz .LBB60_219
; %bb.220:
	s_or_b64 exec, exec, s[6:7]
	v_mov_b32_e32 v128, 0
	ds_read_b64 v[128:129], v128 offset:424
	s_waitcnt lgkmcnt(0)
	v_mul_f64 v[124:125], v[124:125], v[128:129]
	buffer_store_dword v125, off, s[0:3], 0 offset:428
	buffer_store_dword v124, off, s[0:3], 0 offset:424
.LBB60_221:
	s_or_b64 exec, exec, s[4:5]
	s_waitcnt lgkmcnt(0)
	; wave barrier
	buffer_load_dword v124, off, s[0:3], 0 offset:432
	buffer_load_dword v125, off, s[0:3], 0 offset:436
	v_cmp_gt_u32_e32 vcc, 54, v0
	s_waitcnt vmcnt(0)
	ds_write_b64 v126, v[124:125]
	s_waitcnt lgkmcnt(0)
	; wave barrier
	s_waitcnt lgkmcnt(0)
	s_and_saveexec_b64 s[4:5], vcc
	s_cbranch_execz .LBB60_225
; %bb.222:
	v_add_u32_e32 v128, -1, v0
	v_add_u32_e32 v129, 0x1f0, v1
	v_add_u32_e32 v130, 0, v1
	s_mov_b64 s[6:7], 0
	v_pk_mov_b32 v[124:125], 0, 0
.LBB60_223:                             ; =>This Inner Loop Header: Depth=1
	buffer_load_dword v132, v130, s[0:3], 0 offen
	buffer_load_dword v133, v130, s[0:3], 0 offen offset:4
	ds_read_b64 v[134:135], v129
	v_add_u32_e32 v128, 1, v128
	v_cmp_lt_u32_e32 vcc, 52, v128
	v_add_u32_e32 v129, 8, v129
	v_add_u32_e32 v130, 8, v130
	s_or_b64 s[6:7], vcc, s[6:7]
	s_waitcnt vmcnt(0) lgkmcnt(0)
	v_fmac_f64_e32 v[124:125], v[132:133], v[134:135]
	s_andn2_b64 exec, exec, s[6:7]
	s_cbranch_execnz .LBB60_223
; %bb.224:
	s_or_b64 exec, exec, s[6:7]
	v_mov_b32_e32 v128, 0
	ds_read_b64 v[128:129], v128 offset:432
	s_waitcnt lgkmcnt(0)
	v_mul_f64 v[124:125], v[124:125], v[128:129]
	buffer_store_dword v125, off, s[0:3], 0 offset:436
	buffer_store_dword v124, off, s[0:3], 0 offset:432
.LBB60_225:
	s_or_b64 exec, exec, s[4:5]
	s_waitcnt lgkmcnt(0)
	; wave barrier
	buffer_load_dword v124, off, s[0:3], 0 offset:440
	buffer_load_dword v125, off, s[0:3], 0 offset:444
	v_cmp_gt_u32_e32 vcc, 55, v0
	s_waitcnt vmcnt(0)
	ds_write_b64 v126, v[124:125]
	s_waitcnt lgkmcnt(0)
	; wave barrier
	s_waitcnt lgkmcnt(0)
	s_and_saveexec_b64 s[4:5], vcc
	s_cbranch_execz .LBB60_229
; %bb.226:
	v_add_u32_e32 v128, -1, v0
	v_add_u32_e32 v129, 0x1f0, v1
	v_add_u32_e32 v130, 0, v1
	s_mov_b64 s[6:7], 0
	v_pk_mov_b32 v[124:125], 0, 0
.LBB60_227:                             ; =>This Inner Loop Header: Depth=1
	buffer_load_dword v132, v130, s[0:3], 0 offen
	buffer_load_dword v133, v130, s[0:3], 0 offen offset:4
	ds_read_b64 v[134:135], v129
	v_add_u32_e32 v128, 1, v128
	v_cmp_lt_u32_e32 vcc, 53, v128
	v_add_u32_e32 v129, 8, v129
	v_add_u32_e32 v130, 8, v130
	s_or_b64 s[6:7], vcc, s[6:7]
	s_waitcnt vmcnt(0) lgkmcnt(0)
	v_fmac_f64_e32 v[124:125], v[132:133], v[134:135]
	s_andn2_b64 exec, exec, s[6:7]
	s_cbranch_execnz .LBB60_227
; %bb.228:
	s_or_b64 exec, exec, s[6:7]
	v_mov_b32_e32 v128, 0
	ds_read_b64 v[128:129], v128 offset:440
	s_waitcnt lgkmcnt(0)
	v_mul_f64 v[124:125], v[124:125], v[128:129]
	buffer_store_dword v125, off, s[0:3], 0 offset:444
	buffer_store_dword v124, off, s[0:3], 0 offset:440
.LBB60_229:
	s_or_b64 exec, exec, s[4:5]
	s_waitcnt lgkmcnt(0)
	; wave barrier
	buffer_load_dword v124, off, s[0:3], 0 offset:448
	buffer_load_dword v125, off, s[0:3], 0 offset:452
	v_cmp_gt_u32_e32 vcc, 56, v0
	s_waitcnt vmcnt(0)
	ds_write_b64 v126, v[124:125]
	s_waitcnt lgkmcnt(0)
	; wave barrier
	s_waitcnt lgkmcnt(0)
	s_and_saveexec_b64 s[4:5], vcc
	s_cbranch_execz .LBB60_233
; %bb.230:
	v_add_u32_e32 v128, -1, v0
	v_add_u32_e32 v129, 0x1f0, v1
	v_add_u32_e32 v130, 0, v1
	s_mov_b64 s[6:7], 0
	v_pk_mov_b32 v[124:125], 0, 0
.LBB60_231:                             ; =>This Inner Loop Header: Depth=1
	buffer_load_dword v132, v130, s[0:3], 0 offen
	buffer_load_dword v133, v130, s[0:3], 0 offen offset:4
	ds_read_b64 v[134:135], v129
	v_add_u32_e32 v128, 1, v128
	v_cmp_lt_u32_e32 vcc, 54, v128
	v_add_u32_e32 v129, 8, v129
	v_add_u32_e32 v130, 8, v130
	s_or_b64 s[6:7], vcc, s[6:7]
	s_waitcnt vmcnt(0) lgkmcnt(0)
	v_fmac_f64_e32 v[124:125], v[132:133], v[134:135]
	s_andn2_b64 exec, exec, s[6:7]
	s_cbranch_execnz .LBB60_231
; %bb.232:
	s_or_b64 exec, exec, s[6:7]
	v_mov_b32_e32 v128, 0
	ds_read_b64 v[128:129], v128 offset:448
	s_waitcnt lgkmcnt(0)
	v_mul_f64 v[124:125], v[124:125], v[128:129]
	buffer_store_dword v125, off, s[0:3], 0 offset:452
	buffer_store_dword v124, off, s[0:3], 0 offset:448
.LBB60_233:
	s_or_b64 exec, exec, s[4:5]
	s_waitcnt lgkmcnt(0)
	; wave barrier
	buffer_load_dword v124, off, s[0:3], 0 offset:456
	buffer_load_dword v125, off, s[0:3], 0 offset:460
	v_cmp_gt_u32_e32 vcc, 57, v0
	s_waitcnt vmcnt(0)
	ds_write_b64 v126, v[124:125]
	s_waitcnt lgkmcnt(0)
	; wave barrier
	s_waitcnt lgkmcnt(0)
	s_and_saveexec_b64 s[4:5], vcc
	s_cbranch_execz .LBB60_237
; %bb.234:
	v_add_u32_e32 v128, -1, v0
	v_add_u32_e32 v129, 0x1f0, v1
	v_add_u32_e32 v130, 0, v1
	s_mov_b64 s[6:7], 0
	v_pk_mov_b32 v[124:125], 0, 0
.LBB60_235:                             ; =>This Inner Loop Header: Depth=1
	buffer_load_dword v132, v130, s[0:3], 0 offen
	buffer_load_dword v133, v130, s[0:3], 0 offen offset:4
	ds_read_b64 v[134:135], v129
	v_add_u32_e32 v128, 1, v128
	v_cmp_lt_u32_e32 vcc, 55, v128
	v_add_u32_e32 v129, 8, v129
	v_add_u32_e32 v130, 8, v130
	s_or_b64 s[6:7], vcc, s[6:7]
	s_waitcnt vmcnt(0) lgkmcnt(0)
	v_fmac_f64_e32 v[124:125], v[132:133], v[134:135]
	s_andn2_b64 exec, exec, s[6:7]
	s_cbranch_execnz .LBB60_235
; %bb.236:
	s_or_b64 exec, exec, s[6:7]
	v_mov_b32_e32 v128, 0
	ds_read_b64 v[128:129], v128 offset:456
	s_waitcnt lgkmcnt(0)
	v_mul_f64 v[124:125], v[124:125], v[128:129]
	buffer_store_dword v125, off, s[0:3], 0 offset:460
	buffer_store_dword v124, off, s[0:3], 0 offset:456
.LBB60_237:
	s_or_b64 exec, exec, s[4:5]
	s_waitcnt lgkmcnt(0)
	; wave barrier
	buffer_load_dword v124, off, s[0:3], 0 offset:464
	buffer_load_dword v125, off, s[0:3], 0 offset:468
	v_cmp_gt_u32_e32 vcc, 58, v0
	s_waitcnt vmcnt(0)
	ds_write_b64 v126, v[124:125]
	s_waitcnt lgkmcnt(0)
	; wave barrier
	s_waitcnt lgkmcnt(0)
	s_and_saveexec_b64 s[4:5], vcc
	s_cbranch_execz .LBB60_241
; %bb.238:
	v_add_u32_e32 v128, -1, v0
	v_add_u32_e32 v129, 0x1f0, v1
	v_add_u32_e32 v130, 0, v1
	s_mov_b64 s[6:7], 0
	v_pk_mov_b32 v[124:125], 0, 0
.LBB60_239:                             ; =>This Inner Loop Header: Depth=1
	buffer_load_dword v132, v130, s[0:3], 0 offen
	buffer_load_dword v133, v130, s[0:3], 0 offen offset:4
	ds_read_b64 v[134:135], v129
	v_add_u32_e32 v128, 1, v128
	v_cmp_lt_u32_e32 vcc, 56, v128
	v_add_u32_e32 v129, 8, v129
	v_add_u32_e32 v130, 8, v130
	s_or_b64 s[6:7], vcc, s[6:7]
	s_waitcnt vmcnt(0) lgkmcnt(0)
	v_fmac_f64_e32 v[124:125], v[132:133], v[134:135]
	s_andn2_b64 exec, exec, s[6:7]
	s_cbranch_execnz .LBB60_239
; %bb.240:
	s_or_b64 exec, exec, s[6:7]
	v_mov_b32_e32 v128, 0
	ds_read_b64 v[128:129], v128 offset:464
	s_waitcnt lgkmcnt(0)
	v_mul_f64 v[124:125], v[124:125], v[128:129]
	buffer_store_dword v125, off, s[0:3], 0 offset:468
	buffer_store_dword v124, off, s[0:3], 0 offset:464
.LBB60_241:
	s_or_b64 exec, exec, s[4:5]
	s_waitcnt lgkmcnt(0)
	; wave barrier
	buffer_load_dword v124, off, s[0:3], 0 offset:472
	buffer_load_dword v125, off, s[0:3], 0 offset:476
	v_cmp_gt_u32_e32 vcc, 59, v0
	s_waitcnt vmcnt(0)
	ds_write_b64 v126, v[124:125]
	s_waitcnt lgkmcnt(0)
	; wave barrier
	s_waitcnt lgkmcnt(0)
	s_and_saveexec_b64 s[4:5], vcc
	s_cbranch_execz .LBB60_245
; %bb.242:
	v_add_u32_e32 v128, -1, v0
	v_add_u32_e32 v129, 0x1f0, v1
	v_add_u32_e32 v130, 0, v1
	s_mov_b64 s[6:7], 0
	v_pk_mov_b32 v[124:125], 0, 0
.LBB60_243:                             ; =>This Inner Loop Header: Depth=1
	buffer_load_dword v132, v130, s[0:3], 0 offen
	buffer_load_dword v133, v130, s[0:3], 0 offen offset:4
	ds_read_b64 v[134:135], v129
	v_add_u32_e32 v128, 1, v128
	v_cmp_lt_u32_e32 vcc, 57, v128
	v_add_u32_e32 v129, 8, v129
	v_add_u32_e32 v130, 8, v130
	s_or_b64 s[6:7], vcc, s[6:7]
	s_waitcnt vmcnt(0) lgkmcnt(0)
	v_fmac_f64_e32 v[124:125], v[132:133], v[134:135]
	s_andn2_b64 exec, exec, s[6:7]
	s_cbranch_execnz .LBB60_243
; %bb.244:
	s_or_b64 exec, exec, s[6:7]
	v_mov_b32_e32 v128, 0
	ds_read_b64 v[128:129], v128 offset:472
	s_waitcnt lgkmcnt(0)
	v_mul_f64 v[124:125], v[124:125], v[128:129]
	buffer_store_dword v125, off, s[0:3], 0 offset:476
	buffer_store_dword v124, off, s[0:3], 0 offset:472
.LBB60_245:
	s_or_b64 exec, exec, s[4:5]
	s_waitcnt lgkmcnt(0)
	; wave barrier
	buffer_load_dword v124, off, s[0:3], 0 offset:480
	buffer_load_dword v125, off, s[0:3], 0 offset:484
	v_cmp_ne_u32_e32 vcc, 60, v0
	s_waitcnt vmcnt(0)
	ds_write_b64 v126, v[124:125]
	s_waitcnt lgkmcnt(0)
	; wave barrier
	s_waitcnt lgkmcnt(0)
	s_and_saveexec_b64 s[4:5], vcc
	s_cbranch_execz .LBB60_249
; %bb.246:
	v_add_u32_e32 v126, 0x1f0, v1
	v_add_u32_e32 v1, 0, v1
	s_mov_b64 s[6:7], 0
	v_pk_mov_b32 v[124:125], 0, 0
.LBB60_247:                             ; =>This Inner Loop Header: Depth=1
	buffer_load_dword v128, v1, s[0:3], 0 offen
	buffer_load_dword v129, v1, s[0:3], 0 offen offset:4
	ds_read_b64 v[130:131], v126
	v_add_u32_e32 v127, 1, v127
	v_cmp_lt_u32_e32 vcc, 58, v127
	v_add_u32_e32 v126, 8, v126
	v_add_u32_e32 v1, 8, v1
	s_or_b64 s[6:7], vcc, s[6:7]
	s_waitcnt vmcnt(0) lgkmcnt(0)
	v_fmac_f64_e32 v[124:125], v[128:129], v[130:131]
	s_andn2_b64 exec, exec, s[6:7]
	s_cbranch_execnz .LBB60_247
; %bb.248:
	s_or_b64 exec, exec, s[6:7]
	v_mov_b32_e32 v1, 0
	ds_read_b64 v[126:127], v1 offset:480
	s_waitcnt lgkmcnt(0)
	v_mul_f64 v[124:125], v[124:125], v[126:127]
	buffer_store_dword v125, off, s[0:3], 0 offset:484
	buffer_store_dword v124, off, s[0:3], 0 offset:480
.LBB60_249:
	s_or_b64 exec, exec, s[4:5]
	s_mov_b64 s[6:7], -1
	s_waitcnt lgkmcnt(0)
	; wave barrier
.LBB60_250:
	s_and_b64 vcc, exec, s[6:7]
	s_cbranch_vccz .LBB60_252
; %bb.251:
	s_lshl_b64 s[4:5], s[8:9], 2
	s_add_u32 s4, s14, s4
	s_addc_u32 s5, s15, s5
	v_mov_b32_e32 v1, 0
	global_load_dword v1, v1, s[4:5]
	s_waitcnt vmcnt(0)
	v_cmp_ne_u32_e32 vcc, 0, v1
	s_cbranch_vccz .LBB60_253
.LBB60_252:
	s_endpgm
.LBB60_253:
	v_mov_b32_e32 v1, 0x1f0
	v_lshl_add_u32 v1, v0, 3, v1
	v_cmp_eq_u32_e32 vcc, 60, v0
	s_and_saveexec_b64 s[4:5], vcc
	s_cbranch_execz .LBB60_255
; %bb.254:
	buffer_load_dword v124, off, s[0:3], 0 offset:472
	buffer_load_dword v125, off, s[0:3], 0 offset:476
	v_mov_b32_e32 v126, 0
	buffer_store_dword v126, off, s[0:3], 0 offset:472
	buffer_store_dword v126, off, s[0:3], 0 offset:476
	s_waitcnt vmcnt(2)
	ds_write_b64 v1, v[124:125]
.LBB60_255:
	s_or_b64 exec, exec, s[4:5]
	s_waitcnt lgkmcnt(0)
	; wave barrier
	s_waitcnt lgkmcnt(0)
	buffer_load_dword v126, off, s[0:3], 0 offset:480
	buffer_load_dword v127, off, s[0:3], 0 offset:484
	;; [unrolled: 1-line block ×4, first 2 shown]
	v_mov_b32_e32 v124, 0
	ds_read_b64 v[130:131], v124 offset:976
	v_cmp_lt_u32_e32 vcc, 58, v0
	s_waitcnt vmcnt(2) lgkmcnt(0)
	v_fma_f64 v[126:127], v[126:127], v[130:131], 0
	s_waitcnt vmcnt(0)
	v_add_f64 v[126:127], v[128:129], -v[126:127]
	buffer_store_dword v126, off, s[0:3], 0 offset:472
	buffer_store_dword v127, off, s[0:3], 0 offset:476
	s_and_saveexec_b64 s[4:5], vcc
	s_cbranch_execz .LBB60_257
; %bb.256:
	buffer_load_dword v126, off, s[0:3], 0 offset:464
	buffer_load_dword v127, off, s[0:3], 0 offset:468
	s_waitcnt vmcnt(0)
	ds_write_b64 v1, v[126:127]
	buffer_store_dword v124, off, s[0:3], 0 offset:464
	buffer_store_dword v124, off, s[0:3], 0 offset:468
.LBB60_257:
	s_or_b64 exec, exec, s[4:5]
	s_waitcnt lgkmcnt(0)
	; wave barrier
	s_waitcnt lgkmcnt(0)
	buffer_load_dword v128, off, s[0:3], 0 offset:472
	buffer_load_dword v129, off, s[0:3], 0 offset:476
	;; [unrolled: 1-line block ×6, first 2 shown]
	ds_read2_b64 v[124:127], v124 offset0:121 offset1:122
	v_cmp_lt_u32_e32 vcc, 57, v0
	s_waitcnt vmcnt(4) lgkmcnt(0)
	v_fma_f64 v[124:125], v[128:129], v[124:125], 0
	s_waitcnt vmcnt(2)
	v_fmac_f64_e32 v[124:125], v[130:131], v[126:127]
	s_waitcnt vmcnt(0)
	v_add_f64 v[124:125], v[132:133], -v[124:125]
	buffer_store_dword v124, off, s[0:3], 0 offset:464
	buffer_store_dword v125, off, s[0:3], 0 offset:468
	s_and_saveexec_b64 s[4:5], vcc
	s_cbranch_execz .LBB60_259
; %bb.258:
	buffer_load_dword v124, off, s[0:3], 0 offset:456
	buffer_load_dword v125, off, s[0:3], 0 offset:460
	v_mov_b32_e32 v126, 0
	buffer_store_dword v126, off, s[0:3], 0 offset:456
	buffer_store_dword v126, off, s[0:3], 0 offset:460
	s_waitcnt vmcnt(2)
	ds_write_b64 v1, v[124:125]
.LBB60_259:
	s_or_b64 exec, exec, s[4:5]
	s_waitcnt lgkmcnt(0)
	; wave barrier
	s_waitcnt lgkmcnt(0)
	buffer_load_dword v130, off, s[0:3], 0 offset:464
	buffer_load_dword v131, off, s[0:3], 0 offset:468
	;; [unrolled: 1-line block ×8, first 2 shown]
	v_mov_b32_e32 v124, 0
	ds_read_b128 v[126:129], v124 offset:960
	ds_read_b64 v[138:139], v124 offset:976
	v_cmp_lt_u32_e32 vcc, 56, v0
	s_waitcnt vmcnt(6) lgkmcnt(1)
	v_fma_f64 v[126:127], v[130:131], v[126:127], 0
	s_waitcnt vmcnt(4)
	v_fmac_f64_e32 v[126:127], v[132:133], v[128:129]
	s_waitcnt vmcnt(2) lgkmcnt(0)
	v_fmac_f64_e32 v[126:127], v[134:135], v[138:139]
	s_waitcnt vmcnt(0)
	v_add_f64 v[126:127], v[136:137], -v[126:127]
	buffer_store_dword v126, off, s[0:3], 0 offset:456
	buffer_store_dword v127, off, s[0:3], 0 offset:460
	s_and_saveexec_b64 s[4:5], vcc
	s_cbranch_execz .LBB60_261
; %bb.260:
	buffer_load_dword v126, off, s[0:3], 0 offset:448
	buffer_load_dword v127, off, s[0:3], 0 offset:452
	s_waitcnt vmcnt(0)
	ds_write_b64 v1, v[126:127]
	buffer_store_dword v124, off, s[0:3], 0 offset:448
	buffer_store_dword v124, off, s[0:3], 0 offset:452
.LBB60_261:
	s_or_b64 exec, exec, s[4:5]
	s_waitcnt lgkmcnt(0)
	; wave barrier
	s_waitcnt lgkmcnt(0)
	buffer_load_dword v134, off, s[0:3], 0 offset:456
	buffer_load_dword v135, off, s[0:3], 0 offset:460
	;; [unrolled: 1-line block ×10, first 2 shown]
	ds_read2_b64 v[126:129], v124 offset0:119 offset1:120
	ds_read2_b64 v[130:133], v124 offset0:121 offset1:122
	v_cmp_lt_u32_e32 vcc, 55, v0
	s_waitcnt vmcnt(8) lgkmcnt(1)
	v_fma_f64 v[124:125], v[134:135], v[126:127], 0
	s_waitcnt vmcnt(6)
	v_fmac_f64_e32 v[124:125], v[136:137], v[128:129]
	s_waitcnt vmcnt(4) lgkmcnt(0)
	v_fmac_f64_e32 v[124:125], v[138:139], v[130:131]
	s_waitcnt vmcnt(2)
	v_fmac_f64_e32 v[124:125], v[140:141], v[132:133]
	s_waitcnt vmcnt(0)
	v_add_f64 v[124:125], v[142:143], -v[124:125]
	buffer_store_dword v124, off, s[0:3], 0 offset:448
	buffer_store_dword v125, off, s[0:3], 0 offset:452
	s_and_saveexec_b64 s[4:5], vcc
	s_cbranch_execz .LBB60_263
; %bb.262:
	buffer_load_dword v124, off, s[0:3], 0 offset:440
	buffer_load_dword v125, off, s[0:3], 0 offset:444
	v_mov_b32_e32 v126, 0
	buffer_store_dword v126, off, s[0:3], 0 offset:440
	buffer_store_dword v126, off, s[0:3], 0 offset:444
	s_waitcnt vmcnt(2)
	ds_write_b64 v1, v[124:125]
.LBB60_263:
	s_or_b64 exec, exec, s[4:5]
	s_waitcnt lgkmcnt(0)
	; wave barrier
	s_waitcnt lgkmcnt(0)
	buffer_load_dword v134, off, s[0:3], 0 offset:448
	buffer_load_dword v135, off, s[0:3], 0 offset:452
	;; [unrolled: 1-line block ×12, first 2 shown]
	v_mov_b32_e32 v124, 0
	ds_read_b128 v[126:129], v124 offset:944
	ds_read_b128 v[130:133], v124 offset:960
	ds_read_b64 v[146:147], v124 offset:976
	v_cmp_lt_u32_e32 vcc, 54, v0
	s_waitcnt vmcnt(10) lgkmcnt(2)
	v_fma_f64 v[126:127], v[134:135], v[126:127], 0
	s_waitcnt vmcnt(8)
	v_fmac_f64_e32 v[126:127], v[136:137], v[128:129]
	s_waitcnt vmcnt(6) lgkmcnt(1)
	v_fmac_f64_e32 v[126:127], v[138:139], v[130:131]
	s_waitcnt vmcnt(4)
	v_fmac_f64_e32 v[126:127], v[140:141], v[132:133]
	s_waitcnt vmcnt(2) lgkmcnt(0)
	v_fmac_f64_e32 v[126:127], v[142:143], v[146:147]
	s_waitcnt vmcnt(0)
	v_add_f64 v[126:127], v[144:145], -v[126:127]
	buffer_store_dword v126, off, s[0:3], 0 offset:440
	buffer_store_dword v127, off, s[0:3], 0 offset:444
	s_and_saveexec_b64 s[4:5], vcc
	s_cbranch_execz .LBB60_265
; %bb.264:
	buffer_load_dword v126, off, s[0:3], 0 offset:432
	buffer_load_dword v127, off, s[0:3], 0 offset:436
	s_waitcnt vmcnt(0)
	ds_write_b64 v1, v[126:127]
	buffer_store_dword v124, off, s[0:3], 0 offset:432
	buffer_store_dword v124, off, s[0:3], 0 offset:436
.LBB60_265:
	s_or_b64 exec, exec, s[4:5]
	s_waitcnt lgkmcnt(0)
	; wave barrier
	s_waitcnt lgkmcnt(0)
	buffer_load_dword v138, off, s[0:3], 0 offset:440
	buffer_load_dword v139, off, s[0:3], 0 offset:444
	;; [unrolled: 1-line block ×14, first 2 shown]
	ds_read2_b64 v[126:129], v124 offset0:117 offset1:118
	ds_read2_b64 v[130:133], v124 offset0:119 offset1:120
	;; [unrolled: 1-line block ×3, first 2 shown]
	v_cmp_lt_u32_e32 vcc, 53, v0
	s_waitcnt vmcnt(12) lgkmcnt(2)
	v_fma_f64 v[124:125], v[138:139], v[126:127], 0
	s_waitcnt vmcnt(10)
	v_fmac_f64_e32 v[124:125], v[140:141], v[128:129]
	s_waitcnt vmcnt(8) lgkmcnt(1)
	v_fmac_f64_e32 v[124:125], v[142:143], v[130:131]
	s_waitcnt vmcnt(6)
	v_fmac_f64_e32 v[124:125], v[144:145], v[132:133]
	s_waitcnt vmcnt(4) lgkmcnt(0)
	v_fmac_f64_e32 v[124:125], v[146:147], v[134:135]
	s_waitcnt vmcnt(2)
	v_fmac_f64_e32 v[124:125], v[148:149], v[136:137]
	s_waitcnt vmcnt(0)
	v_add_f64 v[124:125], v[150:151], -v[124:125]
	buffer_store_dword v124, off, s[0:3], 0 offset:432
	buffer_store_dword v125, off, s[0:3], 0 offset:436
	s_and_saveexec_b64 s[4:5], vcc
	s_cbranch_execz .LBB60_267
; %bb.266:
	buffer_load_dword v124, off, s[0:3], 0 offset:424
	buffer_load_dword v125, off, s[0:3], 0 offset:428
	v_mov_b32_e32 v126, 0
	buffer_store_dword v126, off, s[0:3], 0 offset:424
	buffer_store_dword v126, off, s[0:3], 0 offset:428
	s_waitcnt vmcnt(2)
	ds_write_b64 v1, v[124:125]
.LBB60_267:
	s_or_b64 exec, exec, s[4:5]
	s_waitcnt lgkmcnt(0)
	; wave barrier
	s_waitcnt lgkmcnt(0)
	buffer_load_dword v138, off, s[0:3], 0 offset:432
	buffer_load_dword v139, off, s[0:3], 0 offset:436
	;; [unrolled: 1-line block ×16, first 2 shown]
	v_mov_b32_e32 v124, 0
	ds_read_b128 v[126:129], v124 offset:928
	ds_read_b128 v[130:133], v124 offset:944
	;; [unrolled: 1-line block ×3, first 2 shown]
	ds_read_b64 v[154:155], v124 offset:976
	v_cmp_lt_u32_e32 vcc, 52, v0
	s_waitcnt vmcnt(14) lgkmcnt(3)
	v_fma_f64 v[126:127], v[138:139], v[126:127], 0
	s_waitcnt vmcnt(12)
	v_fmac_f64_e32 v[126:127], v[140:141], v[128:129]
	s_waitcnt vmcnt(10) lgkmcnt(2)
	v_fmac_f64_e32 v[126:127], v[142:143], v[130:131]
	s_waitcnt vmcnt(8)
	v_fmac_f64_e32 v[126:127], v[144:145], v[132:133]
	s_waitcnt vmcnt(6) lgkmcnt(1)
	v_fmac_f64_e32 v[126:127], v[146:147], v[134:135]
	;; [unrolled: 4-line block ×3, first 2 shown]
	s_waitcnt vmcnt(0)
	v_add_f64 v[126:127], v[152:153], -v[126:127]
	buffer_store_dword v126, off, s[0:3], 0 offset:424
	buffer_store_dword v127, off, s[0:3], 0 offset:428
	s_and_saveexec_b64 s[4:5], vcc
	s_cbranch_execz .LBB60_269
; %bb.268:
	buffer_load_dword v126, off, s[0:3], 0 offset:416
	buffer_load_dword v127, off, s[0:3], 0 offset:420
	s_waitcnt vmcnt(0)
	ds_write_b64 v1, v[126:127]
	buffer_store_dword v124, off, s[0:3], 0 offset:416
	buffer_store_dword v124, off, s[0:3], 0 offset:420
.LBB60_269:
	s_or_b64 exec, exec, s[4:5]
	s_waitcnt lgkmcnt(0)
	; wave barrier
	s_waitcnt lgkmcnt(0)
	buffer_load_dword v142, off, s[0:3], 0 offset:424
	buffer_load_dword v143, off, s[0:3], 0 offset:428
	;; [unrolled: 1-line block ×18, first 2 shown]
	ds_read2_b64 v[126:129], v124 offset0:115 offset1:116
	ds_read2_b64 v[130:133], v124 offset0:117 offset1:118
	;; [unrolled: 1-line block ×4, first 2 shown]
	v_cmp_lt_u32_e32 vcc, 51, v0
	s_waitcnt vmcnt(16) lgkmcnt(3)
	v_fma_f64 v[124:125], v[142:143], v[126:127], 0
	s_waitcnt vmcnt(14)
	v_fmac_f64_e32 v[124:125], v[144:145], v[128:129]
	s_waitcnt vmcnt(12) lgkmcnt(2)
	v_fmac_f64_e32 v[124:125], v[146:147], v[130:131]
	s_waitcnt vmcnt(10)
	v_fmac_f64_e32 v[124:125], v[148:149], v[132:133]
	s_waitcnt vmcnt(8) lgkmcnt(1)
	v_fmac_f64_e32 v[124:125], v[150:151], v[134:135]
	;; [unrolled: 4-line block ×3, first 2 shown]
	s_waitcnt vmcnt(2)
	v_fmac_f64_e32 v[124:125], v[156:157], v[140:141]
	s_waitcnt vmcnt(0)
	v_add_f64 v[124:125], v[158:159], -v[124:125]
	buffer_store_dword v124, off, s[0:3], 0 offset:416
	buffer_store_dword v125, off, s[0:3], 0 offset:420
	s_and_saveexec_b64 s[4:5], vcc
	s_cbranch_execz .LBB60_271
; %bb.270:
	buffer_load_dword v124, off, s[0:3], 0 offset:408
	buffer_load_dword v125, off, s[0:3], 0 offset:412
	v_mov_b32_e32 v126, 0
	buffer_store_dword v126, off, s[0:3], 0 offset:408
	buffer_store_dword v126, off, s[0:3], 0 offset:412
	s_waitcnt vmcnt(2)
	ds_write_b64 v1, v[124:125]
.LBB60_271:
	s_or_b64 exec, exec, s[4:5]
	s_waitcnt lgkmcnt(0)
	; wave barrier
	s_waitcnt lgkmcnt(0)
	buffer_load_dword v142, off, s[0:3], 0 offset:416
	buffer_load_dword v143, off, s[0:3], 0 offset:420
	;; [unrolled: 1-line block ×20, first 2 shown]
	v_mov_b32_e32 v124, 0
	ds_read_b128 v[126:129], v124 offset:912
	ds_read_b128 v[130:133], v124 offset:928
	;; [unrolled: 1-line block ×4, first 2 shown]
	ds_read_b64 v[162:163], v124 offset:976
	v_cmp_lt_u32_e32 vcc, 50, v0
	s_waitcnt vmcnt(18) lgkmcnt(4)
	v_fma_f64 v[126:127], v[142:143], v[126:127], 0
	s_waitcnt vmcnt(16)
	v_fmac_f64_e32 v[126:127], v[144:145], v[128:129]
	s_waitcnt vmcnt(14) lgkmcnt(3)
	v_fmac_f64_e32 v[126:127], v[146:147], v[130:131]
	s_waitcnt vmcnt(12)
	v_fmac_f64_e32 v[126:127], v[148:149], v[132:133]
	s_waitcnt vmcnt(10) lgkmcnt(2)
	v_fmac_f64_e32 v[126:127], v[150:151], v[134:135]
	;; [unrolled: 4-line block ×3, first 2 shown]
	s_waitcnt vmcnt(2)
	v_fmac_f64_e32 v[126:127], v[158:159], v[140:141]
	s_waitcnt lgkmcnt(0)
	v_fmac_f64_e32 v[126:127], v[156:157], v[162:163]
	s_waitcnt vmcnt(0)
	v_add_f64 v[126:127], v[160:161], -v[126:127]
	buffer_store_dword v126, off, s[0:3], 0 offset:408
	buffer_store_dword v127, off, s[0:3], 0 offset:412
	s_and_saveexec_b64 s[4:5], vcc
	s_cbranch_execz .LBB60_273
; %bb.272:
	buffer_load_dword v126, off, s[0:3], 0 offset:400
	buffer_load_dword v127, off, s[0:3], 0 offset:404
	s_waitcnt vmcnt(0)
	ds_write_b64 v1, v[126:127]
	buffer_store_dword v124, off, s[0:3], 0 offset:400
	buffer_store_dword v124, off, s[0:3], 0 offset:404
.LBB60_273:
	s_or_b64 exec, exec, s[4:5]
	s_waitcnt lgkmcnt(0)
	; wave barrier
	s_waitcnt lgkmcnt(0)
	buffer_load_dword v146, off, s[0:3], 0 offset:408
	buffer_load_dword v147, off, s[0:3], 0 offset:412
	buffer_load_dword v148, off, s[0:3], 0 offset:416
	buffer_load_dword v149, off, s[0:3], 0 offset:420
	buffer_load_dword v150, off, s[0:3], 0 offset:424
	buffer_load_dword v151, off, s[0:3], 0 offset:428
	buffer_load_dword v152, off, s[0:3], 0 offset:432
	buffer_load_dword v153, off, s[0:3], 0 offset:436
	buffer_load_dword v154, off, s[0:3], 0 offset:440
	buffer_load_dword v155, off, s[0:3], 0 offset:444
	buffer_load_dword v156, off, s[0:3], 0 offset:448
	buffer_load_dword v157, off, s[0:3], 0 offset:452
	buffer_load_dword v158, off, s[0:3], 0 offset:456
	buffer_load_dword v159, off, s[0:3], 0 offset:460
	buffer_load_dword v160, off, s[0:3], 0 offset:480
	buffer_load_dword v163, off, s[0:3], 0 offset:476
	buffer_load_dword v162, off, s[0:3], 0 offset:472
	buffer_load_dword v165, off, s[0:3], 0 offset:468
	buffer_load_dword v164, off, s[0:3], 0 offset:464
	buffer_load_dword v161, off, s[0:3], 0 offset:484
	buffer_load_dword v166, off, s[0:3], 0 offset:400
	buffer_load_dword v167, off, s[0:3], 0 offset:404
	ds_read2_b64 v[126:129], v124 offset0:113 offset1:114
	ds_read2_b64 v[130:133], v124 offset0:115 offset1:116
	;; [unrolled: 1-line block ×5, first 2 shown]
	v_cmp_lt_u32_e32 vcc, 49, v0
	s_waitcnt vmcnt(20) lgkmcnt(4)
	v_fma_f64 v[124:125], v[146:147], v[126:127], 0
	s_waitcnt vmcnt(18)
	v_fmac_f64_e32 v[124:125], v[148:149], v[128:129]
	s_waitcnt vmcnt(16) lgkmcnt(3)
	v_fmac_f64_e32 v[124:125], v[150:151], v[130:131]
	s_waitcnt vmcnt(14)
	v_fmac_f64_e32 v[124:125], v[152:153], v[132:133]
	s_waitcnt vmcnt(12) lgkmcnt(2)
	v_fmac_f64_e32 v[124:125], v[154:155], v[134:135]
	s_waitcnt vmcnt(10)
	v_fmac_f64_e32 v[124:125], v[156:157], v[136:137]
	s_waitcnt vmcnt(8) lgkmcnt(1)
	v_fmac_f64_e32 v[124:125], v[158:159], v[138:139]
	s_waitcnt vmcnt(3)
	v_fmac_f64_e32 v[124:125], v[164:165], v[140:141]
	s_waitcnt lgkmcnt(0)
	v_fmac_f64_e32 v[124:125], v[162:163], v[142:143]
	s_waitcnt vmcnt(2)
	v_fmac_f64_e32 v[124:125], v[160:161], v[144:145]
	s_waitcnt vmcnt(0)
	v_add_f64 v[124:125], v[166:167], -v[124:125]
	buffer_store_dword v124, off, s[0:3], 0 offset:400
	buffer_store_dword v125, off, s[0:3], 0 offset:404
	s_and_saveexec_b64 s[4:5], vcc
	s_cbranch_execz .LBB60_275
; %bb.274:
	buffer_load_dword v124, off, s[0:3], 0 offset:392
	buffer_load_dword v125, off, s[0:3], 0 offset:396
	v_mov_b32_e32 v126, 0
	buffer_store_dword v126, off, s[0:3], 0 offset:392
	buffer_store_dword v126, off, s[0:3], 0 offset:396
	s_waitcnt vmcnt(2)
	ds_write_b64 v1, v[124:125]
.LBB60_275:
	s_or_b64 exec, exec, s[4:5]
	s_waitcnt lgkmcnt(0)
	; wave barrier
	s_waitcnt lgkmcnt(0)
	buffer_load_dword v142, off, s[0:3], 0 offset:392
	buffer_load_dword v143, off, s[0:3], 0 offset:396
	buffer_load_dword v144, off, s[0:3], 0 offset:400
	buffer_load_dword v145, off, s[0:3], 0 offset:404
	buffer_load_dword v146, off, s[0:3], 0 offset:408
	buffer_load_dword v147, off, s[0:3], 0 offset:412
	buffer_load_dword v148, off, s[0:3], 0 offset:416
	buffer_load_dword v149, off, s[0:3], 0 offset:420
	buffer_load_dword v150, off, s[0:3], 0 offset:424
	buffer_load_dword v151, off, s[0:3], 0 offset:428
	buffer_load_dword v152, off, s[0:3], 0 offset:432
	buffer_load_dword v153, off, s[0:3], 0 offset:436
	buffer_load_dword v154, off, s[0:3], 0 offset:440
	buffer_load_dword v155, off, s[0:3], 0 offset:444
	buffer_load_dword v156, off, s[0:3], 0 offset:448
	buffer_load_dword v157, off, s[0:3], 0 offset:452
	v_mov_b32_e32 v124, 0
	ds_read_b128 v[126:129], v124 offset:896
	ds_read_b128 v[130:133], v124 offset:912
	;; [unrolled: 1-line block ×4, first 2 shown]
	v_cmp_lt_u32_e32 vcc, 48, v0
	s_waitcnt vmcnt(12) lgkmcnt(3)
	v_fma_f64 v[144:145], v[144:145], v[126:127], 0
	buffer_load_dword v127, off, s[0:3], 0 offset:460
	buffer_load_dword v126, off, s[0:3], 0 offset:456
	s_waitcnt vmcnt(12)
	v_fmac_f64_e32 v[144:145], v[146:147], v[128:129]
	s_waitcnt vmcnt(10) lgkmcnt(2)
	v_fmac_f64_e32 v[144:145], v[148:149], v[130:131]
	buffer_load_dword v131, off, s[0:3], 0 offset:468
	buffer_load_dword v130, off, s[0:3], 0 offset:464
	s_waitcnt vmcnt(10)
	v_fmac_f64_e32 v[144:145], v[150:151], v[132:133]
	s_waitcnt vmcnt(8) lgkmcnt(1)
	v_fmac_f64_e32 v[144:145], v[152:153], v[134:135]
	s_waitcnt vmcnt(6)
	v_fmac_f64_e32 v[144:145], v[154:155], v[136:137]
	s_waitcnt vmcnt(4) lgkmcnt(0)
	v_fmac_f64_e32 v[144:145], v[156:157], v[138:139]
	s_waitcnt vmcnt(2)
	v_fmac_f64_e32 v[144:145], v[126:127], v[140:141]
	ds_read_b128 v[126:129], v124 offset:960
	s_waitcnt vmcnt(0) lgkmcnt(0)
	v_fmac_f64_e32 v[144:145], v[130:131], v[126:127]
	buffer_load_dword v127, off, s[0:3], 0 offset:476
	buffer_load_dword v126, off, s[0:3], 0 offset:472
	s_waitcnt vmcnt(0)
	v_fmac_f64_e32 v[144:145], v[126:127], v[128:129]
	buffer_load_dword v127, off, s[0:3], 0 offset:484
	buffer_load_dword v126, off, s[0:3], 0 offset:480
	ds_read_b64 v[128:129], v124 offset:976
	s_waitcnt vmcnt(0) lgkmcnt(0)
	v_fmac_f64_e32 v[144:145], v[126:127], v[128:129]
	v_add_f64 v[126:127], v[142:143], -v[144:145]
	buffer_store_dword v127, off, s[0:3], 0 offset:396
	buffer_store_dword v126, off, s[0:3], 0 offset:392
	s_and_saveexec_b64 s[4:5], vcc
	s_cbranch_execz .LBB60_277
; %bb.276:
	buffer_load_dword v126, off, s[0:3], 0 offset:384
	buffer_load_dword v127, off, s[0:3], 0 offset:388
	s_waitcnt vmcnt(0)
	ds_write_b64 v1, v[126:127]
	buffer_store_dword v124, off, s[0:3], 0 offset:384
	buffer_store_dword v124, off, s[0:3], 0 offset:388
.LBB60_277:
	s_or_b64 exec, exec, s[4:5]
	s_waitcnt lgkmcnt(0)
	; wave barrier
	s_waitcnt lgkmcnt(0)
	buffer_load_dword v130, off, s[0:3], 0 offset:384
	buffer_load_dword v131, off, s[0:3], 0 offset:388
	;; [unrolled: 1-line block ×16, first 2 shown]
	ds_read2_b64 v[126:129], v124 offset0:111 offset1:112
	v_cmp_lt_u32_e32 vcc, 47, v0
	s_waitcnt vmcnt(12) lgkmcnt(0)
	v_fma_f64 v[132:133], v[132:133], v[126:127], 0
	s_waitcnt vmcnt(10)
	v_fmac_f64_e32 v[132:133], v[134:135], v[128:129]
	ds_read2_b64 v[126:129], v124 offset0:113 offset1:114
	s_waitcnt vmcnt(8) lgkmcnt(0)
	v_fmac_f64_e32 v[132:133], v[136:137], v[126:127]
	s_waitcnt vmcnt(6)
	v_fmac_f64_e32 v[132:133], v[138:139], v[128:129]
	ds_read2_b64 v[126:129], v124 offset0:115 offset1:116
	s_waitcnt vmcnt(4) lgkmcnt(0)
	v_fmac_f64_e32 v[132:133], v[140:141], v[126:127]
	;; [unrolled: 5-line block ×3, first 2 shown]
	buffer_load_dword v127, off, s[0:3], 0 offset:452
	buffer_load_dword v126, off, s[0:3], 0 offset:448
	;; [unrolled: 1-line block ×4, first 2 shown]
	s_waitcnt vmcnt(2)
	v_fmac_f64_e32 v[132:133], v[126:127], v[128:129]
	ds_read2_b64 v[126:129], v124 offset0:119 offset1:120
	s_waitcnt vmcnt(0) lgkmcnt(0)
	v_fmac_f64_e32 v[132:133], v[134:135], v[126:127]
	buffer_load_dword v127, off, s[0:3], 0 offset:468
	buffer_load_dword v126, off, s[0:3], 0 offset:464
	s_waitcnt vmcnt(0)
	v_fmac_f64_e32 v[132:133], v[126:127], v[128:129]
	buffer_load_dword v129, off, s[0:3], 0 offset:476
	buffer_load_dword v128, off, s[0:3], 0 offset:472
	ds_read2_b64 v[124:127], v124 offset0:121 offset1:122
	s_waitcnt vmcnt(0) lgkmcnt(0)
	v_fmac_f64_e32 v[132:133], v[128:129], v[124:125]
	buffer_load_dword v125, off, s[0:3], 0 offset:484
	buffer_load_dword v124, off, s[0:3], 0 offset:480
	s_waitcnt vmcnt(0)
	v_fmac_f64_e32 v[132:133], v[124:125], v[126:127]
	v_add_f64 v[124:125], v[130:131], -v[132:133]
	buffer_store_dword v125, off, s[0:3], 0 offset:388
	buffer_store_dword v124, off, s[0:3], 0 offset:384
	s_and_saveexec_b64 s[4:5], vcc
	s_cbranch_execz .LBB60_279
; %bb.278:
	buffer_load_dword v124, off, s[0:3], 0 offset:376
	buffer_load_dword v125, off, s[0:3], 0 offset:380
	v_mov_b32_e32 v126, 0
	buffer_store_dword v126, off, s[0:3], 0 offset:376
	buffer_store_dword v126, off, s[0:3], 0 offset:380
	s_waitcnt vmcnt(2)
	ds_write_b64 v1, v[124:125]
.LBB60_279:
	s_or_b64 exec, exec, s[4:5]
	s_waitcnt lgkmcnt(0)
	; wave barrier
	s_waitcnt lgkmcnt(0)
	buffer_load_dword v142, off, s[0:3], 0 offset:376
	buffer_load_dword v143, off, s[0:3], 0 offset:380
	;; [unrolled: 1-line block ×16, first 2 shown]
	v_mov_b32_e32 v124, 0
	ds_read_b128 v[126:129], v124 offset:880
	ds_read_b128 v[130:133], v124 offset:896
	ds_read_b128 v[134:137], v124 offset:912
	ds_read_b128 v[138:141], v124 offset:928
	v_cmp_lt_u32_e32 vcc, 46, v0
	s_waitcnt vmcnt(12) lgkmcnt(3)
	v_fma_f64 v[144:145], v[144:145], v[126:127], 0
	buffer_load_dword v127, off, s[0:3], 0 offset:444
	buffer_load_dword v126, off, s[0:3], 0 offset:440
	s_waitcnt vmcnt(12)
	v_fmac_f64_e32 v[144:145], v[146:147], v[128:129]
	s_waitcnt vmcnt(10) lgkmcnt(2)
	v_fmac_f64_e32 v[144:145], v[148:149], v[130:131]
	buffer_load_dword v131, off, s[0:3], 0 offset:452
	buffer_load_dword v130, off, s[0:3], 0 offset:448
	s_waitcnt vmcnt(10)
	v_fmac_f64_e32 v[144:145], v[150:151], v[132:133]
	s_waitcnt vmcnt(8) lgkmcnt(1)
	v_fmac_f64_e32 v[144:145], v[152:153], v[134:135]
	s_waitcnt vmcnt(6)
	v_fmac_f64_e32 v[144:145], v[154:155], v[136:137]
	s_waitcnt vmcnt(4) lgkmcnt(0)
	v_fmac_f64_e32 v[144:145], v[156:157], v[138:139]
	s_waitcnt vmcnt(2)
	v_fmac_f64_e32 v[144:145], v[126:127], v[140:141]
	ds_read_b128 v[126:129], v124 offset:944
	s_waitcnt vmcnt(0) lgkmcnt(0)
	v_fmac_f64_e32 v[144:145], v[130:131], v[126:127]
	buffer_load_dword v127, off, s[0:3], 0 offset:460
	buffer_load_dword v126, off, s[0:3], 0 offset:456
	buffer_load_dword v131, off, s[0:3], 0 offset:468
	buffer_load_dword v130, off, s[0:3], 0 offset:464
	s_waitcnt vmcnt(2)
	v_fmac_f64_e32 v[144:145], v[126:127], v[128:129]
	ds_read_b128 v[126:129], v124 offset:960
	s_waitcnt vmcnt(0) lgkmcnt(0)
	v_fmac_f64_e32 v[144:145], v[130:131], v[126:127]
	buffer_load_dword v127, off, s[0:3], 0 offset:476
	buffer_load_dword v126, off, s[0:3], 0 offset:472
	s_waitcnt vmcnt(0)
	v_fmac_f64_e32 v[144:145], v[126:127], v[128:129]
	buffer_load_dword v127, off, s[0:3], 0 offset:484
	buffer_load_dword v126, off, s[0:3], 0 offset:480
	ds_read_b64 v[128:129], v124 offset:976
	s_waitcnt vmcnt(0) lgkmcnt(0)
	v_fmac_f64_e32 v[144:145], v[126:127], v[128:129]
	v_add_f64 v[126:127], v[142:143], -v[144:145]
	buffer_store_dword v127, off, s[0:3], 0 offset:380
	buffer_store_dword v126, off, s[0:3], 0 offset:376
	s_and_saveexec_b64 s[4:5], vcc
	s_cbranch_execz .LBB60_281
; %bb.280:
	buffer_load_dword v126, off, s[0:3], 0 offset:368
	buffer_load_dword v127, off, s[0:3], 0 offset:372
	s_waitcnt vmcnt(0)
	ds_write_b64 v1, v[126:127]
	buffer_store_dword v124, off, s[0:3], 0 offset:368
	buffer_store_dword v124, off, s[0:3], 0 offset:372
.LBB60_281:
	s_or_b64 exec, exec, s[4:5]
	s_waitcnt lgkmcnt(0)
	; wave barrier
	s_waitcnt lgkmcnt(0)
	buffer_load_dword v130, off, s[0:3], 0 offset:368
	buffer_load_dword v131, off, s[0:3], 0 offset:372
	;; [unrolled: 1-line block ×16, first 2 shown]
	ds_read2_b64 v[126:129], v124 offset0:109 offset1:110
	v_cmp_lt_u32_e32 vcc, 45, v0
	s_waitcnt vmcnt(12) lgkmcnt(0)
	v_fma_f64 v[132:133], v[132:133], v[126:127], 0
	s_waitcnt vmcnt(10)
	v_fmac_f64_e32 v[132:133], v[134:135], v[128:129]
	ds_read2_b64 v[126:129], v124 offset0:111 offset1:112
	s_waitcnt vmcnt(8) lgkmcnt(0)
	v_fmac_f64_e32 v[132:133], v[136:137], v[126:127]
	s_waitcnt vmcnt(6)
	v_fmac_f64_e32 v[132:133], v[138:139], v[128:129]
	ds_read2_b64 v[126:129], v124 offset0:113 offset1:114
	s_waitcnt vmcnt(4) lgkmcnt(0)
	v_fmac_f64_e32 v[132:133], v[140:141], v[126:127]
	;; [unrolled: 5-line block ×3, first 2 shown]
	buffer_load_dword v127, off, s[0:3], 0 offset:436
	buffer_load_dword v126, off, s[0:3], 0 offset:432
	;; [unrolled: 1-line block ×4, first 2 shown]
	s_waitcnt vmcnt(2)
	v_fmac_f64_e32 v[132:133], v[126:127], v[128:129]
	ds_read2_b64 v[126:129], v124 offset0:117 offset1:118
	s_waitcnt vmcnt(0) lgkmcnt(0)
	v_fmac_f64_e32 v[132:133], v[134:135], v[126:127]
	buffer_load_dword v127, off, s[0:3], 0 offset:452
	buffer_load_dword v126, off, s[0:3], 0 offset:448
	;; [unrolled: 1-line block ×4, first 2 shown]
	s_waitcnt vmcnt(2)
	v_fmac_f64_e32 v[132:133], v[126:127], v[128:129]
	ds_read2_b64 v[126:129], v124 offset0:119 offset1:120
	s_waitcnt vmcnt(0) lgkmcnt(0)
	v_fmac_f64_e32 v[132:133], v[134:135], v[126:127]
	buffer_load_dword v127, off, s[0:3], 0 offset:468
	buffer_load_dword v126, off, s[0:3], 0 offset:464
	s_waitcnt vmcnt(0)
	v_fmac_f64_e32 v[132:133], v[126:127], v[128:129]
	buffer_load_dword v129, off, s[0:3], 0 offset:476
	buffer_load_dword v128, off, s[0:3], 0 offset:472
	ds_read2_b64 v[124:127], v124 offset0:121 offset1:122
	s_waitcnt vmcnt(0) lgkmcnt(0)
	v_fmac_f64_e32 v[132:133], v[128:129], v[124:125]
	buffer_load_dword v125, off, s[0:3], 0 offset:484
	buffer_load_dword v124, off, s[0:3], 0 offset:480
	s_waitcnt vmcnt(0)
	v_fmac_f64_e32 v[132:133], v[124:125], v[126:127]
	v_add_f64 v[124:125], v[130:131], -v[132:133]
	buffer_store_dword v125, off, s[0:3], 0 offset:372
	buffer_store_dword v124, off, s[0:3], 0 offset:368
	s_and_saveexec_b64 s[4:5], vcc
	s_cbranch_execz .LBB60_283
; %bb.282:
	buffer_load_dword v124, off, s[0:3], 0 offset:360
	buffer_load_dword v125, off, s[0:3], 0 offset:364
	v_mov_b32_e32 v126, 0
	buffer_store_dword v126, off, s[0:3], 0 offset:360
	buffer_store_dword v126, off, s[0:3], 0 offset:364
	s_waitcnt vmcnt(2)
	ds_write_b64 v1, v[124:125]
.LBB60_283:
	s_or_b64 exec, exec, s[4:5]
	s_waitcnt lgkmcnt(0)
	; wave barrier
	s_waitcnt lgkmcnt(0)
	buffer_load_dword v142, off, s[0:3], 0 offset:360
	buffer_load_dword v143, off, s[0:3], 0 offset:364
	;; [unrolled: 1-line block ×16, first 2 shown]
	v_mov_b32_e32 v124, 0
	ds_read_b128 v[126:129], v124 offset:864
	ds_read_b128 v[130:133], v124 offset:880
	;; [unrolled: 1-line block ×4, first 2 shown]
	v_cmp_lt_u32_e32 vcc, 44, v0
	s_waitcnt vmcnt(12) lgkmcnt(3)
	v_fma_f64 v[144:145], v[144:145], v[126:127], 0
	buffer_load_dword v127, off, s[0:3], 0 offset:428
	buffer_load_dword v126, off, s[0:3], 0 offset:424
	s_waitcnt vmcnt(12)
	v_fmac_f64_e32 v[144:145], v[146:147], v[128:129]
	s_waitcnt vmcnt(10) lgkmcnt(2)
	v_fmac_f64_e32 v[144:145], v[148:149], v[130:131]
	buffer_load_dword v131, off, s[0:3], 0 offset:436
	buffer_load_dword v130, off, s[0:3], 0 offset:432
	s_waitcnt vmcnt(10)
	v_fmac_f64_e32 v[144:145], v[150:151], v[132:133]
	s_waitcnt vmcnt(8) lgkmcnt(1)
	v_fmac_f64_e32 v[144:145], v[152:153], v[134:135]
	s_waitcnt vmcnt(6)
	v_fmac_f64_e32 v[144:145], v[154:155], v[136:137]
	s_waitcnt vmcnt(4) lgkmcnt(0)
	v_fmac_f64_e32 v[144:145], v[156:157], v[138:139]
	s_waitcnt vmcnt(2)
	v_fmac_f64_e32 v[144:145], v[126:127], v[140:141]
	ds_read_b128 v[126:129], v124 offset:928
	s_waitcnt vmcnt(0) lgkmcnt(0)
	v_fmac_f64_e32 v[144:145], v[130:131], v[126:127]
	buffer_load_dword v127, off, s[0:3], 0 offset:444
	buffer_load_dword v126, off, s[0:3], 0 offset:440
	;; [unrolled: 1-line block ×4, first 2 shown]
	s_waitcnt vmcnt(2)
	v_fmac_f64_e32 v[144:145], v[126:127], v[128:129]
	ds_read_b128 v[126:129], v124 offset:944
	s_waitcnt vmcnt(0) lgkmcnt(0)
	v_fmac_f64_e32 v[144:145], v[130:131], v[126:127]
	buffer_load_dword v127, off, s[0:3], 0 offset:460
	buffer_load_dword v126, off, s[0:3], 0 offset:456
	;; [unrolled: 1-line block ×4, first 2 shown]
	s_waitcnt vmcnt(2)
	v_fmac_f64_e32 v[144:145], v[126:127], v[128:129]
	ds_read_b128 v[126:129], v124 offset:960
	s_waitcnt vmcnt(0) lgkmcnt(0)
	v_fmac_f64_e32 v[144:145], v[130:131], v[126:127]
	buffer_load_dword v127, off, s[0:3], 0 offset:476
	buffer_load_dword v126, off, s[0:3], 0 offset:472
	s_waitcnt vmcnt(0)
	v_fmac_f64_e32 v[144:145], v[126:127], v[128:129]
	buffer_load_dword v127, off, s[0:3], 0 offset:484
	buffer_load_dword v126, off, s[0:3], 0 offset:480
	ds_read_b64 v[128:129], v124 offset:976
	s_waitcnt vmcnt(0) lgkmcnt(0)
	v_fmac_f64_e32 v[144:145], v[126:127], v[128:129]
	v_add_f64 v[126:127], v[142:143], -v[144:145]
	buffer_store_dword v127, off, s[0:3], 0 offset:364
	buffer_store_dword v126, off, s[0:3], 0 offset:360
	s_and_saveexec_b64 s[4:5], vcc
	s_cbranch_execz .LBB60_285
; %bb.284:
	buffer_load_dword v126, off, s[0:3], 0 offset:352
	buffer_load_dword v127, off, s[0:3], 0 offset:356
	s_waitcnt vmcnt(0)
	ds_write_b64 v1, v[126:127]
	buffer_store_dword v124, off, s[0:3], 0 offset:352
	buffer_store_dword v124, off, s[0:3], 0 offset:356
.LBB60_285:
	s_or_b64 exec, exec, s[4:5]
	s_waitcnt lgkmcnt(0)
	; wave barrier
	s_waitcnt lgkmcnt(0)
	buffer_load_dword v130, off, s[0:3], 0 offset:352
	buffer_load_dword v131, off, s[0:3], 0 offset:356
	;; [unrolled: 1-line block ×16, first 2 shown]
	ds_read2_b64 v[126:129], v124 offset0:107 offset1:108
	v_cmp_lt_u32_e32 vcc, 43, v0
	s_waitcnt vmcnt(12) lgkmcnt(0)
	v_fma_f64 v[132:133], v[132:133], v[126:127], 0
	s_waitcnt vmcnt(10)
	v_fmac_f64_e32 v[132:133], v[134:135], v[128:129]
	ds_read2_b64 v[126:129], v124 offset0:109 offset1:110
	s_waitcnt vmcnt(8) lgkmcnt(0)
	v_fmac_f64_e32 v[132:133], v[136:137], v[126:127]
	s_waitcnt vmcnt(6)
	v_fmac_f64_e32 v[132:133], v[138:139], v[128:129]
	ds_read2_b64 v[126:129], v124 offset0:111 offset1:112
	s_waitcnt vmcnt(4) lgkmcnt(0)
	v_fmac_f64_e32 v[132:133], v[140:141], v[126:127]
	;; [unrolled: 5-line block ×3, first 2 shown]
	buffer_load_dword v127, off, s[0:3], 0 offset:420
	buffer_load_dword v126, off, s[0:3], 0 offset:416
	buffer_load_dword v135, off, s[0:3], 0 offset:428
	buffer_load_dword v134, off, s[0:3], 0 offset:424
	s_waitcnt vmcnt(2)
	v_fmac_f64_e32 v[132:133], v[126:127], v[128:129]
	ds_read2_b64 v[126:129], v124 offset0:115 offset1:116
	s_waitcnt vmcnt(0) lgkmcnt(0)
	v_fmac_f64_e32 v[132:133], v[134:135], v[126:127]
	buffer_load_dword v127, off, s[0:3], 0 offset:436
	buffer_load_dword v126, off, s[0:3], 0 offset:432
	buffer_load_dword v135, off, s[0:3], 0 offset:444
	buffer_load_dword v134, off, s[0:3], 0 offset:440
	s_waitcnt vmcnt(2)
	v_fmac_f64_e32 v[132:133], v[126:127], v[128:129]
	ds_read2_b64 v[126:129], v124 offset0:117 offset1:118
	s_waitcnt vmcnt(0) lgkmcnt(0)
	v_fmac_f64_e32 v[132:133], v[134:135], v[126:127]
	;; [unrolled: 9-line block ×3, first 2 shown]
	buffer_load_dword v127, off, s[0:3], 0 offset:468
	buffer_load_dword v126, off, s[0:3], 0 offset:464
	s_waitcnt vmcnt(0)
	v_fmac_f64_e32 v[132:133], v[126:127], v[128:129]
	buffer_load_dword v129, off, s[0:3], 0 offset:476
	buffer_load_dword v128, off, s[0:3], 0 offset:472
	ds_read2_b64 v[124:127], v124 offset0:121 offset1:122
	s_waitcnt vmcnt(0) lgkmcnt(0)
	v_fmac_f64_e32 v[132:133], v[128:129], v[124:125]
	buffer_load_dword v125, off, s[0:3], 0 offset:484
	buffer_load_dword v124, off, s[0:3], 0 offset:480
	s_waitcnt vmcnt(0)
	v_fmac_f64_e32 v[132:133], v[124:125], v[126:127]
	v_add_f64 v[124:125], v[130:131], -v[132:133]
	buffer_store_dword v125, off, s[0:3], 0 offset:356
	buffer_store_dword v124, off, s[0:3], 0 offset:352
	s_and_saveexec_b64 s[4:5], vcc
	s_cbranch_execz .LBB60_287
; %bb.286:
	buffer_load_dword v124, off, s[0:3], 0 offset:344
	buffer_load_dword v125, off, s[0:3], 0 offset:348
	v_mov_b32_e32 v126, 0
	buffer_store_dword v126, off, s[0:3], 0 offset:344
	buffer_store_dword v126, off, s[0:3], 0 offset:348
	s_waitcnt vmcnt(2)
	ds_write_b64 v1, v[124:125]
.LBB60_287:
	s_or_b64 exec, exec, s[4:5]
	s_waitcnt lgkmcnt(0)
	; wave barrier
	s_waitcnt lgkmcnt(0)
	buffer_load_dword v124, off, s[0:3], 0 offset:344
	buffer_load_dword v125, off, s[0:3], 0 offset:348
	;; [unrolled: 1-line block ×16, first 2 shown]
	v_mov_b32_e32 v128, 0
	ds_read_b128 v[130:133], v128 offset:848
	ds_read_b128 v[134:137], v128 offset:864
	;; [unrolled: 1-line block ×4, first 2 shown]
	v_cmp_lt_u32_e32 vcc, 42, v0
	s_waitcnt vmcnt(12) lgkmcnt(3)
	v_fma_f64 v[126:127], v[126:127], v[130:131], 0
	buffer_load_dword v131, off, s[0:3], 0 offset:412
	buffer_load_dword v130, off, s[0:3], 0 offset:408
	s_waitcnt vmcnt(12)
	v_fmac_f64_e32 v[126:127], v[146:147], v[132:133]
	s_waitcnt vmcnt(10) lgkmcnt(2)
	v_fmac_f64_e32 v[126:127], v[148:149], v[134:135]
	buffer_load_dword v135, off, s[0:3], 0 offset:420
	buffer_load_dword v134, off, s[0:3], 0 offset:416
	s_waitcnt vmcnt(10)
	v_fmac_f64_e32 v[126:127], v[150:151], v[136:137]
	s_waitcnt vmcnt(8) lgkmcnt(1)
	v_fmac_f64_e32 v[126:127], v[152:153], v[138:139]
	s_waitcnt vmcnt(6)
	v_fmac_f64_e32 v[126:127], v[154:155], v[140:141]
	s_waitcnt vmcnt(4) lgkmcnt(0)
	v_fmac_f64_e32 v[126:127], v[156:157], v[142:143]
	s_waitcnt vmcnt(2)
	v_fmac_f64_e32 v[126:127], v[130:131], v[144:145]
	ds_read_b128 v[130:133], v128 offset:912
	s_waitcnt vmcnt(0) lgkmcnt(0)
	v_fmac_f64_e32 v[126:127], v[134:135], v[130:131]
	buffer_load_dword v131, off, s[0:3], 0 offset:428
	buffer_load_dword v130, off, s[0:3], 0 offset:424
	buffer_load_dword v135, off, s[0:3], 0 offset:436
	buffer_load_dword v134, off, s[0:3], 0 offset:432
	s_waitcnt vmcnt(2)
	v_fmac_f64_e32 v[126:127], v[130:131], v[132:133]
	ds_read_b128 v[130:133], v128 offset:928
	s_waitcnt vmcnt(0) lgkmcnt(0)
	v_fmac_f64_e32 v[126:127], v[134:135], v[130:131]
	buffer_load_dword v131, off, s[0:3], 0 offset:444
	buffer_load_dword v130, off, s[0:3], 0 offset:440
	buffer_load_dword v135, off, s[0:3], 0 offset:452
	buffer_load_dword v134, off, s[0:3], 0 offset:448
	;; [unrolled: 9-line block ×3, first 2 shown]
	s_waitcnt vmcnt(2)
	v_fmac_f64_e32 v[126:127], v[130:131], v[132:133]
	ds_read_b128 v[130:133], v128 offset:960
	s_waitcnt vmcnt(0) lgkmcnt(0)
	v_fmac_f64_e32 v[126:127], v[134:135], v[130:131]
	buffer_load_dword v131, off, s[0:3], 0 offset:476
	buffer_load_dword v130, off, s[0:3], 0 offset:472
	s_waitcnt vmcnt(0)
	v_fmac_f64_e32 v[126:127], v[130:131], v[132:133]
	buffer_load_dword v131, off, s[0:3], 0 offset:484
	buffer_load_dword v130, off, s[0:3], 0 offset:480
	ds_read_b64 v[132:133], v128 offset:976
	s_waitcnt vmcnt(0) lgkmcnt(0)
	v_fmac_f64_e32 v[126:127], v[130:131], v[132:133]
	v_add_f64 v[124:125], v[124:125], -v[126:127]
	buffer_store_dword v125, off, s[0:3], 0 offset:348
	buffer_store_dword v124, off, s[0:3], 0 offset:344
	s_and_saveexec_b64 s[4:5], vcc
	s_cbranch_execz .LBB60_289
; %bb.288:
	buffer_load_dword v124, off, s[0:3], 0 offset:336
	buffer_load_dword v125, off, s[0:3], 0 offset:340
	s_waitcnt vmcnt(0)
	ds_write_b64 v1, v[124:125]
	buffer_store_dword v128, off, s[0:3], 0 offset:336
	buffer_store_dword v128, off, s[0:3], 0 offset:340
.LBB60_289:
	s_or_b64 exec, exec, s[4:5]
	s_waitcnt lgkmcnt(0)
	; wave barrier
	s_waitcnt lgkmcnt(0)
	buffer_load_dword v124, off, s[0:3], 0 offset:336
	buffer_load_dword v125, off, s[0:3], 0 offset:340
	;; [unrolled: 1-line block ×16, first 2 shown]
	ds_read2_b64 v[130:133], v128 offset0:105 offset1:106
	v_cmp_lt_u32_e32 vcc, 41, v0
	s_waitcnt vmcnt(12) lgkmcnt(0)
	v_fma_f64 v[126:127], v[126:127], v[130:131], 0
	s_waitcnt vmcnt(10)
	v_fmac_f64_e32 v[126:127], v[134:135], v[132:133]
	ds_read2_b64 v[130:133], v128 offset0:107 offset1:108
	s_waitcnt vmcnt(8) lgkmcnt(0)
	v_fmac_f64_e32 v[126:127], v[136:137], v[130:131]
	s_waitcnt vmcnt(6)
	v_fmac_f64_e32 v[126:127], v[138:139], v[132:133]
	ds_read2_b64 v[130:133], v128 offset0:109 offset1:110
	s_waitcnt vmcnt(4) lgkmcnt(0)
	v_fmac_f64_e32 v[126:127], v[140:141], v[130:131]
	;; [unrolled: 5-line block ×3, first 2 shown]
	buffer_load_dword v131, off, s[0:3], 0 offset:404
	buffer_load_dword v130, off, s[0:3], 0 offset:400
	buffer_load_dword v135, off, s[0:3], 0 offset:412
	buffer_load_dword v134, off, s[0:3], 0 offset:408
	s_waitcnt vmcnt(2)
	v_fmac_f64_e32 v[126:127], v[130:131], v[132:133]
	ds_read2_b64 v[130:133], v128 offset0:113 offset1:114
	s_waitcnt vmcnt(0) lgkmcnt(0)
	v_fmac_f64_e32 v[126:127], v[134:135], v[130:131]
	buffer_load_dword v131, off, s[0:3], 0 offset:420
	buffer_load_dword v130, off, s[0:3], 0 offset:416
	buffer_load_dword v135, off, s[0:3], 0 offset:428
	buffer_load_dword v134, off, s[0:3], 0 offset:424
	s_waitcnt vmcnt(2)
	v_fmac_f64_e32 v[126:127], v[130:131], v[132:133]
	ds_read2_b64 v[130:133], v128 offset0:115 offset1:116
	s_waitcnt vmcnt(0) lgkmcnt(0)
	v_fmac_f64_e32 v[126:127], v[134:135], v[130:131]
	;; [unrolled: 9-line block ×4, first 2 shown]
	buffer_load_dword v131, off, s[0:3], 0 offset:468
	buffer_load_dword v130, off, s[0:3], 0 offset:464
	s_waitcnt vmcnt(0)
	v_fmac_f64_e32 v[126:127], v[130:131], v[132:133]
	buffer_load_dword v133, off, s[0:3], 0 offset:476
	buffer_load_dword v132, off, s[0:3], 0 offset:472
	ds_read2_b64 v[128:131], v128 offset0:121 offset1:122
	s_waitcnt vmcnt(0) lgkmcnt(0)
	v_fmac_f64_e32 v[126:127], v[132:133], v[128:129]
	buffer_load_dword v129, off, s[0:3], 0 offset:484
	buffer_load_dword v128, off, s[0:3], 0 offset:480
	s_waitcnt vmcnt(0)
	v_fmac_f64_e32 v[126:127], v[128:129], v[130:131]
	v_add_f64 v[124:125], v[124:125], -v[126:127]
	buffer_store_dword v125, off, s[0:3], 0 offset:340
	buffer_store_dword v124, off, s[0:3], 0 offset:336
	s_and_saveexec_b64 s[4:5], vcc
	s_cbranch_execz .LBB60_291
; %bb.290:
	buffer_load_dword v124, off, s[0:3], 0 offset:328
	buffer_load_dword v125, off, s[0:3], 0 offset:332
	v_mov_b32_e32 v126, 0
	buffer_store_dword v126, off, s[0:3], 0 offset:328
	buffer_store_dword v126, off, s[0:3], 0 offset:332
	s_waitcnt vmcnt(2)
	ds_write_b64 v1, v[124:125]
.LBB60_291:
	s_or_b64 exec, exec, s[4:5]
	s_waitcnt lgkmcnt(0)
	; wave barrier
	s_waitcnt lgkmcnt(0)
	buffer_load_dword v124, off, s[0:3], 0 offset:328
	buffer_load_dword v125, off, s[0:3], 0 offset:332
	;; [unrolled: 1-line block ×16, first 2 shown]
	v_mov_b32_e32 v128, 0
	ds_read_b128 v[130:133], v128 offset:832
	ds_read_b128 v[134:137], v128 offset:848
	;; [unrolled: 1-line block ×4, first 2 shown]
	v_cmp_lt_u32_e32 vcc, 40, v0
	s_waitcnt vmcnt(12) lgkmcnt(3)
	v_fma_f64 v[126:127], v[126:127], v[130:131], 0
	buffer_load_dword v131, off, s[0:3], 0 offset:396
	buffer_load_dword v130, off, s[0:3], 0 offset:392
	s_waitcnt vmcnt(12)
	v_fmac_f64_e32 v[126:127], v[146:147], v[132:133]
	s_waitcnt vmcnt(10) lgkmcnt(2)
	v_fmac_f64_e32 v[126:127], v[148:149], v[134:135]
	buffer_load_dword v135, off, s[0:3], 0 offset:404
	buffer_load_dword v134, off, s[0:3], 0 offset:400
	s_waitcnt vmcnt(10)
	v_fmac_f64_e32 v[126:127], v[150:151], v[136:137]
	s_waitcnt vmcnt(8) lgkmcnt(1)
	v_fmac_f64_e32 v[126:127], v[152:153], v[138:139]
	s_waitcnt vmcnt(6)
	v_fmac_f64_e32 v[126:127], v[154:155], v[140:141]
	s_waitcnt vmcnt(4) lgkmcnt(0)
	v_fmac_f64_e32 v[126:127], v[156:157], v[142:143]
	s_waitcnt vmcnt(2)
	v_fmac_f64_e32 v[126:127], v[130:131], v[144:145]
	ds_read_b128 v[130:133], v128 offset:896
	s_waitcnt vmcnt(0) lgkmcnt(0)
	v_fmac_f64_e32 v[126:127], v[134:135], v[130:131]
	buffer_load_dword v131, off, s[0:3], 0 offset:412
	buffer_load_dword v130, off, s[0:3], 0 offset:408
	buffer_load_dword v135, off, s[0:3], 0 offset:420
	buffer_load_dword v134, off, s[0:3], 0 offset:416
	s_waitcnt vmcnt(2)
	v_fmac_f64_e32 v[126:127], v[130:131], v[132:133]
	ds_read_b128 v[130:133], v128 offset:912
	s_waitcnt vmcnt(0) lgkmcnt(0)
	v_fmac_f64_e32 v[126:127], v[134:135], v[130:131]
	buffer_load_dword v131, off, s[0:3], 0 offset:428
	buffer_load_dword v130, off, s[0:3], 0 offset:424
	buffer_load_dword v135, off, s[0:3], 0 offset:436
	buffer_load_dword v134, off, s[0:3], 0 offset:432
	;; [unrolled: 9-line block ×4, first 2 shown]
	s_waitcnt vmcnt(2)
	v_fmac_f64_e32 v[126:127], v[130:131], v[132:133]
	ds_read_b128 v[130:133], v128 offset:960
	s_waitcnt vmcnt(0) lgkmcnt(0)
	v_fmac_f64_e32 v[126:127], v[134:135], v[130:131]
	buffer_load_dword v131, off, s[0:3], 0 offset:476
	buffer_load_dword v130, off, s[0:3], 0 offset:472
	s_waitcnt vmcnt(0)
	v_fmac_f64_e32 v[126:127], v[130:131], v[132:133]
	buffer_load_dword v131, off, s[0:3], 0 offset:484
	buffer_load_dword v130, off, s[0:3], 0 offset:480
	ds_read_b64 v[132:133], v128 offset:976
	s_waitcnt vmcnt(0) lgkmcnt(0)
	v_fmac_f64_e32 v[126:127], v[130:131], v[132:133]
	v_add_f64 v[124:125], v[124:125], -v[126:127]
	buffer_store_dword v125, off, s[0:3], 0 offset:332
	buffer_store_dword v124, off, s[0:3], 0 offset:328
	s_and_saveexec_b64 s[4:5], vcc
	s_cbranch_execz .LBB60_293
; %bb.292:
	buffer_load_dword v124, off, s[0:3], 0 offset:320
	buffer_load_dword v125, off, s[0:3], 0 offset:324
	s_waitcnt vmcnt(0)
	ds_write_b64 v1, v[124:125]
	buffer_store_dword v128, off, s[0:3], 0 offset:320
	buffer_store_dword v128, off, s[0:3], 0 offset:324
.LBB60_293:
	s_or_b64 exec, exec, s[4:5]
	s_waitcnt lgkmcnt(0)
	; wave barrier
	s_waitcnt lgkmcnt(0)
	buffer_load_dword v124, off, s[0:3], 0 offset:320
	buffer_load_dword v125, off, s[0:3], 0 offset:324
	;; [unrolled: 1-line block ×16, first 2 shown]
	ds_read2_b64 v[130:133], v128 offset0:103 offset1:104
	v_cmp_lt_u32_e32 vcc, 39, v0
	s_waitcnt vmcnt(12) lgkmcnt(0)
	v_fma_f64 v[126:127], v[126:127], v[130:131], 0
	s_waitcnt vmcnt(10)
	v_fmac_f64_e32 v[126:127], v[134:135], v[132:133]
	ds_read2_b64 v[130:133], v128 offset0:105 offset1:106
	s_waitcnt vmcnt(8) lgkmcnt(0)
	v_fmac_f64_e32 v[126:127], v[136:137], v[130:131]
	s_waitcnt vmcnt(6)
	v_fmac_f64_e32 v[126:127], v[138:139], v[132:133]
	ds_read2_b64 v[130:133], v128 offset0:107 offset1:108
	s_waitcnt vmcnt(4) lgkmcnt(0)
	v_fmac_f64_e32 v[126:127], v[140:141], v[130:131]
	;; [unrolled: 5-line block ×3, first 2 shown]
	buffer_load_dword v131, off, s[0:3], 0 offset:388
	buffer_load_dword v130, off, s[0:3], 0 offset:384
	buffer_load_dword v135, off, s[0:3], 0 offset:396
	buffer_load_dword v134, off, s[0:3], 0 offset:392
	s_waitcnt vmcnt(2)
	v_fmac_f64_e32 v[126:127], v[130:131], v[132:133]
	ds_read2_b64 v[130:133], v128 offset0:111 offset1:112
	s_waitcnt vmcnt(0) lgkmcnt(0)
	v_fmac_f64_e32 v[126:127], v[134:135], v[130:131]
	buffer_load_dword v131, off, s[0:3], 0 offset:404
	buffer_load_dword v130, off, s[0:3], 0 offset:400
	buffer_load_dword v135, off, s[0:3], 0 offset:412
	buffer_load_dword v134, off, s[0:3], 0 offset:408
	s_waitcnt vmcnt(2)
	v_fmac_f64_e32 v[126:127], v[130:131], v[132:133]
	ds_read2_b64 v[130:133], v128 offset0:113 offset1:114
	s_waitcnt vmcnt(0) lgkmcnt(0)
	v_fmac_f64_e32 v[126:127], v[134:135], v[130:131]
	;; [unrolled: 9-line block ×5, first 2 shown]
	buffer_load_dword v131, off, s[0:3], 0 offset:468
	buffer_load_dword v130, off, s[0:3], 0 offset:464
	s_waitcnt vmcnt(0)
	v_fmac_f64_e32 v[126:127], v[130:131], v[132:133]
	buffer_load_dword v133, off, s[0:3], 0 offset:476
	buffer_load_dword v132, off, s[0:3], 0 offset:472
	ds_read2_b64 v[128:131], v128 offset0:121 offset1:122
	s_waitcnt vmcnt(0) lgkmcnt(0)
	v_fmac_f64_e32 v[126:127], v[132:133], v[128:129]
	buffer_load_dword v129, off, s[0:3], 0 offset:484
	buffer_load_dword v128, off, s[0:3], 0 offset:480
	s_waitcnt vmcnt(0)
	v_fmac_f64_e32 v[126:127], v[128:129], v[130:131]
	v_add_f64 v[124:125], v[124:125], -v[126:127]
	buffer_store_dword v125, off, s[0:3], 0 offset:324
	buffer_store_dword v124, off, s[0:3], 0 offset:320
	s_and_saveexec_b64 s[4:5], vcc
	s_cbranch_execz .LBB60_295
; %bb.294:
	buffer_load_dword v124, off, s[0:3], 0 offset:312
	buffer_load_dword v125, off, s[0:3], 0 offset:316
	v_mov_b32_e32 v126, 0
	buffer_store_dword v126, off, s[0:3], 0 offset:312
	buffer_store_dword v126, off, s[0:3], 0 offset:316
	s_waitcnt vmcnt(2)
	ds_write_b64 v1, v[124:125]
.LBB60_295:
	s_or_b64 exec, exec, s[4:5]
	s_waitcnt lgkmcnt(0)
	; wave barrier
	s_waitcnt lgkmcnt(0)
	buffer_load_dword v124, off, s[0:3], 0 offset:312
	buffer_load_dword v125, off, s[0:3], 0 offset:316
	;; [unrolled: 1-line block ×16, first 2 shown]
	v_mov_b32_e32 v128, 0
	ds_read_b128 v[130:133], v128 offset:816
	ds_read_b128 v[134:137], v128 offset:832
	;; [unrolled: 1-line block ×4, first 2 shown]
	v_cmp_lt_u32_e32 vcc, 38, v0
	s_waitcnt vmcnt(12) lgkmcnt(3)
	v_fma_f64 v[126:127], v[126:127], v[130:131], 0
	buffer_load_dword v131, off, s[0:3], 0 offset:380
	buffer_load_dword v130, off, s[0:3], 0 offset:376
	s_waitcnt vmcnt(12)
	v_fmac_f64_e32 v[126:127], v[146:147], v[132:133]
	s_waitcnt vmcnt(10) lgkmcnt(2)
	v_fmac_f64_e32 v[126:127], v[148:149], v[134:135]
	buffer_load_dword v135, off, s[0:3], 0 offset:388
	buffer_load_dword v134, off, s[0:3], 0 offset:384
	s_waitcnt vmcnt(10)
	v_fmac_f64_e32 v[126:127], v[150:151], v[136:137]
	s_waitcnt vmcnt(8) lgkmcnt(1)
	v_fmac_f64_e32 v[126:127], v[152:153], v[138:139]
	s_waitcnt vmcnt(6)
	v_fmac_f64_e32 v[126:127], v[154:155], v[140:141]
	s_waitcnt vmcnt(4) lgkmcnt(0)
	v_fmac_f64_e32 v[126:127], v[156:157], v[142:143]
	s_waitcnt vmcnt(2)
	v_fmac_f64_e32 v[126:127], v[130:131], v[144:145]
	ds_read_b128 v[130:133], v128 offset:880
	s_waitcnt vmcnt(0) lgkmcnt(0)
	v_fmac_f64_e32 v[126:127], v[134:135], v[130:131]
	buffer_load_dword v131, off, s[0:3], 0 offset:396
	buffer_load_dword v130, off, s[0:3], 0 offset:392
	buffer_load_dword v135, off, s[0:3], 0 offset:404
	buffer_load_dword v134, off, s[0:3], 0 offset:400
	s_waitcnt vmcnt(2)
	v_fmac_f64_e32 v[126:127], v[130:131], v[132:133]
	ds_read_b128 v[130:133], v128 offset:896
	s_waitcnt vmcnt(0) lgkmcnt(0)
	v_fmac_f64_e32 v[126:127], v[134:135], v[130:131]
	buffer_load_dword v131, off, s[0:3], 0 offset:412
	buffer_load_dword v130, off, s[0:3], 0 offset:408
	buffer_load_dword v135, off, s[0:3], 0 offset:420
	buffer_load_dword v134, off, s[0:3], 0 offset:416
	;; [unrolled: 9-line block ×5, first 2 shown]
	s_waitcnt vmcnt(2)
	v_fmac_f64_e32 v[126:127], v[130:131], v[132:133]
	ds_read_b128 v[130:133], v128 offset:960
	s_waitcnt vmcnt(0) lgkmcnt(0)
	v_fmac_f64_e32 v[126:127], v[134:135], v[130:131]
	buffer_load_dword v131, off, s[0:3], 0 offset:476
	buffer_load_dword v130, off, s[0:3], 0 offset:472
	s_waitcnt vmcnt(0)
	v_fmac_f64_e32 v[126:127], v[130:131], v[132:133]
	buffer_load_dword v131, off, s[0:3], 0 offset:484
	buffer_load_dword v130, off, s[0:3], 0 offset:480
	ds_read_b64 v[132:133], v128 offset:976
	s_waitcnt vmcnt(0) lgkmcnt(0)
	v_fmac_f64_e32 v[126:127], v[130:131], v[132:133]
	v_add_f64 v[124:125], v[124:125], -v[126:127]
	buffer_store_dword v125, off, s[0:3], 0 offset:316
	buffer_store_dword v124, off, s[0:3], 0 offset:312
	s_and_saveexec_b64 s[4:5], vcc
	s_cbranch_execz .LBB60_297
; %bb.296:
	buffer_load_dword v124, off, s[0:3], 0 offset:304
	buffer_load_dword v125, off, s[0:3], 0 offset:308
	s_waitcnt vmcnt(0)
	ds_write_b64 v1, v[124:125]
	buffer_store_dword v128, off, s[0:3], 0 offset:304
	buffer_store_dword v128, off, s[0:3], 0 offset:308
.LBB60_297:
	s_or_b64 exec, exec, s[4:5]
	s_waitcnt lgkmcnt(0)
	; wave barrier
	s_waitcnt lgkmcnt(0)
	buffer_load_dword v124, off, s[0:3], 0 offset:304
	buffer_load_dword v125, off, s[0:3], 0 offset:308
	;; [unrolled: 1-line block ×16, first 2 shown]
	ds_read2_b64 v[130:133], v128 offset0:101 offset1:102
	v_cmp_lt_u32_e32 vcc, 37, v0
	s_waitcnt vmcnt(12) lgkmcnt(0)
	v_fma_f64 v[126:127], v[126:127], v[130:131], 0
	s_waitcnt vmcnt(10)
	v_fmac_f64_e32 v[126:127], v[134:135], v[132:133]
	ds_read2_b64 v[130:133], v128 offset0:103 offset1:104
	s_waitcnt vmcnt(8) lgkmcnt(0)
	v_fmac_f64_e32 v[126:127], v[136:137], v[130:131]
	s_waitcnt vmcnt(6)
	v_fmac_f64_e32 v[126:127], v[138:139], v[132:133]
	ds_read2_b64 v[130:133], v128 offset0:105 offset1:106
	s_waitcnt vmcnt(4) lgkmcnt(0)
	v_fmac_f64_e32 v[126:127], v[140:141], v[130:131]
	s_waitcnt vmcnt(2)
	v_fmac_f64_e32 v[126:127], v[142:143], v[132:133]
	ds_read2_b64 v[130:133], v128 offset0:107 offset1:108
	s_waitcnt vmcnt(0) lgkmcnt(0)
	v_fmac_f64_e32 v[126:127], v[144:145], v[130:131]
	buffer_load_dword v131, off, s[0:3], 0 offset:372
	buffer_load_dword v130, off, s[0:3], 0 offset:368
	buffer_load_dword v135, off, s[0:3], 0 offset:380
	buffer_load_dword v134, off, s[0:3], 0 offset:376
	s_waitcnt vmcnt(2)
	v_fmac_f64_e32 v[126:127], v[130:131], v[132:133]
	ds_read2_b64 v[130:133], v128 offset0:109 offset1:110
	s_waitcnt vmcnt(0) lgkmcnt(0)
	v_fmac_f64_e32 v[126:127], v[134:135], v[130:131]
	buffer_load_dword v131, off, s[0:3], 0 offset:388
	buffer_load_dword v130, off, s[0:3], 0 offset:384
	buffer_load_dword v135, off, s[0:3], 0 offset:396
	buffer_load_dword v134, off, s[0:3], 0 offset:392
	s_waitcnt vmcnt(2)
	v_fmac_f64_e32 v[126:127], v[130:131], v[132:133]
	ds_read2_b64 v[130:133], v128 offset0:111 offset1:112
	s_waitcnt vmcnt(0) lgkmcnt(0)
	v_fmac_f64_e32 v[126:127], v[134:135], v[130:131]
	;; [unrolled: 9-line block ×6, first 2 shown]
	buffer_load_dword v131, off, s[0:3], 0 offset:468
	buffer_load_dword v130, off, s[0:3], 0 offset:464
	s_waitcnt vmcnt(0)
	v_fmac_f64_e32 v[126:127], v[130:131], v[132:133]
	buffer_load_dword v133, off, s[0:3], 0 offset:476
	buffer_load_dword v132, off, s[0:3], 0 offset:472
	ds_read2_b64 v[128:131], v128 offset0:121 offset1:122
	s_waitcnt vmcnt(0) lgkmcnt(0)
	v_fmac_f64_e32 v[126:127], v[132:133], v[128:129]
	buffer_load_dword v129, off, s[0:3], 0 offset:484
	buffer_load_dword v128, off, s[0:3], 0 offset:480
	s_waitcnt vmcnt(0)
	v_fmac_f64_e32 v[126:127], v[128:129], v[130:131]
	v_add_f64 v[124:125], v[124:125], -v[126:127]
	buffer_store_dword v125, off, s[0:3], 0 offset:308
	buffer_store_dword v124, off, s[0:3], 0 offset:304
	s_and_saveexec_b64 s[4:5], vcc
	s_cbranch_execz .LBB60_299
; %bb.298:
	buffer_load_dword v124, off, s[0:3], 0 offset:296
	buffer_load_dword v125, off, s[0:3], 0 offset:300
	v_mov_b32_e32 v126, 0
	buffer_store_dword v126, off, s[0:3], 0 offset:296
	buffer_store_dword v126, off, s[0:3], 0 offset:300
	s_waitcnt vmcnt(2)
	ds_write_b64 v1, v[124:125]
.LBB60_299:
	s_or_b64 exec, exec, s[4:5]
	s_waitcnt lgkmcnt(0)
	; wave barrier
	s_waitcnt lgkmcnt(0)
	buffer_load_dword v124, off, s[0:3], 0 offset:296
	buffer_load_dword v125, off, s[0:3], 0 offset:300
	;; [unrolled: 1-line block ×16, first 2 shown]
	v_mov_b32_e32 v128, 0
	ds_read_b128 v[130:133], v128 offset:800
	ds_read_b128 v[134:137], v128 offset:816
	;; [unrolled: 1-line block ×4, first 2 shown]
	v_cmp_lt_u32_e32 vcc, 36, v0
	s_waitcnt vmcnt(12) lgkmcnt(3)
	v_fma_f64 v[126:127], v[126:127], v[130:131], 0
	buffer_load_dword v131, off, s[0:3], 0 offset:364
	buffer_load_dword v130, off, s[0:3], 0 offset:360
	s_waitcnt vmcnt(12)
	v_fmac_f64_e32 v[126:127], v[146:147], v[132:133]
	s_waitcnt vmcnt(10) lgkmcnt(2)
	v_fmac_f64_e32 v[126:127], v[148:149], v[134:135]
	buffer_load_dword v135, off, s[0:3], 0 offset:372
	buffer_load_dword v134, off, s[0:3], 0 offset:368
	s_waitcnt vmcnt(10)
	v_fmac_f64_e32 v[126:127], v[150:151], v[136:137]
	s_waitcnt vmcnt(8) lgkmcnt(1)
	v_fmac_f64_e32 v[126:127], v[152:153], v[138:139]
	s_waitcnt vmcnt(6)
	v_fmac_f64_e32 v[126:127], v[154:155], v[140:141]
	s_waitcnt vmcnt(4) lgkmcnt(0)
	v_fmac_f64_e32 v[126:127], v[156:157], v[142:143]
	s_waitcnt vmcnt(2)
	v_fmac_f64_e32 v[126:127], v[130:131], v[144:145]
	ds_read_b128 v[130:133], v128 offset:864
	s_waitcnt vmcnt(0) lgkmcnt(0)
	v_fmac_f64_e32 v[126:127], v[134:135], v[130:131]
	buffer_load_dword v131, off, s[0:3], 0 offset:380
	buffer_load_dword v130, off, s[0:3], 0 offset:376
	buffer_load_dword v135, off, s[0:3], 0 offset:388
	buffer_load_dword v134, off, s[0:3], 0 offset:384
	s_waitcnt vmcnt(2)
	v_fmac_f64_e32 v[126:127], v[130:131], v[132:133]
	ds_read_b128 v[130:133], v128 offset:880
	s_waitcnt vmcnt(0) lgkmcnt(0)
	v_fmac_f64_e32 v[126:127], v[134:135], v[130:131]
	buffer_load_dword v131, off, s[0:3], 0 offset:396
	buffer_load_dword v130, off, s[0:3], 0 offset:392
	buffer_load_dword v135, off, s[0:3], 0 offset:404
	buffer_load_dword v134, off, s[0:3], 0 offset:400
	;; [unrolled: 9-line block ×6, first 2 shown]
	s_waitcnt vmcnt(2)
	v_fmac_f64_e32 v[126:127], v[130:131], v[132:133]
	ds_read_b128 v[130:133], v128 offset:960
	s_waitcnt vmcnt(0) lgkmcnt(0)
	v_fmac_f64_e32 v[126:127], v[134:135], v[130:131]
	buffer_load_dword v131, off, s[0:3], 0 offset:476
	buffer_load_dword v130, off, s[0:3], 0 offset:472
	s_waitcnt vmcnt(0)
	v_fmac_f64_e32 v[126:127], v[130:131], v[132:133]
	buffer_load_dword v131, off, s[0:3], 0 offset:484
	buffer_load_dword v130, off, s[0:3], 0 offset:480
	ds_read_b64 v[132:133], v128 offset:976
	s_waitcnt vmcnt(0) lgkmcnt(0)
	v_fmac_f64_e32 v[126:127], v[130:131], v[132:133]
	v_add_f64 v[124:125], v[124:125], -v[126:127]
	buffer_store_dword v125, off, s[0:3], 0 offset:300
	buffer_store_dword v124, off, s[0:3], 0 offset:296
	s_and_saveexec_b64 s[4:5], vcc
	s_cbranch_execz .LBB60_301
; %bb.300:
	buffer_load_dword v124, off, s[0:3], 0 offset:288
	buffer_load_dword v125, off, s[0:3], 0 offset:292
	s_waitcnt vmcnt(0)
	ds_write_b64 v1, v[124:125]
	buffer_store_dword v128, off, s[0:3], 0 offset:288
	buffer_store_dword v128, off, s[0:3], 0 offset:292
.LBB60_301:
	s_or_b64 exec, exec, s[4:5]
	s_waitcnt lgkmcnt(0)
	; wave barrier
	s_waitcnt lgkmcnt(0)
	buffer_load_dword v124, off, s[0:3], 0 offset:288
	buffer_load_dword v125, off, s[0:3], 0 offset:292
	buffer_load_dword v126, off, s[0:3], 0 offset:296
	buffer_load_dword v127, off, s[0:3], 0 offset:300
	buffer_load_dword v134, off, s[0:3], 0 offset:304
	buffer_load_dword v135, off, s[0:3], 0 offset:308
	buffer_load_dword v136, off, s[0:3], 0 offset:312
	buffer_load_dword v137, off, s[0:3], 0 offset:316
	buffer_load_dword v138, off, s[0:3], 0 offset:320
	buffer_load_dword v139, off, s[0:3], 0 offset:324
	buffer_load_dword v140, off, s[0:3], 0 offset:328
	buffer_load_dword v141, off, s[0:3], 0 offset:332
	buffer_load_dword v142, off, s[0:3], 0 offset:336
	buffer_load_dword v143, off, s[0:3], 0 offset:340
	buffer_load_dword v144, off, s[0:3], 0 offset:344
	buffer_load_dword v145, off, s[0:3], 0 offset:348
	ds_read2_b64 v[130:133], v128 offset0:99 offset1:100
	v_cmp_lt_u32_e32 vcc, 35, v0
	s_waitcnt vmcnt(12) lgkmcnt(0)
	v_fma_f64 v[126:127], v[126:127], v[130:131], 0
	s_waitcnt vmcnt(10)
	v_fmac_f64_e32 v[126:127], v[134:135], v[132:133]
	ds_read2_b64 v[130:133], v128 offset0:101 offset1:102
	s_waitcnt vmcnt(8) lgkmcnt(0)
	v_fmac_f64_e32 v[126:127], v[136:137], v[130:131]
	s_waitcnt vmcnt(6)
	v_fmac_f64_e32 v[126:127], v[138:139], v[132:133]
	ds_read2_b64 v[130:133], v128 offset0:103 offset1:104
	s_waitcnt vmcnt(4) lgkmcnt(0)
	v_fmac_f64_e32 v[126:127], v[140:141], v[130:131]
	;; [unrolled: 5-line block ×3, first 2 shown]
	buffer_load_dword v131, off, s[0:3], 0 offset:356
	buffer_load_dword v130, off, s[0:3], 0 offset:352
	buffer_load_dword v135, off, s[0:3], 0 offset:364
	buffer_load_dword v134, off, s[0:3], 0 offset:360
	s_waitcnt vmcnt(2)
	v_fmac_f64_e32 v[126:127], v[130:131], v[132:133]
	ds_read2_b64 v[130:133], v128 offset0:107 offset1:108
	s_waitcnt vmcnt(0) lgkmcnt(0)
	v_fmac_f64_e32 v[126:127], v[134:135], v[130:131]
	buffer_load_dword v131, off, s[0:3], 0 offset:372
	buffer_load_dword v130, off, s[0:3], 0 offset:368
	buffer_load_dword v135, off, s[0:3], 0 offset:380
	buffer_load_dword v134, off, s[0:3], 0 offset:376
	s_waitcnt vmcnt(2)
	v_fmac_f64_e32 v[126:127], v[130:131], v[132:133]
	ds_read2_b64 v[130:133], v128 offset0:109 offset1:110
	s_waitcnt vmcnt(0) lgkmcnt(0)
	v_fmac_f64_e32 v[126:127], v[134:135], v[130:131]
	;; [unrolled: 9-line block ×7, first 2 shown]
	buffer_load_dword v131, off, s[0:3], 0 offset:468
	buffer_load_dword v130, off, s[0:3], 0 offset:464
	s_waitcnt vmcnt(0)
	v_fmac_f64_e32 v[126:127], v[130:131], v[132:133]
	buffer_load_dword v133, off, s[0:3], 0 offset:476
	buffer_load_dword v132, off, s[0:3], 0 offset:472
	ds_read2_b64 v[128:131], v128 offset0:121 offset1:122
	s_waitcnt vmcnt(0) lgkmcnt(0)
	v_fmac_f64_e32 v[126:127], v[132:133], v[128:129]
	buffer_load_dword v129, off, s[0:3], 0 offset:484
	buffer_load_dword v128, off, s[0:3], 0 offset:480
	s_waitcnt vmcnt(0)
	v_fmac_f64_e32 v[126:127], v[128:129], v[130:131]
	v_add_f64 v[124:125], v[124:125], -v[126:127]
	buffer_store_dword v125, off, s[0:3], 0 offset:292
	buffer_store_dword v124, off, s[0:3], 0 offset:288
	s_and_saveexec_b64 s[4:5], vcc
	s_cbranch_execz .LBB60_303
; %bb.302:
	buffer_load_dword v124, off, s[0:3], 0 offset:280
	buffer_load_dword v125, off, s[0:3], 0 offset:284
	v_mov_b32_e32 v126, 0
	buffer_store_dword v126, off, s[0:3], 0 offset:280
	buffer_store_dword v126, off, s[0:3], 0 offset:284
	s_waitcnt vmcnt(2)
	ds_write_b64 v1, v[124:125]
.LBB60_303:
	s_or_b64 exec, exec, s[4:5]
	s_waitcnt lgkmcnt(0)
	; wave barrier
	s_waitcnt lgkmcnt(0)
	buffer_load_dword v124, off, s[0:3], 0 offset:280
	buffer_load_dword v125, off, s[0:3], 0 offset:284
	buffer_load_dword v126, off, s[0:3], 0 offset:288
	buffer_load_dword v127, off, s[0:3], 0 offset:292
	buffer_load_dword v146, off, s[0:3], 0 offset:296
	buffer_load_dword v147, off, s[0:3], 0 offset:300
	buffer_load_dword v148, off, s[0:3], 0 offset:304
	buffer_load_dword v149, off, s[0:3], 0 offset:308
	buffer_load_dword v150, off, s[0:3], 0 offset:312
	buffer_load_dword v151, off, s[0:3], 0 offset:316
	buffer_load_dword v152, off, s[0:3], 0 offset:320
	buffer_load_dword v153, off, s[0:3], 0 offset:324
	buffer_load_dword v154, off, s[0:3], 0 offset:328
	buffer_load_dword v155, off, s[0:3], 0 offset:332
	buffer_load_dword v156, off, s[0:3], 0 offset:336
	buffer_load_dword v157, off, s[0:3], 0 offset:340
	v_mov_b32_e32 v128, 0
	ds_read_b128 v[130:133], v128 offset:784
	ds_read_b128 v[134:137], v128 offset:800
	;; [unrolled: 1-line block ×4, first 2 shown]
	v_cmp_lt_u32_e32 vcc, 34, v0
	s_waitcnt vmcnt(12) lgkmcnt(3)
	v_fma_f64 v[126:127], v[126:127], v[130:131], 0
	buffer_load_dword v131, off, s[0:3], 0 offset:348
	buffer_load_dword v130, off, s[0:3], 0 offset:344
	s_waitcnt vmcnt(12)
	v_fmac_f64_e32 v[126:127], v[146:147], v[132:133]
	s_waitcnt vmcnt(10) lgkmcnt(2)
	v_fmac_f64_e32 v[126:127], v[148:149], v[134:135]
	buffer_load_dword v135, off, s[0:3], 0 offset:356
	buffer_load_dword v134, off, s[0:3], 0 offset:352
	s_waitcnt vmcnt(10)
	v_fmac_f64_e32 v[126:127], v[150:151], v[136:137]
	s_waitcnt vmcnt(8) lgkmcnt(1)
	v_fmac_f64_e32 v[126:127], v[152:153], v[138:139]
	s_waitcnt vmcnt(6)
	v_fmac_f64_e32 v[126:127], v[154:155], v[140:141]
	s_waitcnt vmcnt(4) lgkmcnt(0)
	v_fmac_f64_e32 v[126:127], v[156:157], v[142:143]
	s_waitcnt vmcnt(2)
	v_fmac_f64_e32 v[126:127], v[130:131], v[144:145]
	ds_read_b128 v[130:133], v128 offset:848
	s_waitcnt vmcnt(0) lgkmcnt(0)
	v_fmac_f64_e32 v[126:127], v[134:135], v[130:131]
	buffer_load_dword v131, off, s[0:3], 0 offset:364
	buffer_load_dword v130, off, s[0:3], 0 offset:360
	buffer_load_dword v135, off, s[0:3], 0 offset:372
	buffer_load_dword v134, off, s[0:3], 0 offset:368
	s_waitcnt vmcnt(2)
	v_fmac_f64_e32 v[126:127], v[130:131], v[132:133]
	ds_read_b128 v[130:133], v128 offset:864
	s_waitcnt vmcnt(0) lgkmcnt(0)
	v_fmac_f64_e32 v[126:127], v[134:135], v[130:131]
	buffer_load_dword v131, off, s[0:3], 0 offset:380
	buffer_load_dword v130, off, s[0:3], 0 offset:376
	buffer_load_dword v135, off, s[0:3], 0 offset:388
	buffer_load_dword v134, off, s[0:3], 0 offset:384
	;; [unrolled: 9-line block ×7, first 2 shown]
	s_waitcnt vmcnt(2)
	v_fmac_f64_e32 v[126:127], v[130:131], v[132:133]
	ds_read_b128 v[130:133], v128 offset:960
	s_waitcnt vmcnt(0) lgkmcnt(0)
	v_fmac_f64_e32 v[126:127], v[134:135], v[130:131]
	buffer_load_dword v131, off, s[0:3], 0 offset:476
	buffer_load_dword v130, off, s[0:3], 0 offset:472
	s_waitcnt vmcnt(0)
	v_fmac_f64_e32 v[126:127], v[130:131], v[132:133]
	buffer_load_dword v131, off, s[0:3], 0 offset:484
	buffer_load_dword v130, off, s[0:3], 0 offset:480
	ds_read_b64 v[132:133], v128 offset:976
	s_waitcnt vmcnt(0) lgkmcnt(0)
	v_fmac_f64_e32 v[126:127], v[130:131], v[132:133]
	v_add_f64 v[124:125], v[124:125], -v[126:127]
	buffer_store_dword v125, off, s[0:3], 0 offset:284
	buffer_store_dword v124, off, s[0:3], 0 offset:280
	s_and_saveexec_b64 s[4:5], vcc
	s_cbranch_execz .LBB60_305
; %bb.304:
	buffer_load_dword v124, off, s[0:3], 0 offset:272
	buffer_load_dword v125, off, s[0:3], 0 offset:276
	s_waitcnt vmcnt(0)
	ds_write_b64 v1, v[124:125]
	buffer_store_dword v128, off, s[0:3], 0 offset:272
	buffer_store_dword v128, off, s[0:3], 0 offset:276
.LBB60_305:
	s_or_b64 exec, exec, s[4:5]
	s_waitcnt lgkmcnt(0)
	; wave barrier
	s_waitcnt lgkmcnt(0)
	buffer_load_dword v124, off, s[0:3], 0 offset:272
	buffer_load_dword v125, off, s[0:3], 0 offset:276
	;; [unrolled: 1-line block ×16, first 2 shown]
	ds_read2_b64 v[130:133], v128 offset0:97 offset1:98
	v_cmp_lt_u32_e32 vcc, 33, v0
	s_waitcnt vmcnt(12) lgkmcnt(0)
	v_fma_f64 v[126:127], v[126:127], v[130:131], 0
	s_waitcnt vmcnt(10)
	v_fmac_f64_e32 v[126:127], v[134:135], v[132:133]
	ds_read2_b64 v[130:133], v128 offset0:99 offset1:100
	s_waitcnt vmcnt(8) lgkmcnt(0)
	v_fmac_f64_e32 v[126:127], v[136:137], v[130:131]
	s_waitcnt vmcnt(6)
	v_fmac_f64_e32 v[126:127], v[138:139], v[132:133]
	ds_read2_b64 v[130:133], v128 offset0:101 offset1:102
	s_waitcnt vmcnt(4) lgkmcnt(0)
	v_fmac_f64_e32 v[126:127], v[140:141], v[130:131]
	;; [unrolled: 5-line block ×3, first 2 shown]
	buffer_load_dword v131, off, s[0:3], 0 offset:340
	buffer_load_dword v130, off, s[0:3], 0 offset:336
	buffer_load_dword v135, off, s[0:3], 0 offset:348
	buffer_load_dword v134, off, s[0:3], 0 offset:344
	s_waitcnt vmcnt(2)
	v_fmac_f64_e32 v[126:127], v[130:131], v[132:133]
	ds_read2_b64 v[130:133], v128 offset0:105 offset1:106
	s_waitcnt vmcnt(0) lgkmcnt(0)
	v_fmac_f64_e32 v[126:127], v[134:135], v[130:131]
	buffer_load_dword v131, off, s[0:3], 0 offset:356
	buffer_load_dword v130, off, s[0:3], 0 offset:352
	buffer_load_dword v135, off, s[0:3], 0 offset:364
	buffer_load_dword v134, off, s[0:3], 0 offset:360
	s_waitcnt vmcnt(2)
	v_fmac_f64_e32 v[126:127], v[130:131], v[132:133]
	ds_read2_b64 v[130:133], v128 offset0:107 offset1:108
	s_waitcnt vmcnt(0) lgkmcnt(0)
	v_fmac_f64_e32 v[126:127], v[134:135], v[130:131]
	;; [unrolled: 9-line block ×8, first 2 shown]
	buffer_load_dword v131, off, s[0:3], 0 offset:468
	buffer_load_dword v130, off, s[0:3], 0 offset:464
	s_waitcnt vmcnt(0)
	v_fmac_f64_e32 v[126:127], v[130:131], v[132:133]
	buffer_load_dword v133, off, s[0:3], 0 offset:476
	buffer_load_dword v132, off, s[0:3], 0 offset:472
	ds_read2_b64 v[128:131], v128 offset0:121 offset1:122
	s_waitcnt vmcnt(0) lgkmcnt(0)
	v_fmac_f64_e32 v[126:127], v[132:133], v[128:129]
	buffer_load_dword v129, off, s[0:3], 0 offset:484
	buffer_load_dword v128, off, s[0:3], 0 offset:480
	s_waitcnt vmcnt(0)
	v_fmac_f64_e32 v[126:127], v[128:129], v[130:131]
	v_add_f64 v[124:125], v[124:125], -v[126:127]
	buffer_store_dword v125, off, s[0:3], 0 offset:276
	buffer_store_dword v124, off, s[0:3], 0 offset:272
	s_and_saveexec_b64 s[4:5], vcc
	s_cbranch_execz .LBB60_307
; %bb.306:
	buffer_load_dword v124, off, s[0:3], 0 offset:264
	buffer_load_dword v125, off, s[0:3], 0 offset:268
	v_mov_b32_e32 v126, 0
	buffer_store_dword v126, off, s[0:3], 0 offset:264
	buffer_store_dword v126, off, s[0:3], 0 offset:268
	s_waitcnt vmcnt(2)
	ds_write_b64 v1, v[124:125]
.LBB60_307:
	s_or_b64 exec, exec, s[4:5]
	s_waitcnt lgkmcnt(0)
	; wave barrier
	s_waitcnt lgkmcnt(0)
	buffer_load_dword v124, off, s[0:3], 0 offset:264
	buffer_load_dword v125, off, s[0:3], 0 offset:268
	;; [unrolled: 1-line block ×16, first 2 shown]
	v_mov_b32_e32 v128, 0
	ds_read_b128 v[130:133], v128 offset:768
	ds_read_b128 v[134:137], v128 offset:784
	;; [unrolled: 1-line block ×4, first 2 shown]
	v_cmp_lt_u32_e32 vcc, 32, v0
	s_waitcnt vmcnt(12) lgkmcnt(3)
	v_fma_f64 v[126:127], v[126:127], v[130:131], 0
	buffer_load_dword v131, off, s[0:3], 0 offset:332
	buffer_load_dword v130, off, s[0:3], 0 offset:328
	s_waitcnt vmcnt(12)
	v_fmac_f64_e32 v[126:127], v[146:147], v[132:133]
	s_waitcnt vmcnt(10) lgkmcnt(2)
	v_fmac_f64_e32 v[126:127], v[148:149], v[134:135]
	buffer_load_dword v135, off, s[0:3], 0 offset:340
	buffer_load_dword v134, off, s[0:3], 0 offset:336
	s_waitcnt vmcnt(10)
	v_fmac_f64_e32 v[126:127], v[150:151], v[136:137]
	s_waitcnt vmcnt(8) lgkmcnt(1)
	v_fmac_f64_e32 v[126:127], v[152:153], v[138:139]
	s_waitcnt vmcnt(6)
	v_fmac_f64_e32 v[126:127], v[154:155], v[140:141]
	s_waitcnt vmcnt(4) lgkmcnt(0)
	v_fmac_f64_e32 v[126:127], v[156:157], v[142:143]
	s_waitcnt vmcnt(2)
	v_fmac_f64_e32 v[126:127], v[130:131], v[144:145]
	ds_read_b128 v[130:133], v128 offset:832
	s_waitcnt vmcnt(0) lgkmcnt(0)
	v_fmac_f64_e32 v[126:127], v[134:135], v[130:131]
	buffer_load_dword v131, off, s[0:3], 0 offset:348
	buffer_load_dword v130, off, s[0:3], 0 offset:344
	buffer_load_dword v135, off, s[0:3], 0 offset:356
	buffer_load_dword v134, off, s[0:3], 0 offset:352
	s_waitcnt vmcnt(2)
	v_fmac_f64_e32 v[126:127], v[130:131], v[132:133]
	ds_read_b128 v[130:133], v128 offset:848
	s_waitcnt vmcnt(0) lgkmcnt(0)
	v_fmac_f64_e32 v[126:127], v[134:135], v[130:131]
	buffer_load_dword v131, off, s[0:3], 0 offset:364
	buffer_load_dword v130, off, s[0:3], 0 offset:360
	buffer_load_dword v135, off, s[0:3], 0 offset:372
	buffer_load_dword v134, off, s[0:3], 0 offset:368
	;; [unrolled: 9-line block ×8, first 2 shown]
	s_waitcnt vmcnt(2)
	v_fmac_f64_e32 v[126:127], v[130:131], v[132:133]
	ds_read_b128 v[130:133], v128 offset:960
	s_waitcnt vmcnt(0) lgkmcnt(0)
	v_fmac_f64_e32 v[126:127], v[134:135], v[130:131]
	buffer_load_dword v131, off, s[0:3], 0 offset:476
	buffer_load_dword v130, off, s[0:3], 0 offset:472
	s_waitcnt vmcnt(0)
	v_fmac_f64_e32 v[126:127], v[130:131], v[132:133]
	buffer_load_dword v131, off, s[0:3], 0 offset:484
	buffer_load_dword v130, off, s[0:3], 0 offset:480
	ds_read_b64 v[132:133], v128 offset:976
	s_waitcnt vmcnt(0) lgkmcnt(0)
	v_fmac_f64_e32 v[126:127], v[130:131], v[132:133]
	v_add_f64 v[124:125], v[124:125], -v[126:127]
	buffer_store_dword v125, off, s[0:3], 0 offset:268
	buffer_store_dword v124, off, s[0:3], 0 offset:264
	s_and_saveexec_b64 s[4:5], vcc
	s_cbranch_execz .LBB60_309
; %bb.308:
	buffer_load_dword v124, off, s[0:3], 0 offset:256
	buffer_load_dword v125, off, s[0:3], 0 offset:260
	s_waitcnt vmcnt(0)
	ds_write_b64 v1, v[124:125]
	buffer_store_dword v128, off, s[0:3], 0 offset:256
	buffer_store_dword v128, off, s[0:3], 0 offset:260
.LBB60_309:
	s_or_b64 exec, exec, s[4:5]
	s_waitcnt lgkmcnt(0)
	; wave barrier
	s_waitcnt lgkmcnt(0)
	buffer_load_dword v124, off, s[0:3], 0 offset:256
	buffer_load_dword v125, off, s[0:3], 0 offset:260
	;; [unrolled: 1-line block ×16, first 2 shown]
	ds_read2_b64 v[130:133], v128 offset0:95 offset1:96
	v_cmp_lt_u32_e32 vcc, 31, v0
	s_waitcnt vmcnt(12) lgkmcnt(0)
	v_fma_f64 v[126:127], v[126:127], v[130:131], 0
	s_waitcnt vmcnt(10)
	v_fmac_f64_e32 v[126:127], v[134:135], v[132:133]
	ds_read2_b64 v[130:133], v128 offset0:97 offset1:98
	s_waitcnt vmcnt(8) lgkmcnt(0)
	v_fmac_f64_e32 v[126:127], v[136:137], v[130:131]
	s_waitcnt vmcnt(6)
	v_fmac_f64_e32 v[126:127], v[138:139], v[132:133]
	ds_read2_b64 v[130:133], v128 offset0:99 offset1:100
	s_waitcnt vmcnt(4) lgkmcnt(0)
	v_fmac_f64_e32 v[126:127], v[140:141], v[130:131]
	;; [unrolled: 5-line block ×3, first 2 shown]
	buffer_load_dword v131, off, s[0:3], 0 offset:324
	buffer_load_dword v130, off, s[0:3], 0 offset:320
	buffer_load_dword v135, off, s[0:3], 0 offset:332
	buffer_load_dword v134, off, s[0:3], 0 offset:328
	s_waitcnt vmcnt(2)
	v_fmac_f64_e32 v[126:127], v[130:131], v[132:133]
	ds_read2_b64 v[130:133], v128 offset0:103 offset1:104
	s_waitcnt vmcnt(0) lgkmcnt(0)
	v_fmac_f64_e32 v[126:127], v[134:135], v[130:131]
	buffer_load_dword v131, off, s[0:3], 0 offset:340
	buffer_load_dword v130, off, s[0:3], 0 offset:336
	buffer_load_dword v135, off, s[0:3], 0 offset:348
	buffer_load_dword v134, off, s[0:3], 0 offset:344
	s_waitcnt vmcnt(2)
	v_fmac_f64_e32 v[126:127], v[130:131], v[132:133]
	ds_read2_b64 v[130:133], v128 offset0:105 offset1:106
	s_waitcnt vmcnt(0) lgkmcnt(0)
	v_fmac_f64_e32 v[126:127], v[134:135], v[130:131]
	;; [unrolled: 9-line block ×9, first 2 shown]
	buffer_load_dword v131, off, s[0:3], 0 offset:468
	buffer_load_dword v130, off, s[0:3], 0 offset:464
	s_waitcnt vmcnt(0)
	v_fmac_f64_e32 v[126:127], v[130:131], v[132:133]
	buffer_load_dword v133, off, s[0:3], 0 offset:476
	buffer_load_dword v132, off, s[0:3], 0 offset:472
	ds_read2_b64 v[128:131], v128 offset0:121 offset1:122
	s_waitcnt vmcnt(0) lgkmcnt(0)
	v_fmac_f64_e32 v[126:127], v[132:133], v[128:129]
	buffer_load_dword v129, off, s[0:3], 0 offset:484
	buffer_load_dword v128, off, s[0:3], 0 offset:480
	s_waitcnt vmcnt(0)
	v_fmac_f64_e32 v[126:127], v[128:129], v[130:131]
	v_add_f64 v[124:125], v[124:125], -v[126:127]
	buffer_store_dword v125, off, s[0:3], 0 offset:260
	buffer_store_dword v124, off, s[0:3], 0 offset:256
	s_and_saveexec_b64 s[4:5], vcc
	s_cbranch_execz .LBB60_311
; %bb.310:
	buffer_load_dword v124, off, s[0:3], 0 offset:248
	buffer_load_dword v125, off, s[0:3], 0 offset:252
	v_mov_b32_e32 v126, 0
	buffer_store_dword v126, off, s[0:3], 0 offset:248
	buffer_store_dword v126, off, s[0:3], 0 offset:252
	s_waitcnt vmcnt(2)
	ds_write_b64 v1, v[124:125]
.LBB60_311:
	s_or_b64 exec, exec, s[4:5]
	s_waitcnt lgkmcnt(0)
	; wave barrier
	s_waitcnt lgkmcnt(0)
	buffer_load_dword v124, off, s[0:3], 0 offset:248
	buffer_load_dword v125, off, s[0:3], 0 offset:252
	;; [unrolled: 1-line block ×16, first 2 shown]
	v_mov_b32_e32 v128, 0
	ds_read_b128 v[130:133], v128 offset:752
	ds_read_b128 v[134:137], v128 offset:768
	;; [unrolled: 1-line block ×4, first 2 shown]
	v_cmp_lt_u32_e32 vcc, 30, v0
	s_waitcnt vmcnt(12) lgkmcnt(3)
	v_fma_f64 v[126:127], v[126:127], v[130:131], 0
	buffer_load_dword v131, off, s[0:3], 0 offset:316
	buffer_load_dword v130, off, s[0:3], 0 offset:312
	s_waitcnt vmcnt(12)
	v_fmac_f64_e32 v[126:127], v[146:147], v[132:133]
	s_waitcnt vmcnt(10) lgkmcnt(2)
	v_fmac_f64_e32 v[126:127], v[148:149], v[134:135]
	buffer_load_dword v135, off, s[0:3], 0 offset:324
	buffer_load_dword v134, off, s[0:3], 0 offset:320
	s_waitcnt vmcnt(10)
	v_fmac_f64_e32 v[126:127], v[150:151], v[136:137]
	s_waitcnt vmcnt(8) lgkmcnt(1)
	v_fmac_f64_e32 v[126:127], v[152:153], v[138:139]
	s_waitcnt vmcnt(6)
	v_fmac_f64_e32 v[126:127], v[154:155], v[140:141]
	s_waitcnt vmcnt(4) lgkmcnt(0)
	v_fmac_f64_e32 v[126:127], v[156:157], v[142:143]
	s_waitcnt vmcnt(2)
	v_fmac_f64_e32 v[126:127], v[130:131], v[144:145]
	ds_read_b128 v[130:133], v128 offset:816
	s_waitcnt vmcnt(0) lgkmcnt(0)
	v_fmac_f64_e32 v[126:127], v[134:135], v[130:131]
	buffer_load_dword v131, off, s[0:3], 0 offset:332
	buffer_load_dword v130, off, s[0:3], 0 offset:328
	buffer_load_dword v135, off, s[0:3], 0 offset:340
	buffer_load_dword v134, off, s[0:3], 0 offset:336
	s_waitcnt vmcnt(2)
	v_fmac_f64_e32 v[126:127], v[130:131], v[132:133]
	ds_read_b128 v[130:133], v128 offset:832
	s_waitcnt vmcnt(0) lgkmcnt(0)
	v_fmac_f64_e32 v[126:127], v[134:135], v[130:131]
	buffer_load_dword v131, off, s[0:3], 0 offset:348
	buffer_load_dword v130, off, s[0:3], 0 offset:344
	buffer_load_dword v135, off, s[0:3], 0 offset:356
	buffer_load_dword v134, off, s[0:3], 0 offset:352
	;; [unrolled: 9-line block ×9, first 2 shown]
	s_waitcnt vmcnt(2)
	v_fmac_f64_e32 v[126:127], v[130:131], v[132:133]
	ds_read_b128 v[130:133], v128 offset:960
	s_waitcnt vmcnt(0) lgkmcnt(0)
	v_fmac_f64_e32 v[126:127], v[134:135], v[130:131]
	buffer_load_dword v131, off, s[0:3], 0 offset:476
	buffer_load_dword v130, off, s[0:3], 0 offset:472
	s_waitcnt vmcnt(0)
	v_fmac_f64_e32 v[126:127], v[130:131], v[132:133]
	buffer_load_dword v131, off, s[0:3], 0 offset:484
	buffer_load_dword v130, off, s[0:3], 0 offset:480
	ds_read_b64 v[132:133], v128 offset:976
	s_waitcnt vmcnt(0) lgkmcnt(0)
	v_fmac_f64_e32 v[126:127], v[130:131], v[132:133]
	v_add_f64 v[124:125], v[124:125], -v[126:127]
	buffer_store_dword v125, off, s[0:3], 0 offset:252
	buffer_store_dword v124, off, s[0:3], 0 offset:248
	s_and_saveexec_b64 s[4:5], vcc
	s_cbranch_execz .LBB60_313
; %bb.312:
	buffer_load_dword v124, off, s[0:3], 0 offset:240
	buffer_load_dword v125, off, s[0:3], 0 offset:244
	s_waitcnt vmcnt(0)
	ds_write_b64 v1, v[124:125]
	buffer_store_dword v128, off, s[0:3], 0 offset:240
	buffer_store_dword v128, off, s[0:3], 0 offset:244
.LBB60_313:
	s_or_b64 exec, exec, s[4:5]
	s_waitcnt lgkmcnt(0)
	; wave barrier
	s_waitcnt lgkmcnt(0)
	buffer_load_dword v124, off, s[0:3], 0 offset:240
	buffer_load_dword v125, off, s[0:3], 0 offset:244
	;; [unrolled: 1-line block ×16, first 2 shown]
	ds_read2_b64 v[130:133], v128 offset0:93 offset1:94
	v_cmp_lt_u32_e32 vcc, 29, v0
	s_waitcnt vmcnt(12) lgkmcnt(0)
	v_fma_f64 v[126:127], v[126:127], v[130:131], 0
	s_waitcnt vmcnt(10)
	v_fmac_f64_e32 v[126:127], v[134:135], v[132:133]
	ds_read2_b64 v[130:133], v128 offset0:95 offset1:96
	s_waitcnt vmcnt(8) lgkmcnt(0)
	v_fmac_f64_e32 v[126:127], v[136:137], v[130:131]
	s_waitcnt vmcnt(6)
	v_fmac_f64_e32 v[126:127], v[138:139], v[132:133]
	ds_read2_b64 v[130:133], v128 offset0:97 offset1:98
	s_waitcnt vmcnt(4) lgkmcnt(0)
	v_fmac_f64_e32 v[126:127], v[140:141], v[130:131]
	;; [unrolled: 5-line block ×3, first 2 shown]
	buffer_load_dword v131, off, s[0:3], 0 offset:308
	buffer_load_dword v130, off, s[0:3], 0 offset:304
	buffer_load_dword v135, off, s[0:3], 0 offset:316
	buffer_load_dword v134, off, s[0:3], 0 offset:312
	s_waitcnt vmcnt(2)
	v_fmac_f64_e32 v[126:127], v[130:131], v[132:133]
	ds_read2_b64 v[130:133], v128 offset0:101 offset1:102
	s_waitcnt vmcnt(0) lgkmcnt(0)
	v_fmac_f64_e32 v[126:127], v[134:135], v[130:131]
	buffer_load_dword v131, off, s[0:3], 0 offset:324
	buffer_load_dword v130, off, s[0:3], 0 offset:320
	buffer_load_dword v135, off, s[0:3], 0 offset:332
	buffer_load_dword v134, off, s[0:3], 0 offset:328
	s_waitcnt vmcnt(2)
	v_fmac_f64_e32 v[126:127], v[130:131], v[132:133]
	ds_read2_b64 v[130:133], v128 offset0:103 offset1:104
	s_waitcnt vmcnt(0) lgkmcnt(0)
	v_fmac_f64_e32 v[126:127], v[134:135], v[130:131]
	buffer_load_dword v131, off, s[0:3], 0 offset:340
	buffer_load_dword v130, off, s[0:3], 0 offset:336
	buffer_load_dword v135, off, s[0:3], 0 offset:348
	buffer_load_dword v134, off, s[0:3], 0 offset:344
	s_waitcnt vmcnt(2)
	v_fmac_f64_e32 v[126:127], v[130:131], v[132:133]
	ds_read2_b64 v[130:133], v128 offset0:105 offset1:106
	s_waitcnt vmcnt(0) lgkmcnt(0)
	v_fmac_f64_e32 v[126:127], v[134:135], v[130:131]
	buffer_load_dword v131, off, s[0:3], 0 offset:356
	buffer_load_dword v130, off, s[0:3], 0 offset:352
	buffer_load_dword v135, off, s[0:3], 0 offset:364
	buffer_load_dword v134, off, s[0:3], 0 offset:360
	s_waitcnt vmcnt(2)
	v_fmac_f64_e32 v[126:127], v[130:131], v[132:133]
	ds_read2_b64 v[130:133], v128 offset0:107 offset1:108
	s_waitcnt vmcnt(0) lgkmcnt(0)
	v_fmac_f64_e32 v[126:127], v[134:135], v[130:131]
	buffer_load_dword v131, off, s[0:3], 0 offset:372
	buffer_load_dword v130, off, s[0:3], 0 offset:368
	buffer_load_dword v135, off, s[0:3], 0 offset:380
	buffer_load_dword v134, off, s[0:3], 0 offset:376
	s_waitcnt vmcnt(2)
	v_fmac_f64_e32 v[126:127], v[130:131], v[132:133]
	ds_read2_b64 v[130:133], v128 offset0:109 offset1:110
	s_waitcnt vmcnt(0) lgkmcnt(0)
	v_fmac_f64_e32 v[126:127], v[134:135], v[130:131]
	buffer_load_dword v131, off, s[0:3], 0 offset:388
	buffer_load_dword v130, off, s[0:3], 0 offset:384
	buffer_load_dword v135, off, s[0:3], 0 offset:396
	buffer_load_dword v134, off, s[0:3], 0 offset:392
	s_waitcnt vmcnt(2)
	v_fmac_f64_e32 v[126:127], v[130:131], v[132:133]
	ds_read2_b64 v[130:133], v128 offset0:111 offset1:112
	s_waitcnt vmcnt(0) lgkmcnt(0)
	v_fmac_f64_e32 v[126:127], v[134:135], v[130:131]
	buffer_load_dword v131, off, s[0:3], 0 offset:404
	buffer_load_dword v130, off, s[0:3], 0 offset:400
	buffer_load_dword v135, off, s[0:3], 0 offset:412
	buffer_load_dword v134, off, s[0:3], 0 offset:408
	s_waitcnt vmcnt(2)
	v_fmac_f64_e32 v[126:127], v[130:131], v[132:133]
	ds_read2_b64 v[130:133], v128 offset0:113 offset1:114
	s_waitcnt vmcnt(0) lgkmcnt(0)
	v_fmac_f64_e32 v[126:127], v[134:135], v[130:131]
	buffer_load_dword v131, off, s[0:3], 0 offset:420
	buffer_load_dword v130, off, s[0:3], 0 offset:416
	buffer_load_dword v135, off, s[0:3], 0 offset:428
	buffer_load_dword v134, off, s[0:3], 0 offset:424
	s_waitcnt vmcnt(2)
	v_fmac_f64_e32 v[126:127], v[130:131], v[132:133]
	ds_read2_b64 v[130:133], v128 offset0:115 offset1:116
	s_waitcnt vmcnt(0) lgkmcnt(0)
	v_fmac_f64_e32 v[126:127], v[134:135], v[130:131]
	buffer_load_dword v131, off, s[0:3], 0 offset:436
	buffer_load_dword v130, off, s[0:3], 0 offset:432
	buffer_load_dword v135, off, s[0:3], 0 offset:444
	buffer_load_dword v134, off, s[0:3], 0 offset:440
	s_waitcnt vmcnt(2)
	v_fmac_f64_e32 v[126:127], v[130:131], v[132:133]
	ds_read2_b64 v[130:133], v128 offset0:117 offset1:118
	s_waitcnt vmcnt(0) lgkmcnt(0)
	v_fmac_f64_e32 v[126:127], v[134:135], v[130:131]
	buffer_load_dword v131, off, s[0:3], 0 offset:452
	buffer_load_dword v130, off, s[0:3], 0 offset:448
	buffer_load_dword v135, off, s[0:3], 0 offset:460
	buffer_load_dword v134, off, s[0:3], 0 offset:456
	s_waitcnt vmcnt(2)
	v_fmac_f64_e32 v[126:127], v[130:131], v[132:133]
	ds_read2_b64 v[130:133], v128 offset0:119 offset1:120
	s_waitcnt vmcnt(0) lgkmcnt(0)
	v_fmac_f64_e32 v[126:127], v[134:135], v[130:131]
	buffer_load_dword v131, off, s[0:3], 0 offset:468
	buffer_load_dword v130, off, s[0:3], 0 offset:464
	s_waitcnt vmcnt(0)
	v_fmac_f64_e32 v[126:127], v[130:131], v[132:133]
	buffer_load_dword v133, off, s[0:3], 0 offset:476
	buffer_load_dword v132, off, s[0:3], 0 offset:472
	ds_read2_b64 v[128:131], v128 offset0:121 offset1:122
	s_waitcnt vmcnt(0) lgkmcnt(0)
	v_fmac_f64_e32 v[126:127], v[132:133], v[128:129]
	buffer_load_dword v129, off, s[0:3], 0 offset:484
	buffer_load_dword v128, off, s[0:3], 0 offset:480
	s_waitcnt vmcnt(0)
	v_fmac_f64_e32 v[126:127], v[128:129], v[130:131]
	v_add_f64 v[124:125], v[124:125], -v[126:127]
	buffer_store_dword v125, off, s[0:3], 0 offset:244
	buffer_store_dword v124, off, s[0:3], 0 offset:240
	s_and_saveexec_b64 s[4:5], vcc
	s_cbranch_execz .LBB60_315
; %bb.314:
	buffer_load_dword v124, off, s[0:3], 0 offset:232
	buffer_load_dword v125, off, s[0:3], 0 offset:236
	v_mov_b32_e32 v126, 0
	buffer_store_dword v126, off, s[0:3], 0 offset:232
	buffer_store_dword v126, off, s[0:3], 0 offset:236
	s_waitcnt vmcnt(2)
	ds_write_b64 v1, v[124:125]
.LBB60_315:
	s_or_b64 exec, exec, s[4:5]
	s_waitcnt lgkmcnt(0)
	; wave barrier
	s_waitcnt lgkmcnt(0)
	buffer_load_dword v124, off, s[0:3], 0 offset:232
	buffer_load_dword v125, off, s[0:3], 0 offset:236
	;; [unrolled: 1-line block ×16, first 2 shown]
	v_mov_b32_e32 v128, 0
	ds_read_b128 v[130:133], v128 offset:736
	ds_read_b128 v[134:137], v128 offset:752
	;; [unrolled: 1-line block ×4, first 2 shown]
	v_cmp_lt_u32_e32 vcc, 28, v0
	s_waitcnt vmcnt(12) lgkmcnt(3)
	v_fma_f64 v[126:127], v[126:127], v[130:131], 0
	buffer_load_dword v131, off, s[0:3], 0 offset:300
	buffer_load_dword v130, off, s[0:3], 0 offset:296
	s_waitcnt vmcnt(12)
	v_fmac_f64_e32 v[126:127], v[146:147], v[132:133]
	s_waitcnt vmcnt(10) lgkmcnt(2)
	v_fmac_f64_e32 v[126:127], v[148:149], v[134:135]
	buffer_load_dword v135, off, s[0:3], 0 offset:308
	buffer_load_dword v134, off, s[0:3], 0 offset:304
	s_waitcnt vmcnt(10)
	v_fmac_f64_e32 v[126:127], v[150:151], v[136:137]
	s_waitcnt vmcnt(8) lgkmcnt(1)
	v_fmac_f64_e32 v[126:127], v[152:153], v[138:139]
	s_waitcnt vmcnt(6)
	v_fmac_f64_e32 v[126:127], v[154:155], v[140:141]
	s_waitcnt vmcnt(4) lgkmcnt(0)
	v_fmac_f64_e32 v[126:127], v[156:157], v[142:143]
	s_waitcnt vmcnt(2)
	v_fmac_f64_e32 v[126:127], v[130:131], v[144:145]
	ds_read_b128 v[130:133], v128 offset:800
	s_waitcnt vmcnt(0) lgkmcnt(0)
	v_fmac_f64_e32 v[126:127], v[134:135], v[130:131]
	buffer_load_dword v131, off, s[0:3], 0 offset:316
	buffer_load_dword v130, off, s[0:3], 0 offset:312
	buffer_load_dword v135, off, s[0:3], 0 offset:324
	buffer_load_dword v134, off, s[0:3], 0 offset:320
	s_waitcnt vmcnt(2)
	v_fmac_f64_e32 v[126:127], v[130:131], v[132:133]
	ds_read_b128 v[130:133], v128 offset:816
	s_waitcnt vmcnt(0) lgkmcnt(0)
	v_fmac_f64_e32 v[126:127], v[134:135], v[130:131]
	buffer_load_dword v131, off, s[0:3], 0 offset:332
	buffer_load_dword v130, off, s[0:3], 0 offset:328
	buffer_load_dword v135, off, s[0:3], 0 offset:340
	buffer_load_dword v134, off, s[0:3], 0 offset:336
	;; [unrolled: 9-line block ×10, first 2 shown]
	s_waitcnt vmcnt(2)
	v_fmac_f64_e32 v[126:127], v[130:131], v[132:133]
	ds_read_b128 v[130:133], v128 offset:960
	s_waitcnt vmcnt(0) lgkmcnt(0)
	v_fmac_f64_e32 v[126:127], v[134:135], v[130:131]
	buffer_load_dword v131, off, s[0:3], 0 offset:476
	buffer_load_dword v130, off, s[0:3], 0 offset:472
	s_waitcnt vmcnt(0)
	v_fmac_f64_e32 v[126:127], v[130:131], v[132:133]
	buffer_load_dword v131, off, s[0:3], 0 offset:484
	buffer_load_dword v130, off, s[0:3], 0 offset:480
	ds_read_b64 v[132:133], v128 offset:976
	s_waitcnt vmcnt(0) lgkmcnt(0)
	v_fmac_f64_e32 v[126:127], v[130:131], v[132:133]
	v_add_f64 v[124:125], v[124:125], -v[126:127]
	buffer_store_dword v125, off, s[0:3], 0 offset:236
	buffer_store_dword v124, off, s[0:3], 0 offset:232
	s_and_saveexec_b64 s[4:5], vcc
	s_cbranch_execz .LBB60_317
; %bb.316:
	buffer_load_dword v124, off, s[0:3], 0 offset:224
	buffer_load_dword v125, off, s[0:3], 0 offset:228
	s_waitcnt vmcnt(0)
	ds_write_b64 v1, v[124:125]
	buffer_store_dword v128, off, s[0:3], 0 offset:224
	buffer_store_dword v128, off, s[0:3], 0 offset:228
.LBB60_317:
	s_or_b64 exec, exec, s[4:5]
	s_waitcnt lgkmcnt(0)
	; wave barrier
	s_waitcnt lgkmcnt(0)
	buffer_load_dword v124, off, s[0:3], 0 offset:224
	buffer_load_dword v125, off, s[0:3], 0 offset:228
	;; [unrolled: 1-line block ×16, first 2 shown]
	ds_read2_b64 v[130:133], v128 offset0:91 offset1:92
	v_cmp_lt_u32_e32 vcc, 27, v0
	s_waitcnt vmcnt(12) lgkmcnt(0)
	v_fma_f64 v[126:127], v[126:127], v[130:131], 0
	s_waitcnt vmcnt(10)
	v_fmac_f64_e32 v[126:127], v[134:135], v[132:133]
	ds_read2_b64 v[130:133], v128 offset0:93 offset1:94
	s_waitcnt vmcnt(8) lgkmcnt(0)
	v_fmac_f64_e32 v[126:127], v[136:137], v[130:131]
	s_waitcnt vmcnt(6)
	v_fmac_f64_e32 v[126:127], v[138:139], v[132:133]
	ds_read2_b64 v[130:133], v128 offset0:95 offset1:96
	s_waitcnt vmcnt(4) lgkmcnt(0)
	v_fmac_f64_e32 v[126:127], v[140:141], v[130:131]
	;; [unrolled: 5-line block ×3, first 2 shown]
	buffer_load_dword v131, off, s[0:3], 0 offset:292
	buffer_load_dword v130, off, s[0:3], 0 offset:288
	buffer_load_dword v135, off, s[0:3], 0 offset:300
	buffer_load_dword v134, off, s[0:3], 0 offset:296
	s_waitcnt vmcnt(2)
	v_fmac_f64_e32 v[126:127], v[130:131], v[132:133]
	ds_read2_b64 v[130:133], v128 offset0:99 offset1:100
	s_waitcnt vmcnt(0) lgkmcnt(0)
	v_fmac_f64_e32 v[126:127], v[134:135], v[130:131]
	buffer_load_dword v131, off, s[0:3], 0 offset:308
	buffer_load_dword v130, off, s[0:3], 0 offset:304
	buffer_load_dword v135, off, s[0:3], 0 offset:316
	buffer_load_dword v134, off, s[0:3], 0 offset:312
	s_waitcnt vmcnt(2)
	v_fmac_f64_e32 v[126:127], v[130:131], v[132:133]
	ds_read2_b64 v[130:133], v128 offset0:101 offset1:102
	s_waitcnt vmcnt(0) lgkmcnt(0)
	v_fmac_f64_e32 v[126:127], v[134:135], v[130:131]
	buffer_load_dword v131, off, s[0:3], 0 offset:324
	buffer_load_dword v130, off, s[0:3], 0 offset:320
	buffer_load_dword v135, off, s[0:3], 0 offset:332
	buffer_load_dword v134, off, s[0:3], 0 offset:328
	s_waitcnt vmcnt(2)
	v_fmac_f64_e32 v[126:127], v[130:131], v[132:133]
	ds_read2_b64 v[130:133], v128 offset0:103 offset1:104
	s_waitcnt vmcnt(0) lgkmcnt(0)
	v_fmac_f64_e32 v[126:127], v[134:135], v[130:131]
	buffer_load_dword v131, off, s[0:3], 0 offset:340
	buffer_load_dword v130, off, s[0:3], 0 offset:336
	buffer_load_dword v135, off, s[0:3], 0 offset:348
	buffer_load_dword v134, off, s[0:3], 0 offset:344
	s_waitcnt vmcnt(2)
	v_fmac_f64_e32 v[126:127], v[130:131], v[132:133]
	ds_read2_b64 v[130:133], v128 offset0:105 offset1:106
	s_waitcnt vmcnt(0) lgkmcnt(0)
	v_fmac_f64_e32 v[126:127], v[134:135], v[130:131]
	buffer_load_dword v131, off, s[0:3], 0 offset:356
	buffer_load_dword v130, off, s[0:3], 0 offset:352
	buffer_load_dword v135, off, s[0:3], 0 offset:364
	buffer_load_dword v134, off, s[0:3], 0 offset:360
	s_waitcnt vmcnt(2)
	v_fmac_f64_e32 v[126:127], v[130:131], v[132:133]
	ds_read2_b64 v[130:133], v128 offset0:107 offset1:108
	s_waitcnt vmcnt(0) lgkmcnt(0)
	v_fmac_f64_e32 v[126:127], v[134:135], v[130:131]
	buffer_load_dword v131, off, s[0:3], 0 offset:372
	buffer_load_dword v130, off, s[0:3], 0 offset:368
	buffer_load_dword v135, off, s[0:3], 0 offset:380
	buffer_load_dword v134, off, s[0:3], 0 offset:376
	s_waitcnt vmcnt(2)
	v_fmac_f64_e32 v[126:127], v[130:131], v[132:133]
	ds_read2_b64 v[130:133], v128 offset0:109 offset1:110
	s_waitcnt vmcnt(0) lgkmcnt(0)
	v_fmac_f64_e32 v[126:127], v[134:135], v[130:131]
	buffer_load_dword v131, off, s[0:3], 0 offset:388
	buffer_load_dword v130, off, s[0:3], 0 offset:384
	buffer_load_dword v135, off, s[0:3], 0 offset:396
	buffer_load_dword v134, off, s[0:3], 0 offset:392
	s_waitcnt vmcnt(2)
	v_fmac_f64_e32 v[126:127], v[130:131], v[132:133]
	ds_read2_b64 v[130:133], v128 offset0:111 offset1:112
	s_waitcnt vmcnt(0) lgkmcnt(0)
	v_fmac_f64_e32 v[126:127], v[134:135], v[130:131]
	buffer_load_dword v131, off, s[0:3], 0 offset:404
	buffer_load_dword v130, off, s[0:3], 0 offset:400
	buffer_load_dword v135, off, s[0:3], 0 offset:412
	buffer_load_dword v134, off, s[0:3], 0 offset:408
	s_waitcnt vmcnt(2)
	v_fmac_f64_e32 v[126:127], v[130:131], v[132:133]
	ds_read2_b64 v[130:133], v128 offset0:113 offset1:114
	s_waitcnt vmcnt(0) lgkmcnt(0)
	v_fmac_f64_e32 v[126:127], v[134:135], v[130:131]
	buffer_load_dword v131, off, s[0:3], 0 offset:420
	buffer_load_dword v130, off, s[0:3], 0 offset:416
	buffer_load_dword v135, off, s[0:3], 0 offset:428
	buffer_load_dword v134, off, s[0:3], 0 offset:424
	s_waitcnt vmcnt(2)
	v_fmac_f64_e32 v[126:127], v[130:131], v[132:133]
	ds_read2_b64 v[130:133], v128 offset0:115 offset1:116
	s_waitcnt vmcnt(0) lgkmcnt(0)
	v_fmac_f64_e32 v[126:127], v[134:135], v[130:131]
	buffer_load_dword v131, off, s[0:3], 0 offset:436
	buffer_load_dword v130, off, s[0:3], 0 offset:432
	buffer_load_dword v135, off, s[0:3], 0 offset:444
	buffer_load_dword v134, off, s[0:3], 0 offset:440
	s_waitcnt vmcnt(2)
	v_fmac_f64_e32 v[126:127], v[130:131], v[132:133]
	ds_read2_b64 v[130:133], v128 offset0:117 offset1:118
	s_waitcnt vmcnt(0) lgkmcnt(0)
	v_fmac_f64_e32 v[126:127], v[134:135], v[130:131]
	buffer_load_dword v131, off, s[0:3], 0 offset:452
	buffer_load_dword v130, off, s[0:3], 0 offset:448
	buffer_load_dword v135, off, s[0:3], 0 offset:460
	buffer_load_dword v134, off, s[0:3], 0 offset:456
	s_waitcnt vmcnt(2)
	v_fmac_f64_e32 v[126:127], v[130:131], v[132:133]
	ds_read2_b64 v[130:133], v128 offset0:119 offset1:120
	s_waitcnt vmcnt(0) lgkmcnt(0)
	v_fmac_f64_e32 v[126:127], v[134:135], v[130:131]
	buffer_load_dword v131, off, s[0:3], 0 offset:468
	buffer_load_dword v130, off, s[0:3], 0 offset:464
	s_waitcnt vmcnt(0)
	v_fmac_f64_e32 v[126:127], v[130:131], v[132:133]
	buffer_load_dword v133, off, s[0:3], 0 offset:476
	buffer_load_dword v132, off, s[0:3], 0 offset:472
	ds_read2_b64 v[128:131], v128 offset0:121 offset1:122
	s_waitcnt vmcnt(0) lgkmcnt(0)
	v_fmac_f64_e32 v[126:127], v[132:133], v[128:129]
	buffer_load_dword v129, off, s[0:3], 0 offset:484
	buffer_load_dword v128, off, s[0:3], 0 offset:480
	s_waitcnt vmcnt(0)
	v_fmac_f64_e32 v[126:127], v[128:129], v[130:131]
	v_add_f64 v[124:125], v[124:125], -v[126:127]
	buffer_store_dword v125, off, s[0:3], 0 offset:228
	buffer_store_dword v124, off, s[0:3], 0 offset:224
	s_and_saveexec_b64 s[4:5], vcc
	s_cbranch_execz .LBB60_319
; %bb.318:
	buffer_load_dword v124, off, s[0:3], 0 offset:216
	buffer_load_dword v125, off, s[0:3], 0 offset:220
	v_mov_b32_e32 v126, 0
	buffer_store_dword v126, off, s[0:3], 0 offset:216
	buffer_store_dword v126, off, s[0:3], 0 offset:220
	s_waitcnt vmcnt(2)
	ds_write_b64 v1, v[124:125]
.LBB60_319:
	s_or_b64 exec, exec, s[4:5]
	s_waitcnt lgkmcnt(0)
	; wave barrier
	s_waitcnt lgkmcnt(0)
	buffer_load_dword v124, off, s[0:3], 0 offset:216
	buffer_load_dword v125, off, s[0:3], 0 offset:220
	;; [unrolled: 1-line block ×16, first 2 shown]
	v_mov_b32_e32 v128, 0
	ds_read_b128 v[130:133], v128 offset:720
	ds_read_b128 v[134:137], v128 offset:736
	;; [unrolled: 1-line block ×4, first 2 shown]
	v_cmp_lt_u32_e32 vcc, 26, v0
	s_waitcnt vmcnt(12) lgkmcnt(3)
	v_fma_f64 v[126:127], v[126:127], v[130:131], 0
	buffer_load_dword v131, off, s[0:3], 0 offset:284
	buffer_load_dword v130, off, s[0:3], 0 offset:280
	s_waitcnt vmcnt(12)
	v_fmac_f64_e32 v[126:127], v[146:147], v[132:133]
	s_waitcnt vmcnt(10) lgkmcnt(2)
	v_fmac_f64_e32 v[126:127], v[148:149], v[134:135]
	buffer_load_dword v135, off, s[0:3], 0 offset:292
	buffer_load_dword v134, off, s[0:3], 0 offset:288
	s_waitcnt vmcnt(10)
	v_fmac_f64_e32 v[126:127], v[150:151], v[136:137]
	s_waitcnt vmcnt(8) lgkmcnt(1)
	v_fmac_f64_e32 v[126:127], v[152:153], v[138:139]
	s_waitcnt vmcnt(6)
	v_fmac_f64_e32 v[126:127], v[154:155], v[140:141]
	s_waitcnt vmcnt(4) lgkmcnt(0)
	v_fmac_f64_e32 v[126:127], v[156:157], v[142:143]
	s_waitcnt vmcnt(2)
	v_fmac_f64_e32 v[126:127], v[130:131], v[144:145]
	ds_read_b128 v[130:133], v128 offset:784
	s_waitcnt vmcnt(0) lgkmcnt(0)
	v_fmac_f64_e32 v[126:127], v[134:135], v[130:131]
	buffer_load_dword v131, off, s[0:3], 0 offset:300
	buffer_load_dword v130, off, s[0:3], 0 offset:296
	buffer_load_dword v135, off, s[0:3], 0 offset:308
	buffer_load_dword v134, off, s[0:3], 0 offset:304
	s_waitcnt vmcnt(2)
	v_fmac_f64_e32 v[126:127], v[130:131], v[132:133]
	ds_read_b128 v[130:133], v128 offset:800
	s_waitcnt vmcnt(0) lgkmcnt(0)
	v_fmac_f64_e32 v[126:127], v[134:135], v[130:131]
	buffer_load_dword v131, off, s[0:3], 0 offset:316
	buffer_load_dword v130, off, s[0:3], 0 offset:312
	buffer_load_dword v135, off, s[0:3], 0 offset:324
	buffer_load_dword v134, off, s[0:3], 0 offset:320
	;; [unrolled: 9-line block ×11, first 2 shown]
	s_waitcnt vmcnt(2)
	v_fmac_f64_e32 v[126:127], v[130:131], v[132:133]
	ds_read_b128 v[130:133], v128 offset:960
	s_waitcnt vmcnt(0) lgkmcnt(0)
	v_fmac_f64_e32 v[126:127], v[134:135], v[130:131]
	buffer_load_dword v131, off, s[0:3], 0 offset:476
	buffer_load_dword v130, off, s[0:3], 0 offset:472
	s_waitcnt vmcnt(0)
	v_fmac_f64_e32 v[126:127], v[130:131], v[132:133]
	buffer_load_dword v131, off, s[0:3], 0 offset:484
	buffer_load_dword v130, off, s[0:3], 0 offset:480
	ds_read_b64 v[132:133], v128 offset:976
	s_waitcnt vmcnt(0) lgkmcnt(0)
	v_fmac_f64_e32 v[126:127], v[130:131], v[132:133]
	v_add_f64 v[124:125], v[124:125], -v[126:127]
	buffer_store_dword v125, off, s[0:3], 0 offset:220
	buffer_store_dword v124, off, s[0:3], 0 offset:216
	s_and_saveexec_b64 s[4:5], vcc
	s_cbranch_execz .LBB60_321
; %bb.320:
	buffer_load_dword v124, off, s[0:3], 0 offset:208
	buffer_load_dword v125, off, s[0:3], 0 offset:212
	s_waitcnt vmcnt(0)
	ds_write_b64 v1, v[124:125]
	buffer_store_dword v128, off, s[0:3], 0 offset:208
	buffer_store_dword v128, off, s[0:3], 0 offset:212
.LBB60_321:
	s_or_b64 exec, exec, s[4:5]
	s_waitcnt lgkmcnt(0)
	; wave barrier
	s_waitcnt lgkmcnt(0)
	buffer_load_dword v124, off, s[0:3], 0 offset:208
	buffer_load_dword v125, off, s[0:3], 0 offset:212
	;; [unrolled: 1-line block ×16, first 2 shown]
	ds_read2_b64 v[130:133], v128 offset0:89 offset1:90
	v_cmp_lt_u32_e32 vcc, 25, v0
	s_waitcnt vmcnt(12) lgkmcnt(0)
	v_fma_f64 v[126:127], v[126:127], v[130:131], 0
	s_waitcnt vmcnt(10)
	v_fmac_f64_e32 v[126:127], v[134:135], v[132:133]
	ds_read2_b64 v[130:133], v128 offset0:91 offset1:92
	s_waitcnt vmcnt(8) lgkmcnt(0)
	v_fmac_f64_e32 v[126:127], v[136:137], v[130:131]
	s_waitcnt vmcnt(6)
	v_fmac_f64_e32 v[126:127], v[138:139], v[132:133]
	ds_read2_b64 v[130:133], v128 offset0:93 offset1:94
	s_waitcnt vmcnt(4) lgkmcnt(0)
	v_fmac_f64_e32 v[126:127], v[140:141], v[130:131]
	;; [unrolled: 5-line block ×3, first 2 shown]
	buffer_load_dword v131, off, s[0:3], 0 offset:276
	buffer_load_dword v130, off, s[0:3], 0 offset:272
	buffer_load_dword v135, off, s[0:3], 0 offset:284
	buffer_load_dword v134, off, s[0:3], 0 offset:280
	s_waitcnt vmcnt(2)
	v_fmac_f64_e32 v[126:127], v[130:131], v[132:133]
	ds_read2_b64 v[130:133], v128 offset0:97 offset1:98
	s_waitcnt vmcnt(0) lgkmcnt(0)
	v_fmac_f64_e32 v[126:127], v[134:135], v[130:131]
	buffer_load_dword v131, off, s[0:3], 0 offset:292
	buffer_load_dword v130, off, s[0:3], 0 offset:288
	buffer_load_dword v135, off, s[0:3], 0 offset:300
	buffer_load_dword v134, off, s[0:3], 0 offset:296
	s_waitcnt vmcnt(2)
	v_fmac_f64_e32 v[126:127], v[130:131], v[132:133]
	ds_read2_b64 v[130:133], v128 offset0:99 offset1:100
	s_waitcnt vmcnt(0) lgkmcnt(0)
	v_fmac_f64_e32 v[126:127], v[134:135], v[130:131]
	;; [unrolled: 9-line block ×12, first 2 shown]
	buffer_load_dword v131, off, s[0:3], 0 offset:468
	buffer_load_dword v130, off, s[0:3], 0 offset:464
	s_waitcnt vmcnt(0)
	v_fmac_f64_e32 v[126:127], v[130:131], v[132:133]
	buffer_load_dword v133, off, s[0:3], 0 offset:476
	buffer_load_dword v132, off, s[0:3], 0 offset:472
	ds_read2_b64 v[128:131], v128 offset0:121 offset1:122
	s_waitcnt vmcnt(0) lgkmcnt(0)
	v_fmac_f64_e32 v[126:127], v[132:133], v[128:129]
	buffer_load_dword v129, off, s[0:3], 0 offset:484
	buffer_load_dword v128, off, s[0:3], 0 offset:480
	s_waitcnt vmcnt(0)
	v_fmac_f64_e32 v[126:127], v[128:129], v[130:131]
	v_add_f64 v[124:125], v[124:125], -v[126:127]
	buffer_store_dword v125, off, s[0:3], 0 offset:212
	buffer_store_dword v124, off, s[0:3], 0 offset:208
	s_and_saveexec_b64 s[4:5], vcc
	s_cbranch_execz .LBB60_323
; %bb.322:
	buffer_load_dword v124, off, s[0:3], 0 offset:200
	buffer_load_dword v125, off, s[0:3], 0 offset:204
	v_mov_b32_e32 v126, 0
	buffer_store_dword v126, off, s[0:3], 0 offset:200
	buffer_store_dword v126, off, s[0:3], 0 offset:204
	s_waitcnt vmcnt(2)
	ds_write_b64 v1, v[124:125]
.LBB60_323:
	s_or_b64 exec, exec, s[4:5]
	s_waitcnt lgkmcnt(0)
	; wave barrier
	s_waitcnt lgkmcnt(0)
	buffer_load_dword v124, off, s[0:3], 0 offset:200
	buffer_load_dword v125, off, s[0:3], 0 offset:204
	;; [unrolled: 1-line block ×16, first 2 shown]
	v_mov_b32_e32 v128, 0
	ds_read_b128 v[130:133], v128 offset:704
	ds_read_b128 v[134:137], v128 offset:720
	;; [unrolled: 1-line block ×4, first 2 shown]
	v_cmp_lt_u32_e32 vcc, 24, v0
	s_waitcnt vmcnt(12) lgkmcnt(3)
	v_fma_f64 v[126:127], v[126:127], v[130:131], 0
	buffer_load_dword v131, off, s[0:3], 0 offset:268
	buffer_load_dword v130, off, s[0:3], 0 offset:264
	s_waitcnt vmcnt(12)
	v_fmac_f64_e32 v[126:127], v[146:147], v[132:133]
	s_waitcnt vmcnt(10) lgkmcnt(2)
	v_fmac_f64_e32 v[126:127], v[148:149], v[134:135]
	buffer_load_dword v135, off, s[0:3], 0 offset:276
	buffer_load_dword v134, off, s[0:3], 0 offset:272
	s_waitcnt vmcnt(10)
	v_fmac_f64_e32 v[126:127], v[150:151], v[136:137]
	s_waitcnt vmcnt(8) lgkmcnt(1)
	v_fmac_f64_e32 v[126:127], v[152:153], v[138:139]
	s_waitcnt vmcnt(6)
	v_fmac_f64_e32 v[126:127], v[154:155], v[140:141]
	s_waitcnt vmcnt(4) lgkmcnt(0)
	v_fmac_f64_e32 v[126:127], v[156:157], v[142:143]
	s_waitcnt vmcnt(2)
	v_fmac_f64_e32 v[126:127], v[130:131], v[144:145]
	ds_read_b128 v[130:133], v128 offset:768
	s_waitcnt vmcnt(0) lgkmcnt(0)
	v_fmac_f64_e32 v[126:127], v[134:135], v[130:131]
	buffer_load_dword v131, off, s[0:3], 0 offset:284
	buffer_load_dword v130, off, s[0:3], 0 offset:280
	buffer_load_dword v135, off, s[0:3], 0 offset:292
	buffer_load_dword v134, off, s[0:3], 0 offset:288
	s_waitcnt vmcnt(2)
	v_fmac_f64_e32 v[126:127], v[130:131], v[132:133]
	ds_read_b128 v[130:133], v128 offset:784
	s_waitcnt vmcnt(0) lgkmcnt(0)
	v_fmac_f64_e32 v[126:127], v[134:135], v[130:131]
	buffer_load_dword v131, off, s[0:3], 0 offset:300
	buffer_load_dword v130, off, s[0:3], 0 offset:296
	buffer_load_dword v135, off, s[0:3], 0 offset:308
	buffer_load_dword v134, off, s[0:3], 0 offset:304
	;; [unrolled: 9-line block ×12, first 2 shown]
	s_waitcnt vmcnt(2)
	v_fmac_f64_e32 v[126:127], v[130:131], v[132:133]
	ds_read_b128 v[130:133], v128 offset:960
	s_waitcnt vmcnt(0) lgkmcnt(0)
	v_fmac_f64_e32 v[126:127], v[134:135], v[130:131]
	buffer_load_dword v131, off, s[0:3], 0 offset:476
	buffer_load_dword v130, off, s[0:3], 0 offset:472
	s_waitcnt vmcnt(0)
	v_fmac_f64_e32 v[126:127], v[130:131], v[132:133]
	buffer_load_dword v131, off, s[0:3], 0 offset:484
	buffer_load_dword v130, off, s[0:3], 0 offset:480
	ds_read_b64 v[132:133], v128 offset:976
	s_waitcnt vmcnt(0) lgkmcnt(0)
	v_fmac_f64_e32 v[126:127], v[130:131], v[132:133]
	v_add_f64 v[124:125], v[124:125], -v[126:127]
	buffer_store_dword v125, off, s[0:3], 0 offset:204
	buffer_store_dword v124, off, s[0:3], 0 offset:200
	s_and_saveexec_b64 s[4:5], vcc
	s_cbranch_execz .LBB60_325
; %bb.324:
	buffer_load_dword v124, off, s[0:3], 0 offset:192
	buffer_load_dword v125, off, s[0:3], 0 offset:196
	s_waitcnt vmcnt(0)
	ds_write_b64 v1, v[124:125]
	buffer_store_dword v128, off, s[0:3], 0 offset:192
	buffer_store_dword v128, off, s[0:3], 0 offset:196
.LBB60_325:
	s_or_b64 exec, exec, s[4:5]
	s_waitcnt lgkmcnt(0)
	; wave barrier
	s_waitcnt lgkmcnt(0)
	buffer_load_dword v124, off, s[0:3], 0 offset:192
	buffer_load_dword v125, off, s[0:3], 0 offset:196
	;; [unrolled: 1-line block ×16, first 2 shown]
	ds_read2_b64 v[130:133], v128 offset0:87 offset1:88
	v_cmp_lt_u32_e32 vcc, 23, v0
	s_waitcnt vmcnt(12) lgkmcnt(0)
	v_fma_f64 v[126:127], v[126:127], v[130:131], 0
	s_waitcnt vmcnt(10)
	v_fmac_f64_e32 v[126:127], v[134:135], v[132:133]
	ds_read2_b64 v[130:133], v128 offset0:89 offset1:90
	s_waitcnt vmcnt(8) lgkmcnt(0)
	v_fmac_f64_e32 v[126:127], v[136:137], v[130:131]
	s_waitcnt vmcnt(6)
	v_fmac_f64_e32 v[126:127], v[138:139], v[132:133]
	ds_read2_b64 v[130:133], v128 offset0:91 offset1:92
	s_waitcnt vmcnt(4) lgkmcnt(0)
	v_fmac_f64_e32 v[126:127], v[140:141], v[130:131]
	;; [unrolled: 5-line block ×3, first 2 shown]
	buffer_load_dword v131, off, s[0:3], 0 offset:260
	buffer_load_dword v130, off, s[0:3], 0 offset:256
	buffer_load_dword v135, off, s[0:3], 0 offset:268
	buffer_load_dword v134, off, s[0:3], 0 offset:264
	s_waitcnt vmcnt(2)
	v_fmac_f64_e32 v[126:127], v[130:131], v[132:133]
	ds_read2_b64 v[130:133], v128 offset0:95 offset1:96
	s_waitcnt vmcnt(0) lgkmcnt(0)
	v_fmac_f64_e32 v[126:127], v[134:135], v[130:131]
	buffer_load_dword v131, off, s[0:3], 0 offset:276
	buffer_load_dword v130, off, s[0:3], 0 offset:272
	buffer_load_dword v135, off, s[0:3], 0 offset:284
	buffer_load_dword v134, off, s[0:3], 0 offset:280
	s_waitcnt vmcnt(2)
	v_fmac_f64_e32 v[126:127], v[130:131], v[132:133]
	ds_read2_b64 v[130:133], v128 offset0:97 offset1:98
	s_waitcnt vmcnt(0) lgkmcnt(0)
	v_fmac_f64_e32 v[126:127], v[134:135], v[130:131]
	;; [unrolled: 9-line block ×13, first 2 shown]
	buffer_load_dword v131, off, s[0:3], 0 offset:468
	buffer_load_dword v130, off, s[0:3], 0 offset:464
	s_waitcnt vmcnt(0)
	v_fmac_f64_e32 v[126:127], v[130:131], v[132:133]
	buffer_load_dword v133, off, s[0:3], 0 offset:476
	buffer_load_dword v132, off, s[0:3], 0 offset:472
	ds_read2_b64 v[128:131], v128 offset0:121 offset1:122
	s_waitcnt vmcnt(0) lgkmcnt(0)
	v_fmac_f64_e32 v[126:127], v[132:133], v[128:129]
	buffer_load_dword v129, off, s[0:3], 0 offset:484
	buffer_load_dword v128, off, s[0:3], 0 offset:480
	s_waitcnt vmcnt(0)
	v_fmac_f64_e32 v[126:127], v[128:129], v[130:131]
	v_add_f64 v[124:125], v[124:125], -v[126:127]
	buffer_store_dword v125, off, s[0:3], 0 offset:196
	buffer_store_dword v124, off, s[0:3], 0 offset:192
	s_and_saveexec_b64 s[4:5], vcc
	s_cbranch_execz .LBB60_327
; %bb.326:
	buffer_load_dword v124, off, s[0:3], 0 offset:184
	buffer_load_dword v125, off, s[0:3], 0 offset:188
	v_mov_b32_e32 v126, 0
	buffer_store_dword v126, off, s[0:3], 0 offset:184
	buffer_store_dword v126, off, s[0:3], 0 offset:188
	s_waitcnt vmcnt(2)
	ds_write_b64 v1, v[124:125]
.LBB60_327:
	s_or_b64 exec, exec, s[4:5]
	s_waitcnt lgkmcnt(0)
	; wave barrier
	s_waitcnt lgkmcnt(0)
	buffer_load_dword v124, off, s[0:3], 0 offset:184
	buffer_load_dword v125, off, s[0:3], 0 offset:188
	;; [unrolled: 1-line block ×16, first 2 shown]
	v_mov_b32_e32 v128, 0
	ds_read_b128 v[130:133], v128 offset:688
	ds_read_b128 v[134:137], v128 offset:704
	;; [unrolled: 1-line block ×4, first 2 shown]
	v_cmp_lt_u32_e32 vcc, 22, v0
	s_waitcnt vmcnt(12) lgkmcnt(3)
	v_fma_f64 v[126:127], v[126:127], v[130:131], 0
	buffer_load_dword v131, off, s[0:3], 0 offset:252
	buffer_load_dword v130, off, s[0:3], 0 offset:248
	s_waitcnt vmcnt(12)
	v_fmac_f64_e32 v[126:127], v[146:147], v[132:133]
	s_waitcnt vmcnt(10) lgkmcnt(2)
	v_fmac_f64_e32 v[126:127], v[148:149], v[134:135]
	buffer_load_dword v135, off, s[0:3], 0 offset:260
	buffer_load_dword v134, off, s[0:3], 0 offset:256
	s_waitcnt vmcnt(10)
	v_fmac_f64_e32 v[126:127], v[150:151], v[136:137]
	s_waitcnt vmcnt(8) lgkmcnt(1)
	v_fmac_f64_e32 v[126:127], v[152:153], v[138:139]
	s_waitcnt vmcnt(6)
	v_fmac_f64_e32 v[126:127], v[154:155], v[140:141]
	s_waitcnt vmcnt(4) lgkmcnt(0)
	v_fmac_f64_e32 v[126:127], v[156:157], v[142:143]
	s_waitcnt vmcnt(2)
	v_fmac_f64_e32 v[126:127], v[130:131], v[144:145]
	ds_read_b128 v[130:133], v128 offset:752
	s_waitcnt vmcnt(0) lgkmcnt(0)
	v_fmac_f64_e32 v[126:127], v[134:135], v[130:131]
	buffer_load_dword v131, off, s[0:3], 0 offset:268
	buffer_load_dword v130, off, s[0:3], 0 offset:264
	buffer_load_dword v135, off, s[0:3], 0 offset:276
	buffer_load_dword v134, off, s[0:3], 0 offset:272
	s_waitcnt vmcnt(2)
	v_fmac_f64_e32 v[126:127], v[130:131], v[132:133]
	ds_read_b128 v[130:133], v128 offset:768
	s_waitcnt vmcnt(0) lgkmcnt(0)
	v_fmac_f64_e32 v[126:127], v[134:135], v[130:131]
	buffer_load_dword v131, off, s[0:3], 0 offset:284
	buffer_load_dword v130, off, s[0:3], 0 offset:280
	buffer_load_dword v135, off, s[0:3], 0 offset:292
	buffer_load_dword v134, off, s[0:3], 0 offset:288
	;; [unrolled: 9-line block ×13, first 2 shown]
	s_waitcnt vmcnt(2)
	v_fmac_f64_e32 v[126:127], v[130:131], v[132:133]
	ds_read_b128 v[130:133], v128 offset:960
	s_waitcnt vmcnt(0) lgkmcnt(0)
	v_fmac_f64_e32 v[126:127], v[134:135], v[130:131]
	buffer_load_dword v131, off, s[0:3], 0 offset:476
	buffer_load_dword v130, off, s[0:3], 0 offset:472
	s_waitcnt vmcnt(0)
	v_fmac_f64_e32 v[126:127], v[130:131], v[132:133]
	buffer_load_dword v131, off, s[0:3], 0 offset:484
	buffer_load_dword v130, off, s[0:3], 0 offset:480
	ds_read_b64 v[132:133], v128 offset:976
	s_waitcnt vmcnt(0) lgkmcnt(0)
	v_fmac_f64_e32 v[126:127], v[130:131], v[132:133]
	v_add_f64 v[124:125], v[124:125], -v[126:127]
	buffer_store_dword v125, off, s[0:3], 0 offset:188
	buffer_store_dword v124, off, s[0:3], 0 offset:184
	s_and_saveexec_b64 s[4:5], vcc
	s_cbranch_execz .LBB60_329
; %bb.328:
	buffer_load_dword v124, off, s[0:3], 0 offset:176
	buffer_load_dword v125, off, s[0:3], 0 offset:180
	s_waitcnt vmcnt(0)
	ds_write_b64 v1, v[124:125]
	buffer_store_dword v128, off, s[0:3], 0 offset:176
	buffer_store_dword v128, off, s[0:3], 0 offset:180
.LBB60_329:
	s_or_b64 exec, exec, s[4:5]
	s_waitcnt lgkmcnt(0)
	; wave barrier
	s_waitcnt lgkmcnt(0)
	buffer_load_dword v124, off, s[0:3], 0 offset:176
	buffer_load_dword v125, off, s[0:3], 0 offset:180
	;; [unrolled: 1-line block ×16, first 2 shown]
	ds_read2_b64 v[130:133], v128 offset0:85 offset1:86
	v_cmp_lt_u32_e32 vcc, 21, v0
	s_waitcnt vmcnt(12) lgkmcnt(0)
	v_fma_f64 v[126:127], v[126:127], v[130:131], 0
	s_waitcnt vmcnt(10)
	v_fmac_f64_e32 v[126:127], v[134:135], v[132:133]
	ds_read2_b64 v[130:133], v128 offset0:87 offset1:88
	s_waitcnt vmcnt(8) lgkmcnt(0)
	v_fmac_f64_e32 v[126:127], v[136:137], v[130:131]
	s_waitcnt vmcnt(6)
	v_fmac_f64_e32 v[126:127], v[138:139], v[132:133]
	ds_read2_b64 v[130:133], v128 offset0:89 offset1:90
	s_waitcnt vmcnt(4) lgkmcnt(0)
	v_fmac_f64_e32 v[126:127], v[140:141], v[130:131]
	s_waitcnt vmcnt(2)
	v_fmac_f64_e32 v[126:127], v[142:143], v[132:133]
	ds_read2_b64 v[130:133], v128 offset0:91 offset1:92
	s_waitcnt vmcnt(0) lgkmcnt(0)
	v_fmac_f64_e32 v[126:127], v[144:145], v[130:131]
	buffer_load_dword v131, off, s[0:3], 0 offset:244
	buffer_load_dword v130, off, s[0:3], 0 offset:240
	buffer_load_dword v135, off, s[0:3], 0 offset:252
	buffer_load_dword v134, off, s[0:3], 0 offset:248
	s_waitcnt vmcnt(2)
	v_fmac_f64_e32 v[126:127], v[130:131], v[132:133]
	ds_read2_b64 v[130:133], v128 offset0:93 offset1:94
	s_waitcnt vmcnt(0) lgkmcnt(0)
	v_fmac_f64_e32 v[126:127], v[134:135], v[130:131]
	buffer_load_dword v131, off, s[0:3], 0 offset:260
	buffer_load_dword v130, off, s[0:3], 0 offset:256
	buffer_load_dword v135, off, s[0:3], 0 offset:268
	buffer_load_dword v134, off, s[0:3], 0 offset:264
	s_waitcnt vmcnt(2)
	v_fmac_f64_e32 v[126:127], v[130:131], v[132:133]
	ds_read2_b64 v[130:133], v128 offset0:95 offset1:96
	s_waitcnt vmcnt(0) lgkmcnt(0)
	v_fmac_f64_e32 v[126:127], v[134:135], v[130:131]
	;; [unrolled: 9-line block ×14, first 2 shown]
	buffer_load_dword v131, off, s[0:3], 0 offset:468
	buffer_load_dword v130, off, s[0:3], 0 offset:464
	s_waitcnt vmcnt(0)
	v_fmac_f64_e32 v[126:127], v[130:131], v[132:133]
	buffer_load_dword v133, off, s[0:3], 0 offset:476
	buffer_load_dword v132, off, s[0:3], 0 offset:472
	ds_read2_b64 v[128:131], v128 offset0:121 offset1:122
	s_waitcnt vmcnt(0) lgkmcnt(0)
	v_fmac_f64_e32 v[126:127], v[132:133], v[128:129]
	buffer_load_dword v129, off, s[0:3], 0 offset:484
	buffer_load_dword v128, off, s[0:3], 0 offset:480
	s_waitcnt vmcnt(0)
	v_fmac_f64_e32 v[126:127], v[128:129], v[130:131]
	v_add_f64 v[124:125], v[124:125], -v[126:127]
	buffer_store_dword v125, off, s[0:3], 0 offset:180
	buffer_store_dword v124, off, s[0:3], 0 offset:176
	s_and_saveexec_b64 s[4:5], vcc
	s_cbranch_execz .LBB60_331
; %bb.330:
	buffer_load_dword v124, off, s[0:3], 0 offset:168
	buffer_load_dword v125, off, s[0:3], 0 offset:172
	v_mov_b32_e32 v126, 0
	buffer_store_dword v126, off, s[0:3], 0 offset:168
	buffer_store_dword v126, off, s[0:3], 0 offset:172
	s_waitcnt vmcnt(2)
	ds_write_b64 v1, v[124:125]
.LBB60_331:
	s_or_b64 exec, exec, s[4:5]
	s_waitcnt lgkmcnt(0)
	; wave barrier
	s_waitcnt lgkmcnt(0)
	buffer_load_dword v124, off, s[0:3], 0 offset:168
	buffer_load_dword v125, off, s[0:3], 0 offset:172
	;; [unrolled: 1-line block ×16, first 2 shown]
	v_mov_b32_e32 v128, 0
	ds_read_b128 v[130:133], v128 offset:672
	ds_read_b128 v[134:137], v128 offset:688
	;; [unrolled: 1-line block ×4, first 2 shown]
	v_cmp_lt_u32_e32 vcc, 20, v0
	s_waitcnt vmcnt(12) lgkmcnt(3)
	v_fma_f64 v[126:127], v[126:127], v[130:131], 0
	buffer_load_dword v131, off, s[0:3], 0 offset:236
	buffer_load_dword v130, off, s[0:3], 0 offset:232
	s_waitcnt vmcnt(12)
	v_fmac_f64_e32 v[126:127], v[146:147], v[132:133]
	s_waitcnt vmcnt(10) lgkmcnt(2)
	v_fmac_f64_e32 v[126:127], v[148:149], v[134:135]
	buffer_load_dword v135, off, s[0:3], 0 offset:244
	buffer_load_dword v134, off, s[0:3], 0 offset:240
	s_waitcnt vmcnt(10)
	v_fmac_f64_e32 v[126:127], v[150:151], v[136:137]
	s_waitcnt vmcnt(8) lgkmcnt(1)
	v_fmac_f64_e32 v[126:127], v[152:153], v[138:139]
	s_waitcnt vmcnt(6)
	v_fmac_f64_e32 v[126:127], v[154:155], v[140:141]
	s_waitcnt vmcnt(4) lgkmcnt(0)
	v_fmac_f64_e32 v[126:127], v[156:157], v[142:143]
	s_waitcnt vmcnt(2)
	v_fmac_f64_e32 v[126:127], v[130:131], v[144:145]
	ds_read_b128 v[130:133], v128 offset:736
	s_waitcnt vmcnt(0) lgkmcnt(0)
	v_fmac_f64_e32 v[126:127], v[134:135], v[130:131]
	buffer_load_dword v131, off, s[0:3], 0 offset:252
	buffer_load_dword v130, off, s[0:3], 0 offset:248
	buffer_load_dword v135, off, s[0:3], 0 offset:260
	buffer_load_dword v134, off, s[0:3], 0 offset:256
	s_waitcnt vmcnt(2)
	v_fmac_f64_e32 v[126:127], v[130:131], v[132:133]
	ds_read_b128 v[130:133], v128 offset:752
	s_waitcnt vmcnt(0) lgkmcnt(0)
	v_fmac_f64_e32 v[126:127], v[134:135], v[130:131]
	buffer_load_dword v131, off, s[0:3], 0 offset:268
	buffer_load_dword v130, off, s[0:3], 0 offset:264
	buffer_load_dword v135, off, s[0:3], 0 offset:276
	buffer_load_dword v134, off, s[0:3], 0 offset:272
	;; [unrolled: 9-line block ×14, first 2 shown]
	s_waitcnt vmcnt(2)
	v_fmac_f64_e32 v[126:127], v[130:131], v[132:133]
	ds_read_b128 v[130:133], v128 offset:960
	s_waitcnt vmcnt(0) lgkmcnt(0)
	v_fmac_f64_e32 v[126:127], v[134:135], v[130:131]
	buffer_load_dword v131, off, s[0:3], 0 offset:476
	buffer_load_dword v130, off, s[0:3], 0 offset:472
	s_waitcnt vmcnt(0)
	v_fmac_f64_e32 v[126:127], v[130:131], v[132:133]
	buffer_load_dword v131, off, s[0:3], 0 offset:484
	buffer_load_dword v130, off, s[0:3], 0 offset:480
	ds_read_b64 v[132:133], v128 offset:976
	s_waitcnt vmcnt(0) lgkmcnt(0)
	v_fmac_f64_e32 v[126:127], v[130:131], v[132:133]
	v_add_f64 v[124:125], v[124:125], -v[126:127]
	buffer_store_dword v125, off, s[0:3], 0 offset:172
	buffer_store_dword v124, off, s[0:3], 0 offset:168
	s_and_saveexec_b64 s[4:5], vcc
	s_cbranch_execz .LBB60_333
; %bb.332:
	buffer_load_dword v124, off, s[0:3], 0 offset:160
	buffer_load_dword v125, off, s[0:3], 0 offset:164
	s_waitcnt vmcnt(0)
	ds_write_b64 v1, v[124:125]
	buffer_store_dword v128, off, s[0:3], 0 offset:160
	buffer_store_dword v128, off, s[0:3], 0 offset:164
.LBB60_333:
	s_or_b64 exec, exec, s[4:5]
	s_waitcnt lgkmcnt(0)
	; wave barrier
	s_waitcnt lgkmcnt(0)
	buffer_load_dword v124, off, s[0:3], 0 offset:160
	buffer_load_dword v125, off, s[0:3], 0 offset:164
	;; [unrolled: 1-line block ×16, first 2 shown]
	ds_read2_b64 v[130:133], v128 offset0:83 offset1:84
	v_cmp_lt_u32_e32 vcc, 19, v0
	s_waitcnt vmcnt(12) lgkmcnt(0)
	v_fma_f64 v[126:127], v[126:127], v[130:131], 0
	s_waitcnt vmcnt(10)
	v_fmac_f64_e32 v[126:127], v[134:135], v[132:133]
	ds_read2_b64 v[130:133], v128 offset0:85 offset1:86
	s_waitcnt vmcnt(8) lgkmcnt(0)
	v_fmac_f64_e32 v[126:127], v[136:137], v[130:131]
	s_waitcnt vmcnt(6)
	v_fmac_f64_e32 v[126:127], v[138:139], v[132:133]
	ds_read2_b64 v[130:133], v128 offset0:87 offset1:88
	s_waitcnt vmcnt(4) lgkmcnt(0)
	v_fmac_f64_e32 v[126:127], v[140:141], v[130:131]
	;; [unrolled: 5-line block ×3, first 2 shown]
	buffer_load_dword v131, off, s[0:3], 0 offset:228
	buffer_load_dword v130, off, s[0:3], 0 offset:224
	buffer_load_dword v135, off, s[0:3], 0 offset:236
	buffer_load_dword v134, off, s[0:3], 0 offset:232
	s_waitcnt vmcnt(2)
	v_fmac_f64_e32 v[126:127], v[130:131], v[132:133]
	ds_read2_b64 v[130:133], v128 offset0:91 offset1:92
	s_waitcnt vmcnt(0) lgkmcnt(0)
	v_fmac_f64_e32 v[126:127], v[134:135], v[130:131]
	buffer_load_dword v131, off, s[0:3], 0 offset:244
	buffer_load_dword v130, off, s[0:3], 0 offset:240
	buffer_load_dword v135, off, s[0:3], 0 offset:252
	buffer_load_dword v134, off, s[0:3], 0 offset:248
	s_waitcnt vmcnt(2)
	v_fmac_f64_e32 v[126:127], v[130:131], v[132:133]
	ds_read2_b64 v[130:133], v128 offset0:93 offset1:94
	s_waitcnt vmcnt(0) lgkmcnt(0)
	v_fmac_f64_e32 v[126:127], v[134:135], v[130:131]
	;; [unrolled: 9-line block ×15, first 2 shown]
	buffer_load_dword v131, off, s[0:3], 0 offset:468
	buffer_load_dword v130, off, s[0:3], 0 offset:464
	s_waitcnt vmcnt(0)
	v_fmac_f64_e32 v[126:127], v[130:131], v[132:133]
	buffer_load_dword v133, off, s[0:3], 0 offset:476
	buffer_load_dword v132, off, s[0:3], 0 offset:472
	ds_read2_b64 v[128:131], v128 offset0:121 offset1:122
	s_waitcnt vmcnt(0) lgkmcnt(0)
	v_fmac_f64_e32 v[126:127], v[132:133], v[128:129]
	buffer_load_dword v129, off, s[0:3], 0 offset:484
	buffer_load_dword v128, off, s[0:3], 0 offset:480
	s_waitcnt vmcnt(0)
	v_fmac_f64_e32 v[126:127], v[128:129], v[130:131]
	v_add_f64 v[124:125], v[124:125], -v[126:127]
	buffer_store_dword v125, off, s[0:3], 0 offset:164
	buffer_store_dword v124, off, s[0:3], 0 offset:160
	s_and_saveexec_b64 s[4:5], vcc
	s_cbranch_execz .LBB60_335
; %bb.334:
	buffer_load_dword v124, off, s[0:3], 0 offset:152
	buffer_load_dword v125, off, s[0:3], 0 offset:156
	v_mov_b32_e32 v126, 0
	buffer_store_dword v126, off, s[0:3], 0 offset:152
	buffer_store_dword v126, off, s[0:3], 0 offset:156
	s_waitcnt vmcnt(2)
	ds_write_b64 v1, v[124:125]
.LBB60_335:
	s_or_b64 exec, exec, s[4:5]
	s_waitcnt lgkmcnt(0)
	; wave barrier
	s_waitcnt lgkmcnt(0)
	buffer_load_dword v124, off, s[0:3], 0 offset:152
	buffer_load_dword v125, off, s[0:3], 0 offset:156
	;; [unrolled: 1-line block ×16, first 2 shown]
	v_mov_b32_e32 v128, 0
	ds_read_b128 v[130:133], v128 offset:656
	ds_read_b128 v[134:137], v128 offset:672
	;; [unrolled: 1-line block ×4, first 2 shown]
	v_cmp_lt_u32_e32 vcc, 18, v0
	s_waitcnt vmcnt(12) lgkmcnt(3)
	v_fma_f64 v[126:127], v[126:127], v[130:131], 0
	buffer_load_dword v131, off, s[0:3], 0 offset:220
	buffer_load_dword v130, off, s[0:3], 0 offset:216
	s_waitcnt vmcnt(12)
	v_fmac_f64_e32 v[126:127], v[146:147], v[132:133]
	s_waitcnt vmcnt(10) lgkmcnt(2)
	v_fmac_f64_e32 v[126:127], v[148:149], v[134:135]
	buffer_load_dword v135, off, s[0:3], 0 offset:228
	buffer_load_dword v134, off, s[0:3], 0 offset:224
	s_waitcnt vmcnt(10)
	v_fmac_f64_e32 v[126:127], v[150:151], v[136:137]
	s_waitcnt vmcnt(8) lgkmcnt(1)
	v_fmac_f64_e32 v[126:127], v[152:153], v[138:139]
	s_waitcnt vmcnt(6)
	v_fmac_f64_e32 v[126:127], v[154:155], v[140:141]
	s_waitcnt vmcnt(4) lgkmcnt(0)
	v_fmac_f64_e32 v[126:127], v[156:157], v[142:143]
	s_waitcnt vmcnt(2)
	v_fmac_f64_e32 v[126:127], v[130:131], v[144:145]
	ds_read_b128 v[130:133], v128 offset:720
	s_waitcnt vmcnt(0) lgkmcnt(0)
	v_fmac_f64_e32 v[126:127], v[134:135], v[130:131]
	buffer_load_dword v131, off, s[0:3], 0 offset:236
	buffer_load_dword v130, off, s[0:3], 0 offset:232
	buffer_load_dword v135, off, s[0:3], 0 offset:244
	buffer_load_dword v134, off, s[0:3], 0 offset:240
	s_waitcnt vmcnt(2)
	v_fmac_f64_e32 v[126:127], v[130:131], v[132:133]
	ds_read_b128 v[130:133], v128 offset:736
	s_waitcnt vmcnt(0) lgkmcnt(0)
	v_fmac_f64_e32 v[126:127], v[134:135], v[130:131]
	buffer_load_dword v131, off, s[0:3], 0 offset:252
	buffer_load_dword v130, off, s[0:3], 0 offset:248
	buffer_load_dword v135, off, s[0:3], 0 offset:260
	buffer_load_dword v134, off, s[0:3], 0 offset:256
	s_waitcnt vmcnt(2)
	v_fmac_f64_e32 v[126:127], v[130:131], v[132:133]
	ds_read_b128 v[130:133], v128 offset:752
	s_waitcnt vmcnt(0) lgkmcnt(0)
	v_fmac_f64_e32 v[126:127], v[134:135], v[130:131]
	buffer_load_dword v131, off, s[0:3], 0 offset:268
	buffer_load_dword v130, off, s[0:3], 0 offset:264
	buffer_load_dword v135, off, s[0:3], 0 offset:276
	buffer_load_dword v134, off, s[0:3], 0 offset:272
	s_waitcnt vmcnt(2)
	v_fmac_f64_e32 v[126:127], v[130:131], v[132:133]
	ds_read_b128 v[130:133], v128 offset:768
	s_waitcnt vmcnt(0) lgkmcnt(0)
	v_fmac_f64_e32 v[126:127], v[134:135], v[130:131]
	buffer_load_dword v131, off, s[0:3], 0 offset:284
	buffer_load_dword v130, off, s[0:3], 0 offset:280
	buffer_load_dword v135, off, s[0:3], 0 offset:292
	buffer_load_dword v134, off, s[0:3], 0 offset:288
	s_waitcnt vmcnt(2)
	v_fmac_f64_e32 v[126:127], v[130:131], v[132:133]
	ds_read_b128 v[130:133], v128 offset:784
	s_waitcnt vmcnt(0) lgkmcnt(0)
	v_fmac_f64_e32 v[126:127], v[134:135], v[130:131]
	buffer_load_dword v131, off, s[0:3], 0 offset:300
	buffer_load_dword v130, off, s[0:3], 0 offset:296
	buffer_load_dword v135, off, s[0:3], 0 offset:308
	buffer_load_dword v134, off, s[0:3], 0 offset:304
	s_waitcnt vmcnt(2)
	v_fmac_f64_e32 v[126:127], v[130:131], v[132:133]
	ds_read_b128 v[130:133], v128 offset:800
	s_waitcnt vmcnt(0) lgkmcnt(0)
	v_fmac_f64_e32 v[126:127], v[134:135], v[130:131]
	buffer_load_dword v131, off, s[0:3], 0 offset:316
	buffer_load_dword v130, off, s[0:3], 0 offset:312
	buffer_load_dword v135, off, s[0:3], 0 offset:324
	buffer_load_dword v134, off, s[0:3], 0 offset:320
	s_waitcnt vmcnt(2)
	v_fmac_f64_e32 v[126:127], v[130:131], v[132:133]
	ds_read_b128 v[130:133], v128 offset:816
	s_waitcnt vmcnt(0) lgkmcnt(0)
	v_fmac_f64_e32 v[126:127], v[134:135], v[130:131]
	buffer_load_dword v131, off, s[0:3], 0 offset:332
	buffer_load_dword v130, off, s[0:3], 0 offset:328
	buffer_load_dword v135, off, s[0:3], 0 offset:340
	buffer_load_dword v134, off, s[0:3], 0 offset:336
	s_waitcnt vmcnt(2)
	v_fmac_f64_e32 v[126:127], v[130:131], v[132:133]
	ds_read_b128 v[130:133], v128 offset:832
	s_waitcnt vmcnt(0) lgkmcnt(0)
	v_fmac_f64_e32 v[126:127], v[134:135], v[130:131]
	buffer_load_dword v131, off, s[0:3], 0 offset:348
	buffer_load_dword v130, off, s[0:3], 0 offset:344
	buffer_load_dword v135, off, s[0:3], 0 offset:356
	buffer_load_dword v134, off, s[0:3], 0 offset:352
	s_waitcnt vmcnt(2)
	v_fmac_f64_e32 v[126:127], v[130:131], v[132:133]
	ds_read_b128 v[130:133], v128 offset:848
	s_waitcnt vmcnt(0) lgkmcnt(0)
	v_fmac_f64_e32 v[126:127], v[134:135], v[130:131]
	buffer_load_dword v131, off, s[0:3], 0 offset:364
	buffer_load_dword v130, off, s[0:3], 0 offset:360
	buffer_load_dword v135, off, s[0:3], 0 offset:372
	buffer_load_dword v134, off, s[0:3], 0 offset:368
	s_waitcnt vmcnt(2)
	v_fmac_f64_e32 v[126:127], v[130:131], v[132:133]
	ds_read_b128 v[130:133], v128 offset:864
	s_waitcnt vmcnt(0) lgkmcnt(0)
	v_fmac_f64_e32 v[126:127], v[134:135], v[130:131]
	buffer_load_dword v131, off, s[0:3], 0 offset:380
	buffer_load_dword v130, off, s[0:3], 0 offset:376
	buffer_load_dword v135, off, s[0:3], 0 offset:388
	buffer_load_dword v134, off, s[0:3], 0 offset:384
	s_waitcnt vmcnt(2)
	v_fmac_f64_e32 v[126:127], v[130:131], v[132:133]
	ds_read_b128 v[130:133], v128 offset:880
	s_waitcnt vmcnt(0) lgkmcnt(0)
	v_fmac_f64_e32 v[126:127], v[134:135], v[130:131]
	buffer_load_dword v131, off, s[0:3], 0 offset:396
	buffer_load_dword v130, off, s[0:3], 0 offset:392
	buffer_load_dword v135, off, s[0:3], 0 offset:404
	buffer_load_dword v134, off, s[0:3], 0 offset:400
	s_waitcnt vmcnt(2)
	v_fmac_f64_e32 v[126:127], v[130:131], v[132:133]
	ds_read_b128 v[130:133], v128 offset:896
	s_waitcnt vmcnt(0) lgkmcnt(0)
	v_fmac_f64_e32 v[126:127], v[134:135], v[130:131]
	buffer_load_dword v131, off, s[0:3], 0 offset:412
	buffer_load_dword v130, off, s[0:3], 0 offset:408
	buffer_load_dword v135, off, s[0:3], 0 offset:420
	buffer_load_dword v134, off, s[0:3], 0 offset:416
	s_waitcnt vmcnt(2)
	v_fmac_f64_e32 v[126:127], v[130:131], v[132:133]
	ds_read_b128 v[130:133], v128 offset:912
	s_waitcnt vmcnt(0) lgkmcnt(0)
	v_fmac_f64_e32 v[126:127], v[134:135], v[130:131]
	buffer_load_dword v131, off, s[0:3], 0 offset:428
	buffer_load_dword v130, off, s[0:3], 0 offset:424
	buffer_load_dword v135, off, s[0:3], 0 offset:436
	buffer_load_dword v134, off, s[0:3], 0 offset:432
	s_waitcnt vmcnt(2)
	v_fmac_f64_e32 v[126:127], v[130:131], v[132:133]
	ds_read_b128 v[130:133], v128 offset:928
	s_waitcnt vmcnt(0) lgkmcnt(0)
	v_fmac_f64_e32 v[126:127], v[134:135], v[130:131]
	buffer_load_dword v131, off, s[0:3], 0 offset:444
	buffer_load_dword v130, off, s[0:3], 0 offset:440
	buffer_load_dword v135, off, s[0:3], 0 offset:452
	buffer_load_dword v134, off, s[0:3], 0 offset:448
	s_waitcnt vmcnt(2)
	v_fmac_f64_e32 v[126:127], v[130:131], v[132:133]
	ds_read_b128 v[130:133], v128 offset:944
	s_waitcnt vmcnt(0) lgkmcnt(0)
	v_fmac_f64_e32 v[126:127], v[134:135], v[130:131]
	buffer_load_dword v131, off, s[0:3], 0 offset:460
	buffer_load_dword v130, off, s[0:3], 0 offset:456
	buffer_load_dword v135, off, s[0:3], 0 offset:468
	buffer_load_dword v134, off, s[0:3], 0 offset:464
	s_waitcnt vmcnt(2)
	v_fmac_f64_e32 v[126:127], v[130:131], v[132:133]
	ds_read_b128 v[130:133], v128 offset:960
	s_waitcnt vmcnt(0) lgkmcnt(0)
	v_fmac_f64_e32 v[126:127], v[134:135], v[130:131]
	buffer_load_dword v131, off, s[0:3], 0 offset:476
	buffer_load_dword v130, off, s[0:3], 0 offset:472
	s_waitcnt vmcnt(0)
	v_fmac_f64_e32 v[126:127], v[130:131], v[132:133]
	buffer_load_dword v131, off, s[0:3], 0 offset:484
	buffer_load_dword v130, off, s[0:3], 0 offset:480
	ds_read_b64 v[132:133], v128 offset:976
	s_waitcnt vmcnt(0) lgkmcnt(0)
	v_fmac_f64_e32 v[126:127], v[130:131], v[132:133]
	v_add_f64 v[124:125], v[124:125], -v[126:127]
	buffer_store_dword v125, off, s[0:3], 0 offset:156
	buffer_store_dword v124, off, s[0:3], 0 offset:152
	s_and_saveexec_b64 s[4:5], vcc
	s_cbranch_execz .LBB60_337
; %bb.336:
	buffer_load_dword v124, off, s[0:3], 0 offset:144
	buffer_load_dword v125, off, s[0:3], 0 offset:148
	s_waitcnt vmcnt(0)
	ds_write_b64 v1, v[124:125]
	buffer_store_dword v128, off, s[0:3], 0 offset:144
	buffer_store_dword v128, off, s[0:3], 0 offset:148
.LBB60_337:
	s_or_b64 exec, exec, s[4:5]
	s_waitcnt lgkmcnt(0)
	; wave barrier
	s_waitcnt lgkmcnt(0)
	buffer_load_dword v124, off, s[0:3], 0 offset:144
	buffer_load_dword v125, off, s[0:3], 0 offset:148
	;; [unrolled: 1-line block ×16, first 2 shown]
	ds_read2_b64 v[130:133], v128 offset0:81 offset1:82
	v_cmp_lt_u32_e32 vcc, 17, v0
	s_waitcnt vmcnt(12) lgkmcnt(0)
	v_fma_f64 v[126:127], v[126:127], v[130:131], 0
	s_waitcnt vmcnt(10)
	v_fmac_f64_e32 v[126:127], v[134:135], v[132:133]
	ds_read2_b64 v[130:133], v128 offset0:83 offset1:84
	s_waitcnt vmcnt(8) lgkmcnt(0)
	v_fmac_f64_e32 v[126:127], v[136:137], v[130:131]
	s_waitcnt vmcnt(6)
	v_fmac_f64_e32 v[126:127], v[138:139], v[132:133]
	ds_read2_b64 v[130:133], v128 offset0:85 offset1:86
	s_waitcnt vmcnt(4) lgkmcnt(0)
	v_fmac_f64_e32 v[126:127], v[140:141], v[130:131]
	;; [unrolled: 5-line block ×3, first 2 shown]
	buffer_load_dword v131, off, s[0:3], 0 offset:212
	buffer_load_dword v130, off, s[0:3], 0 offset:208
	buffer_load_dword v135, off, s[0:3], 0 offset:220
	buffer_load_dword v134, off, s[0:3], 0 offset:216
	s_waitcnt vmcnt(2)
	v_fmac_f64_e32 v[126:127], v[130:131], v[132:133]
	ds_read2_b64 v[130:133], v128 offset0:89 offset1:90
	s_waitcnt vmcnt(0) lgkmcnt(0)
	v_fmac_f64_e32 v[126:127], v[134:135], v[130:131]
	buffer_load_dword v131, off, s[0:3], 0 offset:228
	buffer_load_dword v130, off, s[0:3], 0 offset:224
	buffer_load_dword v135, off, s[0:3], 0 offset:236
	buffer_load_dword v134, off, s[0:3], 0 offset:232
	s_waitcnt vmcnt(2)
	v_fmac_f64_e32 v[126:127], v[130:131], v[132:133]
	ds_read2_b64 v[130:133], v128 offset0:91 offset1:92
	s_waitcnt vmcnt(0) lgkmcnt(0)
	v_fmac_f64_e32 v[126:127], v[134:135], v[130:131]
	;; [unrolled: 9-line block ×16, first 2 shown]
	buffer_load_dword v131, off, s[0:3], 0 offset:468
	buffer_load_dword v130, off, s[0:3], 0 offset:464
	s_waitcnt vmcnt(0)
	v_fmac_f64_e32 v[126:127], v[130:131], v[132:133]
	buffer_load_dword v133, off, s[0:3], 0 offset:476
	buffer_load_dword v132, off, s[0:3], 0 offset:472
	ds_read2_b64 v[128:131], v128 offset0:121 offset1:122
	s_waitcnt vmcnt(0) lgkmcnt(0)
	v_fmac_f64_e32 v[126:127], v[132:133], v[128:129]
	buffer_load_dword v129, off, s[0:3], 0 offset:484
	buffer_load_dword v128, off, s[0:3], 0 offset:480
	s_waitcnt vmcnt(0)
	v_fmac_f64_e32 v[126:127], v[128:129], v[130:131]
	v_add_f64 v[124:125], v[124:125], -v[126:127]
	buffer_store_dword v125, off, s[0:3], 0 offset:148
	buffer_store_dword v124, off, s[0:3], 0 offset:144
	s_and_saveexec_b64 s[4:5], vcc
	s_cbranch_execz .LBB60_339
; %bb.338:
	buffer_load_dword v124, off, s[0:3], 0 offset:136
	buffer_load_dword v125, off, s[0:3], 0 offset:140
	v_mov_b32_e32 v126, 0
	buffer_store_dword v126, off, s[0:3], 0 offset:136
	buffer_store_dword v126, off, s[0:3], 0 offset:140
	s_waitcnt vmcnt(2)
	ds_write_b64 v1, v[124:125]
.LBB60_339:
	s_or_b64 exec, exec, s[4:5]
	s_waitcnt lgkmcnt(0)
	; wave barrier
	s_waitcnt lgkmcnt(0)
	buffer_load_dword v124, off, s[0:3], 0 offset:136
	buffer_load_dword v125, off, s[0:3], 0 offset:140
	;; [unrolled: 1-line block ×16, first 2 shown]
	v_mov_b32_e32 v128, 0
	ds_read_b128 v[130:133], v128 offset:640
	ds_read_b128 v[134:137], v128 offset:656
	;; [unrolled: 1-line block ×4, first 2 shown]
	v_cmp_lt_u32_e32 vcc, 16, v0
	s_waitcnt vmcnt(12) lgkmcnt(3)
	v_fma_f64 v[126:127], v[126:127], v[130:131], 0
	buffer_load_dword v131, off, s[0:3], 0 offset:204
	buffer_load_dword v130, off, s[0:3], 0 offset:200
	s_waitcnt vmcnt(12)
	v_fmac_f64_e32 v[126:127], v[146:147], v[132:133]
	s_waitcnt vmcnt(10) lgkmcnt(2)
	v_fmac_f64_e32 v[126:127], v[148:149], v[134:135]
	buffer_load_dword v135, off, s[0:3], 0 offset:212
	buffer_load_dword v134, off, s[0:3], 0 offset:208
	s_waitcnt vmcnt(10)
	v_fmac_f64_e32 v[126:127], v[150:151], v[136:137]
	s_waitcnt vmcnt(8) lgkmcnt(1)
	v_fmac_f64_e32 v[126:127], v[152:153], v[138:139]
	s_waitcnt vmcnt(6)
	v_fmac_f64_e32 v[126:127], v[154:155], v[140:141]
	s_waitcnt vmcnt(4) lgkmcnt(0)
	v_fmac_f64_e32 v[126:127], v[156:157], v[142:143]
	s_waitcnt vmcnt(2)
	v_fmac_f64_e32 v[126:127], v[130:131], v[144:145]
	ds_read_b128 v[130:133], v128 offset:704
	s_waitcnt vmcnt(0) lgkmcnt(0)
	v_fmac_f64_e32 v[126:127], v[134:135], v[130:131]
	buffer_load_dword v131, off, s[0:3], 0 offset:220
	buffer_load_dword v130, off, s[0:3], 0 offset:216
	buffer_load_dword v135, off, s[0:3], 0 offset:228
	buffer_load_dword v134, off, s[0:3], 0 offset:224
	s_waitcnt vmcnt(2)
	v_fmac_f64_e32 v[126:127], v[130:131], v[132:133]
	ds_read_b128 v[130:133], v128 offset:720
	s_waitcnt vmcnt(0) lgkmcnt(0)
	v_fmac_f64_e32 v[126:127], v[134:135], v[130:131]
	buffer_load_dword v131, off, s[0:3], 0 offset:236
	buffer_load_dword v130, off, s[0:3], 0 offset:232
	buffer_load_dword v135, off, s[0:3], 0 offset:244
	buffer_load_dword v134, off, s[0:3], 0 offset:240
	;; [unrolled: 9-line block ×16, first 2 shown]
	s_waitcnt vmcnt(2)
	v_fmac_f64_e32 v[126:127], v[130:131], v[132:133]
	ds_read_b128 v[130:133], v128 offset:960
	s_waitcnt vmcnt(0) lgkmcnt(0)
	v_fmac_f64_e32 v[126:127], v[134:135], v[130:131]
	buffer_load_dword v131, off, s[0:3], 0 offset:476
	buffer_load_dword v130, off, s[0:3], 0 offset:472
	s_waitcnt vmcnt(0)
	v_fmac_f64_e32 v[126:127], v[130:131], v[132:133]
	buffer_load_dword v131, off, s[0:3], 0 offset:484
	buffer_load_dword v130, off, s[0:3], 0 offset:480
	ds_read_b64 v[132:133], v128 offset:976
	s_waitcnt vmcnt(0) lgkmcnt(0)
	v_fmac_f64_e32 v[126:127], v[130:131], v[132:133]
	v_add_f64 v[124:125], v[124:125], -v[126:127]
	buffer_store_dword v125, off, s[0:3], 0 offset:140
	buffer_store_dword v124, off, s[0:3], 0 offset:136
	s_and_saveexec_b64 s[4:5], vcc
	s_cbranch_execz .LBB60_341
; %bb.340:
	buffer_load_dword v124, off, s[0:3], 0 offset:128
	buffer_load_dword v125, off, s[0:3], 0 offset:132
	s_waitcnt vmcnt(0)
	ds_write_b64 v1, v[124:125]
	buffer_store_dword v128, off, s[0:3], 0 offset:128
	buffer_store_dword v128, off, s[0:3], 0 offset:132
.LBB60_341:
	s_or_b64 exec, exec, s[4:5]
	s_waitcnt lgkmcnt(0)
	; wave barrier
	s_waitcnt lgkmcnt(0)
	buffer_load_dword v124, off, s[0:3], 0 offset:128
	buffer_load_dword v125, off, s[0:3], 0 offset:132
	;; [unrolled: 1-line block ×16, first 2 shown]
	ds_read2_b64 v[130:133], v128 offset0:79 offset1:80
	v_cmp_lt_u32_e32 vcc, 15, v0
	s_waitcnt vmcnt(12) lgkmcnt(0)
	v_fma_f64 v[126:127], v[126:127], v[130:131], 0
	s_waitcnt vmcnt(10)
	v_fmac_f64_e32 v[126:127], v[134:135], v[132:133]
	ds_read2_b64 v[130:133], v128 offset0:81 offset1:82
	s_waitcnt vmcnt(8) lgkmcnt(0)
	v_fmac_f64_e32 v[126:127], v[136:137], v[130:131]
	s_waitcnt vmcnt(6)
	v_fmac_f64_e32 v[126:127], v[138:139], v[132:133]
	ds_read2_b64 v[130:133], v128 offset0:83 offset1:84
	s_waitcnt vmcnt(4) lgkmcnt(0)
	v_fmac_f64_e32 v[126:127], v[140:141], v[130:131]
	;; [unrolled: 5-line block ×3, first 2 shown]
	buffer_load_dword v131, off, s[0:3], 0 offset:196
	buffer_load_dword v130, off, s[0:3], 0 offset:192
	buffer_load_dword v135, off, s[0:3], 0 offset:204
	buffer_load_dword v134, off, s[0:3], 0 offset:200
	s_waitcnt vmcnt(2)
	v_fmac_f64_e32 v[126:127], v[130:131], v[132:133]
	ds_read2_b64 v[130:133], v128 offset0:87 offset1:88
	s_waitcnt vmcnt(0) lgkmcnt(0)
	v_fmac_f64_e32 v[126:127], v[134:135], v[130:131]
	buffer_load_dword v131, off, s[0:3], 0 offset:212
	buffer_load_dword v130, off, s[0:3], 0 offset:208
	buffer_load_dword v135, off, s[0:3], 0 offset:220
	buffer_load_dword v134, off, s[0:3], 0 offset:216
	s_waitcnt vmcnt(2)
	v_fmac_f64_e32 v[126:127], v[130:131], v[132:133]
	ds_read2_b64 v[130:133], v128 offset0:89 offset1:90
	s_waitcnt vmcnt(0) lgkmcnt(0)
	v_fmac_f64_e32 v[126:127], v[134:135], v[130:131]
	;; [unrolled: 9-line block ×17, first 2 shown]
	buffer_load_dword v131, off, s[0:3], 0 offset:468
	buffer_load_dword v130, off, s[0:3], 0 offset:464
	s_waitcnt vmcnt(0)
	v_fmac_f64_e32 v[126:127], v[130:131], v[132:133]
	buffer_load_dword v133, off, s[0:3], 0 offset:476
	buffer_load_dword v132, off, s[0:3], 0 offset:472
	ds_read2_b64 v[128:131], v128 offset0:121 offset1:122
	s_waitcnt vmcnt(0) lgkmcnt(0)
	v_fmac_f64_e32 v[126:127], v[132:133], v[128:129]
	buffer_load_dword v129, off, s[0:3], 0 offset:484
	buffer_load_dword v128, off, s[0:3], 0 offset:480
	s_waitcnt vmcnt(0)
	v_fmac_f64_e32 v[126:127], v[128:129], v[130:131]
	v_add_f64 v[124:125], v[124:125], -v[126:127]
	buffer_store_dword v125, off, s[0:3], 0 offset:132
	buffer_store_dword v124, off, s[0:3], 0 offset:128
	s_and_saveexec_b64 s[4:5], vcc
	s_cbranch_execz .LBB60_343
; %bb.342:
	buffer_load_dword v124, off, s[0:3], 0 offset:120
	buffer_load_dword v125, off, s[0:3], 0 offset:124
	v_mov_b32_e32 v126, 0
	buffer_store_dword v126, off, s[0:3], 0 offset:120
	buffer_store_dword v126, off, s[0:3], 0 offset:124
	s_waitcnt vmcnt(2)
	ds_write_b64 v1, v[124:125]
.LBB60_343:
	s_or_b64 exec, exec, s[4:5]
	s_waitcnt lgkmcnt(0)
	; wave barrier
	s_waitcnt lgkmcnt(0)
	buffer_load_dword v124, off, s[0:3], 0 offset:120
	buffer_load_dword v125, off, s[0:3], 0 offset:124
	buffer_load_dword v126, off, s[0:3], 0 offset:128
	buffer_load_dword v127, off, s[0:3], 0 offset:132
	buffer_load_dword v146, off, s[0:3], 0 offset:136
	buffer_load_dword v147, off, s[0:3], 0 offset:140
	buffer_load_dword v148, off, s[0:3], 0 offset:144
	buffer_load_dword v149, off, s[0:3], 0 offset:148
	buffer_load_dword v150, off, s[0:3], 0 offset:152
	buffer_load_dword v151, off, s[0:3], 0 offset:156
	buffer_load_dword v152, off, s[0:3], 0 offset:160
	buffer_load_dword v153, off, s[0:3], 0 offset:164
	buffer_load_dword v154, off, s[0:3], 0 offset:168
	buffer_load_dword v155, off, s[0:3], 0 offset:172
	buffer_load_dword v156, off, s[0:3], 0 offset:176
	buffer_load_dword v157, off, s[0:3], 0 offset:180
	v_mov_b32_e32 v128, 0
	ds_read_b128 v[130:133], v128 offset:624
	ds_read_b128 v[134:137], v128 offset:640
	;; [unrolled: 1-line block ×4, first 2 shown]
	v_cmp_lt_u32_e32 vcc, 14, v0
	s_waitcnt vmcnt(12) lgkmcnt(3)
	v_fma_f64 v[126:127], v[126:127], v[130:131], 0
	buffer_load_dword v131, off, s[0:3], 0 offset:188
	buffer_load_dword v130, off, s[0:3], 0 offset:184
	s_waitcnt vmcnt(12)
	v_fmac_f64_e32 v[126:127], v[146:147], v[132:133]
	s_waitcnt vmcnt(10) lgkmcnt(2)
	v_fmac_f64_e32 v[126:127], v[148:149], v[134:135]
	buffer_load_dword v135, off, s[0:3], 0 offset:196
	buffer_load_dword v134, off, s[0:3], 0 offset:192
	s_waitcnt vmcnt(10)
	v_fmac_f64_e32 v[126:127], v[150:151], v[136:137]
	s_waitcnt vmcnt(8) lgkmcnt(1)
	v_fmac_f64_e32 v[126:127], v[152:153], v[138:139]
	s_waitcnt vmcnt(6)
	v_fmac_f64_e32 v[126:127], v[154:155], v[140:141]
	s_waitcnt vmcnt(4) lgkmcnt(0)
	v_fmac_f64_e32 v[126:127], v[156:157], v[142:143]
	s_waitcnt vmcnt(2)
	v_fmac_f64_e32 v[126:127], v[130:131], v[144:145]
	ds_read_b128 v[130:133], v128 offset:688
	s_waitcnt vmcnt(0) lgkmcnt(0)
	v_fmac_f64_e32 v[126:127], v[134:135], v[130:131]
	buffer_load_dword v131, off, s[0:3], 0 offset:204
	buffer_load_dword v130, off, s[0:3], 0 offset:200
	buffer_load_dword v135, off, s[0:3], 0 offset:212
	buffer_load_dword v134, off, s[0:3], 0 offset:208
	s_waitcnt vmcnt(2)
	v_fmac_f64_e32 v[126:127], v[130:131], v[132:133]
	ds_read_b128 v[130:133], v128 offset:704
	s_waitcnt vmcnt(0) lgkmcnt(0)
	v_fmac_f64_e32 v[126:127], v[134:135], v[130:131]
	buffer_load_dword v131, off, s[0:3], 0 offset:220
	buffer_load_dword v130, off, s[0:3], 0 offset:216
	buffer_load_dword v135, off, s[0:3], 0 offset:228
	buffer_load_dword v134, off, s[0:3], 0 offset:224
	;; [unrolled: 9-line block ×17, first 2 shown]
	s_waitcnt vmcnt(2)
	v_fmac_f64_e32 v[126:127], v[130:131], v[132:133]
	ds_read_b128 v[130:133], v128 offset:960
	s_waitcnt vmcnt(0) lgkmcnt(0)
	v_fmac_f64_e32 v[126:127], v[134:135], v[130:131]
	buffer_load_dword v131, off, s[0:3], 0 offset:476
	buffer_load_dword v130, off, s[0:3], 0 offset:472
	s_waitcnt vmcnt(0)
	v_fmac_f64_e32 v[126:127], v[130:131], v[132:133]
	buffer_load_dword v131, off, s[0:3], 0 offset:484
	buffer_load_dword v130, off, s[0:3], 0 offset:480
	ds_read_b64 v[132:133], v128 offset:976
	s_waitcnt vmcnt(0) lgkmcnt(0)
	v_fmac_f64_e32 v[126:127], v[130:131], v[132:133]
	v_add_f64 v[124:125], v[124:125], -v[126:127]
	buffer_store_dword v125, off, s[0:3], 0 offset:124
	buffer_store_dword v124, off, s[0:3], 0 offset:120
	s_and_saveexec_b64 s[4:5], vcc
	s_cbranch_execz .LBB60_345
; %bb.344:
	buffer_load_dword v124, off, s[0:3], 0 offset:112
	buffer_load_dword v125, off, s[0:3], 0 offset:116
	s_waitcnt vmcnt(0)
	ds_write_b64 v1, v[124:125]
	buffer_store_dword v128, off, s[0:3], 0 offset:112
	buffer_store_dword v128, off, s[0:3], 0 offset:116
.LBB60_345:
	s_or_b64 exec, exec, s[4:5]
	s_waitcnt lgkmcnt(0)
	; wave barrier
	s_waitcnt lgkmcnt(0)
	buffer_load_dword v124, off, s[0:3], 0 offset:112
	buffer_load_dword v125, off, s[0:3], 0 offset:116
	;; [unrolled: 1-line block ×16, first 2 shown]
	ds_read2_b64 v[130:133], v128 offset0:77 offset1:78
	v_cmp_lt_u32_e32 vcc, 13, v0
	s_waitcnt vmcnt(12) lgkmcnt(0)
	v_fma_f64 v[126:127], v[126:127], v[130:131], 0
	s_waitcnt vmcnt(10)
	v_fmac_f64_e32 v[126:127], v[134:135], v[132:133]
	ds_read2_b64 v[130:133], v128 offset0:79 offset1:80
	s_waitcnt vmcnt(8) lgkmcnt(0)
	v_fmac_f64_e32 v[126:127], v[136:137], v[130:131]
	s_waitcnt vmcnt(6)
	v_fmac_f64_e32 v[126:127], v[138:139], v[132:133]
	ds_read2_b64 v[130:133], v128 offset0:81 offset1:82
	s_waitcnt vmcnt(4) lgkmcnt(0)
	v_fmac_f64_e32 v[126:127], v[140:141], v[130:131]
	;; [unrolled: 5-line block ×3, first 2 shown]
	buffer_load_dword v131, off, s[0:3], 0 offset:180
	buffer_load_dword v130, off, s[0:3], 0 offset:176
	buffer_load_dword v135, off, s[0:3], 0 offset:188
	buffer_load_dword v134, off, s[0:3], 0 offset:184
	s_waitcnt vmcnt(2)
	v_fmac_f64_e32 v[126:127], v[130:131], v[132:133]
	ds_read2_b64 v[130:133], v128 offset0:85 offset1:86
	s_waitcnt vmcnt(0) lgkmcnt(0)
	v_fmac_f64_e32 v[126:127], v[134:135], v[130:131]
	buffer_load_dword v131, off, s[0:3], 0 offset:196
	buffer_load_dword v130, off, s[0:3], 0 offset:192
	buffer_load_dword v135, off, s[0:3], 0 offset:204
	buffer_load_dword v134, off, s[0:3], 0 offset:200
	s_waitcnt vmcnt(2)
	v_fmac_f64_e32 v[126:127], v[130:131], v[132:133]
	ds_read2_b64 v[130:133], v128 offset0:87 offset1:88
	s_waitcnt vmcnt(0) lgkmcnt(0)
	v_fmac_f64_e32 v[126:127], v[134:135], v[130:131]
	;; [unrolled: 9-line block ×18, first 2 shown]
	buffer_load_dword v131, off, s[0:3], 0 offset:468
	buffer_load_dword v130, off, s[0:3], 0 offset:464
	s_waitcnt vmcnt(0)
	v_fmac_f64_e32 v[126:127], v[130:131], v[132:133]
	buffer_load_dword v133, off, s[0:3], 0 offset:476
	buffer_load_dword v132, off, s[0:3], 0 offset:472
	ds_read2_b64 v[128:131], v128 offset0:121 offset1:122
	s_waitcnt vmcnt(0) lgkmcnt(0)
	v_fmac_f64_e32 v[126:127], v[132:133], v[128:129]
	buffer_load_dword v129, off, s[0:3], 0 offset:484
	buffer_load_dword v128, off, s[0:3], 0 offset:480
	s_waitcnt vmcnt(0)
	v_fmac_f64_e32 v[126:127], v[128:129], v[130:131]
	v_add_f64 v[124:125], v[124:125], -v[126:127]
	buffer_store_dword v125, off, s[0:3], 0 offset:116
	buffer_store_dword v124, off, s[0:3], 0 offset:112
	s_and_saveexec_b64 s[4:5], vcc
	s_cbranch_execz .LBB60_347
; %bb.346:
	buffer_load_dword v124, off, s[0:3], 0 offset:104
	buffer_load_dword v125, off, s[0:3], 0 offset:108
	v_mov_b32_e32 v126, 0
	buffer_store_dword v126, off, s[0:3], 0 offset:104
	buffer_store_dword v126, off, s[0:3], 0 offset:108
	s_waitcnt vmcnt(2)
	ds_write_b64 v1, v[124:125]
.LBB60_347:
	s_or_b64 exec, exec, s[4:5]
	s_waitcnt lgkmcnt(0)
	; wave barrier
	s_waitcnt lgkmcnt(0)
	buffer_load_dword v124, off, s[0:3], 0 offset:104
	buffer_load_dword v125, off, s[0:3], 0 offset:108
	;; [unrolled: 1-line block ×16, first 2 shown]
	v_mov_b32_e32 v128, 0
	ds_read_b128 v[130:133], v128 offset:608
	ds_read_b128 v[134:137], v128 offset:624
	;; [unrolled: 1-line block ×4, first 2 shown]
	v_cmp_lt_u32_e32 vcc, 12, v0
	s_waitcnt vmcnt(12) lgkmcnt(3)
	v_fma_f64 v[126:127], v[126:127], v[130:131], 0
	buffer_load_dword v131, off, s[0:3], 0 offset:172
	buffer_load_dword v130, off, s[0:3], 0 offset:168
	s_waitcnt vmcnt(12)
	v_fmac_f64_e32 v[126:127], v[146:147], v[132:133]
	s_waitcnt vmcnt(10) lgkmcnt(2)
	v_fmac_f64_e32 v[126:127], v[148:149], v[134:135]
	buffer_load_dword v135, off, s[0:3], 0 offset:180
	buffer_load_dword v134, off, s[0:3], 0 offset:176
	s_waitcnt vmcnt(10)
	v_fmac_f64_e32 v[126:127], v[150:151], v[136:137]
	s_waitcnt vmcnt(8) lgkmcnt(1)
	v_fmac_f64_e32 v[126:127], v[152:153], v[138:139]
	s_waitcnt vmcnt(6)
	v_fmac_f64_e32 v[126:127], v[154:155], v[140:141]
	s_waitcnt vmcnt(4) lgkmcnt(0)
	v_fmac_f64_e32 v[126:127], v[156:157], v[142:143]
	s_waitcnt vmcnt(2)
	v_fmac_f64_e32 v[126:127], v[130:131], v[144:145]
	ds_read_b128 v[130:133], v128 offset:672
	s_waitcnt vmcnt(0) lgkmcnt(0)
	v_fmac_f64_e32 v[126:127], v[134:135], v[130:131]
	buffer_load_dword v131, off, s[0:3], 0 offset:188
	buffer_load_dword v130, off, s[0:3], 0 offset:184
	buffer_load_dword v135, off, s[0:3], 0 offset:196
	buffer_load_dword v134, off, s[0:3], 0 offset:192
	s_waitcnt vmcnt(2)
	v_fmac_f64_e32 v[126:127], v[130:131], v[132:133]
	ds_read_b128 v[130:133], v128 offset:688
	s_waitcnt vmcnt(0) lgkmcnt(0)
	v_fmac_f64_e32 v[126:127], v[134:135], v[130:131]
	buffer_load_dword v131, off, s[0:3], 0 offset:204
	buffer_load_dword v130, off, s[0:3], 0 offset:200
	buffer_load_dword v135, off, s[0:3], 0 offset:212
	buffer_load_dword v134, off, s[0:3], 0 offset:208
	;; [unrolled: 9-line block ×18, first 2 shown]
	s_waitcnt vmcnt(2)
	v_fmac_f64_e32 v[126:127], v[130:131], v[132:133]
	ds_read_b128 v[130:133], v128 offset:960
	s_waitcnt vmcnt(0) lgkmcnt(0)
	v_fmac_f64_e32 v[126:127], v[134:135], v[130:131]
	buffer_load_dword v131, off, s[0:3], 0 offset:476
	buffer_load_dword v130, off, s[0:3], 0 offset:472
	s_waitcnt vmcnt(0)
	v_fmac_f64_e32 v[126:127], v[130:131], v[132:133]
	buffer_load_dword v131, off, s[0:3], 0 offset:484
	buffer_load_dword v130, off, s[0:3], 0 offset:480
	ds_read_b64 v[132:133], v128 offset:976
	s_waitcnt vmcnt(0) lgkmcnt(0)
	v_fmac_f64_e32 v[126:127], v[130:131], v[132:133]
	v_add_f64 v[124:125], v[124:125], -v[126:127]
	buffer_store_dword v125, off, s[0:3], 0 offset:108
	buffer_store_dword v124, off, s[0:3], 0 offset:104
	s_and_saveexec_b64 s[4:5], vcc
	s_cbranch_execz .LBB60_349
; %bb.348:
	buffer_load_dword v124, off, s[0:3], 0 offset:96
	buffer_load_dword v125, off, s[0:3], 0 offset:100
	s_waitcnt vmcnt(0)
	ds_write_b64 v1, v[124:125]
	buffer_store_dword v128, off, s[0:3], 0 offset:96
	buffer_store_dword v128, off, s[0:3], 0 offset:100
.LBB60_349:
	s_or_b64 exec, exec, s[4:5]
	s_waitcnt lgkmcnt(0)
	; wave barrier
	s_waitcnt lgkmcnt(0)
	buffer_load_dword v124, off, s[0:3], 0 offset:96
	buffer_load_dword v125, off, s[0:3], 0 offset:100
	;; [unrolled: 1-line block ×16, first 2 shown]
	ds_read2_b64 v[130:133], v128 offset0:75 offset1:76
	v_cmp_lt_u32_e32 vcc, 11, v0
	s_waitcnt vmcnt(12) lgkmcnt(0)
	v_fma_f64 v[126:127], v[126:127], v[130:131], 0
	s_waitcnt vmcnt(10)
	v_fmac_f64_e32 v[126:127], v[134:135], v[132:133]
	ds_read2_b64 v[130:133], v128 offset0:77 offset1:78
	s_waitcnt vmcnt(8) lgkmcnt(0)
	v_fmac_f64_e32 v[126:127], v[136:137], v[130:131]
	s_waitcnt vmcnt(6)
	v_fmac_f64_e32 v[126:127], v[138:139], v[132:133]
	ds_read2_b64 v[130:133], v128 offset0:79 offset1:80
	s_waitcnt vmcnt(4) lgkmcnt(0)
	v_fmac_f64_e32 v[126:127], v[140:141], v[130:131]
	;; [unrolled: 5-line block ×3, first 2 shown]
	buffer_load_dword v131, off, s[0:3], 0 offset:164
	buffer_load_dword v130, off, s[0:3], 0 offset:160
	buffer_load_dword v135, off, s[0:3], 0 offset:172
	buffer_load_dword v134, off, s[0:3], 0 offset:168
	s_waitcnt vmcnt(2)
	v_fmac_f64_e32 v[126:127], v[130:131], v[132:133]
	ds_read2_b64 v[130:133], v128 offset0:83 offset1:84
	s_waitcnt vmcnt(0) lgkmcnt(0)
	v_fmac_f64_e32 v[126:127], v[134:135], v[130:131]
	buffer_load_dword v131, off, s[0:3], 0 offset:180
	buffer_load_dword v130, off, s[0:3], 0 offset:176
	buffer_load_dword v135, off, s[0:3], 0 offset:188
	buffer_load_dword v134, off, s[0:3], 0 offset:184
	s_waitcnt vmcnt(2)
	v_fmac_f64_e32 v[126:127], v[130:131], v[132:133]
	ds_read2_b64 v[130:133], v128 offset0:85 offset1:86
	s_waitcnt vmcnt(0) lgkmcnt(0)
	v_fmac_f64_e32 v[126:127], v[134:135], v[130:131]
	;; [unrolled: 9-line block ×19, first 2 shown]
	buffer_load_dword v131, off, s[0:3], 0 offset:468
	buffer_load_dword v130, off, s[0:3], 0 offset:464
	s_waitcnt vmcnt(0)
	v_fmac_f64_e32 v[126:127], v[130:131], v[132:133]
	buffer_load_dword v133, off, s[0:3], 0 offset:476
	buffer_load_dword v132, off, s[0:3], 0 offset:472
	ds_read2_b64 v[128:131], v128 offset0:121 offset1:122
	s_waitcnt vmcnt(0) lgkmcnt(0)
	v_fmac_f64_e32 v[126:127], v[132:133], v[128:129]
	buffer_load_dword v129, off, s[0:3], 0 offset:484
	buffer_load_dword v128, off, s[0:3], 0 offset:480
	s_waitcnt vmcnt(0)
	v_fmac_f64_e32 v[126:127], v[128:129], v[130:131]
	v_add_f64 v[124:125], v[124:125], -v[126:127]
	buffer_store_dword v125, off, s[0:3], 0 offset:100
	buffer_store_dword v124, off, s[0:3], 0 offset:96
	s_and_saveexec_b64 s[4:5], vcc
	s_cbranch_execz .LBB60_351
; %bb.350:
	buffer_load_dword v124, off, s[0:3], 0 offset:88
	buffer_load_dword v125, off, s[0:3], 0 offset:92
	v_mov_b32_e32 v126, 0
	buffer_store_dword v126, off, s[0:3], 0 offset:88
	buffer_store_dword v126, off, s[0:3], 0 offset:92
	s_waitcnt vmcnt(2)
	ds_write_b64 v1, v[124:125]
.LBB60_351:
	s_or_b64 exec, exec, s[4:5]
	s_waitcnt lgkmcnt(0)
	; wave barrier
	s_waitcnt lgkmcnt(0)
	buffer_load_dword v124, off, s[0:3], 0 offset:88
	buffer_load_dword v125, off, s[0:3], 0 offset:92
	;; [unrolled: 1-line block ×16, first 2 shown]
	v_mov_b32_e32 v128, 0
	ds_read_b128 v[130:133], v128 offset:592
	v_cmp_lt_u32_e32 vcc, 10, v0
	s_waitcnt vmcnt(12) lgkmcnt(0)
	v_fma_f64 v[126:127], v[126:127], v[130:131], 0
	s_waitcnt vmcnt(10)
	v_fmac_f64_e32 v[126:127], v[134:135], v[132:133]
	ds_read_b128 v[130:133], v128 offset:608
	s_waitcnt vmcnt(8) lgkmcnt(0)
	v_fmac_f64_e32 v[126:127], v[136:137], v[130:131]
	s_waitcnt vmcnt(6)
	v_fmac_f64_e32 v[126:127], v[138:139], v[132:133]
	ds_read_b128 v[130:133], v128 offset:624
	s_waitcnt vmcnt(4) lgkmcnt(0)
	v_fmac_f64_e32 v[126:127], v[140:141], v[130:131]
	;; [unrolled: 5-line block ×3, first 2 shown]
	buffer_load_dword v131, off, s[0:3], 0 offset:156
	buffer_load_dword v130, off, s[0:3], 0 offset:152
	buffer_load_dword v135, off, s[0:3], 0 offset:164
	buffer_load_dword v134, off, s[0:3], 0 offset:160
	s_waitcnt vmcnt(2)
	v_fmac_f64_e32 v[126:127], v[130:131], v[132:133]
	ds_read_b128 v[130:133], v128 offset:656
	s_waitcnt vmcnt(0) lgkmcnt(0)
	v_fmac_f64_e32 v[126:127], v[134:135], v[130:131]
	buffer_load_dword v131, off, s[0:3], 0 offset:172
	buffer_load_dword v130, off, s[0:3], 0 offset:168
	buffer_load_dword v135, off, s[0:3], 0 offset:180
	buffer_load_dword v134, off, s[0:3], 0 offset:176
	s_waitcnt vmcnt(2)
	v_fmac_f64_e32 v[126:127], v[130:131], v[132:133]
	ds_read_b128 v[130:133], v128 offset:672
	s_waitcnt vmcnt(0) lgkmcnt(0)
	v_fmac_f64_e32 v[126:127], v[134:135], v[130:131]
	;; [unrolled: 9-line block ×20, first 2 shown]
	buffer_load_dword v131, off, s[0:3], 0 offset:476
	buffer_load_dword v130, off, s[0:3], 0 offset:472
	s_waitcnt vmcnt(0)
	v_fmac_f64_e32 v[126:127], v[130:131], v[132:133]
	buffer_load_dword v131, off, s[0:3], 0 offset:484
	buffer_load_dword v130, off, s[0:3], 0 offset:480
	ds_read_b64 v[132:133], v128 offset:976
	s_waitcnt vmcnt(0) lgkmcnt(0)
	v_fmac_f64_e32 v[126:127], v[130:131], v[132:133]
	v_add_f64 v[124:125], v[124:125], -v[126:127]
	buffer_store_dword v125, off, s[0:3], 0 offset:92
	buffer_store_dword v124, off, s[0:3], 0 offset:88
	s_and_saveexec_b64 s[4:5], vcc
	s_cbranch_execz .LBB60_353
; %bb.352:
	buffer_load_dword v124, off, s[0:3], 0 offset:80
	buffer_load_dword v125, off, s[0:3], 0 offset:84
	s_waitcnt vmcnt(0)
	ds_write_b64 v1, v[124:125]
	buffer_store_dword v128, off, s[0:3], 0 offset:80
	buffer_store_dword v128, off, s[0:3], 0 offset:84
.LBB60_353:
	s_or_b64 exec, exec, s[4:5]
	s_waitcnt lgkmcnt(0)
	; wave barrier
	s_waitcnt lgkmcnt(0)
	buffer_load_dword v124, off, s[0:3], 0 offset:80
	buffer_load_dword v125, off, s[0:3], 0 offset:84
	;; [unrolled: 1-line block ×16, first 2 shown]
	ds_read2_b64 v[130:133], v128 offset0:73 offset1:74
	v_cmp_lt_u32_e32 vcc, 9, v0
	s_waitcnt vmcnt(12) lgkmcnt(0)
	v_fma_f64 v[126:127], v[126:127], v[130:131], 0
	s_waitcnt vmcnt(10)
	v_fmac_f64_e32 v[126:127], v[134:135], v[132:133]
	ds_read2_b64 v[130:133], v128 offset0:75 offset1:76
	s_waitcnt vmcnt(8) lgkmcnt(0)
	v_fmac_f64_e32 v[126:127], v[136:137], v[130:131]
	s_waitcnt vmcnt(6)
	v_fmac_f64_e32 v[126:127], v[138:139], v[132:133]
	ds_read2_b64 v[130:133], v128 offset0:77 offset1:78
	s_waitcnt vmcnt(4) lgkmcnt(0)
	v_fmac_f64_e32 v[126:127], v[140:141], v[130:131]
	;; [unrolled: 5-line block ×3, first 2 shown]
	buffer_load_dword v131, off, s[0:3], 0 offset:148
	buffer_load_dword v130, off, s[0:3], 0 offset:144
	buffer_load_dword v135, off, s[0:3], 0 offset:156
	buffer_load_dword v134, off, s[0:3], 0 offset:152
	s_waitcnt vmcnt(2)
	v_fmac_f64_e32 v[126:127], v[130:131], v[132:133]
	ds_read2_b64 v[130:133], v128 offset0:81 offset1:82
	s_waitcnt vmcnt(0) lgkmcnt(0)
	v_fmac_f64_e32 v[126:127], v[134:135], v[130:131]
	buffer_load_dword v131, off, s[0:3], 0 offset:164
	buffer_load_dword v130, off, s[0:3], 0 offset:160
	buffer_load_dword v135, off, s[0:3], 0 offset:172
	buffer_load_dword v134, off, s[0:3], 0 offset:168
	s_waitcnt vmcnt(2)
	v_fmac_f64_e32 v[126:127], v[130:131], v[132:133]
	ds_read2_b64 v[130:133], v128 offset0:83 offset1:84
	s_waitcnt vmcnt(0) lgkmcnt(0)
	v_fmac_f64_e32 v[126:127], v[134:135], v[130:131]
	;; [unrolled: 9-line block ×20, first 2 shown]
	buffer_load_dword v131, off, s[0:3], 0 offset:468
	buffer_load_dword v130, off, s[0:3], 0 offset:464
	s_waitcnt vmcnt(0)
	v_fmac_f64_e32 v[126:127], v[130:131], v[132:133]
	buffer_load_dword v133, off, s[0:3], 0 offset:476
	buffer_load_dword v132, off, s[0:3], 0 offset:472
	ds_read2_b64 v[128:131], v128 offset0:121 offset1:122
	s_waitcnt vmcnt(0) lgkmcnt(0)
	v_fmac_f64_e32 v[126:127], v[132:133], v[128:129]
	buffer_load_dword v129, off, s[0:3], 0 offset:484
	buffer_load_dword v128, off, s[0:3], 0 offset:480
	s_waitcnt vmcnt(0)
	v_fmac_f64_e32 v[126:127], v[128:129], v[130:131]
	v_add_f64 v[124:125], v[124:125], -v[126:127]
	buffer_store_dword v125, off, s[0:3], 0 offset:84
	buffer_store_dword v124, off, s[0:3], 0 offset:80
	s_and_saveexec_b64 s[4:5], vcc
	s_cbranch_execz .LBB60_355
; %bb.354:
	buffer_load_dword v124, off, s[0:3], 0 offset:72
	buffer_load_dword v125, off, s[0:3], 0 offset:76
	v_mov_b32_e32 v126, 0
	buffer_store_dword v126, off, s[0:3], 0 offset:72
	buffer_store_dword v126, off, s[0:3], 0 offset:76
	s_waitcnt vmcnt(2)
	ds_write_b64 v1, v[124:125]
.LBB60_355:
	s_or_b64 exec, exec, s[4:5]
	s_waitcnt lgkmcnt(0)
	; wave barrier
	s_waitcnt lgkmcnt(0)
	buffer_load_dword v124, off, s[0:3], 0 offset:72
	buffer_load_dword v125, off, s[0:3], 0 offset:76
	;; [unrolled: 1-line block ×16, first 2 shown]
	v_mov_b32_e32 v128, 0
	ds_read_b128 v[130:133], v128 offset:576
	v_cmp_lt_u32_e32 vcc, 8, v0
	s_waitcnt vmcnt(12) lgkmcnt(0)
	v_fma_f64 v[126:127], v[126:127], v[130:131], 0
	s_waitcnt vmcnt(10)
	v_fmac_f64_e32 v[126:127], v[134:135], v[132:133]
	ds_read_b128 v[130:133], v128 offset:592
	s_waitcnt vmcnt(8) lgkmcnt(0)
	v_fmac_f64_e32 v[126:127], v[136:137], v[130:131]
	s_waitcnt vmcnt(6)
	v_fmac_f64_e32 v[126:127], v[138:139], v[132:133]
	ds_read_b128 v[130:133], v128 offset:608
	s_waitcnt vmcnt(4) lgkmcnt(0)
	v_fmac_f64_e32 v[126:127], v[140:141], v[130:131]
	;; [unrolled: 5-line block ×3, first 2 shown]
	buffer_load_dword v131, off, s[0:3], 0 offset:140
	buffer_load_dword v130, off, s[0:3], 0 offset:136
	buffer_load_dword v135, off, s[0:3], 0 offset:148
	buffer_load_dword v134, off, s[0:3], 0 offset:144
	s_waitcnt vmcnt(2)
	v_fmac_f64_e32 v[126:127], v[130:131], v[132:133]
	ds_read_b128 v[130:133], v128 offset:640
	s_waitcnt vmcnt(0) lgkmcnt(0)
	v_fmac_f64_e32 v[126:127], v[134:135], v[130:131]
	buffer_load_dword v131, off, s[0:3], 0 offset:156
	buffer_load_dword v130, off, s[0:3], 0 offset:152
	buffer_load_dword v135, off, s[0:3], 0 offset:164
	buffer_load_dword v134, off, s[0:3], 0 offset:160
	s_waitcnt vmcnt(2)
	v_fmac_f64_e32 v[126:127], v[130:131], v[132:133]
	ds_read_b128 v[130:133], v128 offset:656
	s_waitcnt vmcnt(0) lgkmcnt(0)
	v_fmac_f64_e32 v[126:127], v[134:135], v[130:131]
	;; [unrolled: 9-line block ×21, first 2 shown]
	buffer_load_dword v131, off, s[0:3], 0 offset:476
	buffer_load_dword v130, off, s[0:3], 0 offset:472
	s_waitcnt vmcnt(0)
	v_fmac_f64_e32 v[126:127], v[130:131], v[132:133]
	buffer_load_dword v131, off, s[0:3], 0 offset:484
	buffer_load_dword v130, off, s[0:3], 0 offset:480
	ds_read_b64 v[132:133], v128 offset:976
	s_waitcnt vmcnt(0) lgkmcnt(0)
	v_fmac_f64_e32 v[126:127], v[130:131], v[132:133]
	v_add_f64 v[124:125], v[124:125], -v[126:127]
	buffer_store_dword v125, off, s[0:3], 0 offset:76
	buffer_store_dword v124, off, s[0:3], 0 offset:72
	s_and_saveexec_b64 s[4:5], vcc
	s_cbranch_execz .LBB60_357
; %bb.356:
	buffer_load_dword v124, off, s[0:3], 0 offset:64
	buffer_load_dword v125, off, s[0:3], 0 offset:68
	s_waitcnt vmcnt(0)
	ds_write_b64 v1, v[124:125]
	buffer_store_dword v128, off, s[0:3], 0 offset:64
	buffer_store_dword v128, off, s[0:3], 0 offset:68
.LBB60_357:
	s_or_b64 exec, exec, s[4:5]
	s_waitcnt lgkmcnt(0)
	; wave barrier
	s_waitcnt lgkmcnt(0)
	buffer_load_dword v124, off, s[0:3], 0 offset:64
	buffer_load_dword v125, off, s[0:3], 0 offset:68
	buffer_load_dword v126, off, s[0:3], 0 offset:72
	buffer_load_dword v127, off, s[0:3], 0 offset:76
	buffer_load_dword v134, off, s[0:3], 0 offset:80
	buffer_load_dword v135, off, s[0:3], 0 offset:84
	buffer_load_dword v136, off, s[0:3], 0 offset:88
	buffer_load_dword v137, off, s[0:3], 0 offset:92
	buffer_load_dword v138, off, s[0:3], 0 offset:96
	buffer_load_dword v139, off, s[0:3], 0 offset:100
	buffer_load_dword v140, off, s[0:3], 0 offset:104
	buffer_load_dword v141, off, s[0:3], 0 offset:108
	buffer_load_dword v142, off, s[0:3], 0 offset:112
	buffer_load_dword v143, off, s[0:3], 0 offset:116
	buffer_load_dword v144, off, s[0:3], 0 offset:120
	buffer_load_dword v145, off, s[0:3], 0 offset:124
	ds_read2_b64 v[130:133], v128 offset0:71 offset1:72
	v_cmp_lt_u32_e32 vcc, 7, v0
	s_waitcnt vmcnt(12) lgkmcnt(0)
	v_fma_f64 v[126:127], v[126:127], v[130:131], 0
	s_waitcnt vmcnt(10)
	v_fmac_f64_e32 v[126:127], v[134:135], v[132:133]
	ds_read2_b64 v[130:133], v128 offset0:73 offset1:74
	s_waitcnt vmcnt(8) lgkmcnt(0)
	v_fmac_f64_e32 v[126:127], v[136:137], v[130:131]
	s_waitcnt vmcnt(6)
	v_fmac_f64_e32 v[126:127], v[138:139], v[132:133]
	ds_read2_b64 v[130:133], v128 offset0:75 offset1:76
	s_waitcnt vmcnt(4) lgkmcnt(0)
	v_fmac_f64_e32 v[126:127], v[140:141], v[130:131]
	;; [unrolled: 5-line block ×3, first 2 shown]
	buffer_load_dword v131, off, s[0:3], 0 offset:132
	buffer_load_dword v130, off, s[0:3], 0 offset:128
	buffer_load_dword v135, off, s[0:3], 0 offset:140
	buffer_load_dword v134, off, s[0:3], 0 offset:136
	s_waitcnt vmcnt(2)
	v_fmac_f64_e32 v[126:127], v[130:131], v[132:133]
	ds_read2_b64 v[130:133], v128 offset0:79 offset1:80
	s_waitcnt vmcnt(0) lgkmcnt(0)
	v_fmac_f64_e32 v[126:127], v[134:135], v[130:131]
	buffer_load_dword v131, off, s[0:3], 0 offset:148
	buffer_load_dword v130, off, s[0:3], 0 offset:144
	buffer_load_dword v135, off, s[0:3], 0 offset:156
	buffer_load_dword v134, off, s[0:3], 0 offset:152
	s_waitcnt vmcnt(2)
	v_fmac_f64_e32 v[126:127], v[130:131], v[132:133]
	ds_read2_b64 v[130:133], v128 offset0:81 offset1:82
	s_waitcnt vmcnt(0) lgkmcnt(0)
	v_fmac_f64_e32 v[126:127], v[134:135], v[130:131]
	;; [unrolled: 9-line block ×21, first 2 shown]
	buffer_load_dword v131, off, s[0:3], 0 offset:468
	buffer_load_dword v130, off, s[0:3], 0 offset:464
	s_waitcnt vmcnt(0)
	v_fmac_f64_e32 v[126:127], v[130:131], v[132:133]
	buffer_load_dword v133, off, s[0:3], 0 offset:476
	buffer_load_dword v132, off, s[0:3], 0 offset:472
	ds_read2_b64 v[128:131], v128 offset0:121 offset1:122
	s_waitcnt vmcnt(0) lgkmcnt(0)
	v_fmac_f64_e32 v[126:127], v[132:133], v[128:129]
	buffer_load_dword v129, off, s[0:3], 0 offset:484
	buffer_load_dword v128, off, s[0:3], 0 offset:480
	s_waitcnt vmcnt(0)
	v_fmac_f64_e32 v[126:127], v[128:129], v[130:131]
	v_add_f64 v[124:125], v[124:125], -v[126:127]
	buffer_store_dword v125, off, s[0:3], 0 offset:68
	buffer_store_dword v124, off, s[0:3], 0 offset:64
	s_and_saveexec_b64 s[4:5], vcc
	s_cbranch_execz .LBB60_359
; %bb.358:
	buffer_load_dword v124, off, s[0:3], 0 offset:56
	buffer_load_dword v125, off, s[0:3], 0 offset:60
	v_mov_b32_e32 v126, 0
	buffer_store_dword v126, off, s[0:3], 0 offset:56
	buffer_store_dword v126, off, s[0:3], 0 offset:60
	s_waitcnt vmcnt(2)
	ds_write_b64 v1, v[124:125]
.LBB60_359:
	s_or_b64 exec, exec, s[4:5]
	s_waitcnt lgkmcnt(0)
	; wave barrier
	s_waitcnt lgkmcnt(0)
	buffer_load_dword v124, off, s[0:3], 0 offset:56
	buffer_load_dword v125, off, s[0:3], 0 offset:60
	;; [unrolled: 1-line block ×16, first 2 shown]
	v_mov_b32_e32 v128, 0
	ds_read_b128 v[130:133], v128 offset:560
	v_cmp_lt_u32_e32 vcc, 6, v0
	s_waitcnt vmcnt(12) lgkmcnt(0)
	v_fma_f64 v[126:127], v[126:127], v[130:131], 0
	s_waitcnt vmcnt(10)
	v_fmac_f64_e32 v[126:127], v[134:135], v[132:133]
	ds_read_b128 v[130:133], v128 offset:576
	s_waitcnt vmcnt(8) lgkmcnt(0)
	v_fmac_f64_e32 v[126:127], v[136:137], v[130:131]
	s_waitcnt vmcnt(6)
	v_fmac_f64_e32 v[126:127], v[138:139], v[132:133]
	ds_read_b128 v[130:133], v128 offset:592
	s_waitcnt vmcnt(4) lgkmcnt(0)
	v_fmac_f64_e32 v[126:127], v[140:141], v[130:131]
	;; [unrolled: 5-line block ×3, first 2 shown]
	buffer_load_dword v131, off, s[0:3], 0 offset:124
	buffer_load_dword v130, off, s[0:3], 0 offset:120
	buffer_load_dword v135, off, s[0:3], 0 offset:132
	buffer_load_dword v134, off, s[0:3], 0 offset:128
	s_waitcnt vmcnt(2)
	v_fmac_f64_e32 v[126:127], v[130:131], v[132:133]
	ds_read_b128 v[130:133], v128 offset:624
	s_waitcnt vmcnt(0) lgkmcnt(0)
	v_fmac_f64_e32 v[126:127], v[134:135], v[130:131]
	buffer_load_dword v131, off, s[0:3], 0 offset:140
	buffer_load_dword v130, off, s[0:3], 0 offset:136
	buffer_load_dword v135, off, s[0:3], 0 offset:148
	buffer_load_dword v134, off, s[0:3], 0 offset:144
	s_waitcnt vmcnt(2)
	v_fmac_f64_e32 v[126:127], v[130:131], v[132:133]
	ds_read_b128 v[130:133], v128 offset:640
	s_waitcnt vmcnt(0) lgkmcnt(0)
	v_fmac_f64_e32 v[126:127], v[134:135], v[130:131]
	;; [unrolled: 9-line block ×22, first 2 shown]
	buffer_load_dword v131, off, s[0:3], 0 offset:476
	buffer_load_dword v130, off, s[0:3], 0 offset:472
	s_waitcnt vmcnt(0)
	v_fmac_f64_e32 v[126:127], v[130:131], v[132:133]
	buffer_load_dword v131, off, s[0:3], 0 offset:484
	buffer_load_dword v130, off, s[0:3], 0 offset:480
	ds_read_b64 v[132:133], v128 offset:976
	s_waitcnt vmcnt(0) lgkmcnt(0)
	v_fmac_f64_e32 v[126:127], v[130:131], v[132:133]
	v_add_f64 v[124:125], v[124:125], -v[126:127]
	buffer_store_dword v125, off, s[0:3], 0 offset:60
	buffer_store_dword v124, off, s[0:3], 0 offset:56
	s_and_saveexec_b64 s[4:5], vcc
	s_cbranch_execz .LBB60_361
; %bb.360:
	buffer_load_dword v124, off, s[0:3], 0 offset:48
	buffer_load_dword v125, off, s[0:3], 0 offset:52
	s_waitcnt vmcnt(0)
	ds_write_b64 v1, v[124:125]
	buffer_store_dword v128, off, s[0:3], 0 offset:48
	buffer_store_dword v128, off, s[0:3], 0 offset:52
.LBB60_361:
	s_or_b64 exec, exec, s[4:5]
	s_waitcnt lgkmcnt(0)
	; wave barrier
	s_waitcnt lgkmcnt(0)
	buffer_load_dword v124, off, s[0:3], 0 offset:48
	buffer_load_dword v125, off, s[0:3], 0 offset:52
	;; [unrolled: 1-line block ×16, first 2 shown]
	ds_read2_b64 v[130:133], v128 offset0:69 offset1:70
	v_cmp_lt_u32_e32 vcc, 5, v0
	s_waitcnt vmcnt(12) lgkmcnt(0)
	v_fma_f64 v[126:127], v[126:127], v[130:131], 0
	s_waitcnt vmcnt(10)
	v_fmac_f64_e32 v[126:127], v[134:135], v[132:133]
	ds_read2_b64 v[130:133], v128 offset0:71 offset1:72
	s_waitcnt vmcnt(8) lgkmcnt(0)
	v_fmac_f64_e32 v[126:127], v[136:137], v[130:131]
	s_waitcnt vmcnt(6)
	v_fmac_f64_e32 v[126:127], v[138:139], v[132:133]
	ds_read2_b64 v[130:133], v128 offset0:73 offset1:74
	s_waitcnt vmcnt(4) lgkmcnt(0)
	v_fmac_f64_e32 v[126:127], v[140:141], v[130:131]
	;; [unrolled: 5-line block ×3, first 2 shown]
	buffer_load_dword v131, off, s[0:3], 0 offset:116
	buffer_load_dword v130, off, s[0:3], 0 offset:112
	buffer_load_dword v135, off, s[0:3], 0 offset:124
	buffer_load_dword v134, off, s[0:3], 0 offset:120
	s_waitcnt vmcnt(2)
	v_fmac_f64_e32 v[126:127], v[130:131], v[132:133]
	ds_read2_b64 v[130:133], v128 offset0:77 offset1:78
	s_waitcnt vmcnt(0) lgkmcnt(0)
	v_fmac_f64_e32 v[126:127], v[134:135], v[130:131]
	buffer_load_dword v131, off, s[0:3], 0 offset:132
	buffer_load_dword v130, off, s[0:3], 0 offset:128
	buffer_load_dword v135, off, s[0:3], 0 offset:140
	buffer_load_dword v134, off, s[0:3], 0 offset:136
	s_waitcnt vmcnt(2)
	v_fmac_f64_e32 v[126:127], v[130:131], v[132:133]
	ds_read2_b64 v[130:133], v128 offset0:79 offset1:80
	s_waitcnt vmcnt(0) lgkmcnt(0)
	v_fmac_f64_e32 v[126:127], v[134:135], v[130:131]
	;; [unrolled: 9-line block ×22, first 2 shown]
	buffer_load_dword v131, off, s[0:3], 0 offset:468
	buffer_load_dword v130, off, s[0:3], 0 offset:464
	s_waitcnt vmcnt(0)
	v_fmac_f64_e32 v[126:127], v[130:131], v[132:133]
	buffer_load_dword v133, off, s[0:3], 0 offset:476
	buffer_load_dword v132, off, s[0:3], 0 offset:472
	ds_read2_b64 v[128:131], v128 offset0:121 offset1:122
	s_waitcnt vmcnt(0) lgkmcnt(0)
	v_fmac_f64_e32 v[126:127], v[132:133], v[128:129]
	buffer_load_dword v129, off, s[0:3], 0 offset:484
	buffer_load_dword v128, off, s[0:3], 0 offset:480
	s_waitcnt vmcnt(0)
	v_fmac_f64_e32 v[126:127], v[128:129], v[130:131]
	v_add_f64 v[124:125], v[124:125], -v[126:127]
	buffer_store_dword v125, off, s[0:3], 0 offset:52
	buffer_store_dword v124, off, s[0:3], 0 offset:48
	s_and_saveexec_b64 s[4:5], vcc
	s_cbranch_execz .LBB60_363
; %bb.362:
	buffer_load_dword v124, off, s[0:3], 0 offset:40
	buffer_load_dword v125, off, s[0:3], 0 offset:44
	v_mov_b32_e32 v126, 0
	buffer_store_dword v126, off, s[0:3], 0 offset:40
	buffer_store_dword v126, off, s[0:3], 0 offset:44
	s_waitcnt vmcnt(2)
	ds_write_b64 v1, v[124:125]
.LBB60_363:
	s_or_b64 exec, exec, s[4:5]
	s_waitcnt lgkmcnt(0)
	; wave barrier
	s_waitcnt lgkmcnt(0)
	buffer_load_dword v124, off, s[0:3], 0 offset:40
	buffer_load_dword v125, off, s[0:3], 0 offset:44
	;; [unrolled: 1-line block ×16, first 2 shown]
	v_mov_b32_e32 v128, 0
	ds_read_b128 v[130:133], v128 offset:544
	v_cmp_lt_u32_e32 vcc, 4, v0
	s_waitcnt vmcnt(12) lgkmcnt(0)
	v_fma_f64 v[126:127], v[126:127], v[130:131], 0
	s_waitcnt vmcnt(10)
	v_fmac_f64_e32 v[126:127], v[134:135], v[132:133]
	ds_read_b128 v[130:133], v128 offset:560
	s_waitcnt vmcnt(8) lgkmcnt(0)
	v_fmac_f64_e32 v[126:127], v[136:137], v[130:131]
	s_waitcnt vmcnt(6)
	v_fmac_f64_e32 v[126:127], v[138:139], v[132:133]
	ds_read_b128 v[130:133], v128 offset:576
	s_waitcnt vmcnt(4) lgkmcnt(0)
	v_fmac_f64_e32 v[126:127], v[140:141], v[130:131]
	;; [unrolled: 5-line block ×3, first 2 shown]
	buffer_load_dword v131, off, s[0:3], 0 offset:108
	buffer_load_dword v130, off, s[0:3], 0 offset:104
	buffer_load_dword v135, off, s[0:3], 0 offset:116
	buffer_load_dword v134, off, s[0:3], 0 offset:112
	s_waitcnt vmcnt(2)
	v_fmac_f64_e32 v[126:127], v[130:131], v[132:133]
	ds_read_b128 v[130:133], v128 offset:608
	s_waitcnt vmcnt(0) lgkmcnt(0)
	v_fmac_f64_e32 v[126:127], v[134:135], v[130:131]
	buffer_load_dword v131, off, s[0:3], 0 offset:124
	buffer_load_dword v130, off, s[0:3], 0 offset:120
	buffer_load_dword v135, off, s[0:3], 0 offset:132
	buffer_load_dword v134, off, s[0:3], 0 offset:128
	s_waitcnt vmcnt(2)
	v_fmac_f64_e32 v[126:127], v[130:131], v[132:133]
	ds_read_b128 v[130:133], v128 offset:624
	s_waitcnt vmcnt(0) lgkmcnt(0)
	v_fmac_f64_e32 v[126:127], v[134:135], v[130:131]
	;; [unrolled: 9-line block ×23, first 2 shown]
	buffer_load_dword v131, off, s[0:3], 0 offset:476
	buffer_load_dword v130, off, s[0:3], 0 offset:472
	s_waitcnt vmcnt(0)
	v_fmac_f64_e32 v[126:127], v[130:131], v[132:133]
	buffer_load_dword v131, off, s[0:3], 0 offset:484
	buffer_load_dword v130, off, s[0:3], 0 offset:480
	ds_read_b64 v[132:133], v128 offset:976
	s_waitcnt vmcnt(0) lgkmcnt(0)
	v_fmac_f64_e32 v[126:127], v[130:131], v[132:133]
	v_add_f64 v[124:125], v[124:125], -v[126:127]
	buffer_store_dword v125, off, s[0:3], 0 offset:44
	buffer_store_dword v124, off, s[0:3], 0 offset:40
	s_and_saveexec_b64 s[4:5], vcc
	s_cbranch_execz .LBB60_365
; %bb.364:
	buffer_load_dword v124, off, s[0:3], 0 offset:32
	buffer_load_dword v125, off, s[0:3], 0 offset:36
	s_waitcnt vmcnt(0)
	ds_write_b64 v1, v[124:125]
	buffer_store_dword v128, off, s[0:3], 0 offset:32
	buffer_store_dword v128, off, s[0:3], 0 offset:36
.LBB60_365:
	s_or_b64 exec, exec, s[4:5]
	s_waitcnt lgkmcnt(0)
	; wave barrier
	s_waitcnt lgkmcnt(0)
	buffer_load_dword v124, off, s[0:3], 0 offset:32
	buffer_load_dword v125, off, s[0:3], 0 offset:36
	;; [unrolled: 1-line block ×16, first 2 shown]
	ds_read2_b64 v[130:133], v128 offset0:67 offset1:68
	v_cmp_lt_u32_e32 vcc, 3, v0
	s_waitcnt vmcnt(12) lgkmcnt(0)
	v_fma_f64 v[126:127], v[126:127], v[130:131], 0
	s_waitcnt vmcnt(10)
	v_fmac_f64_e32 v[126:127], v[134:135], v[132:133]
	ds_read2_b64 v[130:133], v128 offset0:69 offset1:70
	s_waitcnt vmcnt(8) lgkmcnt(0)
	v_fmac_f64_e32 v[126:127], v[136:137], v[130:131]
	s_waitcnt vmcnt(6)
	v_fmac_f64_e32 v[126:127], v[138:139], v[132:133]
	ds_read2_b64 v[130:133], v128 offset0:71 offset1:72
	s_waitcnt vmcnt(4) lgkmcnt(0)
	v_fmac_f64_e32 v[126:127], v[140:141], v[130:131]
	;; [unrolled: 5-line block ×3, first 2 shown]
	buffer_load_dword v131, off, s[0:3], 0 offset:100
	buffer_load_dword v130, off, s[0:3], 0 offset:96
	buffer_load_dword v135, off, s[0:3], 0 offset:108
	buffer_load_dword v134, off, s[0:3], 0 offset:104
	s_waitcnt vmcnt(2)
	v_fmac_f64_e32 v[126:127], v[130:131], v[132:133]
	ds_read2_b64 v[130:133], v128 offset0:75 offset1:76
	s_waitcnt vmcnt(0) lgkmcnt(0)
	v_fmac_f64_e32 v[126:127], v[134:135], v[130:131]
	buffer_load_dword v131, off, s[0:3], 0 offset:116
	buffer_load_dword v130, off, s[0:3], 0 offset:112
	buffer_load_dword v135, off, s[0:3], 0 offset:124
	buffer_load_dword v134, off, s[0:3], 0 offset:120
	s_waitcnt vmcnt(2)
	v_fmac_f64_e32 v[126:127], v[130:131], v[132:133]
	ds_read2_b64 v[130:133], v128 offset0:77 offset1:78
	s_waitcnt vmcnt(0) lgkmcnt(0)
	v_fmac_f64_e32 v[126:127], v[134:135], v[130:131]
	;; [unrolled: 9-line block ×23, first 2 shown]
	buffer_load_dword v131, off, s[0:3], 0 offset:468
	buffer_load_dword v130, off, s[0:3], 0 offset:464
	s_waitcnt vmcnt(0)
	v_fmac_f64_e32 v[126:127], v[130:131], v[132:133]
	buffer_load_dword v133, off, s[0:3], 0 offset:476
	buffer_load_dword v132, off, s[0:3], 0 offset:472
	ds_read2_b64 v[128:131], v128 offset0:121 offset1:122
	s_waitcnt vmcnt(0) lgkmcnt(0)
	v_fmac_f64_e32 v[126:127], v[132:133], v[128:129]
	buffer_load_dword v129, off, s[0:3], 0 offset:484
	buffer_load_dword v128, off, s[0:3], 0 offset:480
	s_waitcnt vmcnt(0)
	v_fmac_f64_e32 v[126:127], v[128:129], v[130:131]
	v_add_f64 v[124:125], v[124:125], -v[126:127]
	buffer_store_dword v125, off, s[0:3], 0 offset:36
	buffer_store_dword v124, off, s[0:3], 0 offset:32
	s_and_saveexec_b64 s[4:5], vcc
	s_cbranch_execz .LBB60_367
; %bb.366:
	buffer_load_dword v124, off, s[0:3], 0 offset:24
	buffer_load_dword v125, off, s[0:3], 0 offset:28
	v_mov_b32_e32 v126, 0
	buffer_store_dword v126, off, s[0:3], 0 offset:24
	buffer_store_dword v126, off, s[0:3], 0 offset:28
	s_waitcnt vmcnt(2)
	ds_write_b64 v1, v[124:125]
.LBB60_367:
	s_or_b64 exec, exec, s[4:5]
	s_waitcnt lgkmcnt(0)
	; wave barrier
	s_waitcnt lgkmcnt(0)
	buffer_load_dword v124, off, s[0:3], 0 offset:24
	buffer_load_dword v125, off, s[0:3], 0 offset:28
	buffer_load_dword v126, off, s[0:3], 0 offset:32
	buffer_load_dword v127, off, s[0:3], 0 offset:36
	buffer_load_dword v134, off, s[0:3], 0 offset:40
	buffer_load_dword v135, off, s[0:3], 0 offset:44
	buffer_load_dword v136, off, s[0:3], 0 offset:48
	buffer_load_dword v137, off, s[0:3], 0 offset:52
	buffer_load_dword v138, off, s[0:3], 0 offset:56
	buffer_load_dword v139, off, s[0:3], 0 offset:60
	buffer_load_dword v140, off, s[0:3], 0 offset:64
	buffer_load_dword v141, off, s[0:3], 0 offset:68
	buffer_load_dword v142, off, s[0:3], 0 offset:72
	buffer_load_dword v143, off, s[0:3], 0 offset:76
	buffer_load_dword v144, off, s[0:3], 0 offset:80
	buffer_load_dword v145, off, s[0:3], 0 offset:84
	v_mov_b32_e32 v128, 0
	ds_read_b128 v[130:133], v128 offset:528
	v_cmp_lt_u32_e32 vcc, 2, v0
	s_waitcnt vmcnt(12) lgkmcnt(0)
	v_fma_f64 v[126:127], v[126:127], v[130:131], 0
	s_waitcnt vmcnt(10)
	v_fmac_f64_e32 v[126:127], v[134:135], v[132:133]
	ds_read_b128 v[130:133], v128 offset:544
	s_waitcnt vmcnt(8) lgkmcnt(0)
	v_fmac_f64_e32 v[126:127], v[136:137], v[130:131]
	s_waitcnt vmcnt(6)
	v_fmac_f64_e32 v[126:127], v[138:139], v[132:133]
	ds_read_b128 v[130:133], v128 offset:560
	s_waitcnt vmcnt(4) lgkmcnt(0)
	v_fmac_f64_e32 v[126:127], v[140:141], v[130:131]
	;; [unrolled: 5-line block ×3, first 2 shown]
	buffer_load_dword v131, off, s[0:3], 0 offset:92
	buffer_load_dword v130, off, s[0:3], 0 offset:88
	buffer_load_dword v135, off, s[0:3], 0 offset:100
	buffer_load_dword v134, off, s[0:3], 0 offset:96
	s_waitcnt vmcnt(2)
	v_fmac_f64_e32 v[126:127], v[130:131], v[132:133]
	ds_read_b128 v[130:133], v128 offset:592
	s_waitcnt vmcnt(0) lgkmcnt(0)
	v_fmac_f64_e32 v[126:127], v[134:135], v[130:131]
	buffer_load_dword v131, off, s[0:3], 0 offset:108
	buffer_load_dword v130, off, s[0:3], 0 offset:104
	buffer_load_dword v135, off, s[0:3], 0 offset:116
	buffer_load_dword v134, off, s[0:3], 0 offset:112
	s_waitcnt vmcnt(2)
	v_fmac_f64_e32 v[126:127], v[130:131], v[132:133]
	ds_read_b128 v[130:133], v128 offset:608
	s_waitcnt vmcnt(0) lgkmcnt(0)
	v_fmac_f64_e32 v[126:127], v[134:135], v[130:131]
	;; [unrolled: 9-line block ×24, first 2 shown]
	buffer_load_dword v131, off, s[0:3], 0 offset:476
	buffer_load_dword v130, off, s[0:3], 0 offset:472
	s_waitcnt vmcnt(0)
	v_fmac_f64_e32 v[126:127], v[130:131], v[132:133]
	buffer_load_dword v131, off, s[0:3], 0 offset:484
	buffer_load_dword v130, off, s[0:3], 0 offset:480
	ds_read_b64 v[132:133], v128 offset:976
	s_waitcnt vmcnt(0) lgkmcnt(0)
	v_fmac_f64_e32 v[126:127], v[130:131], v[132:133]
	v_add_f64 v[124:125], v[124:125], -v[126:127]
	buffer_store_dword v125, off, s[0:3], 0 offset:28
	buffer_store_dword v124, off, s[0:3], 0 offset:24
	s_and_saveexec_b64 s[4:5], vcc
	s_cbranch_execz .LBB60_369
; %bb.368:
	buffer_load_dword v124, off, s[0:3], 0 offset:16
	buffer_load_dword v125, off, s[0:3], 0 offset:20
	s_waitcnt vmcnt(0)
	ds_write_b64 v1, v[124:125]
	buffer_store_dword v128, off, s[0:3], 0 offset:16
	buffer_store_dword v128, off, s[0:3], 0 offset:20
.LBB60_369:
	s_or_b64 exec, exec, s[4:5]
	s_waitcnt lgkmcnt(0)
	; wave barrier
	s_waitcnt lgkmcnt(0)
	buffer_load_dword v124, off, s[0:3], 0 offset:16
	buffer_load_dword v125, off, s[0:3], 0 offset:20
	;; [unrolled: 1-line block ×16, first 2 shown]
	ds_read2_b64 v[130:133], v128 offset0:65 offset1:66
	v_cmp_lt_u32_e32 vcc, 1, v0
	s_waitcnt vmcnt(12) lgkmcnt(0)
	v_fma_f64 v[126:127], v[126:127], v[130:131], 0
	s_waitcnt vmcnt(10)
	v_fmac_f64_e32 v[126:127], v[134:135], v[132:133]
	ds_read2_b64 v[130:133], v128 offset0:67 offset1:68
	s_waitcnt vmcnt(8) lgkmcnt(0)
	v_fmac_f64_e32 v[126:127], v[136:137], v[130:131]
	s_waitcnt vmcnt(6)
	v_fmac_f64_e32 v[126:127], v[138:139], v[132:133]
	ds_read2_b64 v[130:133], v128 offset0:69 offset1:70
	s_waitcnt vmcnt(4) lgkmcnt(0)
	v_fmac_f64_e32 v[126:127], v[140:141], v[130:131]
	;; [unrolled: 5-line block ×3, first 2 shown]
	buffer_load_dword v131, off, s[0:3], 0 offset:84
	buffer_load_dword v130, off, s[0:3], 0 offset:80
	buffer_load_dword v135, off, s[0:3], 0 offset:92
	buffer_load_dword v134, off, s[0:3], 0 offset:88
	s_waitcnt vmcnt(2)
	v_fmac_f64_e32 v[126:127], v[130:131], v[132:133]
	ds_read2_b64 v[130:133], v128 offset0:73 offset1:74
	s_waitcnt vmcnt(0) lgkmcnt(0)
	v_fmac_f64_e32 v[126:127], v[134:135], v[130:131]
	buffer_load_dword v131, off, s[0:3], 0 offset:100
	buffer_load_dword v130, off, s[0:3], 0 offset:96
	buffer_load_dword v135, off, s[0:3], 0 offset:108
	buffer_load_dword v134, off, s[0:3], 0 offset:104
	s_waitcnt vmcnt(2)
	v_fmac_f64_e32 v[126:127], v[130:131], v[132:133]
	ds_read2_b64 v[130:133], v128 offset0:75 offset1:76
	s_waitcnt vmcnt(0) lgkmcnt(0)
	v_fmac_f64_e32 v[126:127], v[134:135], v[130:131]
	;; [unrolled: 9-line block ×24, first 2 shown]
	buffer_load_dword v131, off, s[0:3], 0 offset:468
	buffer_load_dword v130, off, s[0:3], 0 offset:464
	s_waitcnt vmcnt(0)
	v_fmac_f64_e32 v[126:127], v[130:131], v[132:133]
	buffer_load_dword v133, off, s[0:3], 0 offset:476
	buffer_load_dword v132, off, s[0:3], 0 offset:472
	ds_read2_b64 v[128:131], v128 offset0:121 offset1:122
	s_waitcnt vmcnt(0) lgkmcnt(0)
	v_fmac_f64_e32 v[126:127], v[132:133], v[128:129]
	buffer_load_dword v129, off, s[0:3], 0 offset:484
	buffer_load_dword v128, off, s[0:3], 0 offset:480
	s_waitcnt vmcnt(0)
	v_fmac_f64_e32 v[126:127], v[128:129], v[130:131]
	v_add_f64 v[124:125], v[124:125], -v[126:127]
	buffer_store_dword v125, off, s[0:3], 0 offset:20
	buffer_store_dword v124, off, s[0:3], 0 offset:16
	s_and_saveexec_b64 s[4:5], vcc
	s_cbranch_execz .LBB60_371
; %bb.370:
	buffer_load_dword v124, off, s[0:3], 0 offset:8
	buffer_load_dword v125, off, s[0:3], 0 offset:12
	v_mov_b32_e32 v126, 0
	buffer_store_dword v126, off, s[0:3], 0 offset:8
	buffer_store_dword v126, off, s[0:3], 0 offset:12
	s_waitcnt vmcnt(2)
	ds_write_b64 v1, v[124:125]
.LBB60_371:
	s_or_b64 exec, exec, s[4:5]
	s_waitcnt lgkmcnt(0)
	; wave barrier
	s_waitcnt lgkmcnt(0)
	buffer_load_dword v124, off, s[0:3], 0 offset:8
	buffer_load_dword v125, off, s[0:3], 0 offset:12
	;; [unrolled: 1-line block ×16, first 2 shown]
	v_mov_b32_e32 v128, 0
	ds_read_b128 v[130:133], v128 offset:512
	v_cmp_ne_u32_e32 vcc, 0, v0
	s_waitcnt vmcnt(12) lgkmcnt(0)
	v_fma_f64 v[126:127], v[126:127], v[130:131], 0
	s_waitcnt vmcnt(10)
	v_fmac_f64_e32 v[126:127], v[134:135], v[132:133]
	ds_read_b128 v[130:133], v128 offset:528
	s_waitcnt vmcnt(8) lgkmcnt(0)
	v_fmac_f64_e32 v[126:127], v[136:137], v[130:131]
	s_waitcnt vmcnt(6)
	v_fmac_f64_e32 v[126:127], v[138:139], v[132:133]
	ds_read_b128 v[130:133], v128 offset:544
	s_waitcnt vmcnt(4) lgkmcnt(0)
	v_fmac_f64_e32 v[126:127], v[140:141], v[130:131]
	;; [unrolled: 5-line block ×3, first 2 shown]
	buffer_load_dword v131, off, s[0:3], 0 offset:76
	buffer_load_dword v130, off, s[0:3], 0 offset:72
	buffer_load_dword v135, off, s[0:3], 0 offset:84
	buffer_load_dword v134, off, s[0:3], 0 offset:80
	s_waitcnt vmcnt(2)
	v_fmac_f64_e32 v[126:127], v[130:131], v[132:133]
	ds_read_b128 v[130:133], v128 offset:576
	s_waitcnt vmcnt(0) lgkmcnt(0)
	v_fmac_f64_e32 v[126:127], v[134:135], v[130:131]
	buffer_load_dword v131, off, s[0:3], 0 offset:92
	buffer_load_dword v130, off, s[0:3], 0 offset:88
	buffer_load_dword v135, off, s[0:3], 0 offset:100
	buffer_load_dword v134, off, s[0:3], 0 offset:96
	s_waitcnt vmcnt(2)
	v_fmac_f64_e32 v[126:127], v[130:131], v[132:133]
	ds_read_b128 v[130:133], v128 offset:592
	s_waitcnt vmcnt(0) lgkmcnt(0)
	v_fmac_f64_e32 v[126:127], v[134:135], v[130:131]
	;; [unrolled: 9-line block ×25, first 2 shown]
	buffer_load_dword v131, off, s[0:3], 0 offset:476
	buffer_load_dword v130, off, s[0:3], 0 offset:472
	s_waitcnt vmcnt(0)
	v_fmac_f64_e32 v[126:127], v[130:131], v[132:133]
	buffer_load_dword v131, off, s[0:3], 0 offset:484
	buffer_load_dword v130, off, s[0:3], 0 offset:480
	ds_read_b64 v[132:133], v128 offset:976
	s_waitcnt vmcnt(0) lgkmcnt(0)
	v_fmac_f64_e32 v[126:127], v[130:131], v[132:133]
	v_add_f64 v[124:125], v[124:125], -v[126:127]
	buffer_store_dword v125, off, s[0:3], 0 offset:12
	buffer_store_dword v124, off, s[0:3], 0 offset:8
	s_and_saveexec_b64 s[4:5], vcc
	s_cbranch_execz .LBB60_373
; %bb.372:
	buffer_load_dword v124, off, s[0:3], 0
	buffer_load_dword v125, off, s[0:3], 0 offset:4
	s_waitcnt vmcnt(0)
	ds_write_b64 v1, v[124:125]
	buffer_store_dword v128, off, s[0:3], 0
	buffer_store_dword v128, off, s[0:3], 0 offset:4
.LBB60_373:
	s_or_b64 exec, exec, s[4:5]
	s_waitcnt lgkmcnt(0)
	; wave barrier
	s_waitcnt lgkmcnt(0)
	buffer_load_dword v0, off, s[0:3], 0
	buffer_load_dword v1, off, s[0:3], 0 offset:4
	buffer_load_dword v130, off, s[0:3], 0 offset:8
	buffer_load_dword v131, off, s[0:3], 0 offset:12
	buffer_load_dword v132, off, s[0:3], 0 offset:16
	buffer_load_dword v133, off, s[0:3], 0 offset:20
	buffer_load_dword v134, off, s[0:3], 0 offset:24
	buffer_load_dword v135, off, s[0:3], 0 offset:28
	buffer_load_dword v136, off, s[0:3], 0 offset:32
	buffer_load_dword v137, off, s[0:3], 0 offset:36
	buffer_load_dword v138, off, s[0:3], 0 offset:40
	buffer_load_dword v139, off, s[0:3], 0 offset:44
	buffer_load_dword v140, off, s[0:3], 0 offset:48
	buffer_load_dword v141, off, s[0:3], 0 offset:52
	buffer_load_dword v142, off, s[0:3], 0 offset:56
	buffer_load_dword v143, off, s[0:3], 0 offset:60
	ds_read2_b64 v[124:127], v128 offset0:63 offset1:64
	s_and_b64 vcc, exec, s[20:21]
	s_waitcnt vmcnt(12) lgkmcnt(0)
	v_fma_f64 v[124:125], v[130:131], v[124:125], 0
	s_waitcnt vmcnt(10)
	v_fmac_f64_e32 v[124:125], v[132:133], v[126:127]
	ds_read2_b64 v[130:133], v128 offset0:65 offset1:66
	s_waitcnt vmcnt(8) lgkmcnt(0)
	v_fmac_f64_e32 v[124:125], v[134:135], v[130:131]
	s_waitcnt vmcnt(6)
	v_fmac_f64_e32 v[124:125], v[136:137], v[132:133]
	ds_read2_b64 v[130:133], v128 offset0:67 offset1:68
	s_waitcnt vmcnt(4) lgkmcnt(0)
	v_fmac_f64_e32 v[124:125], v[138:139], v[130:131]
	s_waitcnt vmcnt(2)
	v_fmac_f64_e32 v[124:125], v[140:141], v[132:133]
	ds_read2_b64 v[130:133], v128 offset0:69 offset1:70
	buffer_load_dword v127, off, s[0:3], 0 offset:68
	buffer_load_dword v126, off, s[0:3], 0 offset:64
	s_waitcnt vmcnt(2) lgkmcnt(0)
	v_fmac_f64_e32 v[124:125], v[142:143], v[130:131]
	s_waitcnt vmcnt(0)
	v_fmac_f64_e32 v[124:125], v[126:127], v[132:133]
	buffer_load_dword v127, off, s[0:3], 0 offset:76
	buffer_load_dword v126, off, s[0:3], 0 offset:72
	ds_read2_b64 v[130:133], v128 offset0:71 offset1:72
	s_waitcnt vmcnt(0) lgkmcnt(0)
	v_fmac_f64_e32 v[124:125], v[126:127], v[130:131]
	buffer_load_dword v127, off, s[0:3], 0 offset:84
	buffer_load_dword v126, off, s[0:3], 0 offset:80
	s_waitcnt vmcnt(0)
	v_fmac_f64_e32 v[124:125], v[126:127], v[132:133]
	buffer_load_dword v127, off, s[0:3], 0 offset:92
	buffer_load_dword v126, off, s[0:3], 0 offset:88
	ds_read2_b64 v[130:133], v128 offset0:73 offset1:74
	s_waitcnt vmcnt(0) lgkmcnt(0)
	v_fmac_f64_e32 v[124:125], v[126:127], v[130:131]
	buffer_load_dword v127, off, s[0:3], 0 offset:100
	buffer_load_dword v126, off, s[0:3], 0 offset:96
	s_waitcnt vmcnt(0)
	v_fmac_f64_e32 v[124:125], v[126:127], v[132:133]
	buffer_load_dword v127, off, s[0:3], 0 offset:108
	buffer_load_dword v126, off, s[0:3], 0 offset:104
	ds_read2_b64 v[130:133], v128 offset0:75 offset1:76
	s_waitcnt vmcnt(0) lgkmcnt(0)
	v_fmac_f64_e32 v[124:125], v[126:127], v[130:131]
	buffer_load_dword v127, off, s[0:3], 0 offset:116
	buffer_load_dword v126, off, s[0:3], 0 offset:112
	s_waitcnt vmcnt(0)
	v_fmac_f64_e32 v[124:125], v[126:127], v[132:133]
	buffer_load_dword v127, off, s[0:3], 0 offset:124
	buffer_load_dword v126, off, s[0:3], 0 offset:120
	ds_read2_b64 v[130:133], v128 offset0:77 offset1:78
	s_waitcnt vmcnt(0) lgkmcnt(0)
	v_fmac_f64_e32 v[124:125], v[126:127], v[130:131]
	buffer_load_dword v127, off, s[0:3], 0 offset:132
	buffer_load_dword v126, off, s[0:3], 0 offset:128
	s_waitcnt vmcnt(0)
	v_fmac_f64_e32 v[124:125], v[126:127], v[132:133]
	buffer_load_dword v127, off, s[0:3], 0 offset:140
	buffer_load_dword v126, off, s[0:3], 0 offset:136
	ds_read2_b64 v[130:133], v128 offset0:79 offset1:80
	s_waitcnt vmcnt(0) lgkmcnt(0)
	v_fmac_f64_e32 v[124:125], v[126:127], v[130:131]
	buffer_load_dword v127, off, s[0:3], 0 offset:148
	buffer_load_dword v126, off, s[0:3], 0 offset:144
	s_waitcnt vmcnt(0)
	v_fmac_f64_e32 v[124:125], v[126:127], v[132:133]
	buffer_load_dword v127, off, s[0:3], 0 offset:156
	buffer_load_dword v126, off, s[0:3], 0 offset:152
	ds_read2_b64 v[130:133], v128 offset0:81 offset1:82
	s_waitcnt vmcnt(0) lgkmcnt(0)
	v_fmac_f64_e32 v[124:125], v[126:127], v[130:131]
	buffer_load_dword v127, off, s[0:3], 0 offset:164
	buffer_load_dword v126, off, s[0:3], 0 offset:160
	s_waitcnt vmcnt(0)
	v_fmac_f64_e32 v[124:125], v[126:127], v[132:133]
	buffer_load_dword v127, off, s[0:3], 0 offset:172
	buffer_load_dword v126, off, s[0:3], 0 offset:168
	ds_read2_b64 v[130:133], v128 offset0:83 offset1:84
	s_waitcnt vmcnt(0) lgkmcnt(0)
	v_fmac_f64_e32 v[124:125], v[126:127], v[130:131]
	buffer_load_dword v127, off, s[0:3], 0 offset:180
	buffer_load_dword v126, off, s[0:3], 0 offset:176
	s_waitcnt vmcnt(0)
	v_fmac_f64_e32 v[124:125], v[126:127], v[132:133]
	buffer_load_dword v127, off, s[0:3], 0 offset:188
	buffer_load_dword v126, off, s[0:3], 0 offset:184
	ds_read2_b64 v[130:133], v128 offset0:85 offset1:86
	s_waitcnt vmcnt(0) lgkmcnt(0)
	v_fmac_f64_e32 v[124:125], v[126:127], v[130:131]
	buffer_load_dword v127, off, s[0:3], 0 offset:196
	buffer_load_dword v126, off, s[0:3], 0 offset:192
	s_waitcnt vmcnt(0)
	v_fmac_f64_e32 v[124:125], v[126:127], v[132:133]
	buffer_load_dword v127, off, s[0:3], 0 offset:204
	buffer_load_dword v126, off, s[0:3], 0 offset:200
	ds_read2_b64 v[130:133], v128 offset0:87 offset1:88
	s_waitcnt vmcnt(0) lgkmcnt(0)
	v_fmac_f64_e32 v[124:125], v[126:127], v[130:131]
	buffer_load_dword v127, off, s[0:3], 0 offset:212
	buffer_load_dword v126, off, s[0:3], 0 offset:208
	s_waitcnt vmcnt(0)
	v_fmac_f64_e32 v[124:125], v[126:127], v[132:133]
	buffer_load_dword v127, off, s[0:3], 0 offset:220
	buffer_load_dword v126, off, s[0:3], 0 offset:216
	ds_read2_b64 v[130:133], v128 offset0:89 offset1:90
	s_waitcnt vmcnt(0) lgkmcnt(0)
	v_fmac_f64_e32 v[124:125], v[126:127], v[130:131]
	buffer_load_dword v127, off, s[0:3], 0 offset:228
	buffer_load_dword v126, off, s[0:3], 0 offset:224
	s_waitcnt vmcnt(0)
	v_fmac_f64_e32 v[124:125], v[126:127], v[132:133]
	buffer_load_dword v127, off, s[0:3], 0 offset:236
	buffer_load_dword v126, off, s[0:3], 0 offset:232
	ds_read2_b64 v[130:133], v128 offset0:91 offset1:92
	s_waitcnt vmcnt(0) lgkmcnt(0)
	v_fmac_f64_e32 v[124:125], v[126:127], v[130:131]
	buffer_load_dword v127, off, s[0:3], 0 offset:244
	buffer_load_dword v126, off, s[0:3], 0 offset:240
	s_waitcnt vmcnt(0)
	v_fmac_f64_e32 v[124:125], v[126:127], v[132:133]
	buffer_load_dword v127, off, s[0:3], 0 offset:252
	buffer_load_dword v126, off, s[0:3], 0 offset:248
	ds_read2_b64 v[130:133], v128 offset0:93 offset1:94
	s_waitcnt vmcnt(0) lgkmcnt(0)
	v_fmac_f64_e32 v[124:125], v[126:127], v[130:131]
	buffer_load_dword v127, off, s[0:3], 0 offset:260
	buffer_load_dword v126, off, s[0:3], 0 offset:256
	s_waitcnt vmcnt(0)
	v_fmac_f64_e32 v[124:125], v[126:127], v[132:133]
	buffer_load_dword v127, off, s[0:3], 0 offset:268
	buffer_load_dword v126, off, s[0:3], 0 offset:264
	ds_read2_b64 v[130:133], v128 offset0:95 offset1:96
	s_waitcnt vmcnt(0) lgkmcnt(0)
	v_fmac_f64_e32 v[124:125], v[126:127], v[130:131]
	buffer_load_dword v127, off, s[0:3], 0 offset:276
	buffer_load_dword v126, off, s[0:3], 0 offset:272
	s_waitcnt vmcnt(0)
	v_fmac_f64_e32 v[124:125], v[126:127], v[132:133]
	buffer_load_dword v127, off, s[0:3], 0 offset:284
	buffer_load_dword v126, off, s[0:3], 0 offset:280
	ds_read2_b64 v[130:133], v128 offset0:97 offset1:98
	s_waitcnt vmcnt(0) lgkmcnt(0)
	v_fmac_f64_e32 v[124:125], v[126:127], v[130:131]
	buffer_load_dword v127, off, s[0:3], 0 offset:292
	buffer_load_dword v126, off, s[0:3], 0 offset:288
	s_waitcnt vmcnt(0)
	v_fmac_f64_e32 v[124:125], v[126:127], v[132:133]
	buffer_load_dword v127, off, s[0:3], 0 offset:300
	buffer_load_dword v126, off, s[0:3], 0 offset:296
	ds_read2_b64 v[130:133], v128 offset0:99 offset1:100
	s_waitcnt vmcnt(0) lgkmcnt(0)
	v_fmac_f64_e32 v[124:125], v[126:127], v[130:131]
	buffer_load_dword v127, off, s[0:3], 0 offset:308
	buffer_load_dword v126, off, s[0:3], 0 offset:304
	s_waitcnt vmcnt(0)
	v_fmac_f64_e32 v[124:125], v[126:127], v[132:133]
	buffer_load_dword v127, off, s[0:3], 0 offset:316
	buffer_load_dword v126, off, s[0:3], 0 offset:312
	ds_read2_b64 v[130:133], v128 offset0:101 offset1:102
	s_waitcnt vmcnt(0) lgkmcnt(0)
	v_fmac_f64_e32 v[124:125], v[126:127], v[130:131]
	buffer_load_dword v127, off, s[0:3], 0 offset:324
	buffer_load_dword v126, off, s[0:3], 0 offset:320
	s_waitcnt vmcnt(0)
	v_fmac_f64_e32 v[124:125], v[126:127], v[132:133]
	buffer_load_dword v127, off, s[0:3], 0 offset:332
	buffer_load_dword v126, off, s[0:3], 0 offset:328
	ds_read2_b64 v[130:133], v128 offset0:103 offset1:104
	s_waitcnt vmcnt(0) lgkmcnt(0)
	v_fmac_f64_e32 v[124:125], v[126:127], v[130:131]
	buffer_load_dword v127, off, s[0:3], 0 offset:340
	buffer_load_dword v126, off, s[0:3], 0 offset:336
	s_waitcnt vmcnt(0)
	v_fmac_f64_e32 v[124:125], v[126:127], v[132:133]
	buffer_load_dword v127, off, s[0:3], 0 offset:348
	buffer_load_dword v126, off, s[0:3], 0 offset:344
	ds_read2_b64 v[130:133], v128 offset0:105 offset1:106
	s_waitcnt vmcnt(0) lgkmcnt(0)
	v_fmac_f64_e32 v[124:125], v[126:127], v[130:131]
	buffer_load_dword v127, off, s[0:3], 0 offset:356
	buffer_load_dword v126, off, s[0:3], 0 offset:352
	s_waitcnt vmcnt(0)
	v_fmac_f64_e32 v[124:125], v[126:127], v[132:133]
	buffer_load_dword v127, off, s[0:3], 0 offset:364
	buffer_load_dword v126, off, s[0:3], 0 offset:360
	ds_read2_b64 v[130:133], v128 offset0:107 offset1:108
	s_waitcnt vmcnt(0) lgkmcnt(0)
	v_fmac_f64_e32 v[124:125], v[126:127], v[130:131]
	buffer_load_dword v127, off, s[0:3], 0 offset:372
	buffer_load_dword v126, off, s[0:3], 0 offset:368
	s_waitcnt vmcnt(0)
	v_fmac_f64_e32 v[124:125], v[126:127], v[132:133]
	buffer_load_dword v127, off, s[0:3], 0 offset:380
	buffer_load_dword v126, off, s[0:3], 0 offset:376
	ds_read2_b64 v[130:133], v128 offset0:109 offset1:110
	s_waitcnt vmcnt(0) lgkmcnt(0)
	v_fmac_f64_e32 v[124:125], v[126:127], v[130:131]
	buffer_load_dword v127, off, s[0:3], 0 offset:388
	buffer_load_dword v126, off, s[0:3], 0 offset:384
	s_waitcnt vmcnt(0)
	v_fmac_f64_e32 v[124:125], v[126:127], v[132:133]
	buffer_load_dword v127, off, s[0:3], 0 offset:396
	buffer_load_dword v126, off, s[0:3], 0 offset:392
	ds_read2_b64 v[130:133], v128 offset0:111 offset1:112
	s_waitcnt vmcnt(0) lgkmcnt(0)
	v_fmac_f64_e32 v[124:125], v[126:127], v[130:131]
	buffer_load_dword v127, off, s[0:3], 0 offset:404
	buffer_load_dword v126, off, s[0:3], 0 offset:400
	s_waitcnt vmcnt(0)
	v_fmac_f64_e32 v[124:125], v[126:127], v[132:133]
	buffer_load_dword v127, off, s[0:3], 0 offset:412
	buffer_load_dword v126, off, s[0:3], 0 offset:408
	ds_read2_b64 v[130:133], v128 offset0:113 offset1:114
	s_waitcnt vmcnt(0) lgkmcnt(0)
	v_fmac_f64_e32 v[124:125], v[126:127], v[130:131]
	buffer_load_dword v127, off, s[0:3], 0 offset:420
	buffer_load_dword v126, off, s[0:3], 0 offset:416
	s_waitcnt vmcnt(0)
	v_fmac_f64_e32 v[124:125], v[126:127], v[132:133]
	buffer_load_dword v127, off, s[0:3], 0 offset:428
	buffer_load_dword v126, off, s[0:3], 0 offset:424
	ds_read2_b64 v[130:133], v128 offset0:115 offset1:116
	s_waitcnt vmcnt(0) lgkmcnt(0)
	v_fmac_f64_e32 v[124:125], v[126:127], v[130:131]
	buffer_load_dword v127, off, s[0:3], 0 offset:436
	buffer_load_dword v126, off, s[0:3], 0 offset:432
	s_waitcnt vmcnt(0)
	v_fmac_f64_e32 v[124:125], v[126:127], v[132:133]
	buffer_load_dword v127, off, s[0:3], 0 offset:444
	buffer_load_dword v126, off, s[0:3], 0 offset:440
	ds_read2_b64 v[130:133], v128 offset0:117 offset1:118
	s_waitcnt vmcnt(0) lgkmcnt(0)
	v_fmac_f64_e32 v[124:125], v[126:127], v[130:131]
	buffer_load_dword v127, off, s[0:3], 0 offset:452
	buffer_load_dword v126, off, s[0:3], 0 offset:448
	s_waitcnt vmcnt(0)
	v_fmac_f64_e32 v[124:125], v[126:127], v[132:133]
	buffer_load_dword v127, off, s[0:3], 0 offset:460
	buffer_load_dword v126, off, s[0:3], 0 offset:456
	ds_read2_b64 v[130:133], v128 offset0:119 offset1:120
	s_waitcnt vmcnt(0) lgkmcnt(0)
	v_fmac_f64_e32 v[124:125], v[126:127], v[130:131]
	buffer_load_dword v127, off, s[0:3], 0 offset:468
	buffer_load_dword v126, off, s[0:3], 0 offset:464
	s_waitcnt vmcnt(0)
	v_fmac_f64_e32 v[124:125], v[126:127], v[132:133]
	buffer_load_dword v127, off, s[0:3], 0 offset:476
	buffer_load_dword v126, off, s[0:3], 0 offset:472
	ds_read2_b64 v[128:131], v128 offset0:121 offset1:122
	s_waitcnt vmcnt(0) lgkmcnt(0)
	v_fmac_f64_e32 v[124:125], v[126:127], v[128:129]
	buffer_load_dword v129, off, s[0:3], 0 offset:484
	buffer_load_dword v128, off, s[0:3], 0 offset:480
	s_waitcnt vmcnt(0)
	v_fmac_f64_e32 v[124:125], v[128:129], v[130:131]
	v_add_f64 v[0:1], v[0:1], -v[124:125]
	buffer_store_dword v1, off, s[0:3], 0 offset:4
	buffer_store_dword v0, off, s[0:3], 0
	s_cbranch_vccz .LBB60_495
; %bb.374:
	v_pk_mov_b32 v[0:1], s[10:11], s[10:11] op_sel:[0,1]
	flat_load_dword v0, v[0:1] offset:236
	s_waitcnt vmcnt(0) lgkmcnt(0)
	v_add_u32_e32 v0, -1, v0
	v_cmp_ne_u32_e32 vcc, 59, v0
	s_and_saveexec_b64 s[4:5], vcc
	s_cbranch_execz .LBB60_376
; %bb.375:
	v_mov_b32_e32 v1, 0
	v_lshl_add_u32 v0, v0, 3, v1
	buffer_load_dword v1, v0, s[0:3], 0 offen
	buffer_load_dword v124, v0, s[0:3], 0 offen offset:4
	s_waitcnt vmcnt(1)
	buffer_store_dword v1, off, s[0:3], 0 offset:472
	s_waitcnt vmcnt(1)
	buffer_store_dword v124, off, s[0:3], 0 offset:476
	buffer_store_dword v126, v0, s[0:3], 0 offen
	buffer_store_dword v127, v0, s[0:3], 0 offen offset:4
.LBB60_376:
	s_or_b64 exec, exec, s[4:5]
	v_pk_mov_b32 v[0:1], s[10:11], s[10:11] op_sel:[0,1]
	flat_load_dword v0, v[0:1] offset:232
	s_waitcnt vmcnt(0) lgkmcnt(0)
	v_add_u32_e32 v0, -1, v0
	v_cmp_ne_u32_e32 vcc, 58, v0
	s_and_saveexec_b64 s[4:5], vcc
	s_cbranch_execz .LBB60_378
; %bb.377:
	v_mov_b32_e32 v1, 0
	v_lshl_add_u32 v0, v0, 3, v1
	buffer_load_dword v1, v0, s[0:3], 0 offen
	buffer_load_dword v124, v0, s[0:3], 0 offen offset:4
	buffer_load_dword v125, off, s[0:3], 0 offset:468
	buffer_load_dword v126, off, s[0:3], 0 offset:464
	s_waitcnt vmcnt(3)
	buffer_store_dword v1, off, s[0:3], 0 offset:464
	s_waitcnt vmcnt(3)
	buffer_store_dword v124, off, s[0:3], 0 offset:468
	s_waitcnt vmcnt(3)
	buffer_store_dword v125, v0, s[0:3], 0 offen offset:4
	s_waitcnt vmcnt(3)
	buffer_store_dword v126, v0, s[0:3], 0 offen
.LBB60_378:
	s_or_b64 exec, exec, s[4:5]
	v_pk_mov_b32 v[0:1], s[10:11], s[10:11] op_sel:[0,1]
	flat_load_dword v0, v[0:1] offset:228
	s_waitcnt vmcnt(0) lgkmcnt(0)
	v_add_u32_e32 v0, -1, v0
	v_cmp_ne_u32_e32 vcc, 57, v0
	s_and_saveexec_b64 s[4:5], vcc
	s_cbranch_execz .LBB60_380
; %bb.379:
	v_mov_b32_e32 v1, 0
	v_lshl_add_u32 v0, v0, 3, v1
	buffer_load_dword v1, v0, s[0:3], 0 offen
	buffer_load_dword v124, v0, s[0:3], 0 offen offset:4
	buffer_load_dword v125, off, s[0:3], 0 offset:456
	buffer_load_dword v126, off, s[0:3], 0 offset:460
	s_waitcnt vmcnt(3)
	buffer_store_dword v1, off, s[0:3], 0 offset:456
	s_waitcnt vmcnt(3)
	buffer_store_dword v124, off, s[0:3], 0 offset:460
	s_waitcnt vmcnt(3)
	buffer_store_dword v125, v0, s[0:3], 0 offen
	s_waitcnt vmcnt(3)
	buffer_store_dword v126, v0, s[0:3], 0 offen offset:4
.LBB60_380:
	s_or_b64 exec, exec, s[4:5]
	v_pk_mov_b32 v[0:1], s[10:11], s[10:11] op_sel:[0,1]
	flat_load_dword v0, v[0:1] offset:224
	s_waitcnt vmcnt(0) lgkmcnt(0)
	v_add_u32_e32 v0, -1, v0
	v_cmp_ne_u32_e32 vcc, 56, v0
	s_and_saveexec_b64 s[4:5], vcc
	s_cbranch_execz .LBB60_382
; %bb.381:
	v_mov_b32_e32 v1, 0
	v_lshl_add_u32 v0, v0, 3, v1
	buffer_load_dword v1, v0, s[0:3], 0 offen
	buffer_load_dword v124, v0, s[0:3], 0 offen offset:4
	buffer_load_dword v125, off, s[0:3], 0 offset:452
	buffer_load_dword v126, off, s[0:3], 0 offset:448
	s_waitcnt vmcnt(3)
	buffer_store_dword v1, off, s[0:3], 0 offset:448
	s_waitcnt vmcnt(3)
	buffer_store_dword v124, off, s[0:3], 0 offset:452
	s_waitcnt vmcnt(3)
	buffer_store_dword v125, v0, s[0:3], 0 offen offset:4
	s_waitcnt vmcnt(3)
	buffer_store_dword v126, v0, s[0:3], 0 offen
.LBB60_382:
	s_or_b64 exec, exec, s[4:5]
	v_pk_mov_b32 v[0:1], s[10:11], s[10:11] op_sel:[0,1]
	flat_load_dword v0, v[0:1] offset:220
	s_waitcnt vmcnt(0) lgkmcnt(0)
	v_add_u32_e32 v0, -1, v0
	v_cmp_ne_u32_e32 vcc, 55, v0
	s_and_saveexec_b64 s[4:5], vcc
	s_cbranch_execz .LBB60_384
; %bb.383:
	v_mov_b32_e32 v1, 0
	v_lshl_add_u32 v0, v0, 3, v1
	buffer_load_dword v1, v0, s[0:3], 0 offen
	buffer_load_dword v124, v0, s[0:3], 0 offen offset:4
	buffer_load_dword v125, off, s[0:3], 0 offset:440
	buffer_load_dword v126, off, s[0:3], 0 offset:444
	s_waitcnt vmcnt(3)
	buffer_store_dword v1, off, s[0:3], 0 offset:440
	s_waitcnt vmcnt(3)
	buffer_store_dword v124, off, s[0:3], 0 offset:444
	s_waitcnt vmcnt(3)
	buffer_store_dword v125, v0, s[0:3], 0 offen
	s_waitcnt vmcnt(3)
	buffer_store_dword v126, v0, s[0:3], 0 offen offset:4
.LBB60_384:
	;; [unrolled: 48-line block ×29, first 2 shown]
	s_or_b64 exec, exec, s[4:5]
	v_pk_mov_b32 v[0:1], s[10:11], s[10:11] op_sel:[0,1]
	flat_load_dword v124, v[0:1]
	s_nop 0
	buffer_load_dword v0, off, s[0:3], 0
	buffer_load_dword v1, off, s[0:3], 0 offset:4
	s_waitcnt vmcnt(0) lgkmcnt(0)
	v_add_u32_e32 v124, -1, v124
	v_cmp_ne_u32_e32 vcc, 0, v124
	s_and_saveexec_b64 s[4:5], vcc
	s_cbranch_execz .LBB60_494
; %bb.493:
	v_mov_b32_e32 v125, 0
	v_lshl_add_u32 v124, v124, 3, v125
	buffer_load_dword v125, v124, s[0:3], 0 offen offset:4
	buffer_load_dword v126, v124, s[0:3], 0 offen
	s_waitcnt vmcnt(1)
	buffer_store_dword v125, off, s[0:3], 0 offset:4
	s_waitcnt vmcnt(1)
	buffer_store_dword v126, off, s[0:3], 0
	buffer_store_dword v1, v124, s[0:3], 0 offen offset:4
	buffer_store_dword v0, v124, s[0:3], 0 offen
	buffer_load_dword v0, off, s[0:3], 0
	s_nop 0
	buffer_load_dword v1, off, s[0:3], 0 offset:4
.LBB60_494:
	s_or_b64 exec, exec, s[4:5]
.LBB60_495:
	s_waitcnt vmcnt(0)
	global_store_dwordx2 v[4:5], v[0:1], off
	buffer_load_dword v0, off, s[0:3], 0 offset:8
	s_nop 0
	buffer_load_dword v1, off, s[0:3], 0 offset:12
	buffer_load_dword v4, off, s[0:3], 0 offset:16
	;; [unrolled: 1-line block ×15, first 2 shown]
	s_waitcnt vmcnt(14)
	global_store_dwordx2 v[2:3], v[0:1], off
	s_waitcnt vmcnt(13)
	global_store_dwordx2 v[6:7], v[4:5], off
	;; [unrolled: 2-line block ×8, first 2 shown]
	buffer_load_dword v0, off, s[0:3], 0 offset:72
	buffer_load_dword v1, off, s[0:3], 0 offset:76
	s_waitcnt vmcnt(0)
	global_store_dwordx2 v[18:19], v[0:1], off
	buffer_load_dword v0, off, s[0:3], 0 offset:80
	s_nop 0
	buffer_load_dword v1, off, s[0:3], 0 offset:84
	s_waitcnt vmcnt(0)
	global_store_dwordx2 v[22:23], v[0:1], off
	buffer_load_dword v0, off, s[0:3], 0 offset:88
	s_nop 0
	;; [unrolled: 5-line block ×51, first 2 shown]
	buffer_load_dword v1, off, s[0:3], 0 offset:484
	s_waitcnt vmcnt(0)
	global_store_dwordx2 v[116:117], v[0:1], off
	s_endpgm
	.section	.rodata,"a",@progbits
	.p2align	6, 0x0
	.amdhsa_kernel _ZN9rocsolver6v33100L18getri_kernel_smallILi61EdPdEEvT1_iilPiilS4_bb
		.amdhsa_group_segment_fixed_size 984
		.amdhsa_private_segment_fixed_size 496
		.amdhsa_kernarg_size 60
		.amdhsa_user_sgpr_count 8
		.amdhsa_user_sgpr_private_segment_buffer 1
		.amdhsa_user_sgpr_dispatch_ptr 0
		.amdhsa_user_sgpr_queue_ptr 0
		.amdhsa_user_sgpr_kernarg_segment_ptr 1
		.amdhsa_user_sgpr_dispatch_id 0
		.amdhsa_user_sgpr_flat_scratch_init 1
		.amdhsa_user_sgpr_kernarg_preload_length 0
		.amdhsa_user_sgpr_kernarg_preload_offset 0
		.amdhsa_user_sgpr_private_segment_size 0
		.amdhsa_uses_dynamic_stack 0
		.amdhsa_system_sgpr_private_segment_wavefront_offset 1
		.amdhsa_system_sgpr_workgroup_id_x 1
		.amdhsa_system_sgpr_workgroup_id_y 0
		.amdhsa_system_sgpr_workgroup_id_z 0
		.amdhsa_system_sgpr_workgroup_info 0
		.amdhsa_system_vgpr_workitem_id 0
		.amdhsa_next_free_vgpr 168
		.amdhsa_next_free_sgpr 23
		.amdhsa_accum_offset 168
		.amdhsa_reserve_vcc 1
		.amdhsa_reserve_flat_scratch 1
		.amdhsa_float_round_mode_32 0
		.amdhsa_float_round_mode_16_64 0
		.amdhsa_float_denorm_mode_32 3
		.amdhsa_float_denorm_mode_16_64 3
		.amdhsa_dx10_clamp 1
		.amdhsa_ieee_mode 1
		.amdhsa_fp16_overflow 0
		.amdhsa_tg_split 0
		.amdhsa_exception_fp_ieee_invalid_op 0
		.amdhsa_exception_fp_denorm_src 0
		.amdhsa_exception_fp_ieee_div_zero 0
		.amdhsa_exception_fp_ieee_overflow 0
		.amdhsa_exception_fp_ieee_underflow 0
		.amdhsa_exception_fp_ieee_inexact 0
		.amdhsa_exception_int_div_zero 0
	.end_amdhsa_kernel
	.section	.text._ZN9rocsolver6v33100L18getri_kernel_smallILi61EdPdEEvT1_iilPiilS4_bb,"axG",@progbits,_ZN9rocsolver6v33100L18getri_kernel_smallILi61EdPdEEvT1_iilPiilS4_bb,comdat
.Lfunc_end60:
	.size	_ZN9rocsolver6v33100L18getri_kernel_smallILi61EdPdEEvT1_iilPiilS4_bb, .Lfunc_end60-_ZN9rocsolver6v33100L18getri_kernel_smallILi61EdPdEEvT1_iilPiilS4_bb
                                        ; -- End function
	.section	.AMDGPU.csdata,"",@progbits
; Kernel info:
; codeLenInByte = 83460
; NumSgprs: 29
; NumVgprs: 168
; NumAgprs: 0
; TotalNumVgprs: 168
; ScratchSize: 496
; MemoryBound: 1
; FloatMode: 240
; IeeeMode: 1
; LDSByteSize: 984 bytes/workgroup (compile time only)
; SGPRBlocks: 3
; VGPRBlocks: 20
; NumSGPRsForWavesPerEU: 29
; NumVGPRsForWavesPerEU: 168
; AccumOffset: 168
; Occupancy: 3
; WaveLimiterHint : 1
; COMPUTE_PGM_RSRC2:SCRATCH_EN: 1
; COMPUTE_PGM_RSRC2:USER_SGPR: 8
; COMPUTE_PGM_RSRC2:TRAP_HANDLER: 0
; COMPUTE_PGM_RSRC2:TGID_X_EN: 1
; COMPUTE_PGM_RSRC2:TGID_Y_EN: 0
; COMPUTE_PGM_RSRC2:TGID_Z_EN: 0
; COMPUTE_PGM_RSRC2:TIDIG_COMP_CNT: 0
; COMPUTE_PGM_RSRC3_GFX90A:ACCUM_OFFSET: 41
; COMPUTE_PGM_RSRC3_GFX90A:TG_SPLIT: 0
	.section	.text._ZN9rocsolver6v33100L18getri_kernel_smallILi62EdPdEEvT1_iilPiilS4_bb,"axG",@progbits,_ZN9rocsolver6v33100L18getri_kernel_smallILi62EdPdEEvT1_iilPiilS4_bb,comdat
	.globl	_ZN9rocsolver6v33100L18getri_kernel_smallILi62EdPdEEvT1_iilPiilS4_bb ; -- Begin function _ZN9rocsolver6v33100L18getri_kernel_smallILi62EdPdEEvT1_iilPiilS4_bb
	.p2align	8
	.type	_ZN9rocsolver6v33100L18getri_kernel_smallILi62EdPdEEvT1_iilPiilS4_bb,@function
_ZN9rocsolver6v33100L18getri_kernel_smallILi62EdPdEEvT1_iilPiilS4_bb: ; @_ZN9rocsolver6v33100L18getri_kernel_smallILi62EdPdEEvT1_iilPiilS4_bb
; %bb.0:
	s_add_u32 flat_scratch_lo, s6, s9
	s_addc_u32 flat_scratch_hi, s7, 0
	s_add_u32 s0, s0, s9
	s_addc_u32 s1, s1, 0
	v_cmp_gt_u32_e32 vcc, 62, v0
	s_and_saveexec_b64 s[6:7], vcc
	s_cbranch_execz .LBB61_256
; %bb.1:
	s_load_dword s22, s[4:5], 0x38
	s_load_dwordx4 s[16:19], s[4:5], 0x10
	s_load_dwordx4 s[12:15], s[4:5], 0x28
                                        ; implicit-def: $sgpr10_sgpr11
	s_waitcnt lgkmcnt(0)
	s_bitcmp1_b32 s22, 8
	s_cselect_b64 s[20:21], -1, 0
	s_ashr_i32 s9, s8, 31
	s_bfe_u32 s6, s22, 0x10008
	s_cmp_eq_u32 s6, 0
	s_cbranch_scc1 .LBB61_3
; %bb.2:
	s_load_dword s6, s[4:5], 0x20
	s_mul_i32 s7, s8, s13
	s_mul_hi_u32 s10, s8, s12
	s_mul_i32 s11, s9, s12
	s_add_i32 s10, s10, s7
	s_add_i32 s11, s10, s11
	s_mul_i32 s10, s8, s12
	s_waitcnt lgkmcnt(0)
	s_ashr_i32 s7, s6, 31
	s_lshl_b64 s[10:11], s[10:11], 2
	s_add_u32 s10, s18, s10
	s_addc_u32 s11, s19, s11
	s_lshl_b64 s[6:7], s[6:7], 2
	s_add_u32 s10, s10, s6
	s_addc_u32 s11, s11, s7
.LBB61_3:
	s_load_dwordx4 s[4:7], s[4:5], 0x0
	s_mul_i32 s12, s8, s17
	s_mul_hi_u32 s13, s8, s16
	s_add_i32 s17, s13, s12
	v_lshlrev_b32_e32 v1, 3, v0
	s_waitcnt lgkmcnt(0)
	s_ashr_i32 s13, s6, 31
	s_mov_b32 s12, s6
	s_mul_i32 s6, s9, s16
	s_add_i32 s17, s17, s6
	s_mul_i32 s16, s8, s16
	s_lshl_b64 s[16:17], s[16:17], 3
	s_add_u32 s6, s4, s16
	s_addc_u32 s16, s5, s17
	s_lshl_b64 s[4:5], s[12:13], 3
	s_add_u32 s4, s6, s4
	s_addc_u32 s5, s16, s5
	global_load_dwordx2 v[8:9], v1, s[4:5]
	v_mov_b32_e32 v2, s5
	v_add_co_u32_e32 v4, vcc, s4, v1
	s_ashr_i32 s13, s7, 31
	s_mov_b32 s12, s7
	v_addc_co_u32_e32 v5, vcc, 0, v2, vcc
	s_lshl_b64 s[12:13], s[12:13], 3
	v_mov_b32_e32 v3, s13
	v_add_co_u32_e32 v2, vcc, s12, v4
	v_addc_co_u32_e32 v3, vcc, v5, v3, vcc
	global_load_dwordx2 v[14:15], v[2:3], off
	s_add_i32 s6, s7, s7
	v_add_u32_e32 v10, s6, v0
	v_add_u32_e32 v12, s7, v10
	v_add_u32_e32 v16, s7, v12
	v_add_u32_e32 v18, s7, v16
	v_add_u32_e32 v20, s7, v18
	v_add_u32_e32 v22, s7, v20
	v_add_u32_e32 v24, s7, v22
	v_add_u32_e32 v26, s7, v24
	v_add_u32_e32 v28, s7, v26
	v_add_u32_e32 v30, s7, v28
	v_add_u32_e32 v34, s7, v30
	v_add_u32_e32 v36, s7, v34
	v_add_u32_e32 v38, s7, v36
	v_add_u32_e32 v48, s7, v38
	v_add_u32_e32 v50, s7, v48
	v_add_u32_e32 v52, s7, v50
	v_add_u32_e32 v54, s7, v52
	v_add_u32_e32 v58, s7, v54
	v_add_u32_e32 v60, s7, v58
	v_add_u32_e32 v66, s7, v60
	v_add_u32_e32 v56, s7, v66
	v_add_u32_e32 v62, s7, v56
	v_add_u32_e32 v64, s7, v62
	v_add_u32_e32 v68, s7, v64
	v_add_u32_e32 v70, s7, v68
	v_add_u32_e32 v72, s7, v70
	v_add_u32_e32 v74, s7, v72
	v_add_u32_e32 v76, s7, v74
	v_add_u32_e32 v82, s7, v76
	v_add_u32_e32 v84, s7, v82
	v_add_u32_e32 v86, s7, v84
	v_add_u32_e32 v88, s7, v86
	v_add_u32_e32 v90, s7, v88
	v_add_u32_e32 v92, s7, v90
	v_add_u32_e32 v94, s7, v92
	v_add_u32_e32 v96, s7, v94
	v_add_u32_e32 v98, s7, v96
	v_add_u32_e32 v100, s7, v98
	v_add_u32_e32 v104, s7, v100
	v_add_u32_e32 v108, s7, v104
	v_add_u32_e32 v102, s7, v108
	v_add_u32_e32 v106, s7, v102
	v_add_u32_e32 v110, s7, v106
	v_add_u32_e32 v112, s7, v110
	v_add_u32_e32 v114, s7, v112
	v_add_u32_e32 v118, s7, v114
	v_add_u32_e32 v120, s7, v118
	v_add_u32_e32 v122, s7, v120
	v_add_u32_e32 v124, s7, v122
	v_add_u32_e32 v128, s7, v124
	v_add_u32_e32 v130, s7, v128
	v_add_u32_e32 v132, s7, v130
	v_add_u32_e32 v134, s7, v132
	v_add_u32_e32 v136, s7, v134
	v_add_u32_e32 v138, s7, v136
	v_add_u32_e32 v140, s7, v138
	v_add_u32_e32 v142, s7, v140
	v_add_u32_e32 v144, s7, v142
	v_add_u32_e32 v146, s7, v144
	v_add_u32_e32 v6, s7, v146
	v_ashrrev_i32_e32 v7, 31, v6
	v_lshlrev_b64 v[6:7], 3, v[6:7]
	v_mov_b32_e32 v11, s5
	v_add_co_u32_e32 v6, vcc, s4, v6
	v_addc_co_u32_e32 v7, vcc, v11, v7, vcc
	global_load_dwordx2 v[126:127], v[6:7], off
	v_ashrrev_i32_e32 v11, 31, v10
	s_waitcnt vmcnt(2)
	buffer_store_dword v9, off, s[0:3], 0 offset:4
	buffer_store_dword v8, off, s[0:3], 0
	v_lshlrev_b64 v[8:9], 3, v[10:11]
	v_mov_b32_e32 v10, s5
	v_add_co_u32_e32 v8, vcc, s4, v8
	v_ashrrev_i32_e32 v13, 31, v12
	v_addc_co_u32_e32 v9, vcc, v10, v9, vcc
	v_lshlrev_b64 v[10:11], 3, v[12:13]
	v_mov_b32_e32 v12, s5
	v_add_co_u32_e32 v10, vcc, s4, v10
	v_ashrrev_i32_e32 v17, 31, v16
	v_addc_co_u32_e32 v11, vcc, v12, v11, vcc
	;; [unrolled: 5-line block ×3, first 2 shown]
	global_load_dwordx2 v[78:79], v[8:9], off
	global_load_dwordx2 v[80:81], v[10:11], off
	;; [unrolled: 1-line block ×3, first 2 shown]
	s_waitcnt vmcnt(6)
	buffer_store_dword v15, off, s[0:3], 0 offset:12
	buffer_store_dword v14, off, s[0:3], 0 offset:8
	v_lshlrev_b64 v[14:15], 3, v[18:19]
	v_add_co_u32_e32 v40, vcc, s4, v14
	v_ashrrev_i32_e32 v21, 31, v20
	v_addc_co_u32_e32 v41, vcc, v16, v15, vcc
	v_lshlrev_b64 v[14:15], 3, v[20:21]
	v_add_co_u32_e32 v42, vcc, s4, v14
	v_ashrrev_i32_e32 v23, 31, v22
	v_addc_co_u32_e32 v43, vcc, v16, v15, vcc
	;; [unrolled: 4-line block ×8, first 2 shown]
	v_lshlrev_b64 v[16:17], 3, v[36:37]
	v_mov_b32_e32 v18, s5
	v_add_co_u32_e32 v34, vcc, s4, v16
	v_ashrrev_i32_e32 v39, 31, v38
	v_addc_co_u32_e32 v35, vcc, v18, v17, vcc
	v_lshlrev_b64 v[16:17], 3, v[38:39]
	v_add_co_u32_e32 v28, vcc, s4, v16
	v_ashrrev_i32_e32 v49, 31, v48
	v_addc_co_u32_e32 v29, vcc, v18, v17, vcc
	v_lshlrev_b64 v[16:17], 3, v[48:49]
	;; [unrolled: 4-line block ×3, first 2 shown]
	v_add_co_u32_e32 v16, vcc, s4, v16
	global_load_dwordx2 v[148:149], v[40:41], off
	global_load_dwordx2 v[150:151], v[42:43], off
	;; [unrolled: 1-line block ×8, first 2 shown]
	v_addc_co_u32_e32 v17, vcc, v18, v17, vcc
	global_load_dwordx2 v[48:49], v[34:35], off
	global_load_dwordx2 v[50:51], v[28:29], off
	;; [unrolled: 1-line block ×4, first 2 shown]
	v_ashrrev_i32_e32 v53, 31, v52
	v_lshlrev_b64 v[18:19], 3, v[52:53]
	v_mov_b32_e32 v24, s5
	v_add_co_u32_e32 v36, vcc, s4, v18
	v_ashrrev_i32_e32 v55, 31, v54
	v_addc_co_u32_e32 v37, vcc, v24, v19, vcc
	v_lshlrev_b64 v[18:19], 3, v[54:55]
	v_add_co_u32_e32 v38, vcc, s4, v18
	v_ashrrev_i32_e32 v59, 31, v58
	v_addc_co_u32_e32 v39, vcc, v24, v19, vcc
	v_lshlrev_b64 v[18:19], 3, v[58:59]
	;; [unrolled: 4-line block ×3, first 2 shown]
	v_mov_b32_e32 v25, s5
	v_add_co_u32_e32 v24, vcc, s4, v18
	v_ashrrev_i32_e32 v67, 31, v66
	global_load_dwordx2 v[52:53], v[36:37], off
	v_addc_co_u32_e32 v25, vcc, v25, v19, vcc
	v_lshlrev_b64 v[18:19], 3, v[66:67]
	v_mov_b32_e32 v54, s5
	v_add_co_u32_e32 v18, vcc, s4, v18
	v_addc_co_u32_e32 v19, vcc, v54, v19, vcc
	global_load_dwordx2 v[54:55], v[38:39], off
	global_load_dwordx2 v[58:59], v[30:31], off
	global_load_dwordx2 v[60:61], v[24:25], off
	v_ashrrev_i32_e32 v57, 31, v56
	s_waitcnt vmcnt(20)
	buffer_store_dword v79, off, s[0:3], 0 offset:20
	buffer_store_dword v78, off, s[0:3], 0 offset:16
	s_waitcnt vmcnt(21)
	buffer_store_dword v81, off, s[0:3], 0 offset:28
	buffer_store_dword v80, off, s[0:3], 0 offset:24
	global_load_dwordx2 v[66:67], v[18:19], off
	s_waitcnt vmcnt(23)
	buffer_store_dword v117, off, s[0:3], 0 offset:36
	buffer_store_dword v116, off, s[0:3], 0 offset:32
	s_waitcnt vmcnt(22)
	buffer_store_dword v149, off, s[0:3], 0 offset:44
	buffer_store_dword v148, off, s[0:3], 0 offset:40
	;; [unrolled: 3-line block ×17, first 2 shown]
	v_lshlrev_b64 v[48:49], 3, v[56:57]
	v_mov_b32_e32 v50, s5
	v_add_co_u32_e32 v60, vcc, s4, v48
	v_ashrrev_i32_e32 v63, 31, v62
	v_addc_co_u32_e32 v61, vcc, v50, v49, vcc
	v_lshlrev_b64 v[48:49], 3, v[62:63]
	v_mov_b32_e32 v51, s5
	v_add_co_u32_e32 v50, vcc, s4, v48
	v_ashrrev_i32_e32 v65, 31, v64
	v_addc_co_u32_e32 v51, vcc, v51, v49, vcc
	v_lshlrev_b64 v[48:49], 3, v[64:65]
	v_mov_b32_e32 v52, s5
	v_add_co_u32_e32 v48, vcc, s4, v48
	v_addc_co_u32_e32 v49, vcc, v52, v49, vcc
	global_load_dwordx2 v[116:117], v[60:61], off
	global_load_dwordx2 v[148:149], v[50:51], off
	global_load_dwordx2 v[150:151], v[48:49], off
	v_ashrrev_i32_e32 v69, 31, v68
	v_lshlrev_b64 v[52:53], 3, v[68:69]
	v_mov_b32_e32 v54, s5
	v_add_co_u32_e32 v78, vcc, s4, v52
	v_ashrrev_i32_e32 v71, 31, v70
	v_addc_co_u32_e32 v79, vcc, v54, v53, vcc
	v_lshlrev_b64 v[52:53], 3, v[70:71]
	v_add_co_u32_e32 v70, vcc, s4, v52
	v_ashrrev_i32_e32 v73, 31, v72
	v_addc_co_u32_e32 v71, vcc, v54, v53, vcc
	v_lshlrev_b64 v[52:53], 3, v[72:73]
	;; [unrolled: 4-line block ×4, first 2 shown]
	v_mov_b32_e32 v56, s5
	v_add_co_u32_e32 v80, vcc, s4, v54
	v_ashrrev_i32_e32 v83, 31, v82
	v_addc_co_u32_e32 v81, vcc, v56, v55, vcc
	v_lshlrev_b64 v[54:55], 3, v[82:83]
	v_add_co_u32_e32 v72, vcc, s4, v54
	v_ashrrev_i32_e32 v85, 31, v84
	v_addc_co_u32_e32 v73, vcc, v56, v55, vcc
	v_lshlrev_b64 v[54:55], 3, v[84:85]
	;; [unrolled: 4-line block ×4, first 2 shown]
	v_mov_b32_e32 v58, s5
	v_add_co_u32_e32 v82, vcc, s4, v56
	v_ashrrev_i32_e32 v91, 31, v90
	v_addc_co_u32_e32 v83, vcc, v58, v57, vcc
	v_lshlrev_b64 v[56:57], 3, v[90:91]
	v_add_co_u32_e32 v74, vcc, s4, v56
	v_ashrrev_i32_e32 v93, 31, v92
	v_addc_co_u32_e32 v75, vcc, v58, v57, vcc
	v_lshlrev_b64 v[56:57], 3, v[92:93]
	s_waitcnt vmcnt(37)
	buffer_store_dword v66, off, s[0:3], 0 offset:168
	buffer_store_dword v67, off, s[0:3], 0 offset:172
	v_add_co_u32_e32 v66, vcc, s4, v56
	v_ashrrev_i32_e32 v95, 31, v94
	v_addc_co_u32_e32 v67, vcc, v58, v57, vcc
	v_lshlrev_b64 v[56:57], 3, v[94:95]
	v_add_co_u32_e32 v56, vcc, s4, v56
	v_ashrrev_i32_e32 v97, 31, v96
	v_addc_co_u32_e32 v57, vcc, v58, v57, vcc
	v_lshlrev_b64 v[58:59], 3, v[96:97]
	v_mov_b32_e32 v68, s5
	v_add_co_u32_e32 v84, vcc, s4, v58
	v_ashrrev_i32_e32 v99, 31, v98
	global_load_dwordx2 v[152:153], v[78:79], off
	global_load_dwordx2 v[154:155], v[70:71], off
	;; [unrolled: 1-line block ×12, first 2 shown]
	v_addc_co_u32_e32 v85, vcc, v68, v59, vcc
	v_lshlrev_b64 v[58:59], 3, v[98:99]
	v_add_co_u32_e32 v86, vcc, s4, v58
	v_ashrrev_i32_e32 v101, 31, v100
	v_addc_co_u32_e32 v87, vcc, v68, v59, vcc
	v_lshlrev_b64 v[58:59], 3, v[100:101]
	v_add_co_u32_e32 v76, vcc, s4, v58
	v_ashrrev_i32_e32 v105, 31, v104
	v_addc_co_u32_e32 v77, vcc, v68, v59, vcc
	v_lshlrev_b64 v[58:59], 3, v[104:105]
	v_mov_b32_e32 v69, s5
	v_add_co_u32_e32 v68, vcc, s4, v58
	v_ashrrev_i32_e32 v109, 31, v108
	v_addc_co_u32_e32 v69, vcc, v69, v59, vcc
	v_lshlrev_b64 v[58:59], 3, v[108:109]
	v_mov_b32_e32 v98, s5
	v_add_co_u32_e32 v58, vcc, s4, v58
	global_load_dwordx2 v[96:97], v[84:85], off
	v_addc_co_u32_e32 v59, vcc, v98, v59, vcc
	global_load_dwordx2 v[98:99], v[86:87], off
	global_load_dwordx2 v[100:101], v[76:77], off
	;; [unrolled: 1-line block ×3, first 2 shown]
	v_ashrrev_i32_e32 v103, 31, v102
	s_waitcnt vmcnt(20)
	buffer_store_dword v116, off, s[0:3], 0 offset:176
	buffer_store_dword v117, off, s[0:3], 0 offset:180
	s_waitcnt vmcnt(21)
	buffer_store_dword v148, off, s[0:3], 0 offset:184
	buffer_store_dword v149, off, s[0:3], 0 offset:188
	global_load_dwordx2 v[108:109], v[58:59], off
	s_waitcnt vmcnt(23)
	buffer_store_dword v150, off, s[0:3], 0 offset:192
	buffer_store_dword v151, off, s[0:3], 0 offset:196
	s_waitcnt vmcnt(22)
	buffer_store_dword v153, off, s[0:3], 0 offset:204
	buffer_store_dword v152, off, s[0:3], 0 offset:200
	;; [unrolled: 3-line block ×17, first 2 shown]
	v_lshlrev_b64 v[88:89], 3, v[102:103]
	v_mov_b32_e32 v90, s5
	v_add_co_u32_e32 v98, vcc, s4, v88
	v_ashrrev_i32_e32 v107, 31, v106
	v_addc_co_u32_e32 v99, vcc, v90, v89, vcc
	v_lshlrev_b64 v[88:89], 3, v[106:107]
	v_mov_b32_e32 v91, s5
	v_add_co_u32_e32 v90, vcc, s4, v88
	v_ashrrev_i32_e32 v111, 31, v110
	v_addc_co_u32_e32 v91, vcc, v91, v89, vcc
	;; [unrolled: 5-line block ×4, first 2 shown]
	v_lshlrev_b64 v[92:93], 3, v[114:115]
	global_load_dwordx2 v[148:149], v[98:99], off
	global_load_dwordx2 v[150:151], v[90:91], off
	;; [unrolled: 1-line block ×3, first 2 shown]
	s_waitcnt vmcnt(37)
	buffer_store_dword v108, off, s[0:3], 0 offset:328
	buffer_store_dword v109, off, s[0:3], 0 offset:332
	v_add_co_u32_e32 v108, vcc, s4, v92
	v_ashrrev_i32_e32 v119, 31, v118
	v_addc_co_u32_e32 v109, vcc, v94, v93, vcc
	v_lshlrev_b64 v[92:93], 3, v[118:119]
	v_add_co_u32_e32 v100, vcc, s4, v92
	v_ashrrev_i32_e32 v121, 31, v120
	v_addc_co_u32_e32 v101, vcc, v94, v93, vcc
	v_lshlrev_b64 v[92:93], 3, v[120:121]
	v_add_co_u32_e32 v92, vcc, s4, v92
	v_ashrrev_i32_e32 v123, 31, v122
	v_addc_co_u32_e32 v93, vcc, v94, v93, vcc
	v_lshlrev_b64 v[94:95], 3, v[122:123]
	v_mov_b32_e32 v96, s5
	v_add_co_u32_e32 v118, vcc, s4, v94
	v_ashrrev_i32_e32 v125, 31, v124
	v_addc_co_u32_e32 v119, vcc, v96, v95, vcc
	v_lshlrev_b64 v[94:95], 3, v[124:125]
	v_add_co_u32_e32 v110, vcc, s4, v94
	v_ashrrev_i32_e32 v129, 31, v128
	v_addc_co_u32_e32 v111, vcc, v96, v95, vcc
	v_lshlrev_b64 v[94:95], 3, v[128:129]
	;; [unrolled: 4-line block ×4, first 2 shown]
	v_mov_b32_e32 v104, s5
	v_add_co_u32_e32 v120, vcc, s4, v96
	v_ashrrev_i32_e32 v135, 31, v134
	v_addc_co_u32_e32 v121, vcc, v104, v97, vcc
	v_lshlrev_b64 v[96:97], 3, v[134:135]
	v_add_co_u32_e32 v112, vcc, s4, v96
	v_ashrrev_i32_e32 v137, 31, v136
	v_addc_co_u32_e32 v113, vcc, v104, v97, vcc
	v_lshlrev_b64 v[96:97], 3, v[136:137]
	v_mov_b32_e32 v105, s5
	v_add_co_u32_e32 v104, vcc, s4, v96
	v_ashrrev_i32_e32 v139, 31, v138
	v_addc_co_u32_e32 v105, vcc, v105, v97, vcc
	v_lshlrev_b64 v[96:97], 3, v[138:139]
	v_mov_b32_e32 v106, s5
	v_add_co_u32_e32 v96, vcc, s4, v96
	global_load_dwordx2 v[154:155], v[116:117], off
	global_load_dwordx2 v[156:157], v[108:109], off
	global_load_dwordx2 v[158:159], v[100:101], off
	global_load_dwordx2 v[160:161], v[92:93], off
	global_load_dwordx2 v[128:129], v[118:119], off
	global_load_dwordx2 v[130:131], v[110:111], off
	global_load_dwordx2 v[162:163], v[102:103], off
	global_load_dwordx2 v[164:165], v[94:95], off
	v_addc_co_u32_e32 v97, vcc, v106, v97, vcc
	global_load_dwordx2 v[132:133], v[120:121], off
	global_load_dwordx2 v[134:135], v[112:113], off
	;; [unrolled: 1-line block ×4, first 2 shown]
	v_ashrrev_i32_e32 v141, 31, v140
	v_lshlrev_b64 v[106:107], 3, v[140:141]
	v_mov_b32_e32 v114, s5
	v_add_co_u32_e32 v122, vcc, s4, v106
	v_ashrrev_i32_e32 v143, 31, v142
	v_addc_co_u32_e32 v123, vcc, v114, v107, vcc
	v_lshlrev_b64 v[106:107], 3, v[142:143]
	v_add_co_u32_e32 v124, vcc, s4, v106
	v_ashrrev_i32_e32 v145, 31, v144
	v_addc_co_u32_e32 v125, vcc, v114, v107, vcc
	v_lshlrev_b64 v[106:107], 3, v[144:145]
	v_mov_b32_e32 v115, s5
	v_add_co_u32_e32 v114, vcc, s4, v106
	v_ashrrev_i32_e32 v147, 31, v146
	global_load_dwordx2 v[140:141], v[122:123], off
	v_addc_co_u32_e32 v115, vcc, v115, v107, vcc
	v_lshlrev_b64 v[106:107], 3, v[146:147]
	v_mov_b32_e32 v142, s5
	v_add_co_u32_e32 v106, vcc, s4, v106
	v_addc_co_u32_e32 v107, vcc, v142, v107, vcc
	global_load_dwordx2 v[142:143], v[124:125], off
	global_load_dwordx2 v[144:145], v[114:115], off
	;; [unrolled: 1-line block ×3, first 2 shown]
	s_bitcmp0_b32 s22, 0
	s_mov_b64 s[6:7], -1
	s_waitcnt vmcnt(20)
	buffer_store_dword v148, off, s[0:3], 0 offset:336
	buffer_store_dword v149, off, s[0:3], 0 offset:340
	s_waitcnt vmcnt(21)
	buffer_store_dword v151, off, s[0:3], 0 offset:348
	buffer_store_dword v150, off, s[0:3], 0 offset:344
	;; [unrolled: 3-line block ×19, first 2 shown]
	buffer_store_dword v127, off, s[0:3], 0 offset:492
	buffer_store_dword v126, off, s[0:3], 0 offset:488
	s_cbranch_scc1 .LBB61_254
; %bb.4:
	v_cmp_eq_u32_e64 s[4:5], 0, v0
	s_and_saveexec_b64 s[6:7], s[4:5]
	s_cbranch_execz .LBB61_6
; %bb.5:
	v_mov_b32_e32 v126, 0
	ds_write_b32 v126, v126 offset:992
.LBB61_6:
	s_or_b64 exec, exec, s[6:7]
	v_mov_b32_e32 v126, 0
	v_lshl_add_u32 v126, v0, 3, v126
	s_waitcnt lgkmcnt(0)
	; wave barrier
	s_waitcnt lgkmcnt(0)
	buffer_load_dword v128, v126, s[0:3], 0 offen
	buffer_load_dword v129, v126, s[0:3], 0 offen offset:4
	s_waitcnt vmcnt(0)
	v_cmp_eq_f64_e32 vcc, 0, v[128:129]
	s_and_saveexec_b64 s[12:13], vcc
	s_cbranch_execz .LBB61_10
; %bb.7:
	v_mov_b32_e32 v127, 0
	ds_read_b32 v129, v127 offset:992
	v_add_u32_e32 v128, 1, v0
	s_waitcnt lgkmcnt(0)
	v_readfirstlane_b32 s6, v129
	s_cmp_eq_u32 s6, 0
	s_cselect_b64 s[16:17], -1, 0
	v_cmp_gt_i32_e32 vcc, s6, v128
	s_or_b64 s[16:17], s[16:17], vcc
	s_and_b64 exec, exec, s[16:17]
	s_cbranch_execz .LBB61_10
; %bb.8:
	s_mov_b64 s[16:17], 0
	v_mov_b32_e32 v129, s6
.LBB61_9:                               ; =>This Inner Loop Header: Depth=1
	ds_cmpst_rtn_b32 v129, v127, v129, v128 offset:992
	s_waitcnt lgkmcnt(0)
	v_cmp_ne_u32_e32 vcc, 0, v129
	v_cmp_le_i32_e64 s[6:7], v129, v128
	s_and_b64 s[6:7], vcc, s[6:7]
	s_and_b64 s[6:7], exec, s[6:7]
	s_or_b64 s[16:17], s[6:7], s[16:17]
	s_andn2_b64 exec, exec, s[16:17]
	s_cbranch_execnz .LBB61_9
.LBB61_10:
	s_or_b64 exec, exec, s[12:13]
	v_mov_b32_e32 v128, 0
	s_waitcnt lgkmcnt(0)
	; wave barrier
	ds_read_b32 v127, v128 offset:992
	s_and_saveexec_b64 s[6:7], s[4:5]
	s_cbranch_execz .LBB61_12
; %bb.11:
	s_lshl_b64 s[12:13], s[8:9], 2
	s_add_u32 s12, s14, s12
	s_addc_u32 s13, s15, s13
	s_waitcnt lgkmcnt(0)
	global_store_dword v128, v127, s[12:13]
.LBB61_12:
	s_or_b64 exec, exec, s[6:7]
	s_waitcnt lgkmcnt(0)
	v_cmp_ne_u32_e32 vcc, 0, v127
	s_mov_b64 s[6:7], 0
	s_cbranch_vccnz .LBB61_254
; %bb.13:
	buffer_load_dword v128, v126, s[0:3], 0 offen
	buffer_load_dword v129, v126, s[0:3], 0 offen offset:4
	s_waitcnt vmcnt(0)
	v_div_scale_f64 v[130:131], s[6:7], v[128:129], v[128:129], 1.0
	v_rcp_f64_e32 v[132:133], v[130:131]
	v_div_scale_f64 v[134:135], vcc, 1.0, v[128:129], 1.0
	v_fma_f64 v[136:137], -v[130:131], v[132:133], 1.0
	v_fmac_f64_e32 v[132:133], v[132:133], v[136:137]
	v_fma_f64 v[136:137], -v[130:131], v[132:133], 1.0
	v_fmac_f64_e32 v[132:133], v[132:133], v[136:137]
	v_mul_f64 v[136:137], v[134:135], v[132:133]
	v_fma_f64 v[130:131], -v[130:131], v[136:137], v[134:135]
	v_div_fmas_f64 v[130:131], v[130:131], v[132:133], v[136:137]
	v_div_fixup_f64 v[130:131], v[130:131], v[128:129], 1.0
	buffer_store_dword v131, v126, s[0:3], 0 offen offset:4
	buffer_store_dword v130, v126, s[0:3], 0 offen
	buffer_load_dword v133, off, s[0:3], 0 offset:12
	buffer_load_dword v132, off, s[0:3], 0 offset:8
	v_add_u32_e32 v128, 0x1f0, v1
	v_xor_b32_e32 v131, 0x80000000, v131
	s_waitcnt vmcnt(0)
	ds_write2_b64 v1, v[130:131], v[132:133] offset1:62
	s_waitcnt lgkmcnt(0)
	; wave barrier
	s_waitcnt lgkmcnt(0)
	s_and_saveexec_b64 s[6:7], s[4:5]
	s_cbranch_execz .LBB61_15
; %bb.14:
	buffer_load_dword v130, v126, s[0:3], 0 offen
	buffer_load_dword v131, v126, s[0:3], 0 offen offset:4
	v_mov_b32_e32 v127, 0
	ds_read_b64 v[132:133], v128
	ds_read_b64 v[134:135], v127 offset:8
	s_waitcnt vmcnt(0) lgkmcnt(1)
	v_fma_f64 v[130:131], v[130:131], v[132:133], 0
	s_waitcnt lgkmcnt(0)
	v_mul_f64 v[130:131], v[130:131], v[134:135]
	buffer_store_dword v130, off, s[0:3], 0 offset:8
	buffer_store_dword v131, off, s[0:3], 0 offset:12
.LBB61_15:
	s_or_b64 exec, exec, s[6:7]
	s_waitcnt lgkmcnt(0)
	; wave barrier
	buffer_load_dword v130, off, s[0:3], 0 offset:16
	buffer_load_dword v131, off, s[0:3], 0 offset:20
	v_cmp_gt_u32_e32 vcc, 2, v0
	s_waitcnt vmcnt(0)
	ds_write_b64 v128, v[130:131]
	s_waitcnt lgkmcnt(0)
	; wave barrier
	s_waitcnt lgkmcnt(0)
	s_and_saveexec_b64 s[6:7], vcc
	s_cbranch_execz .LBB61_17
; %bb.16:
	buffer_load_dword v127, v126, s[0:3], 0 offen offset:4
	buffer_load_dword v134, off, s[0:3], 0 offset:8
	s_nop 0
	buffer_load_dword v126, v126, s[0:3], 0 offen
	s_nop 0
	buffer_load_dword v135, off, s[0:3], 0 offset:12
	ds_read_b64 v[136:137], v128
	v_mov_b32_e32 v129, 0
	ds_read2_b64 v[130:133], v129 offset0:2 offset1:63
	s_waitcnt vmcnt(1) lgkmcnt(1)
	v_fma_f64 v[126:127], v[126:127], v[136:137], 0
	s_waitcnt vmcnt(0) lgkmcnt(0)
	v_fma_f64 v[132:133], v[134:135], v[132:133], v[126:127]
	v_cndmask_b32_e64 v127, v127, v133, s[4:5]
	v_cndmask_b32_e64 v126, v126, v132, s[4:5]
	v_mul_f64 v[126:127], v[126:127], v[130:131]
	buffer_store_dword v127, off, s[0:3], 0 offset:20
	buffer_store_dword v126, off, s[0:3], 0 offset:16
.LBB61_17:
	s_or_b64 exec, exec, s[6:7]
	s_waitcnt lgkmcnt(0)
	; wave barrier
	buffer_load_dword v126, off, s[0:3], 0 offset:24
	buffer_load_dword v127, off, s[0:3], 0 offset:28
	v_cmp_gt_u32_e32 vcc, 3, v0
	v_add_u32_e32 v129, -1, v0
	s_waitcnt vmcnt(0)
	ds_write_b64 v128, v[126:127]
	s_waitcnt lgkmcnt(0)
	; wave barrier
	s_waitcnt lgkmcnt(0)
	s_and_saveexec_b64 s[4:5], vcc
	s_cbranch_execz .LBB61_21
; %bb.18:
	v_add_u32_e32 v130, -1, v0
	v_add_u32_e32 v131, 0x1f0, v1
	v_add_u32_e32 v132, 0, v1
	s_mov_b64 s[6:7], 0
	v_pk_mov_b32 v[126:127], 0, 0
.LBB61_19:                              ; =>This Inner Loop Header: Depth=1
	buffer_load_dword v134, v132, s[0:3], 0 offen
	buffer_load_dword v135, v132, s[0:3], 0 offen offset:4
	ds_read_b64 v[136:137], v131
	v_add_u32_e32 v130, 1, v130
	v_cmp_lt_u32_e32 vcc, 1, v130
	v_add_u32_e32 v131, 8, v131
	v_add_u32_e32 v132, 8, v132
	s_or_b64 s[6:7], vcc, s[6:7]
	s_waitcnt vmcnt(0) lgkmcnt(0)
	v_fmac_f64_e32 v[126:127], v[134:135], v[136:137]
	s_andn2_b64 exec, exec, s[6:7]
	s_cbranch_execnz .LBB61_19
; %bb.20:
	s_or_b64 exec, exec, s[6:7]
	v_mov_b32_e32 v130, 0
	ds_read_b64 v[130:131], v130 offset:24
	s_waitcnt lgkmcnt(0)
	v_mul_f64 v[126:127], v[126:127], v[130:131]
	buffer_store_dword v127, off, s[0:3], 0 offset:28
	buffer_store_dword v126, off, s[0:3], 0 offset:24
.LBB61_21:
	s_or_b64 exec, exec, s[4:5]
	s_waitcnt lgkmcnt(0)
	; wave barrier
	buffer_load_dword v126, off, s[0:3], 0 offset:32
	buffer_load_dword v127, off, s[0:3], 0 offset:36
	v_cmp_gt_u32_e32 vcc, 4, v0
	s_waitcnt vmcnt(0)
	ds_write_b64 v128, v[126:127]
	s_waitcnt lgkmcnt(0)
	; wave barrier
	s_waitcnt lgkmcnt(0)
	s_and_saveexec_b64 s[4:5], vcc
	s_cbranch_execz .LBB61_25
; %bb.22:
	v_add_u32_e32 v130, -1, v0
	v_add_u32_e32 v131, 0x1f0, v1
	v_add_u32_e32 v132, 0, v1
	s_mov_b64 s[6:7], 0
	v_pk_mov_b32 v[126:127], 0, 0
.LBB61_23:                              ; =>This Inner Loop Header: Depth=1
	buffer_load_dword v134, v132, s[0:3], 0 offen
	buffer_load_dword v135, v132, s[0:3], 0 offen offset:4
	ds_read_b64 v[136:137], v131
	v_add_u32_e32 v130, 1, v130
	v_cmp_lt_u32_e32 vcc, 2, v130
	v_add_u32_e32 v131, 8, v131
	v_add_u32_e32 v132, 8, v132
	s_or_b64 s[6:7], vcc, s[6:7]
	s_waitcnt vmcnt(0) lgkmcnt(0)
	v_fmac_f64_e32 v[126:127], v[134:135], v[136:137]
	s_andn2_b64 exec, exec, s[6:7]
	s_cbranch_execnz .LBB61_23
; %bb.24:
	s_or_b64 exec, exec, s[6:7]
	v_mov_b32_e32 v130, 0
	ds_read_b64 v[130:131], v130 offset:32
	s_waitcnt lgkmcnt(0)
	v_mul_f64 v[126:127], v[126:127], v[130:131]
	buffer_store_dword v127, off, s[0:3], 0 offset:36
	buffer_store_dword v126, off, s[0:3], 0 offset:32
.LBB61_25:
	s_or_b64 exec, exec, s[4:5]
	s_waitcnt lgkmcnt(0)
	; wave barrier
	buffer_load_dword v126, off, s[0:3], 0 offset:40
	buffer_load_dword v127, off, s[0:3], 0 offset:44
	v_cmp_gt_u32_e32 vcc, 5, v0
	;; [unrolled: 41-line block ×21, first 2 shown]
	s_waitcnt vmcnt(0)
	ds_write_b64 v128, v[126:127]
	s_waitcnt lgkmcnt(0)
	; wave barrier
	s_waitcnt lgkmcnt(0)
	s_and_saveexec_b64 s[4:5], vcc
	s_cbranch_execz .LBB61_105
; %bb.102:
	v_add_u32_e32 v130, -1, v0
	v_add_u32_e32 v131, 0x1f0, v1
	v_add_u32_e32 v132, 0, v1
	s_mov_b64 s[6:7], 0
	v_pk_mov_b32 v[126:127], 0, 0
.LBB61_103:                             ; =>This Inner Loop Header: Depth=1
	buffer_load_dword v134, v132, s[0:3], 0 offen
	buffer_load_dword v135, v132, s[0:3], 0 offen offset:4
	ds_read_b64 v[136:137], v131
	v_add_u32_e32 v130, 1, v130
	v_cmp_lt_u32_e32 vcc, 22, v130
	v_add_u32_e32 v131, 8, v131
	v_add_u32_e32 v132, 8, v132
	s_or_b64 s[6:7], vcc, s[6:7]
	s_waitcnt vmcnt(0) lgkmcnt(0)
	v_fmac_f64_e32 v[126:127], v[134:135], v[136:137]
	s_andn2_b64 exec, exec, s[6:7]
	s_cbranch_execnz .LBB61_103
; %bb.104:
	s_or_b64 exec, exec, s[6:7]
	v_mov_b32_e32 v130, 0
	ds_read_b64 v[130:131], v130 offset:192
	s_waitcnt lgkmcnt(0)
	v_mul_f64 v[126:127], v[126:127], v[130:131]
	buffer_store_dword v127, off, s[0:3], 0 offset:196
	buffer_store_dword v126, off, s[0:3], 0 offset:192
.LBB61_105:
	s_or_b64 exec, exec, s[4:5]
	s_waitcnt lgkmcnt(0)
	; wave barrier
	buffer_load_dword v126, off, s[0:3], 0 offset:200
	buffer_load_dword v127, off, s[0:3], 0 offset:204
	v_cmp_gt_u32_e32 vcc, 25, v0
	s_waitcnt vmcnt(0)
	ds_write_b64 v128, v[126:127]
	s_waitcnt lgkmcnt(0)
	; wave barrier
	s_waitcnt lgkmcnt(0)
	s_and_saveexec_b64 s[4:5], vcc
	s_cbranch_execz .LBB61_109
; %bb.106:
	v_add_u32_e32 v130, -1, v0
	v_add_u32_e32 v131, 0x1f0, v1
	v_add_u32_e32 v132, 0, v1
	s_mov_b64 s[6:7], 0
	v_pk_mov_b32 v[126:127], 0, 0
.LBB61_107:                             ; =>This Inner Loop Header: Depth=1
	buffer_load_dword v134, v132, s[0:3], 0 offen
	buffer_load_dword v135, v132, s[0:3], 0 offen offset:4
	ds_read_b64 v[136:137], v131
	v_add_u32_e32 v130, 1, v130
	v_cmp_lt_u32_e32 vcc, 23, v130
	v_add_u32_e32 v131, 8, v131
	v_add_u32_e32 v132, 8, v132
	s_or_b64 s[6:7], vcc, s[6:7]
	s_waitcnt vmcnt(0) lgkmcnt(0)
	v_fmac_f64_e32 v[126:127], v[134:135], v[136:137]
	s_andn2_b64 exec, exec, s[6:7]
	s_cbranch_execnz .LBB61_107
; %bb.108:
	s_or_b64 exec, exec, s[6:7]
	v_mov_b32_e32 v130, 0
	ds_read_b64 v[130:131], v130 offset:200
	s_waitcnt lgkmcnt(0)
	v_mul_f64 v[126:127], v[126:127], v[130:131]
	buffer_store_dword v127, off, s[0:3], 0 offset:204
	buffer_store_dword v126, off, s[0:3], 0 offset:200
.LBB61_109:
	s_or_b64 exec, exec, s[4:5]
	s_waitcnt lgkmcnt(0)
	; wave barrier
	buffer_load_dword v126, off, s[0:3], 0 offset:208
	buffer_load_dword v127, off, s[0:3], 0 offset:212
	v_cmp_gt_u32_e32 vcc, 26, v0
	;; [unrolled: 41-line block ×36, first 2 shown]
	s_waitcnt vmcnt(0)
	ds_write_b64 v128, v[126:127]
	s_waitcnt lgkmcnt(0)
	; wave barrier
	s_waitcnt lgkmcnt(0)
	s_and_saveexec_b64 s[4:5], vcc
	s_cbranch_execz .LBB61_249
; %bb.246:
	v_add_u32_e32 v130, -1, v0
	v_add_u32_e32 v131, 0x1f0, v1
	v_add_u32_e32 v132, 0, v1
	s_mov_b64 s[6:7], 0
	v_pk_mov_b32 v[126:127], 0, 0
.LBB61_247:                             ; =>This Inner Loop Header: Depth=1
	buffer_load_dword v134, v132, s[0:3], 0 offen
	buffer_load_dword v135, v132, s[0:3], 0 offen offset:4
	ds_read_b64 v[136:137], v131
	v_add_u32_e32 v130, 1, v130
	v_cmp_lt_u32_e32 vcc, 58, v130
	v_add_u32_e32 v131, 8, v131
	v_add_u32_e32 v132, 8, v132
	s_or_b64 s[6:7], vcc, s[6:7]
	s_waitcnt vmcnt(0) lgkmcnt(0)
	v_fmac_f64_e32 v[126:127], v[134:135], v[136:137]
	s_andn2_b64 exec, exec, s[6:7]
	s_cbranch_execnz .LBB61_247
; %bb.248:
	s_or_b64 exec, exec, s[6:7]
	v_mov_b32_e32 v130, 0
	ds_read_b64 v[130:131], v130 offset:480
	s_waitcnt lgkmcnt(0)
	v_mul_f64 v[126:127], v[126:127], v[130:131]
	buffer_store_dword v127, off, s[0:3], 0 offset:484
	buffer_store_dword v126, off, s[0:3], 0 offset:480
.LBB61_249:
	s_or_b64 exec, exec, s[4:5]
	s_waitcnt lgkmcnt(0)
	; wave barrier
	buffer_load_dword v126, off, s[0:3], 0 offset:488
	buffer_load_dword v127, off, s[0:3], 0 offset:492
	v_cmp_ne_u32_e32 vcc, 61, v0
	s_waitcnt vmcnt(0)
	ds_write_b64 v128, v[126:127]
	s_waitcnt lgkmcnt(0)
	; wave barrier
	s_waitcnt lgkmcnt(0)
	s_and_saveexec_b64 s[4:5], vcc
	s_cbranch_execz .LBB61_253
; %bb.250:
	v_add_u32_e32 v128, 0x1f0, v1
	v_add_u32_e32 v1, 0, v1
	s_mov_b64 s[6:7], 0
	v_pk_mov_b32 v[126:127], 0, 0
.LBB61_251:                             ; =>This Inner Loop Header: Depth=1
	buffer_load_dword v130, v1, s[0:3], 0 offen
	buffer_load_dword v131, v1, s[0:3], 0 offen offset:4
	ds_read_b64 v[132:133], v128
	v_add_u32_e32 v129, 1, v129
	v_cmp_lt_u32_e32 vcc, 59, v129
	v_add_u32_e32 v128, 8, v128
	v_add_u32_e32 v1, 8, v1
	s_or_b64 s[6:7], vcc, s[6:7]
	s_waitcnt vmcnt(0) lgkmcnt(0)
	v_fmac_f64_e32 v[126:127], v[130:131], v[132:133]
	s_andn2_b64 exec, exec, s[6:7]
	s_cbranch_execnz .LBB61_251
; %bb.252:
	s_or_b64 exec, exec, s[6:7]
	v_mov_b32_e32 v1, 0
	ds_read_b64 v[128:129], v1 offset:488
	s_waitcnt lgkmcnt(0)
	v_mul_f64 v[126:127], v[126:127], v[128:129]
	buffer_store_dword v127, off, s[0:3], 0 offset:492
	buffer_store_dword v126, off, s[0:3], 0 offset:488
.LBB61_253:
	s_or_b64 exec, exec, s[4:5]
	s_mov_b64 s[6:7], -1
	s_waitcnt lgkmcnt(0)
	; wave barrier
.LBB61_254:
	s_and_b64 vcc, exec, s[6:7]
	s_cbranch_vccz .LBB61_256
; %bb.255:
	s_lshl_b64 s[4:5], s[8:9], 2
	s_add_u32 s4, s14, s4
	s_addc_u32 s5, s15, s5
	v_mov_b32_e32 v1, 0
	global_load_dword v1, v1, s[4:5]
	s_waitcnt vmcnt(0)
	v_cmp_ne_u32_e32 vcc, 0, v1
	s_cbranch_vccz .LBB61_257
.LBB61_256:
	s_endpgm
.LBB61_257:
	v_mov_b32_e32 v1, 0x1f0
	v_lshl_add_u32 v1, v0, 3, v1
	v_cmp_eq_u32_e32 vcc, 61, v0
	s_and_saveexec_b64 s[4:5], vcc
	s_cbranch_execz .LBB61_259
; %bb.258:
	buffer_load_dword v126, off, s[0:3], 0 offset:480
	buffer_load_dword v127, off, s[0:3], 0 offset:484
	v_mov_b32_e32 v128, 0
	buffer_store_dword v128, off, s[0:3], 0 offset:480
	buffer_store_dword v128, off, s[0:3], 0 offset:484
	s_waitcnt vmcnt(2)
	ds_write_b64 v1, v[126:127]
.LBB61_259:
	s_or_b64 exec, exec, s[4:5]
	s_waitcnt lgkmcnt(0)
	; wave barrier
	s_waitcnt lgkmcnt(0)
	buffer_load_dword v128, off, s[0:3], 0 offset:488
	buffer_load_dword v129, off, s[0:3], 0 offset:492
	;; [unrolled: 1-line block ×4, first 2 shown]
	v_mov_b32_e32 v126, 0
	ds_read_b64 v[132:133], v126 offset:984
	v_cmp_lt_u32_e32 vcc, 59, v0
	s_waitcnt vmcnt(2) lgkmcnt(0)
	v_fma_f64 v[128:129], v[128:129], v[132:133], 0
	s_waitcnt vmcnt(0)
	v_add_f64 v[128:129], v[130:131], -v[128:129]
	buffer_store_dword v128, off, s[0:3], 0 offset:480
	buffer_store_dword v129, off, s[0:3], 0 offset:484
	s_and_saveexec_b64 s[4:5], vcc
	s_cbranch_execz .LBB61_261
; %bb.260:
	buffer_load_dword v128, off, s[0:3], 0 offset:472
	buffer_load_dword v129, off, s[0:3], 0 offset:476
	s_waitcnt vmcnt(0)
	ds_write_b64 v1, v[128:129]
	buffer_store_dword v126, off, s[0:3], 0 offset:472
	buffer_store_dword v126, off, s[0:3], 0 offset:476
.LBB61_261:
	s_or_b64 exec, exec, s[4:5]
	s_waitcnt lgkmcnt(0)
	; wave barrier
	s_waitcnt lgkmcnt(0)
	buffer_load_dword v130, off, s[0:3], 0 offset:480
	buffer_load_dword v131, off, s[0:3], 0 offset:484
	;; [unrolled: 1-line block ×6, first 2 shown]
	ds_read_b128 v[126:129], v126 offset:976
	v_cmp_lt_u32_e32 vcc, 58, v0
	s_waitcnt vmcnt(4) lgkmcnt(0)
	v_fma_f64 v[126:127], v[130:131], v[126:127], 0
	s_waitcnt vmcnt(2)
	v_fmac_f64_e32 v[126:127], v[132:133], v[128:129]
	s_waitcnt vmcnt(0)
	v_add_f64 v[126:127], v[134:135], -v[126:127]
	buffer_store_dword v126, off, s[0:3], 0 offset:472
	buffer_store_dword v127, off, s[0:3], 0 offset:476
	s_and_saveexec_b64 s[4:5], vcc
	s_cbranch_execz .LBB61_263
; %bb.262:
	buffer_load_dword v126, off, s[0:3], 0 offset:464
	buffer_load_dword v127, off, s[0:3], 0 offset:468
	v_mov_b32_e32 v128, 0
	buffer_store_dword v128, off, s[0:3], 0 offset:464
	buffer_store_dword v128, off, s[0:3], 0 offset:468
	s_waitcnt vmcnt(2)
	ds_write_b64 v1, v[126:127]
.LBB61_263:
	s_or_b64 exec, exec, s[4:5]
	s_waitcnt lgkmcnt(0)
	; wave barrier
	s_waitcnt lgkmcnt(0)
	buffer_load_dword v132, off, s[0:3], 0 offset:472
	buffer_load_dword v133, off, s[0:3], 0 offset:476
	;; [unrolled: 1-line block ×8, first 2 shown]
	v_mov_b32_e32 v126, 0
	ds_read2_b64 v[128:131], v126 offset0:121 offset1:122
	ds_read_b64 v[140:141], v126 offset:984
	v_cmp_lt_u32_e32 vcc, 57, v0
	s_waitcnt vmcnt(6) lgkmcnt(1)
	v_fma_f64 v[128:129], v[132:133], v[128:129], 0
	s_waitcnt vmcnt(4)
	v_fmac_f64_e32 v[128:129], v[134:135], v[130:131]
	s_waitcnt vmcnt(2) lgkmcnt(0)
	v_fmac_f64_e32 v[128:129], v[136:137], v[140:141]
	s_waitcnt vmcnt(0)
	v_add_f64 v[128:129], v[138:139], -v[128:129]
	buffer_store_dword v128, off, s[0:3], 0 offset:464
	buffer_store_dword v129, off, s[0:3], 0 offset:468
	s_and_saveexec_b64 s[4:5], vcc
	s_cbranch_execz .LBB61_265
; %bb.264:
	buffer_load_dword v128, off, s[0:3], 0 offset:456
	buffer_load_dword v129, off, s[0:3], 0 offset:460
	s_waitcnt vmcnt(0)
	ds_write_b64 v1, v[128:129]
	buffer_store_dword v126, off, s[0:3], 0 offset:456
	buffer_store_dword v126, off, s[0:3], 0 offset:460
.LBB61_265:
	s_or_b64 exec, exec, s[4:5]
	s_waitcnt lgkmcnt(0)
	; wave barrier
	s_waitcnt lgkmcnt(0)
	buffer_load_dword v136, off, s[0:3], 0 offset:464
	buffer_load_dword v137, off, s[0:3], 0 offset:468
	buffer_load_dword v138, off, s[0:3], 0 offset:472
	buffer_load_dword v139, off, s[0:3], 0 offset:476
	buffer_load_dword v140, off, s[0:3], 0 offset:480
	buffer_load_dword v141, off, s[0:3], 0 offset:484
	buffer_load_dword v142, off, s[0:3], 0 offset:488
	buffer_load_dword v143, off, s[0:3], 0 offset:492
	buffer_load_dword v144, off, s[0:3], 0 offset:456
	buffer_load_dword v145, off, s[0:3], 0 offset:460
	ds_read_b128 v[128:131], v126 offset:960
	ds_read_b128 v[132:135], v126 offset:976
	v_cmp_lt_u32_e32 vcc, 56, v0
	s_waitcnt vmcnt(8) lgkmcnt(1)
	v_fma_f64 v[126:127], v[136:137], v[128:129], 0
	s_waitcnt vmcnt(6)
	v_fmac_f64_e32 v[126:127], v[138:139], v[130:131]
	s_waitcnt vmcnt(4) lgkmcnt(0)
	v_fmac_f64_e32 v[126:127], v[140:141], v[132:133]
	s_waitcnt vmcnt(2)
	v_fmac_f64_e32 v[126:127], v[142:143], v[134:135]
	s_waitcnt vmcnt(0)
	v_add_f64 v[126:127], v[144:145], -v[126:127]
	buffer_store_dword v126, off, s[0:3], 0 offset:456
	buffer_store_dword v127, off, s[0:3], 0 offset:460
	s_and_saveexec_b64 s[4:5], vcc
	s_cbranch_execz .LBB61_267
; %bb.266:
	buffer_load_dword v126, off, s[0:3], 0 offset:448
	buffer_load_dword v127, off, s[0:3], 0 offset:452
	v_mov_b32_e32 v128, 0
	buffer_store_dword v128, off, s[0:3], 0 offset:448
	buffer_store_dword v128, off, s[0:3], 0 offset:452
	s_waitcnt vmcnt(2)
	ds_write_b64 v1, v[126:127]
.LBB61_267:
	s_or_b64 exec, exec, s[4:5]
	s_waitcnt lgkmcnt(0)
	; wave barrier
	s_waitcnt lgkmcnt(0)
	buffer_load_dword v136, off, s[0:3], 0 offset:456
	buffer_load_dword v137, off, s[0:3], 0 offset:460
	;; [unrolled: 1-line block ×12, first 2 shown]
	v_mov_b32_e32 v126, 0
	ds_read2_b64 v[128:131], v126 offset0:119 offset1:120
	ds_read2_b64 v[132:135], v126 offset0:121 offset1:122
	ds_read_b64 v[148:149], v126 offset:984
	v_cmp_lt_u32_e32 vcc, 55, v0
	s_waitcnt vmcnt(10) lgkmcnt(2)
	v_fma_f64 v[128:129], v[136:137], v[128:129], 0
	s_waitcnt vmcnt(8)
	v_fmac_f64_e32 v[128:129], v[138:139], v[130:131]
	s_waitcnt vmcnt(6) lgkmcnt(1)
	v_fmac_f64_e32 v[128:129], v[140:141], v[132:133]
	s_waitcnt vmcnt(4)
	v_fmac_f64_e32 v[128:129], v[142:143], v[134:135]
	s_waitcnt vmcnt(2) lgkmcnt(0)
	v_fmac_f64_e32 v[128:129], v[144:145], v[148:149]
	s_waitcnt vmcnt(0)
	v_add_f64 v[128:129], v[146:147], -v[128:129]
	buffer_store_dword v128, off, s[0:3], 0 offset:448
	buffer_store_dword v129, off, s[0:3], 0 offset:452
	s_and_saveexec_b64 s[4:5], vcc
	s_cbranch_execz .LBB61_269
; %bb.268:
	buffer_load_dword v128, off, s[0:3], 0 offset:440
	buffer_load_dword v129, off, s[0:3], 0 offset:444
	s_waitcnt vmcnt(0)
	ds_write_b64 v1, v[128:129]
	buffer_store_dword v126, off, s[0:3], 0 offset:440
	buffer_store_dword v126, off, s[0:3], 0 offset:444
.LBB61_269:
	s_or_b64 exec, exec, s[4:5]
	s_waitcnt lgkmcnt(0)
	; wave barrier
	s_waitcnt lgkmcnt(0)
	buffer_load_dword v140, off, s[0:3], 0 offset:448
	buffer_load_dword v141, off, s[0:3], 0 offset:452
	;; [unrolled: 1-line block ×14, first 2 shown]
	ds_read_b128 v[128:131], v126 offset:944
	ds_read_b128 v[132:135], v126 offset:960
	;; [unrolled: 1-line block ×3, first 2 shown]
	v_cmp_lt_u32_e32 vcc, 54, v0
	s_waitcnt vmcnt(12) lgkmcnt(2)
	v_fma_f64 v[126:127], v[140:141], v[128:129], 0
	s_waitcnt vmcnt(10)
	v_fmac_f64_e32 v[126:127], v[142:143], v[130:131]
	s_waitcnt vmcnt(8) lgkmcnt(1)
	v_fmac_f64_e32 v[126:127], v[144:145], v[132:133]
	s_waitcnt vmcnt(6)
	v_fmac_f64_e32 v[126:127], v[146:147], v[134:135]
	s_waitcnt vmcnt(4) lgkmcnt(0)
	v_fmac_f64_e32 v[126:127], v[148:149], v[136:137]
	s_waitcnt vmcnt(2)
	v_fmac_f64_e32 v[126:127], v[150:151], v[138:139]
	s_waitcnt vmcnt(0)
	v_add_f64 v[126:127], v[152:153], -v[126:127]
	buffer_store_dword v126, off, s[0:3], 0 offset:440
	buffer_store_dword v127, off, s[0:3], 0 offset:444
	s_and_saveexec_b64 s[4:5], vcc
	s_cbranch_execz .LBB61_271
; %bb.270:
	buffer_load_dword v126, off, s[0:3], 0 offset:432
	buffer_load_dword v127, off, s[0:3], 0 offset:436
	v_mov_b32_e32 v128, 0
	buffer_store_dword v128, off, s[0:3], 0 offset:432
	buffer_store_dword v128, off, s[0:3], 0 offset:436
	s_waitcnt vmcnt(2)
	ds_write_b64 v1, v[126:127]
.LBB61_271:
	s_or_b64 exec, exec, s[4:5]
	s_waitcnt lgkmcnt(0)
	; wave barrier
	s_waitcnt lgkmcnt(0)
	buffer_load_dword v140, off, s[0:3], 0 offset:440
	buffer_load_dword v141, off, s[0:3], 0 offset:444
	;; [unrolled: 1-line block ×16, first 2 shown]
	v_mov_b32_e32 v126, 0
	ds_read2_b64 v[128:131], v126 offset0:117 offset1:118
	ds_read2_b64 v[132:135], v126 offset0:119 offset1:120
	;; [unrolled: 1-line block ×3, first 2 shown]
	ds_read_b64 v[156:157], v126 offset:984
	v_cmp_lt_u32_e32 vcc, 53, v0
	s_waitcnt vmcnt(14) lgkmcnt(3)
	v_fma_f64 v[128:129], v[140:141], v[128:129], 0
	s_waitcnt vmcnt(12)
	v_fmac_f64_e32 v[128:129], v[142:143], v[130:131]
	s_waitcnt vmcnt(10) lgkmcnt(2)
	v_fmac_f64_e32 v[128:129], v[144:145], v[132:133]
	s_waitcnt vmcnt(8)
	v_fmac_f64_e32 v[128:129], v[146:147], v[134:135]
	s_waitcnt vmcnt(6) lgkmcnt(1)
	v_fmac_f64_e32 v[128:129], v[148:149], v[136:137]
	;; [unrolled: 4-line block ×3, first 2 shown]
	s_waitcnt vmcnt(0)
	v_add_f64 v[128:129], v[154:155], -v[128:129]
	buffer_store_dword v128, off, s[0:3], 0 offset:432
	buffer_store_dword v129, off, s[0:3], 0 offset:436
	s_and_saveexec_b64 s[4:5], vcc
	s_cbranch_execz .LBB61_273
; %bb.272:
	buffer_load_dword v128, off, s[0:3], 0 offset:424
	buffer_load_dword v129, off, s[0:3], 0 offset:428
	s_waitcnt vmcnt(0)
	ds_write_b64 v1, v[128:129]
	buffer_store_dword v126, off, s[0:3], 0 offset:424
	buffer_store_dword v126, off, s[0:3], 0 offset:428
.LBB61_273:
	s_or_b64 exec, exec, s[4:5]
	s_waitcnt lgkmcnt(0)
	; wave barrier
	s_waitcnt lgkmcnt(0)
	buffer_load_dword v144, off, s[0:3], 0 offset:432
	buffer_load_dword v145, off, s[0:3], 0 offset:436
	;; [unrolled: 1-line block ×18, first 2 shown]
	ds_read_b128 v[128:131], v126 offset:928
	ds_read_b128 v[132:135], v126 offset:944
	;; [unrolled: 1-line block ×4, first 2 shown]
	v_cmp_lt_u32_e32 vcc, 52, v0
	s_waitcnt vmcnt(16) lgkmcnt(3)
	v_fma_f64 v[126:127], v[144:145], v[128:129], 0
	s_waitcnt vmcnt(14)
	v_fmac_f64_e32 v[126:127], v[146:147], v[130:131]
	s_waitcnt vmcnt(12) lgkmcnt(2)
	v_fmac_f64_e32 v[126:127], v[148:149], v[132:133]
	s_waitcnt vmcnt(10)
	v_fmac_f64_e32 v[126:127], v[150:151], v[134:135]
	s_waitcnt vmcnt(8) lgkmcnt(1)
	v_fmac_f64_e32 v[126:127], v[152:153], v[136:137]
	s_waitcnt vmcnt(6)
	v_fmac_f64_e32 v[126:127], v[154:155], v[138:139]
	s_waitcnt vmcnt(4) lgkmcnt(0)
	v_fmac_f64_e32 v[126:127], v[156:157], v[140:141]
	s_waitcnt vmcnt(2)
	v_fmac_f64_e32 v[126:127], v[158:159], v[142:143]
	s_waitcnt vmcnt(0)
	v_add_f64 v[126:127], v[160:161], -v[126:127]
	buffer_store_dword v126, off, s[0:3], 0 offset:424
	buffer_store_dword v127, off, s[0:3], 0 offset:428
	s_and_saveexec_b64 s[4:5], vcc
	s_cbranch_execz .LBB61_275
; %bb.274:
	buffer_load_dword v126, off, s[0:3], 0 offset:416
	buffer_load_dword v127, off, s[0:3], 0 offset:420
	v_mov_b32_e32 v128, 0
	buffer_store_dword v128, off, s[0:3], 0 offset:416
	buffer_store_dword v128, off, s[0:3], 0 offset:420
	s_waitcnt vmcnt(2)
	ds_write_b64 v1, v[126:127]
.LBB61_275:
	s_or_b64 exec, exec, s[4:5]
	s_waitcnt lgkmcnt(0)
	; wave barrier
	s_waitcnt lgkmcnt(0)
	buffer_load_dword v144, off, s[0:3], 0 offset:424
	buffer_load_dword v145, off, s[0:3], 0 offset:428
	;; [unrolled: 1-line block ×20, first 2 shown]
	v_mov_b32_e32 v126, 0
	ds_read2_b64 v[128:131], v126 offset0:115 offset1:116
	ds_read2_b64 v[132:135], v126 offset0:117 offset1:118
	;; [unrolled: 1-line block ×4, first 2 shown]
	ds_read_b64 v[164:165], v126 offset:984
	v_cmp_lt_u32_e32 vcc, 51, v0
	s_waitcnt vmcnt(18) lgkmcnt(4)
	v_fma_f64 v[128:129], v[144:145], v[128:129], 0
	s_waitcnt vmcnt(16)
	v_fmac_f64_e32 v[128:129], v[146:147], v[130:131]
	s_waitcnt vmcnt(14) lgkmcnt(3)
	v_fmac_f64_e32 v[128:129], v[148:149], v[132:133]
	s_waitcnt vmcnt(12)
	v_fmac_f64_e32 v[128:129], v[150:151], v[134:135]
	s_waitcnt vmcnt(10) lgkmcnt(2)
	v_fmac_f64_e32 v[128:129], v[152:153], v[136:137]
	;; [unrolled: 4-line block ×3, first 2 shown]
	s_waitcnt vmcnt(2)
	v_fmac_f64_e32 v[128:129], v[160:161], v[142:143]
	s_waitcnt lgkmcnt(0)
	v_fmac_f64_e32 v[128:129], v[158:159], v[164:165]
	s_waitcnt vmcnt(0)
	v_add_f64 v[128:129], v[162:163], -v[128:129]
	buffer_store_dword v128, off, s[0:3], 0 offset:416
	buffer_store_dword v129, off, s[0:3], 0 offset:420
	s_and_saveexec_b64 s[4:5], vcc
	s_cbranch_execz .LBB61_277
; %bb.276:
	buffer_load_dword v128, off, s[0:3], 0 offset:408
	buffer_load_dword v129, off, s[0:3], 0 offset:412
	s_waitcnt vmcnt(0)
	ds_write_b64 v1, v[128:129]
	buffer_store_dword v126, off, s[0:3], 0 offset:408
	buffer_store_dword v126, off, s[0:3], 0 offset:412
.LBB61_277:
	s_or_b64 exec, exec, s[4:5]
	s_waitcnt lgkmcnt(0)
	; wave barrier
	s_waitcnt lgkmcnt(0)
	buffer_load_dword v144, off, s[0:3], 0 offset:408
	buffer_load_dword v145, off, s[0:3], 0 offset:412
	;; [unrolled: 1-line block ×16, first 2 shown]
	ds_read_b128 v[128:131], v126 offset:912
	ds_read_b128 v[132:135], v126 offset:928
	;; [unrolled: 1-line block ×4, first 2 shown]
	v_cmp_lt_u32_e32 vcc, 50, v0
	s_waitcnt vmcnt(12) lgkmcnt(3)
	v_fma_f64 v[146:147], v[146:147], v[128:129], 0
	buffer_load_dword v129, off, s[0:3], 0 offset:476
	buffer_load_dword v128, off, s[0:3], 0 offset:472
	s_waitcnt vmcnt(12)
	v_fmac_f64_e32 v[146:147], v[148:149], v[130:131]
	buffer_load_dword v131, off, s[0:3], 0 offset:484
	buffer_load_dword v130, off, s[0:3], 0 offset:480
	s_waitcnt vmcnt(12) lgkmcnt(2)
	v_fmac_f64_e32 v[146:147], v[150:151], v[132:133]
	s_waitcnt vmcnt(10)
	v_fmac_f64_e32 v[146:147], v[152:153], v[134:135]
	s_waitcnt vmcnt(8) lgkmcnt(1)
	v_fmac_f64_e32 v[146:147], v[154:155], v[136:137]
	s_waitcnt vmcnt(6)
	v_fmac_f64_e32 v[146:147], v[156:157], v[138:139]
	;; [unrolled: 4-line block ×3, first 2 shown]
	ds_read_b128 v[126:129], v126 offset:976
	s_waitcnt vmcnt(0) lgkmcnt(0)
	v_fmac_f64_e32 v[146:147], v[130:131], v[126:127]
	buffer_load_dword v127, off, s[0:3], 0 offset:492
	buffer_load_dword v126, off, s[0:3], 0 offset:488
	s_waitcnt vmcnt(0)
	v_fmac_f64_e32 v[146:147], v[126:127], v[128:129]
	v_add_f64 v[126:127], v[144:145], -v[146:147]
	buffer_store_dword v126, off, s[0:3], 0 offset:408
	buffer_store_dword v127, off, s[0:3], 0 offset:412
	s_and_saveexec_b64 s[4:5], vcc
	s_cbranch_execz .LBB61_279
; %bb.278:
	buffer_load_dword v126, off, s[0:3], 0 offset:400
	buffer_load_dword v127, off, s[0:3], 0 offset:404
	v_mov_b32_e32 v128, 0
	buffer_store_dword v128, off, s[0:3], 0 offset:400
	buffer_store_dword v128, off, s[0:3], 0 offset:404
	s_waitcnt vmcnt(2)
	ds_write_b64 v1, v[126:127]
.LBB61_279:
	s_or_b64 exec, exec, s[4:5]
	s_waitcnt lgkmcnt(0)
	; wave barrier
	s_waitcnt lgkmcnt(0)
	buffer_load_dword v132, off, s[0:3], 0 offset:400
	buffer_load_dword v133, off, s[0:3], 0 offset:404
	;; [unrolled: 1-line block ×16, first 2 shown]
	v_mov_b32_e32 v126, 0
	ds_read2_b64 v[128:131], v126 offset0:113 offset1:114
	v_cmp_lt_u32_e32 vcc, 49, v0
	s_waitcnt vmcnt(12) lgkmcnt(0)
	v_fma_f64 v[134:135], v[134:135], v[128:129], 0
	s_waitcnt vmcnt(10)
	v_fmac_f64_e32 v[134:135], v[136:137], v[130:131]
	ds_read2_b64 v[128:131], v126 offset0:115 offset1:116
	s_waitcnt vmcnt(8) lgkmcnt(0)
	v_fmac_f64_e32 v[134:135], v[138:139], v[128:129]
	s_waitcnt vmcnt(6)
	v_fmac_f64_e32 v[134:135], v[140:141], v[130:131]
	ds_read2_b64 v[128:131], v126 offset0:117 offset1:118
	s_waitcnt vmcnt(4) lgkmcnt(0)
	v_fmac_f64_e32 v[134:135], v[142:143], v[128:129]
	s_waitcnt vmcnt(2)
	v_fmac_f64_e32 v[134:135], v[144:145], v[130:131]
	ds_read2_b64 v[128:131], v126 offset0:119 offset1:120
	s_waitcnt vmcnt(0) lgkmcnt(0)
	v_fmac_f64_e32 v[134:135], v[146:147], v[128:129]
	buffer_load_dword v129, off, s[0:3], 0 offset:468
	buffer_load_dword v128, off, s[0:3], 0 offset:464
	;; [unrolled: 1-line block ×4, first 2 shown]
	s_waitcnt vmcnt(2)
	v_fmac_f64_e32 v[134:135], v[128:129], v[130:131]
	ds_read2_b64 v[128:131], v126 offset0:121 offset1:122
	s_waitcnt vmcnt(0) lgkmcnt(0)
	v_fmac_f64_e32 v[134:135], v[136:137], v[128:129]
	buffer_load_dword v129, off, s[0:3], 0 offset:484
	buffer_load_dword v128, off, s[0:3], 0 offset:480
	s_waitcnt vmcnt(0)
	v_fmac_f64_e32 v[134:135], v[128:129], v[130:131]
	buffer_load_dword v129, off, s[0:3], 0 offset:492
	buffer_load_dword v128, off, s[0:3], 0 offset:488
	ds_read_b64 v[130:131], v126 offset:984
	s_waitcnt vmcnt(0) lgkmcnt(0)
	v_fmac_f64_e32 v[134:135], v[128:129], v[130:131]
	v_add_f64 v[128:129], v[132:133], -v[134:135]
	buffer_store_dword v129, off, s[0:3], 0 offset:404
	buffer_store_dword v128, off, s[0:3], 0 offset:400
	s_and_saveexec_b64 s[4:5], vcc
	s_cbranch_execz .LBB61_281
; %bb.280:
	buffer_load_dword v128, off, s[0:3], 0 offset:392
	buffer_load_dword v129, off, s[0:3], 0 offset:396
	s_waitcnt vmcnt(0)
	ds_write_b64 v1, v[128:129]
	buffer_store_dword v126, off, s[0:3], 0 offset:392
	buffer_store_dword v126, off, s[0:3], 0 offset:396
.LBB61_281:
	s_or_b64 exec, exec, s[4:5]
	s_waitcnt lgkmcnt(0)
	; wave barrier
	s_waitcnt lgkmcnt(0)
	buffer_load_dword v144, off, s[0:3], 0 offset:392
	buffer_load_dword v145, off, s[0:3], 0 offset:396
	;; [unrolled: 1-line block ×16, first 2 shown]
	ds_read_b128 v[128:131], v126 offset:896
	ds_read_b128 v[132:135], v126 offset:912
	;; [unrolled: 1-line block ×4, first 2 shown]
	v_cmp_lt_u32_e32 vcc, 48, v0
	s_waitcnt vmcnt(12) lgkmcnt(3)
	v_fma_f64 v[146:147], v[146:147], v[128:129], 0
	buffer_load_dword v129, off, s[0:3], 0 offset:460
	buffer_load_dword v128, off, s[0:3], 0 offset:456
	s_waitcnt vmcnt(12)
	v_fmac_f64_e32 v[146:147], v[148:149], v[130:131]
	s_waitcnt vmcnt(10) lgkmcnt(2)
	v_fmac_f64_e32 v[146:147], v[150:151], v[132:133]
	buffer_load_dword v133, off, s[0:3], 0 offset:468
	buffer_load_dword v132, off, s[0:3], 0 offset:464
	s_waitcnt vmcnt(10)
	v_fmac_f64_e32 v[146:147], v[152:153], v[134:135]
	s_waitcnt vmcnt(8) lgkmcnt(1)
	v_fmac_f64_e32 v[146:147], v[154:155], v[136:137]
	s_waitcnt vmcnt(6)
	v_fmac_f64_e32 v[146:147], v[156:157], v[138:139]
	s_waitcnt vmcnt(4) lgkmcnt(0)
	v_fmac_f64_e32 v[146:147], v[158:159], v[140:141]
	s_waitcnt vmcnt(2)
	v_fmac_f64_e32 v[146:147], v[128:129], v[142:143]
	ds_read_b128 v[128:131], v126 offset:960
	s_waitcnt vmcnt(0) lgkmcnt(0)
	v_fmac_f64_e32 v[146:147], v[132:133], v[128:129]
	buffer_load_dword v129, off, s[0:3], 0 offset:476
	buffer_load_dword v128, off, s[0:3], 0 offset:472
	s_waitcnt vmcnt(0)
	v_fmac_f64_e32 v[146:147], v[128:129], v[130:131]
	buffer_load_dword v131, off, s[0:3], 0 offset:484
	buffer_load_dword v130, off, s[0:3], 0 offset:480
	ds_read_b128 v[126:129], v126 offset:976
	s_waitcnt vmcnt(0) lgkmcnt(0)
	v_fmac_f64_e32 v[146:147], v[130:131], v[126:127]
	buffer_load_dword v127, off, s[0:3], 0 offset:492
	buffer_load_dword v126, off, s[0:3], 0 offset:488
	s_waitcnt vmcnt(0)
	v_fmac_f64_e32 v[146:147], v[126:127], v[128:129]
	v_add_f64 v[126:127], v[144:145], -v[146:147]
	buffer_store_dword v127, off, s[0:3], 0 offset:396
	buffer_store_dword v126, off, s[0:3], 0 offset:392
	s_and_saveexec_b64 s[4:5], vcc
	s_cbranch_execz .LBB61_283
; %bb.282:
	buffer_load_dword v126, off, s[0:3], 0 offset:384
	buffer_load_dword v127, off, s[0:3], 0 offset:388
	v_mov_b32_e32 v128, 0
	buffer_store_dword v128, off, s[0:3], 0 offset:384
	buffer_store_dword v128, off, s[0:3], 0 offset:388
	s_waitcnt vmcnt(2)
	ds_write_b64 v1, v[126:127]
.LBB61_283:
	s_or_b64 exec, exec, s[4:5]
	s_waitcnt lgkmcnt(0)
	; wave barrier
	s_waitcnt lgkmcnt(0)
	buffer_load_dword v132, off, s[0:3], 0 offset:384
	buffer_load_dword v133, off, s[0:3], 0 offset:388
	;; [unrolled: 1-line block ×16, first 2 shown]
	v_mov_b32_e32 v126, 0
	ds_read2_b64 v[128:131], v126 offset0:111 offset1:112
	v_cmp_lt_u32_e32 vcc, 47, v0
	s_waitcnt vmcnt(12) lgkmcnt(0)
	v_fma_f64 v[134:135], v[134:135], v[128:129], 0
	s_waitcnt vmcnt(10)
	v_fmac_f64_e32 v[134:135], v[136:137], v[130:131]
	ds_read2_b64 v[128:131], v126 offset0:113 offset1:114
	s_waitcnt vmcnt(8) lgkmcnt(0)
	v_fmac_f64_e32 v[134:135], v[138:139], v[128:129]
	s_waitcnt vmcnt(6)
	v_fmac_f64_e32 v[134:135], v[140:141], v[130:131]
	ds_read2_b64 v[128:131], v126 offset0:115 offset1:116
	s_waitcnt vmcnt(4) lgkmcnt(0)
	v_fmac_f64_e32 v[134:135], v[142:143], v[128:129]
	;; [unrolled: 5-line block ×3, first 2 shown]
	buffer_load_dword v129, off, s[0:3], 0 offset:452
	buffer_load_dword v128, off, s[0:3], 0 offset:448
	;; [unrolled: 1-line block ×4, first 2 shown]
	s_waitcnt vmcnt(2)
	v_fmac_f64_e32 v[134:135], v[128:129], v[130:131]
	ds_read2_b64 v[128:131], v126 offset0:119 offset1:120
	s_waitcnt vmcnt(0) lgkmcnt(0)
	v_fmac_f64_e32 v[134:135], v[136:137], v[128:129]
	buffer_load_dword v129, off, s[0:3], 0 offset:468
	buffer_load_dword v128, off, s[0:3], 0 offset:464
	;; [unrolled: 1-line block ×4, first 2 shown]
	s_waitcnt vmcnt(2)
	v_fmac_f64_e32 v[134:135], v[128:129], v[130:131]
	ds_read2_b64 v[128:131], v126 offset0:121 offset1:122
	s_waitcnt vmcnt(0) lgkmcnt(0)
	v_fmac_f64_e32 v[134:135], v[136:137], v[128:129]
	buffer_load_dword v129, off, s[0:3], 0 offset:484
	buffer_load_dword v128, off, s[0:3], 0 offset:480
	s_waitcnt vmcnt(0)
	v_fmac_f64_e32 v[134:135], v[128:129], v[130:131]
	buffer_load_dword v129, off, s[0:3], 0 offset:492
	buffer_load_dword v128, off, s[0:3], 0 offset:488
	ds_read_b64 v[130:131], v126 offset:984
	s_waitcnt vmcnt(0) lgkmcnt(0)
	v_fmac_f64_e32 v[134:135], v[128:129], v[130:131]
	v_add_f64 v[128:129], v[132:133], -v[134:135]
	buffer_store_dword v129, off, s[0:3], 0 offset:388
	buffer_store_dword v128, off, s[0:3], 0 offset:384
	s_and_saveexec_b64 s[4:5], vcc
	s_cbranch_execz .LBB61_285
; %bb.284:
	buffer_load_dword v128, off, s[0:3], 0 offset:376
	buffer_load_dword v129, off, s[0:3], 0 offset:380
	s_waitcnt vmcnt(0)
	ds_write_b64 v1, v[128:129]
	buffer_store_dword v126, off, s[0:3], 0 offset:376
	buffer_store_dword v126, off, s[0:3], 0 offset:380
.LBB61_285:
	s_or_b64 exec, exec, s[4:5]
	s_waitcnt lgkmcnt(0)
	; wave barrier
	s_waitcnt lgkmcnt(0)
	buffer_load_dword v144, off, s[0:3], 0 offset:376
	buffer_load_dword v145, off, s[0:3], 0 offset:380
	;; [unrolled: 1-line block ×16, first 2 shown]
	ds_read_b128 v[128:131], v126 offset:880
	ds_read_b128 v[132:135], v126 offset:896
	;; [unrolled: 1-line block ×4, first 2 shown]
	v_cmp_lt_u32_e32 vcc, 46, v0
	s_waitcnt vmcnt(12) lgkmcnt(3)
	v_fma_f64 v[146:147], v[146:147], v[128:129], 0
	buffer_load_dword v129, off, s[0:3], 0 offset:444
	buffer_load_dword v128, off, s[0:3], 0 offset:440
	s_waitcnt vmcnt(12)
	v_fmac_f64_e32 v[146:147], v[148:149], v[130:131]
	s_waitcnt vmcnt(10) lgkmcnt(2)
	v_fmac_f64_e32 v[146:147], v[150:151], v[132:133]
	buffer_load_dword v133, off, s[0:3], 0 offset:452
	buffer_load_dword v132, off, s[0:3], 0 offset:448
	s_waitcnt vmcnt(10)
	v_fmac_f64_e32 v[146:147], v[152:153], v[134:135]
	s_waitcnt vmcnt(8) lgkmcnt(1)
	v_fmac_f64_e32 v[146:147], v[154:155], v[136:137]
	s_waitcnt vmcnt(6)
	v_fmac_f64_e32 v[146:147], v[156:157], v[138:139]
	s_waitcnt vmcnt(4) lgkmcnt(0)
	v_fmac_f64_e32 v[146:147], v[158:159], v[140:141]
	s_waitcnt vmcnt(2)
	v_fmac_f64_e32 v[146:147], v[128:129], v[142:143]
	ds_read_b128 v[128:131], v126 offset:944
	s_waitcnt vmcnt(0) lgkmcnt(0)
	v_fmac_f64_e32 v[146:147], v[132:133], v[128:129]
	buffer_load_dword v129, off, s[0:3], 0 offset:460
	buffer_load_dword v128, off, s[0:3], 0 offset:456
	;; [unrolled: 1-line block ×4, first 2 shown]
	s_waitcnt vmcnt(2)
	v_fmac_f64_e32 v[146:147], v[128:129], v[130:131]
	ds_read_b128 v[128:131], v126 offset:960
	s_waitcnt vmcnt(0) lgkmcnt(0)
	v_fmac_f64_e32 v[146:147], v[132:133], v[128:129]
	buffer_load_dword v129, off, s[0:3], 0 offset:476
	buffer_load_dword v128, off, s[0:3], 0 offset:472
	s_waitcnt vmcnt(0)
	v_fmac_f64_e32 v[146:147], v[128:129], v[130:131]
	buffer_load_dword v131, off, s[0:3], 0 offset:484
	buffer_load_dword v130, off, s[0:3], 0 offset:480
	ds_read_b128 v[126:129], v126 offset:976
	s_waitcnt vmcnt(0) lgkmcnt(0)
	v_fmac_f64_e32 v[146:147], v[130:131], v[126:127]
	buffer_load_dword v127, off, s[0:3], 0 offset:492
	buffer_load_dword v126, off, s[0:3], 0 offset:488
	s_waitcnt vmcnt(0)
	v_fmac_f64_e32 v[146:147], v[126:127], v[128:129]
	v_add_f64 v[126:127], v[144:145], -v[146:147]
	buffer_store_dword v127, off, s[0:3], 0 offset:380
	buffer_store_dword v126, off, s[0:3], 0 offset:376
	s_and_saveexec_b64 s[4:5], vcc
	s_cbranch_execz .LBB61_287
; %bb.286:
	buffer_load_dword v126, off, s[0:3], 0 offset:368
	buffer_load_dword v127, off, s[0:3], 0 offset:372
	v_mov_b32_e32 v128, 0
	buffer_store_dword v128, off, s[0:3], 0 offset:368
	buffer_store_dword v128, off, s[0:3], 0 offset:372
	s_waitcnt vmcnt(2)
	ds_write_b64 v1, v[126:127]
.LBB61_287:
	s_or_b64 exec, exec, s[4:5]
	s_waitcnt lgkmcnt(0)
	; wave barrier
	s_waitcnt lgkmcnt(0)
	buffer_load_dword v132, off, s[0:3], 0 offset:368
	buffer_load_dword v133, off, s[0:3], 0 offset:372
	;; [unrolled: 1-line block ×16, first 2 shown]
	v_mov_b32_e32 v126, 0
	ds_read2_b64 v[128:131], v126 offset0:109 offset1:110
	v_cmp_lt_u32_e32 vcc, 45, v0
	s_waitcnt vmcnt(12) lgkmcnt(0)
	v_fma_f64 v[134:135], v[134:135], v[128:129], 0
	s_waitcnt vmcnt(10)
	v_fmac_f64_e32 v[134:135], v[136:137], v[130:131]
	ds_read2_b64 v[128:131], v126 offset0:111 offset1:112
	s_waitcnt vmcnt(8) lgkmcnt(0)
	v_fmac_f64_e32 v[134:135], v[138:139], v[128:129]
	s_waitcnt vmcnt(6)
	v_fmac_f64_e32 v[134:135], v[140:141], v[130:131]
	ds_read2_b64 v[128:131], v126 offset0:113 offset1:114
	s_waitcnt vmcnt(4) lgkmcnt(0)
	v_fmac_f64_e32 v[134:135], v[142:143], v[128:129]
	;; [unrolled: 5-line block ×3, first 2 shown]
	buffer_load_dword v129, off, s[0:3], 0 offset:436
	buffer_load_dword v128, off, s[0:3], 0 offset:432
	buffer_load_dword v137, off, s[0:3], 0 offset:444
	buffer_load_dword v136, off, s[0:3], 0 offset:440
	s_waitcnt vmcnt(2)
	v_fmac_f64_e32 v[134:135], v[128:129], v[130:131]
	ds_read2_b64 v[128:131], v126 offset0:117 offset1:118
	s_waitcnt vmcnt(0) lgkmcnt(0)
	v_fmac_f64_e32 v[134:135], v[136:137], v[128:129]
	buffer_load_dword v129, off, s[0:3], 0 offset:452
	buffer_load_dword v128, off, s[0:3], 0 offset:448
	buffer_load_dword v137, off, s[0:3], 0 offset:460
	buffer_load_dword v136, off, s[0:3], 0 offset:456
	s_waitcnt vmcnt(2)
	v_fmac_f64_e32 v[134:135], v[128:129], v[130:131]
	ds_read2_b64 v[128:131], v126 offset0:119 offset1:120
	s_waitcnt vmcnt(0) lgkmcnt(0)
	v_fmac_f64_e32 v[134:135], v[136:137], v[128:129]
	;; [unrolled: 9-line block ×3, first 2 shown]
	buffer_load_dword v129, off, s[0:3], 0 offset:484
	buffer_load_dword v128, off, s[0:3], 0 offset:480
	s_waitcnt vmcnt(0)
	v_fmac_f64_e32 v[134:135], v[128:129], v[130:131]
	buffer_load_dword v129, off, s[0:3], 0 offset:492
	buffer_load_dword v128, off, s[0:3], 0 offset:488
	ds_read_b64 v[130:131], v126 offset:984
	s_waitcnt vmcnt(0) lgkmcnt(0)
	v_fmac_f64_e32 v[134:135], v[128:129], v[130:131]
	v_add_f64 v[128:129], v[132:133], -v[134:135]
	buffer_store_dword v129, off, s[0:3], 0 offset:372
	buffer_store_dword v128, off, s[0:3], 0 offset:368
	s_and_saveexec_b64 s[4:5], vcc
	s_cbranch_execz .LBB61_289
; %bb.288:
	buffer_load_dword v128, off, s[0:3], 0 offset:360
	buffer_load_dword v129, off, s[0:3], 0 offset:364
	s_waitcnt vmcnt(0)
	ds_write_b64 v1, v[128:129]
	buffer_store_dword v126, off, s[0:3], 0 offset:360
	buffer_store_dword v126, off, s[0:3], 0 offset:364
.LBB61_289:
	s_or_b64 exec, exec, s[4:5]
	s_waitcnt lgkmcnt(0)
	; wave barrier
	s_waitcnt lgkmcnt(0)
	buffer_load_dword v144, off, s[0:3], 0 offset:360
	buffer_load_dword v145, off, s[0:3], 0 offset:364
	;; [unrolled: 1-line block ×16, first 2 shown]
	ds_read_b128 v[128:131], v126 offset:864
	ds_read_b128 v[132:135], v126 offset:880
	;; [unrolled: 1-line block ×4, first 2 shown]
	v_cmp_lt_u32_e32 vcc, 44, v0
	s_waitcnt vmcnt(12) lgkmcnt(3)
	v_fma_f64 v[146:147], v[146:147], v[128:129], 0
	buffer_load_dword v129, off, s[0:3], 0 offset:428
	buffer_load_dword v128, off, s[0:3], 0 offset:424
	s_waitcnt vmcnt(12)
	v_fmac_f64_e32 v[146:147], v[148:149], v[130:131]
	s_waitcnt vmcnt(10) lgkmcnt(2)
	v_fmac_f64_e32 v[146:147], v[150:151], v[132:133]
	buffer_load_dword v133, off, s[0:3], 0 offset:436
	buffer_load_dword v132, off, s[0:3], 0 offset:432
	s_waitcnt vmcnt(10)
	v_fmac_f64_e32 v[146:147], v[152:153], v[134:135]
	s_waitcnt vmcnt(8) lgkmcnt(1)
	v_fmac_f64_e32 v[146:147], v[154:155], v[136:137]
	s_waitcnt vmcnt(6)
	v_fmac_f64_e32 v[146:147], v[156:157], v[138:139]
	s_waitcnt vmcnt(4) lgkmcnt(0)
	v_fmac_f64_e32 v[146:147], v[158:159], v[140:141]
	s_waitcnt vmcnt(2)
	v_fmac_f64_e32 v[146:147], v[128:129], v[142:143]
	ds_read_b128 v[128:131], v126 offset:928
	s_waitcnt vmcnt(0) lgkmcnt(0)
	v_fmac_f64_e32 v[146:147], v[132:133], v[128:129]
	buffer_load_dword v129, off, s[0:3], 0 offset:444
	buffer_load_dword v128, off, s[0:3], 0 offset:440
	;; [unrolled: 1-line block ×4, first 2 shown]
	s_waitcnt vmcnt(2)
	v_fmac_f64_e32 v[146:147], v[128:129], v[130:131]
	ds_read_b128 v[128:131], v126 offset:944
	s_waitcnt vmcnt(0) lgkmcnt(0)
	v_fmac_f64_e32 v[146:147], v[132:133], v[128:129]
	buffer_load_dword v129, off, s[0:3], 0 offset:460
	buffer_load_dword v128, off, s[0:3], 0 offset:456
	;; [unrolled: 1-line block ×4, first 2 shown]
	s_waitcnt vmcnt(2)
	v_fmac_f64_e32 v[146:147], v[128:129], v[130:131]
	ds_read_b128 v[128:131], v126 offset:960
	s_waitcnt vmcnt(0) lgkmcnt(0)
	v_fmac_f64_e32 v[146:147], v[132:133], v[128:129]
	buffer_load_dword v129, off, s[0:3], 0 offset:476
	buffer_load_dword v128, off, s[0:3], 0 offset:472
	s_waitcnt vmcnt(0)
	v_fmac_f64_e32 v[146:147], v[128:129], v[130:131]
	buffer_load_dword v131, off, s[0:3], 0 offset:484
	buffer_load_dword v130, off, s[0:3], 0 offset:480
	ds_read_b128 v[126:129], v126 offset:976
	s_waitcnt vmcnt(0) lgkmcnt(0)
	v_fmac_f64_e32 v[146:147], v[130:131], v[126:127]
	buffer_load_dword v127, off, s[0:3], 0 offset:492
	buffer_load_dword v126, off, s[0:3], 0 offset:488
	s_waitcnt vmcnt(0)
	v_fmac_f64_e32 v[146:147], v[126:127], v[128:129]
	v_add_f64 v[126:127], v[144:145], -v[146:147]
	buffer_store_dword v127, off, s[0:3], 0 offset:364
	buffer_store_dword v126, off, s[0:3], 0 offset:360
	s_and_saveexec_b64 s[4:5], vcc
	s_cbranch_execz .LBB61_291
; %bb.290:
	buffer_load_dword v126, off, s[0:3], 0 offset:352
	buffer_load_dword v127, off, s[0:3], 0 offset:356
	v_mov_b32_e32 v128, 0
	buffer_store_dword v128, off, s[0:3], 0 offset:352
	buffer_store_dword v128, off, s[0:3], 0 offset:356
	s_waitcnt vmcnt(2)
	ds_write_b64 v1, v[126:127]
.LBB61_291:
	s_or_b64 exec, exec, s[4:5]
	s_waitcnt lgkmcnt(0)
	; wave barrier
	s_waitcnt lgkmcnt(0)
	buffer_load_dword v126, off, s[0:3], 0 offset:352
	buffer_load_dword v127, off, s[0:3], 0 offset:356
	;; [unrolled: 1-line block ×16, first 2 shown]
	v_mov_b32_e32 v130, 0
	ds_read2_b64 v[132:135], v130 offset0:107 offset1:108
	v_cmp_lt_u32_e32 vcc, 43, v0
	s_waitcnt vmcnt(12) lgkmcnt(0)
	v_fma_f64 v[128:129], v[128:129], v[132:133], 0
	s_waitcnt vmcnt(10)
	v_fmac_f64_e32 v[128:129], v[136:137], v[134:135]
	ds_read2_b64 v[132:135], v130 offset0:109 offset1:110
	s_waitcnt vmcnt(8) lgkmcnt(0)
	v_fmac_f64_e32 v[128:129], v[138:139], v[132:133]
	s_waitcnt vmcnt(6)
	v_fmac_f64_e32 v[128:129], v[140:141], v[134:135]
	ds_read2_b64 v[132:135], v130 offset0:111 offset1:112
	s_waitcnt vmcnt(4) lgkmcnt(0)
	v_fmac_f64_e32 v[128:129], v[142:143], v[132:133]
	;; [unrolled: 5-line block ×3, first 2 shown]
	buffer_load_dword v133, off, s[0:3], 0 offset:420
	buffer_load_dword v132, off, s[0:3], 0 offset:416
	buffer_load_dword v137, off, s[0:3], 0 offset:428
	buffer_load_dword v136, off, s[0:3], 0 offset:424
	s_waitcnt vmcnt(2)
	v_fmac_f64_e32 v[128:129], v[132:133], v[134:135]
	ds_read2_b64 v[132:135], v130 offset0:115 offset1:116
	s_waitcnt vmcnt(0) lgkmcnt(0)
	v_fmac_f64_e32 v[128:129], v[136:137], v[132:133]
	buffer_load_dword v133, off, s[0:3], 0 offset:436
	buffer_load_dword v132, off, s[0:3], 0 offset:432
	buffer_load_dword v137, off, s[0:3], 0 offset:444
	buffer_load_dword v136, off, s[0:3], 0 offset:440
	s_waitcnt vmcnt(2)
	v_fmac_f64_e32 v[128:129], v[132:133], v[134:135]
	ds_read2_b64 v[132:135], v130 offset0:117 offset1:118
	s_waitcnt vmcnt(0) lgkmcnt(0)
	v_fmac_f64_e32 v[128:129], v[136:137], v[132:133]
	;; [unrolled: 9-line block ×4, first 2 shown]
	buffer_load_dword v133, off, s[0:3], 0 offset:484
	buffer_load_dword v132, off, s[0:3], 0 offset:480
	s_waitcnt vmcnt(0)
	v_fmac_f64_e32 v[128:129], v[132:133], v[134:135]
	buffer_load_dword v133, off, s[0:3], 0 offset:492
	buffer_load_dword v132, off, s[0:3], 0 offset:488
	ds_read_b64 v[134:135], v130 offset:984
	s_waitcnt vmcnt(0) lgkmcnt(0)
	v_fmac_f64_e32 v[128:129], v[132:133], v[134:135]
	v_add_f64 v[126:127], v[126:127], -v[128:129]
	buffer_store_dword v127, off, s[0:3], 0 offset:356
	buffer_store_dword v126, off, s[0:3], 0 offset:352
	s_and_saveexec_b64 s[4:5], vcc
	s_cbranch_execz .LBB61_293
; %bb.292:
	buffer_load_dword v126, off, s[0:3], 0 offset:344
	buffer_load_dword v127, off, s[0:3], 0 offset:348
	s_waitcnt vmcnt(0)
	ds_write_b64 v1, v[126:127]
	buffer_store_dword v130, off, s[0:3], 0 offset:344
	buffer_store_dword v130, off, s[0:3], 0 offset:348
.LBB61_293:
	s_or_b64 exec, exec, s[4:5]
	s_waitcnt lgkmcnt(0)
	; wave barrier
	s_waitcnt lgkmcnt(0)
	buffer_load_dword v126, off, s[0:3], 0 offset:344
	buffer_load_dword v127, off, s[0:3], 0 offset:348
	;; [unrolled: 1-line block ×16, first 2 shown]
	ds_read_b128 v[132:135], v130 offset:848
	ds_read_b128 v[136:139], v130 offset:864
	;; [unrolled: 1-line block ×4, first 2 shown]
	v_cmp_lt_u32_e32 vcc, 42, v0
	s_waitcnt vmcnt(12) lgkmcnt(3)
	v_fma_f64 v[128:129], v[128:129], v[132:133], 0
	buffer_load_dword v133, off, s[0:3], 0 offset:412
	buffer_load_dword v132, off, s[0:3], 0 offset:408
	s_waitcnt vmcnt(12)
	v_fmac_f64_e32 v[128:129], v[148:149], v[134:135]
	s_waitcnt vmcnt(10) lgkmcnt(2)
	v_fmac_f64_e32 v[128:129], v[150:151], v[136:137]
	buffer_load_dword v137, off, s[0:3], 0 offset:420
	buffer_load_dword v136, off, s[0:3], 0 offset:416
	s_waitcnt vmcnt(10)
	v_fmac_f64_e32 v[128:129], v[152:153], v[138:139]
	s_waitcnt vmcnt(8) lgkmcnt(1)
	v_fmac_f64_e32 v[128:129], v[154:155], v[140:141]
	s_waitcnt vmcnt(6)
	v_fmac_f64_e32 v[128:129], v[156:157], v[142:143]
	s_waitcnt vmcnt(4) lgkmcnt(0)
	v_fmac_f64_e32 v[128:129], v[158:159], v[144:145]
	s_waitcnt vmcnt(2)
	v_fmac_f64_e32 v[128:129], v[132:133], v[146:147]
	ds_read_b128 v[132:135], v130 offset:912
	s_waitcnt vmcnt(0) lgkmcnt(0)
	v_fmac_f64_e32 v[128:129], v[136:137], v[132:133]
	buffer_load_dword v133, off, s[0:3], 0 offset:428
	buffer_load_dword v132, off, s[0:3], 0 offset:424
	buffer_load_dword v137, off, s[0:3], 0 offset:436
	buffer_load_dword v136, off, s[0:3], 0 offset:432
	s_waitcnt vmcnt(2)
	v_fmac_f64_e32 v[128:129], v[132:133], v[134:135]
	ds_read_b128 v[132:135], v130 offset:928
	s_waitcnt vmcnt(0) lgkmcnt(0)
	v_fmac_f64_e32 v[128:129], v[136:137], v[132:133]
	buffer_load_dword v133, off, s[0:3], 0 offset:444
	buffer_load_dword v132, off, s[0:3], 0 offset:440
	buffer_load_dword v137, off, s[0:3], 0 offset:452
	buffer_load_dword v136, off, s[0:3], 0 offset:448
	;; [unrolled: 9-line block ×3, first 2 shown]
	s_waitcnt vmcnt(2)
	v_fmac_f64_e32 v[128:129], v[132:133], v[134:135]
	ds_read_b128 v[132:135], v130 offset:960
	s_waitcnt vmcnt(0) lgkmcnt(0)
	v_fmac_f64_e32 v[128:129], v[136:137], v[132:133]
	buffer_load_dword v133, off, s[0:3], 0 offset:476
	buffer_load_dword v132, off, s[0:3], 0 offset:472
	s_waitcnt vmcnt(0)
	v_fmac_f64_e32 v[128:129], v[132:133], v[134:135]
	buffer_load_dword v135, off, s[0:3], 0 offset:484
	buffer_load_dword v134, off, s[0:3], 0 offset:480
	ds_read_b128 v[130:133], v130 offset:976
	s_waitcnt vmcnt(0) lgkmcnt(0)
	v_fmac_f64_e32 v[128:129], v[134:135], v[130:131]
	buffer_load_dword v131, off, s[0:3], 0 offset:492
	buffer_load_dword v130, off, s[0:3], 0 offset:488
	s_waitcnt vmcnt(0)
	v_fmac_f64_e32 v[128:129], v[130:131], v[132:133]
	v_add_f64 v[126:127], v[126:127], -v[128:129]
	buffer_store_dword v127, off, s[0:3], 0 offset:348
	buffer_store_dword v126, off, s[0:3], 0 offset:344
	s_and_saveexec_b64 s[4:5], vcc
	s_cbranch_execz .LBB61_295
; %bb.294:
	buffer_load_dword v126, off, s[0:3], 0 offset:336
	buffer_load_dword v127, off, s[0:3], 0 offset:340
	v_mov_b32_e32 v128, 0
	buffer_store_dword v128, off, s[0:3], 0 offset:336
	buffer_store_dword v128, off, s[0:3], 0 offset:340
	s_waitcnt vmcnt(2)
	ds_write_b64 v1, v[126:127]
.LBB61_295:
	s_or_b64 exec, exec, s[4:5]
	s_waitcnt lgkmcnt(0)
	; wave barrier
	s_waitcnt lgkmcnt(0)
	buffer_load_dword v126, off, s[0:3], 0 offset:336
	buffer_load_dword v127, off, s[0:3], 0 offset:340
	;; [unrolled: 1-line block ×16, first 2 shown]
	v_mov_b32_e32 v130, 0
	ds_read2_b64 v[132:135], v130 offset0:105 offset1:106
	v_cmp_lt_u32_e32 vcc, 41, v0
	s_waitcnt vmcnt(12) lgkmcnt(0)
	v_fma_f64 v[128:129], v[128:129], v[132:133], 0
	s_waitcnt vmcnt(10)
	v_fmac_f64_e32 v[128:129], v[136:137], v[134:135]
	ds_read2_b64 v[132:135], v130 offset0:107 offset1:108
	s_waitcnt vmcnt(8) lgkmcnt(0)
	v_fmac_f64_e32 v[128:129], v[138:139], v[132:133]
	s_waitcnt vmcnt(6)
	v_fmac_f64_e32 v[128:129], v[140:141], v[134:135]
	ds_read2_b64 v[132:135], v130 offset0:109 offset1:110
	s_waitcnt vmcnt(4) lgkmcnt(0)
	v_fmac_f64_e32 v[128:129], v[142:143], v[132:133]
	;; [unrolled: 5-line block ×3, first 2 shown]
	buffer_load_dword v133, off, s[0:3], 0 offset:404
	buffer_load_dword v132, off, s[0:3], 0 offset:400
	buffer_load_dword v137, off, s[0:3], 0 offset:412
	buffer_load_dword v136, off, s[0:3], 0 offset:408
	s_waitcnt vmcnt(2)
	v_fmac_f64_e32 v[128:129], v[132:133], v[134:135]
	ds_read2_b64 v[132:135], v130 offset0:113 offset1:114
	s_waitcnt vmcnt(0) lgkmcnt(0)
	v_fmac_f64_e32 v[128:129], v[136:137], v[132:133]
	buffer_load_dword v133, off, s[0:3], 0 offset:420
	buffer_load_dword v132, off, s[0:3], 0 offset:416
	buffer_load_dword v137, off, s[0:3], 0 offset:428
	buffer_load_dword v136, off, s[0:3], 0 offset:424
	s_waitcnt vmcnt(2)
	v_fmac_f64_e32 v[128:129], v[132:133], v[134:135]
	ds_read2_b64 v[132:135], v130 offset0:115 offset1:116
	s_waitcnt vmcnt(0) lgkmcnt(0)
	v_fmac_f64_e32 v[128:129], v[136:137], v[132:133]
	;; [unrolled: 9-line block ×5, first 2 shown]
	buffer_load_dword v133, off, s[0:3], 0 offset:484
	buffer_load_dword v132, off, s[0:3], 0 offset:480
	s_waitcnt vmcnt(0)
	v_fmac_f64_e32 v[128:129], v[132:133], v[134:135]
	buffer_load_dword v133, off, s[0:3], 0 offset:492
	buffer_load_dword v132, off, s[0:3], 0 offset:488
	ds_read_b64 v[134:135], v130 offset:984
	s_waitcnt vmcnt(0) lgkmcnt(0)
	v_fmac_f64_e32 v[128:129], v[132:133], v[134:135]
	v_add_f64 v[126:127], v[126:127], -v[128:129]
	buffer_store_dword v127, off, s[0:3], 0 offset:340
	buffer_store_dword v126, off, s[0:3], 0 offset:336
	s_and_saveexec_b64 s[4:5], vcc
	s_cbranch_execz .LBB61_297
; %bb.296:
	buffer_load_dword v126, off, s[0:3], 0 offset:328
	buffer_load_dword v127, off, s[0:3], 0 offset:332
	s_waitcnt vmcnt(0)
	ds_write_b64 v1, v[126:127]
	buffer_store_dword v130, off, s[0:3], 0 offset:328
	buffer_store_dword v130, off, s[0:3], 0 offset:332
.LBB61_297:
	s_or_b64 exec, exec, s[4:5]
	s_waitcnt lgkmcnt(0)
	; wave barrier
	s_waitcnt lgkmcnt(0)
	buffer_load_dword v126, off, s[0:3], 0 offset:328
	buffer_load_dword v127, off, s[0:3], 0 offset:332
	;; [unrolled: 1-line block ×16, first 2 shown]
	ds_read_b128 v[132:135], v130 offset:832
	ds_read_b128 v[136:139], v130 offset:848
	;; [unrolled: 1-line block ×4, first 2 shown]
	v_cmp_lt_u32_e32 vcc, 40, v0
	s_waitcnt vmcnt(12) lgkmcnt(3)
	v_fma_f64 v[128:129], v[128:129], v[132:133], 0
	buffer_load_dword v133, off, s[0:3], 0 offset:396
	buffer_load_dword v132, off, s[0:3], 0 offset:392
	s_waitcnt vmcnt(12)
	v_fmac_f64_e32 v[128:129], v[148:149], v[134:135]
	s_waitcnt vmcnt(10) lgkmcnt(2)
	v_fmac_f64_e32 v[128:129], v[150:151], v[136:137]
	buffer_load_dword v137, off, s[0:3], 0 offset:404
	buffer_load_dword v136, off, s[0:3], 0 offset:400
	s_waitcnt vmcnt(10)
	v_fmac_f64_e32 v[128:129], v[152:153], v[138:139]
	s_waitcnt vmcnt(8) lgkmcnt(1)
	v_fmac_f64_e32 v[128:129], v[154:155], v[140:141]
	s_waitcnt vmcnt(6)
	v_fmac_f64_e32 v[128:129], v[156:157], v[142:143]
	s_waitcnt vmcnt(4) lgkmcnt(0)
	v_fmac_f64_e32 v[128:129], v[158:159], v[144:145]
	s_waitcnt vmcnt(2)
	v_fmac_f64_e32 v[128:129], v[132:133], v[146:147]
	ds_read_b128 v[132:135], v130 offset:896
	s_waitcnt vmcnt(0) lgkmcnt(0)
	v_fmac_f64_e32 v[128:129], v[136:137], v[132:133]
	buffer_load_dword v133, off, s[0:3], 0 offset:412
	buffer_load_dword v132, off, s[0:3], 0 offset:408
	buffer_load_dword v137, off, s[0:3], 0 offset:420
	buffer_load_dword v136, off, s[0:3], 0 offset:416
	s_waitcnt vmcnt(2)
	v_fmac_f64_e32 v[128:129], v[132:133], v[134:135]
	ds_read_b128 v[132:135], v130 offset:912
	s_waitcnt vmcnt(0) lgkmcnt(0)
	v_fmac_f64_e32 v[128:129], v[136:137], v[132:133]
	buffer_load_dword v133, off, s[0:3], 0 offset:428
	buffer_load_dword v132, off, s[0:3], 0 offset:424
	buffer_load_dword v137, off, s[0:3], 0 offset:436
	buffer_load_dword v136, off, s[0:3], 0 offset:432
	;; [unrolled: 9-line block ×4, first 2 shown]
	s_waitcnt vmcnt(2)
	v_fmac_f64_e32 v[128:129], v[132:133], v[134:135]
	ds_read_b128 v[132:135], v130 offset:960
	s_waitcnt vmcnt(0) lgkmcnt(0)
	v_fmac_f64_e32 v[128:129], v[136:137], v[132:133]
	buffer_load_dword v133, off, s[0:3], 0 offset:476
	buffer_load_dword v132, off, s[0:3], 0 offset:472
	s_waitcnt vmcnt(0)
	v_fmac_f64_e32 v[128:129], v[132:133], v[134:135]
	buffer_load_dword v135, off, s[0:3], 0 offset:484
	buffer_load_dword v134, off, s[0:3], 0 offset:480
	ds_read_b128 v[130:133], v130 offset:976
	s_waitcnt vmcnt(0) lgkmcnt(0)
	v_fmac_f64_e32 v[128:129], v[134:135], v[130:131]
	buffer_load_dword v131, off, s[0:3], 0 offset:492
	buffer_load_dword v130, off, s[0:3], 0 offset:488
	s_waitcnt vmcnt(0)
	v_fmac_f64_e32 v[128:129], v[130:131], v[132:133]
	v_add_f64 v[126:127], v[126:127], -v[128:129]
	buffer_store_dword v127, off, s[0:3], 0 offset:332
	buffer_store_dword v126, off, s[0:3], 0 offset:328
	s_and_saveexec_b64 s[4:5], vcc
	s_cbranch_execz .LBB61_299
; %bb.298:
	buffer_load_dword v126, off, s[0:3], 0 offset:320
	buffer_load_dword v127, off, s[0:3], 0 offset:324
	v_mov_b32_e32 v128, 0
	buffer_store_dword v128, off, s[0:3], 0 offset:320
	buffer_store_dword v128, off, s[0:3], 0 offset:324
	s_waitcnt vmcnt(2)
	ds_write_b64 v1, v[126:127]
.LBB61_299:
	s_or_b64 exec, exec, s[4:5]
	s_waitcnt lgkmcnt(0)
	; wave barrier
	s_waitcnt lgkmcnt(0)
	buffer_load_dword v126, off, s[0:3], 0 offset:320
	buffer_load_dword v127, off, s[0:3], 0 offset:324
	;; [unrolled: 1-line block ×16, first 2 shown]
	v_mov_b32_e32 v130, 0
	ds_read2_b64 v[132:135], v130 offset0:103 offset1:104
	v_cmp_lt_u32_e32 vcc, 39, v0
	s_waitcnt vmcnt(12) lgkmcnt(0)
	v_fma_f64 v[128:129], v[128:129], v[132:133], 0
	s_waitcnt vmcnt(10)
	v_fmac_f64_e32 v[128:129], v[136:137], v[134:135]
	ds_read2_b64 v[132:135], v130 offset0:105 offset1:106
	s_waitcnt vmcnt(8) lgkmcnt(0)
	v_fmac_f64_e32 v[128:129], v[138:139], v[132:133]
	s_waitcnt vmcnt(6)
	v_fmac_f64_e32 v[128:129], v[140:141], v[134:135]
	ds_read2_b64 v[132:135], v130 offset0:107 offset1:108
	s_waitcnt vmcnt(4) lgkmcnt(0)
	v_fmac_f64_e32 v[128:129], v[142:143], v[132:133]
	s_waitcnt vmcnt(2)
	v_fmac_f64_e32 v[128:129], v[144:145], v[134:135]
	ds_read2_b64 v[132:135], v130 offset0:109 offset1:110
	s_waitcnt vmcnt(0) lgkmcnt(0)
	v_fmac_f64_e32 v[128:129], v[146:147], v[132:133]
	buffer_load_dword v133, off, s[0:3], 0 offset:388
	buffer_load_dword v132, off, s[0:3], 0 offset:384
	buffer_load_dword v137, off, s[0:3], 0 offset:396
	buffer_load_dword v136, off, s[0:3], 0 offset:392
	s_waitcnt vmcnt(2)
	v_fmac_f64_e32 v[128:129], v[132:133], v[134:135]
	ds_read2_b64 v[132:135], v130 offset0:111 offset1:112
	s_waitcnt vmcnt(0) lgkmcnt(0)
	v_fmac_f64_e32 v[128:129], v[136:137], v[132:133]
	buffer_load_dword v133, off, s[0:3], 0 offset:404
	buffer_load_dword v132, off, s[0:3], 0 offset:400
	buffer_load_dword v137, off, s[0:3], 0 offset:412
	buffer_load_dword v136, off, s[0:3], 0 offset:408
	s_waitcnt vmcnt(2)
	v_fmac_f64_e32 v[128:129], v[132:133], v[134:135]
	ds_read2_b64 v[132:135], v130 offset0:113 offset1:114
	s_waitcnt vmcnt(0) lgkmcnt(0)
	v_fmac_f64_e32 v[128:129], v[136:137], v[132:133]
	;; [unrolled: 9-line block ×6, first 2 shown]
	buffer_load_dword v133, off, s[0:3], 0 offset:484
	buffer_load_dword v132, off, s[0:3], 0 offset:480
	s_waitcnt vmcnt(0)
	v_fmac_f64_e32 v[128:129], v[132:133], v[134:135]
	buffer_load_dword v133, off, s[0:3], 0 offset:492
	buffer_load_dword v132, off, s[0:3], 0 offset:488
	ds_read_b64 v[134:135], v130 offset:984
	s_waitcnt vmcnt(0) lgkmcnt(0)
	v_fmac_f64_e32 v[128:129], v[132:133], v[134:135]
	v_add_f64 v[126:127], v[126:127], -v[128:129]
	buffer_store_dword v127, off, s[0:3], 0 offset:324
	buffer_store_dword v126, off, s[0:3], 0 offset:320
	s_and_saveexec_b64 s[4:5], vcc
	s_cbranch_execz .LBB61_301
; %bb.300:
	buffer_load_dword v126, off, s[0:3], 0 offset:312
	buffer_load_dword v127, off, s[0:3], 0 offset:316
	s_waitcnt vmcnt(0)
	ds_write_b64 v1, v[126:127]
	buffer_store_dword v130, off, s[0:3], 0 offset:312
	buffer_store_dword v130, off, s[0:3], 0 offset:316
.LBB61_301:
	s_or_b64 exec, exec, s[4:5]
	s_waitcnt lgkmcnt(0)
	; wave barrier
	s_waitcnt lgkmcnt(0)
	buffer_load_dword v126, off, s[0:3], 0 offset:312
	buffer_load_dword v127, off, s[0:3], 0 offset:316
	;; [unrolled: 1-line block ×16, first 2 shown]
	ds_read_b128 v[132:135], v130 offset:816
	ds_read_b128 v[136:139], v130 offset:832
	;; [unrolled: 1-line block ×4, first 2 shown]
	v_cmp_lt_u32_e32 vcc, 38, v0
	s_waitcnt vmcnt(12) lgkmcnt(3)
	v_fma_f64 v[128:129], v[128:129], v[132:133], 0
	buffer_load_dword v133, off, s[0:3], 0 offset:380
	buffer_load_dword v132, off, s[0:3], 0 offset:376
	s_waitcnt vmcnt(12)
	v_fmac_f64_e32 v[128:129], v[148:149], v[134:135]
	s_waitcnt vmcnt(10) lgkmcnt(2)
	v_fmac_f64_e32 v[128:129], v[150:151], v[136:137]
	buffer_load_dword v137, off, s[0:3], 0 offset:388
	buffer_load_dword v136, off, s[0:3], 0 offset:384
	s_waitcnt vmcnt(10)
	v_fmac_f64_e32 v[128:129], v[152:153], v[138:139]
	s_waitcnt vmcnt(8) lgkmcnt(1)
	v_fmac_f64_e32 v[128:129], v[154:155], v[140:141]
	s_waitcnt vmcnt(6)
	v_fmac_f64_e32 v[128:129], v[156:157], v[142:143]
	s_waitcnt vmcnt(4) lgkmcnt(0)
	v_fmac_f64_e32 v[128:129], v[158:159], v[144:145]
	s_waitcnt vmcnt(2)
	v_fmac_f64_e32 v[128:129], v[132:133], v[146:147]
	ds_read_b128 v[132:135], v130 offset:880
	s_waitcnt vmcnt(0) lgkmcnt(0)
	v_fmac_f64_e32 v[128:129], v[136:137], v[132:133]
	buffer_load_dword v133, off, s[0:3], 0 offset:396
	buffer_load_dword v132, off, s[0:3], 0 offset:392
	buffer_load_dword v137, off, s[0:3], 0 offset:404
	buffer_load_dword v136, off, s[0:3], 0 offset:400
	s_waitcnt vmcnt(2)
	v_fmac_f64_e32 v[128:129], v[132:133], v[134:135]
	ds_read_b128 v[132:135], v130 offset:896
	s_waitcnt vmcnt(0) lgkmcnt(0)
	v_fmac_f64_e32 v[128:129], v[136:137], v[132:133]
	buffer_load_dword v133, off, s[0:3], 0 offset:412
	buffer_load_dword v132, off, s[0:3], 0 offset:408
	buffer_load_dword v137, off, s[0:3], 0 offset:420
	buffer_load_dword v136, off, s[0:3], 0 offset:416
	;; [unrolled: 9-line block ×5, first 2 shown]
	s_waitcnt vmcnt(2)
	v_fmac_f64_e32 v[128:129], v[132:133], v[134:135]
	ds_read_b128 v[132:135], v130 offset:960
	s_waitcnt vmcnt(0) lgkmcnt(0)
	v_fmac_f64_e32 v[128:129], v[136:137], v[132:133]
	buffer_load_dword v133, off, s[0:3], 0 offset:476
	buffer_load_dword v132, off, s[0:3], 0 offset:472
	s_waitcnt vmcnt(0)
	v_fmac_f64_e32 v[128:129], v[132:133], v[134:135]
	buffer_load_dword v135, off, s[0:3], 0 offset:484
	buffer_load_dword v134, off, s[0:3], 0 offset:480
	ds_read_b128 v[130:133], v130 offset:976
	s_waitcnt vmcnt(0) lgkmcnt(0)
	v_fmac_f64_e32 v[128:129], v[134:135], v[130:131]
	buffer_load_dword v131, off, s[0:3], 0 offset:492
	buffer_load_dword v130, off, s[0:3], 0 offset:488
	s_waitcnt vmcnt(0)
	v_fmac_f64_e32 v[128:129], v[130:131], v[132:133]
	v_add_f64 v[126:127], v[126:127], -v[128:129]
	buffer_store_dword v127, off, s[0:3], 0 offset:316
	buffer_store_dword v126, off, s[0:3], 0 offset:312
	s_and_saveexec_b64 s[4:5], vcc
	s_cbranch_execz .LBB61_303
; %bb.302:
	buffer_load_dword v126, off, s[0:3], 0 offset:304
	buffer_load_dword v127, off, s[0:3], 0 offset:308
	v_mov_b32_e32 v128, 0
	buffer_store_dword v128, off, s[0:3], 0 offset:304
	buffer_store_dword v128, off, s[0:3], 0 offset:308
	s_waitcnt vmcnt(2)
	ds_write_b64 v1, v[126:127]
.LBB61_303:
	s_or_b64 exec, exec, s[4:5]
	s_waitcnt lgkmcnt(0)
	; wave barrier
	s_waitcnt lgkmcnt(0)
	buffer_load_dword v126, off, s[0:3], 0 offset:304
	buffer_load_dword v127, off, s[0:3], 0 offset:308
	;; [unrolled: 1-line block ×16, first 2 shown]
	v_mov_b32_e32 v130, 0
	ds_read2_b64 v[132:135], v130 offset0:101 offset1:102
	v_cmp_lt_u32_e32 vcc, 37, v0
	s_waitcnt vmcnt(12) lgkmcnt(0)
	v_fma_f64 v[128:129], v[128:129], v[132:133], 0
	s_waitcnt vmcnt(10)
	v_fmac_f64_e32 v[128:129], v[136:137], v[134:135]
	ds_read2_b64 v[132:135], v130 offset0:103 offset1:104
	s_waitcnt vmcnt(8) lgkmcnt(0)
	v_fmac_f64_e32 v[128:129], v[138:139], v[132:133]
	s_waitcnt vmcnt(6)
	v_fmac_f64_e32 v[128:129], v[140:141], v[134:135]
	ds_read2_b64 v[132:135], v130 offset0:105 offset1:106
	s_waitcnt vmcnt(4) lgkmcnt(0)
	v_fmac_f64_e32 v[128:129], v[142:143], v[132:133]
	;; [unrolled: 5-line block ×3, first 2 shown]
	buffer_load_dword v133, off, s[0:3], 0 offset:372
	buffer_load_dword v132, off, s[0:3], 0 offset:368
	buffer_load_dword v137, off, s[0:3], 0 offset:380
	buffer_load_dword v136, off, s[0:3], 0 offset:376
	s_waitcnt vmcnt(2)
	v_fmac_f64_e32 v[128:129], v[132:133], v[134:135]
	ds_read2_b64 v[132:135], v130 offset0:109 offset1:110
	s_waitcnt vmcnt(0) lgkmcnt(0)
	v_fmac_f64_e32 v[128:129], v[136:137], v[132:133]
	buffer_load_dword v133, off, s[0:3], 0 offset:388
	buffer_load_dword v132, off, s[0:3], 0 offset:384
	buffer_load_dword v137, off, s[0:3], 0 offset:396
	buffer_load_dword v136, off, s[0:3], 0 offset:392
	s_waitcnt vmcnt(2)
	v_fmac_f64_e32 v[128:129], v[132:133], v[134:135]
	ds_read2_b64 v[132:135], v130 offset0:111 offset1:112
	s_waitcnt vmcnt(0) lgkmcnt(0)
	v_fmac_f64_e32 v[128:129], v[136:137], v[132:133]
	;; [unrolled: 9-line block ×7, first 2 shown]
	buffer_load_dword v133, off, s[0:3], 0 offset:484
	buffer_load_dword v132, off, s[0:3], 0 offset:480
	s_waitcnt vmcnt(0)
	v_fmac_f64_e32 v[128:129], v[132:133], v[134:135]
	buffer_load_dword v133, off, s[0:3], 0 offset:492
	buffer_load_dword v132, off, s[0:3], 0 offset:488
	ds_read_b64 v[134:135], v130 offset:984
	s_waitcnt vmcnt(0) lgkmcnt(0)
	v_fmac_f64_e32 v[128:129], v[132:133], v[134:135]
	v_add_f64 v[126:127], v[126:127], -v[128:129]
	buffer_store_dword v127, off, s[0:3], 0 offset:308
	buffer_store_dword v126, off, s[0:3], 0 offset:304
	s_and_saveexec_b64 s[4:5], vcc
	s_cbranch_execz .LBB61_305
; %bb.304:
	buffer_load_dword v126, off, s[0:3], 0 offset:296
	buffer_load_dword v127, off, s[0:3], 0 offset:300
	s_waitcnt vmcnt(0)
	ds_write_b64 v1, v[126:127]
	buffer_store_dword v130, off, s[0:3], 0 offset:296
	buffer_store_dword v130, off, s[0:3], 0 offset:300
.LBB61_305:
	s_or_b64 exec, exec, s[4:5]
	s_waitcnt lgkmcnt(0)
	; wave barrier
	s_waitcnt lgkmcnt(0)
	buffer_load_dword v126, off, s[0:3], 0 offset:296
	buffer_load_dword v127, off, s[0:3], 0 offset:300
	;; [unrolled: 1-line block ×16, first 2 shown]
	ds_read_b128 v[132:135], v130 offset:800
	ds_read_b128 v[136:139], v130 offset:816
	;; [unrolled: 1-line block ×4, first 2 shown]
	v_cmp_lt_u32_e32 vcc, 36, v0
	s_waitcnt vmcnt(12) lgkmcnt(3)
	v_fma_f64 v[128:129], v[128:129], v[132:133], 0
	buffer_load_dword v133, off, s[0:3], 0 offset:364
	buffer_load_dword v132, off, s[0:3], 0 offset:360
	s_waitcnt vmcnt(12)
	v_fmac_f64_e32 v[128:129], v[148:149], v[134:135]
	s_waitcnt vmcnt(10) lgkmcnt(2)
	v_fmac_f64_e32 v[128:129], v[150:151], v[136:137]
	buffer_load_dword v137, off, s[0:3], 0 offset:372
	buffer_load_dword v136, off, s[0:3], 0 offset:368
	s_waitcnt vmcnt(10)
	v_fmac_f64_e32 v[128:129], v[152:153], v[138:139]
	s_waitcnt vmcnt(8) lgkmcnt(1)
	v_fmac_f64_e32 v[128:129], v[154:155], v[140:141]
	s_waitcnt vmcnt(6)
	v_fmac_f64_e32 v[128:129], v[156:157], v[142:143]
	s_waitcnt vmcnt(4) lgkmcnt(0)
	v_fmac_f64_e32 v[128:129], v[158:159], v[144:145]
	s_waitcnt vmcnt(2)
	v_fmac_f64_e32 v[128:129], v[132:133], v[146:147]
	ds_read_b128 v[132:135], v130 offset:864
	s_waitcnt vmcnt(0) lgkmcnt(0)
	v_fmac_f64_e32 v[128:129], v[136:137], v[132:133]
	buffer_load_dword v133, off, s[0:3], 0 offset:380
	buffer_load_dword v132, off, s[0:3], 0 offset:376
	buffer_load_dword v137, off, s[0:3], 0 offset:388
	buffer_load_dword v136, off, s[0:3], 0 offset:384
	s_waitcnt vmcnt(2)
	v_fmac_f64_e32 v[128:129], v[132:133], v[134:135]
	ds_read_b128 v[132:135], v130 offset:880
	s_waitcnt vmcnt(0) lgkmcnt(0)
	v_fmac_f64_e32 v[128:129], v[136:137], v[132:133]
	buffer_load_dword v133, off, s[0:3], 0 offset:396
	buffer_load_dword v132, off, s[0:3], 0 offset:392
	buffer_load_dword v137, off, s[0:3], 0 offset:404
	buffer_load_dword v136, off, s[0:3], 0 offset:400
	;; [unrolled: 9-line block ×6, first 2 shown]
	s_waitcnt vmcnt(2)
	v_fmac_f64_e32 v[128:129], v[132:133], v[134:135]
	ds_read_b128 v[132:135], v130 offset:960
	s_waitcnt vmcnt(0) lgkmcnt(0)
	v_fmac_f64_e32 v[128:129], v[136:137], v[132:133]
	buffer_load_dword v133, off, s[0:3], 0 offset:476
	buffer_load_dword v132, off, s[0:3], 0 offset:472
	s_waitcnt vmcnt(0)
	v_fmac_f64_e32 v[128:129], v[132:133], v[134:135]
	buffer_load_dword v135, off, s[0:3], 0 offset:484
	buffer_load_dword v134, off, s[0:3], 0 offset:480
	ds_read_b128 v[130:133], v130 offset:976
	s_waitcnt vmcnt(0) lgkmcnt(0)
	v_fmac_f64_e32 v[128:129], v[134:135], v[130:131]
	buffer_load_dword v131, off, s[0:3], 0 offset:492
	buffer_load_dword v130, off, s[0:3], 0 offset:488
	s_waitcnt vmcnt(0)
	v_fmac_f64_e32 v[128:129], v[130:131], v[132:133]
	v_add_f64 v[126:127], v[126:127], -v[128:129]
	buffer_store_dword v127, off, s[0:3], 0 offset:300
	buffer_store_dword v126, off, s[0:3], 0 offset:296
	s_and_saveexec_b64 s[4:5], vcc
	s_cbranch_execz .LBB61_307
; %bb.306:
	buffer_load_dword v126, off, s[0:3], 0 offset:288
	buffer_load_dword v127, off, s[0:3], 0 offset:292
	v_mov_b32_e32 v128, 0
	buffer_store_dword v128, off, s[0:3], 0 offset:288
	buffer_store_dword v128, off, s[0:3], 0 offset:292
	s_waitcnt vmcnt(2)
	ds_write_b64 v1, v[126:127]
.LBB61_307:
	s_or_b64 exec, exec, s[4:5]
	s_waitcnt lgkmcnt(0)
	; wave barrier
	s_waitcnt lgkmcnt(0)
	buffer_load_dword v126, off, s[0:3], 0 offset:288
	buffer_load_dword v127, off, s[0:3], 0 offset:292
	;; [unrolled: 1-line block ×16, first 2 shown]
	v_mov_b32_e32 v130, 0
	ds_read2_b64 v[132:135], v130 offset0:99 offset1:100
	v_cmp_lt_u32_e32 vcc, 35, v0
	s_waitcnt vmcnt(12) lgkmcnt(0)
	v_fma_f64 v[128:129], v[128:129], v[132:133], 0
	s_waitcnt vmcnt(10)
	v_fmac_f64_e32 v[128:129], v[136:137], v[134:135]
	ds_read2_b64 v[132:135], v130 offset0:101 offset1:102
	s_waitcnt vmcnt(8) lgkmcnt(0)
	v_fmac_f64_e32 v[128:129], v[138:139], v[132:133]
	s_waitcnt vmcnt(6)
	v_fmac_f64_e32 v[128:129], v[140:141], v[134:135]
	ds_read2_b64 v[132:135], v130 offset0:103 offset1:104
	s_waitcnt vmcnt(4) lgkmcnt(0)
	v_fmac_f64_e32 v[128:129], v[142:143], v[132:133]
	;; [unrolled: 5-line block ×3, first 2 shown]
	buffer_load_dword v133, off, s[0:3], 0 offset:356
	buffer_load_dword v132, off, s[0:3], 0 offset:352
	buffer_load_dword v137, off, s[0:3], 0 offset:364
	buffer_load_dword v136, off, s[0:3], 0 offset:360
	s_waitcnt vmcnt(2)
	v_fmac_f64_e32 v[128:129], v[132:133], v[134:135]
	ds_read2_b64 v[132:135], v130 offset0:107 offset1:108
	s_waitcnt vmcnt(0) lgkmcnt(0)
	v_fmac_f64_e32 v[128:129], v[136:137], v[132:133]
	buffer_load_dword v133, off, s[0:3], 0 offset:372
	buffer_load_dword v132, off, s[0:3], 0 offset:368
	buffer_load_dword v137, off, s[0:3], 0 offset:380
	buffer_load_dword v136, off, s[0:3], 0 offset:376
	s_waitcnt vmcnt(2)
	v_fmac_f64_e32 v[128:129], v[132:133], v[134:135]
	ds_read2_b64 v[132:135], v130 offset0:109 offset1:110
	s_waitcnt vmcnt(0) lgkmcnt(0)
	v_fmac_f64_e32 v[128:129], v[136:137], v[132:133]
	;; [unrolled: 9-line block ×8, first 2 shown]
	buffer_load_dword v133, off, s[0:3], 0 offset:484
	buffer_load_dword v132, off, s[0:3], 0 offset:480
	s_waitcnt vmcnt(0)
	v_fmac_f64_e32 v[128:129], v[132:133], v[134:135]
	buffer_load_dword v133, off, s[0:3], 0 offset:492
	buffer_load_dword v132, off, s[0:3], 0 offset:488
	ds_read_b64 v[134:135], v130 offset:984
	s_waitcnt vmcnt(0) lgkmcnt(0)
	v_fmac_f64_e32 v[128:129], v[132:133], v[134:135]
	v_add_f64 v[126:127], v[126:127], -v[128:129]
	buffer_store_dword v127, off, s[0:3], 0 offset:292
	buffer_store_dword v126, off, s[0:3], 0 offset:288
	s_and_saveexec_b64 s[4:5], vcc
	s_cbranch_execz .LBB61_309
; %bb.308:
	buffer_load_dword v126, off, s[0:3], 0 offset:280
	buffer_load_dword v127, off, s[0:3], 0 offset:284
	s_waitcnt vmcnt(0)
	ds_write_b64 v1, v[126:127]
	buffer_store_dword v130, off, s[0:3], 0 offset:280
	buffer_store_dword v130, off, s[0:3], 0 offset:284
.LBB61_309:
	s_or_b64 exec, exec, s[4:5]
	s_waitcnt lgkmcnt(0)
	; wave barrier
	s_waitcnt lgkmcnt(0)
	buffer_load_dword v126, off, s[0:3], 0 offset:280
	buffer_load_dword v127, off, s[0:3], 0 offset:284
	;; [unrolled: 1-line block ×16, first 2 shown]
	ds_read_b128 v[132:135], v130 offset:784
	ds_read_b128 v[136:139], v130 offset:800
	;; [unrolled: 1-line block ×4, first 2 shown]
	v_cmp_lt_u32_e32 vcc, 34, v0
	s_waitcnt vmcnt(12) lgkmcnt(3)
	v_fma_f64 v[128:129], v[128:129], v[132:133], 0
	buffer_load_dword v133, off, s[0:3], 0 offset:348
	buffer_load_dword v132, off, s[0:3], 0 offset:344
	s_waitcnt vmcnt(12)
	v_fmac_f64_e32 v[128:129], v[148:149], v[134:135]
	s_waitcnt vmcnt(10) lgkmcnt(2)
	v_fmac_f64_e32 v[128:129], v[150:151], v[136:137]
	buffer_load_dword v137, off, s[0:3], 0 offset:356
	buffer_load_dword v136, off, s[0:3], 0 offset:352
	s_waitcnt vmcnt(10)
	v_fmac_f64_e32 v[128:129], v[152:153], v[138:139]
	s_waitcnt vmcnt(8) lgkmcnt(1)
	v_fmac_f64_e32 v[128:129], v[154:155], v[140:141]
	s_waitcnt vmcnt(6)
	v_fmac_f64_e32 v[128:129], v[156:157], v[142:143]
	s_waitcnt vmcnt(4) lgkmcnt(0)
	v_fmac_f64_e32 v[128:129], v[158:159], v[144:145]
	s_waitcnt vmcnt(2)
	v_fmac_f64_e32 v[128:129], v[132:133], v[146:147]
	ds_read_b128 v[132:135], v130 offset:848
	s_waitcnt vmcnt(0) lgkmcnt(0)
	v_fmac_f64_e32 v[128:129], v[136:137], v[132:133]
	buffer_load_dword v133, off, s[0:3], 0 offset:364
	buffer_load_dword v132, off, s[0:3], 0 offset:360
	buffer_load_dword v137, off, s[0:3], 0 offset:372
	buffer_load_dword v136, off, s[0:3], 0 offset:368
	s_waitcnt vmcnt(2)
	v_fmac_f64_e32 v[128:129], v[132:133], v[134:135]
	ds_read_b128 v[132:135], v130 offset:864
	s_waitcnt vmcnt(0) lgkmcnt(0)
	v_fmac_f64_e32 v[128:129], v[136:137], v[132:133]
	buffer_load_dword v133, off, s[0:3], 0 offset:380
	buffer_load_dword v132, off, s[0:3], 0 offset:376
	buffer_load_dword v137, off, s[0:3], 0 offset:388
	buffer_load_dword v136, off, s[0:3], 0 offset:384
	;; [unrolled: 9-line block ×7, first 2 shown]
	s_waitcnt vmcnt(2)
	v_fmac_f64_e32 v[128:129], v[132:133], v[134:135]
	ds_read_b128 v[132:135], v130 offset:960
	s_waitcnt vmcnt(0) lgkmcnt(0)
	v_fmac_f64_e32 v[128:129], v[136:137], v[132:133]
	buffer_load_dword v133, off, s[0:3], 0 offset:476
	buffer_load_dword v132, off, s[0:3], 0 offset:472
	s_waitcnt vmcnt(0)
	v_fmac_f64_e32 v[128:129], v[132:133], v[134:135]
	buffer_load_dword v135, off, s[0:3], 0 offset:484
	buffer_load_dword v134, off, s[0:3], 0 offset:480
	ds_read_b128 v[130:133], v130 offset:976
	s_waitcnt vmcnt(0) lgkmcnt(0)
	v_fmac_f64_e32 v[128:129], v[134:135], v[130:131]
	buffer_load_dword v131, off, s[0:3], 0 offset:492
	buffer_load_dword v130, off, s[0:3], 0 offset:488
	s_waitcnt vmcnt(0)
	v_fmac_f64_e32 v[128:129], v[130:131], v[132:133]
	v_add_f64 v[126:127], v[126:127], -v[128:129]
	buffer_store_dword v127, off, s[0:3], 0 offset:284
	buffer_store_dword v126, off, s[0:3], 0 offset:280
	s_and_saveexec_b64 s[4:5], vcc
	s_cbranch_execz .LBB61_311
; %bb.310:
	buffer_load_dword v126, off, s[0:3], 0 offset:272
	buffer_load_dword v127, off, s[0:3], 0 offset:276
	v_mov_b32_e32 v128, 0
	buffer_store_dword v128, off, s[0:3], 0 offset:272
	buffer_store_dword v128, off, s[0:3], 0 offset:276
	s_waitcnt vmcnt(2)
	ds_write_b64 v1, v[126:127]
.LBB61_311:
	s_or_b64 exec, exec, s[4:5]
	s_waitcnt lgkmcnt(0)
	; wave barrier
	s_waitcnt lgkmcnt(0)
	buffer_load_dword v126, off, s[0:3], 0 offset:272
	buffer_load_dword v127, off, s[0:3], 0 offset:276
	;; [unrolled: 1-line block ×16, first 2 shown]
	v_mov_b32_e32 v130, 0
	ds_read2_b64 v[132:135], v130 offset0:97 offset1:98
	v_cmp_lt_u32_e32 vcc, 33, v0
	s_waitcnt vmcnt(12) lgkmcnt(0)
	v_fma_f64 v[128:129], v[128:129], v[132:133], 0
	s_waitcnt vmcnt(10)
	v_fmac_f64_e32 v[128:129], v[136:137], v[134:135]
	ds_read2_b64 v[132:135], v130 offset0:99 offset1:100
	s_waitcnt vmcnt(8) lgkmcnt(0)
	v_fmac_f64_e32 v[128:129], v[138:139], v[132:133]
	s_waitcnt vmcnt(6)
	v_fmac_f64_e32 v[128:129], v[140:141], v[134:135]
	ds_read2_b64 v[132:135], v130 offset0:101 offset1:102
	s_waitcnt vmcnt(4) lgkmcnt(0)
	v_fmac_f64_e32 v[128:129], v[142:143], v[132:133]
	;; [unrolled: 5-line block ×3, first 2 shown]
	buffer_load_dword v133, off, s[0:3], 0 offset:340
	buffer_load_dword v132, off, s[0:3], 0 offset:336
	buffer_load_dword v137, off, s[0:3], 0 offset:348
	buffer_load_dword v136, off, s[0:3], 0 offset:344
	s_waitcnt vmcnt(2)
	v_fmac_f64_e32 v[128:129], v[132:133], v[134:135]
	ds_read2_b64 v[132:135], v130 offset0:105 offset1:106
	s_waitcnt vmcnt(0) lgkmcnt(0)
	v_fmac_f64_e32 v[128:129], v[136:137], v[132:133]
	buffer_load_dword v133, off, s[0:3], 0 offset:356
	buffer_load_dword v132, off, s[0:3], 0 offset:352
	buffer_load_dword v137, off, s[0:3], 0 offset:364
	buffer_load_dword v136, off, s[0:3], 0 offset:360
	s_waitcnt vmcnt(2)
	v_fmac_f64_e32 v[128:129], v[132:133], v[134:135]
	ds_read2_b64 v[132:135], v130 offset0:107 offset1:108
	s_waitcnt vmcnt(0) lgkmcnt(0)
	v_fmac_f64_e32 v[128:129], v[136:137], v[132:133]
	;; [unrolled: 9-line block ×9, first 2 shown]
	buffer_load_dword v133, off, s[0:3], 0 offset:484
	buffer_load_dword v132, off, s[0:3], 0 offset:480
	s_waitcnt vmcnt(0)
	v_fmac_f64_e32 v[128:129], v[132:133], v[134:135]
	buffer_load_dword v133, off, s[0:3], 0 offset:492
	buffer_load_dword v132, off, s[0:3], 0 offset:488
	ds_read_b64 v[134:135], v130 offset:984
	s_waitcnt vmcnt(0) lgkmcnt(0)
	v_fmac_f64_e32 v[128:129], v[132:133], v[134:135]
	v_add_f64 v[126:127], v[126:127], -v[128:129]
	buffer_store_dword v127, off, s[0:3], 0 offset:276
	buffer_store_dword v126, off, s[0:3], 0 offset:272
	s_and_saveexec_b64 s[4:5], vcc
	s_cbranch_execz .LBB61_313
; %bb.312:
	buffer_load_dword v126, off, s[0:3], 0 offset:264
	buffer_load_dword v127, off, s[0:3], 0 offset:268
	s_waitcnt vmcnt(0)
	ds_write_b64 v1, v[126:127]
	buffer_store_dword v130, off, s[0:3], 0 offset:264
	buffer_store_dword v130, off, s[0:3], 0 offset:268
.LBB61_313:
	s_or_b64 exec, exec, s[4:5]
	s_waitcnt lgkmcnt(0)
	; wave barrier
	s_waitcnt lgkmcnt(0)
	buffer_load_dword v126, off, s[0:3], 0 offset:264
	buffer_load_dword v127, off, s[0:3], 0 offset:268
	;; [unrolled: 1-line block ×16, first 2 shown]
	ds_read_b128 v[132:135], v130 offset:768
	ds_read_b128 v[136:139], v130 offset:784
	;; [unrolled: 1-line block ×4, first 2 shown]
	v_cmp_lt_u32_e32 vcc, 32, v0
	s_waitcnt vmcnt(12) lgkmcnt(3)
	v_fma_f64 v[128:129], v[128:129], v[132:133], 0
	buffer_load_dword v133, off, s[0:3], 0 offset:332
	buffer_load_dword v132, off, s[0:3], 0 offset:328
	s_waitcnt vmcnt(12)
	v_fmac_f64_e32 v[128:129], v[148:149], v[134:135]
	s_waitcnt vmcnt(10) lgkmcnt(2)
	v_fmac_f64_e32 v[128:129], v[150:151], v[136:137]
	buffer_load_dword v137, off, s[0:3], 0 offset:340
	buffer_load_dword v136, off, s[0:3], 0 offset:336
	s_waitcnt vmcnt(10)
	v_fmac_f64_e32 v[128:129], v[152:153], v[138:139]
	s_waitcnt vmcnt(8) lgkmcnt(1)
	v_fmac_f64_e32 v[128:129], v[154:155], v[140:141]
	s_waitcnt vmcnt(6)
	v_fmac_f64_e32 v[128:129], v[156:157], v[142:143]
	s_waitcnt vmcnt(4) lgkmcnt(0)
	v_fmac_f64_e32 v[128:129], v[158:159], v[144:145]
	s_waitcnt vmcnt(2)
	v_fmac_f64_e32 v[128:129], v[132:133], v[146:147]
	ds_read_b128 v[132:135], v130 offset:832
	s_waitcnt vmcnt(0) lgkmcnt(0)
	v_fmac_f64_e32 v[128:129], v[136:137], v[132:133]
	buffer_load_dword v133, off, s[0:3], 0 offset:348
	buffer_load_dword v132, off, s[0:3], 0 offset:344
	buffer_load_dword v137, off, s[0:3], 0 offset:356
	buffer_load_dword v136, off, s[0:3], 0 offset:352
	s_waitcnt vmcnt(2)
	v_fmac_f64_e32 v[128:129], v[132:133], v[134:135]
	ds_read_b128 v[132:135], v130 offset:848
	s_waitcnt vmcnt(0) lgkmcnt(0)
	v_fmac_f64_e32 v[128:129], v[136:137], v[132:133]
	buffer_load_dword v133, off, s[0:3], 0 offset:364
	buffer_load_dword v132, off, s[0:3], 0 offset:360
	buffer_load_dword v137, off, s[0:3], 0 offset:372
	buffer_load_dword v136, off, s[0:3], 0 offset:368
	;; [unrolled: 9-line block ×8, first 2 shown]
	s_waitcnt vmcnt(2)
	v_fmac_f64_e32 v[128:129], v[132:133], v[134:135]
	ds_read_b128 v[132:135], v130 offset:960
	s_waitcnt vmcnt(0) lgkmcnt(0)
	v_fmac_f64_e32 v[128:129], v[136:137], v[132:133]
	buffer_load_dword v133, off, s[0:3], 0 offset:476
	buffer_load_dword v132, off, s[0:3], 0 offset:472
	s_waitcnt vmcnt(0)
	v_fmac_f64_e32 v[128:129], v[132:133], v[134:135]
	buffer_load_dword v135, off, s[0:3], 0 offset:484
	buffer_load_dword v134, off, s[0:3], 0 offset:480
	ds_read_b128 v[130:133], v130 offset:976
	s_waitcnt vmcnt(0) lgkmcnt(0)
	v_fmac_f64_e32 v[128:129], v[134:135], v[130:131]
	buffer_load_dword v131, off, s[0:3], 0 offset:492
	buffer_load_dword v130, off, s[0:3], 0 offset:488
	s_waitcnt vmcnt(0)
	v_fmac_f64_e32 v[128:129], v[130:131], v[132:133]
	v_add_f64 v[126:127], v[126:127], -v[128:129]
	buffer_store_dword v127, off, s[0:3], 0 offset:268
	buffer_store_dword v126, off, s[0:3], 0 offset:264
	s_and_saveexec_b64 s[4:5], vcc
	s_cbranch_execz .LBB61_315
; %bb.314:
	buffer_load_dword v126, off, s[0:3], 0 offset:256
	buffer_load_dword v127, off, s[0:3], 0 offset:260
	v_mov_b32_e32 v128, 0
	buffer_store_dword v128, off, s[0:3], 0 offset:256
	buffer_store_dword v128, off, s[0:3], 0 offset:260
	s_waitcnt vmcnt(2)
	ds_write_b64 v1, v[126:127]
.LBB61_315:
	s_or_b64 exec, exec, s[4:5]
	s_waitcnt lgkmcnt(0)
	; wave barrier
	s_waitcnt lgkmcnt(0)
	buffer_load_dword v126, off, s[0:3], 0 offset:256
	buffer_load_dword v127, off, s[0:3], 0 offset:260
	;; [unrolled: 1-line block ×16, first 2 shown]
	v_mov_b32_e32 v130, 0
	ds_read2_b64 v[132:135], v130 offset0:95 offset1:96
	v_cmp_lt_u32_e32 vcc, 31, v0
	s_waitcnt vmcnt(12) lgkmcnt(0)
	v_fma_f64 v[128:129], v[128:129], v[132:133], 0
	s_waitcnt vmcnt(10)
	v_fmac_f64_e32 v[128:129], v[136:137], v[134:135]
	ds_read2_b64 v[132:135], v130 offset0:97 offset1:98
	s_waitcnt vmcnt(8) lgkmcnt(0)
	v_fmac_f64_e32 v[128:129], v[138:139], v[132:133]
	s_waitcnt vmcnt(6)
	v_fmac_f64_e32 v[128:129], v[140:141], v[134:135]
	ds_read2_b64 v[132:135], v130 offset0:99 offset1:100
	s_waitcnt vmcnt(4) lgkmcnt(0)
	v_fmac_f64_e32 v[128:129], v[142:143], v[132:133]
	;; [unrolled: 5-line block ×3, first 2 shown]
	buffer_load_dword v133, off, s[0:3], 0 offset:324
	buffer_load_dword v132, off, s[0:3], 0 offset:320
	buffer_load_dword v137, off, s[0:3], 0 offset:332
	buffer_load_dword v136, off, s[0:3], 0 offset:328
	s_waitcnt vmcnt(2)
	v_fmac_f64_e32 v[128:129], v[132:133], v[134:135]
	ds_read2_b64 v[132:135], v130 offset0:103 offset1:104
	s_waitcnt vmcnt(0) lgkmcnt(0)
	v_fmac_f64_e32 v[128:129], v[136:137], v[132:133]
	buffer_load_dword v133, off, s[0:3], 0 offset:340
	buffer_load_dword v132, off, s[0:3], 0 offset:336
	buffer_load_dword v137, off, s[0:3], 0 offset:348
	buffer_load_dword v136, off, s[0:3], 0 offset:344
	s_waitcnt vmcnt(2)
	v_fmac_f64_e32 v[128:129], v[132:133], v[134:135]
	ds_read2_b64 v[132:135], v130 offset0:105 offset1:106
	s_waitcnt vmcnt(0) lgkmcnt(0)
	v_fmac_f64_e32 v[128:129], v[136:137], v[132:133]
	;; [unrolled: 9-line block ×10, first 2 shown]
	buffer_load_dword v133, off, s[0:3], 0 offset:484
	buffer_load_dword v132, off, s[0:3], 0 offset:480
	s_waitcnt vmcnt(0)
	v_fmac_f64_e32 v[128:129], v[132:133], v[134:135]
	buffer_load_dword v133, off, s[0:3], 0 offset:492
	buffer_load_dword v132, off, s[0:3], 0 offset:488
	ds_read_b64 v[134:135], v130 offset:984
	s_waitcnt vmcnt(0) lgkmcnt(0)
	v_fmac_f64_e32 v[128:129], v[132:133], v[134:135]
	v_add_f64 v[126:127], v[126:127], -v[128:129]
	buffer_store_dword v127, off, s[0:3], 0 offset:260
	buffer_store_dword v126, off, s[0:3], 0 offset:256
	s_and_saveexec_b64 s[4:5], vcc
	s_cbranch_execz .LBB61_317
; %bb.316:
	buffer_load_dword v126, off, s[0:3], 0 offset:248
	buffer_load_dword v127, off, s[0:3], 0 offset:252
	s_waitcnt vmcnt(0)
	ds_write_b64 v1, v[126:127]
	buffer_store_dword v130, off, s[0:3], 0 offset:248
	buffer_store_dword v130, off, s[0:3], 0 offset:252
.LBB61_317:
	s_or_b64 exec, exec, s[4:5]
	s_waitcnt lgkmcnt(0)
	; wave barrier
	s_waitcnt lgkmcnt(0)
	buffer_load_dword v126, off, s[0:3], 0 offset:248
	buffer_load_dword v127, off, s[0:3], 0 offset:252
	;; [unrolled: 1-line block ×16, first 2 shown]
	ds_read_b128 v[132:135], v130 offset:752
	ds_read_b128 v[136:139], v130 offset:768
	;; [unrolled: 1-line block ×4, first 2 shown]
	v_cmp_lt_u32_e32 vcc, 30, v0
	s_waitcnt vmcnt(12) lgkmcnt(3)
	v_fma_f64 v[128:129], v[128:129], v[132:133], 0
	buffer_load_dword v133, off, s[0:3], 0 offset:316
	buffer_load_dword v132, off, s[0:3], 0 offset:312
	s_waitcnt vmcnt(12)
	v_fmac_f64_e32 v[128:129], v[148:149], v[134:135]
	s_waitcnt vmcnt(10) lgkmcnt(2)
	v_fmac_f64_e32 v[128:129], v[150:151], v[136:137]
	buffer_load_dword v137, off, s[0:3], 0 offset:324
	buffer_load_dword v136, off, s[0:3], 0 offset:320
	s_waitcnt vmcnt(10)
	v_fmac_f64_e32 v[128:129], v[152:153], v[138:139]
	s_waitcnt vmcnt(8) lgkmcnt(1)
	v_fmac_f64_e32 v[128:129], v[154:155], v[140:141]
	s_waitcnt vmcnt(6)
	v_fmac_f64_e32 v[128:129], v[156:157], v[142:143]
	s_waitcnt vmcnt(4) lgkmcnt(0)
	v_fmac_f64_e32 v[128:129], v[158:159], v[144:145]
	s_waitcnt vmcnt(2)
	v_fmac_f64_e32 v[128:129], v[132:133], v[146:147]
	ds_read_b128 v[132:135], v130 offset:816
	s_waitcnt vmcnt(0) lgkmcnt(0)
	v_fmac_f64_e32 v[128:129], v[136:137], v[132:133]
	buffer_load_dword v133, off, s[0:3], 0 offset:332
	buffer_load_dword v132, off, s[0:3], 0 offset:328
	buffer_load_dword v137, off, s[0:3], 0 offset:340
	buffer_load_dword v136, off, s[0:3], 0 offset:336
	s_waitcnt vmcnt(2)
	v_fmac_f64_e32 v[128:129], v[132:133], v[134:135]
	ds_read_b128 v[132:135], v130 offset:832
	s_waitcnt vmcnt(0) lgkmcnt(0)
	v_fmac_f64_e32 v[128:129], v[136:137], v[132:133]
	buffer_load_dword v133, off, s[0:3], 0 offset:348
	buffer_load_dword v132, off, s[0:3], 0 offset:344
	buffer_load_dword v137, off, s[0:3], 0 offset:356
	buffer_load_dword v136, off, s[0:3], 0 offset:352
	;; [unrolled: 9-line block ×9, first 2 shown]
	s_waitcnt vmcnt(2)
	v_fmac_f64_e32 v[128:129], v[132:133], v[134:135]
	ds_read_b128 v[132:135], v130 offset:960
	s_waitcnt vmcnt(0) lgkmcnt(0)
	v_fmac_f64_e32 v[128:129], v[136:137], v[132:133]
	buffer_load_dword v133, off, s[0:3], 0 offset:476
	buffer_load_dword v132, off, s[0:3], 0 offset:472
	s_waitcnt vmcnt(0)
	v_fmac_f64_e32 v[128:129], v[132:133], v[134:135]
	buffer_load_dword v135, off, s[0:3], 0 offset:484
	buffer_load_dword v134, off, s[0:3], 0 offset:480
	ds_read_b128 v[130:133], v130 offset:976
	s_waitcnt vmcnt(0) lgkmcnt(0)
	v_fmac_f64_e32 v[128:129], v[134:135], v[130:131]
	buffer_load_dword v131, off, s[0:3], 0 offset:492
	buffer_load_dword v130, off, s[0:3], 0 offset:488
	s_waitcnt vmcnt(0)
	v_fmac_f64_e32 v[128:129], v[130:131], v[132:133]
	v_add_f64 v[126:127], v[126:127], -v[128:129]
	buffer_store_dword v127, off, s[0:3], 0 offset:252
	buffer_store_dword v126, off, s[0:3], 0 offset:248
	s_and_saveexec_b64 s[4:5], vcc
	s_cbranch_execz .LBB61_319
; %bb.318:
	buffer_load_dword v126, off, s[0:3], 0 offset:240
	buffer_load_dword v127, off, s[0:3], 0 offset:244
	v_mov_b32_e32 v128, 0
	buffer_store_dword v128, off, s[0:3], 0 offset:240
	buffer_store_dword v128, off, s[0:3], 0 offset:244
	s_waitcnt vmcnt(2)
	ds_write_b64 v1, v[126:127]
.LBB61_319:
	s_or_b64 exec, exec, s[4:5]
	s_waitcnt lgkmcnt(0)
	; wave barrier
	s_waitcnt lgkmcnt(0)
	buffer_load_dword v126, off, s[0:3], 0 offset:240
	buffer_load_dword v127, off, s[0:3], 0 offset:244
	;; [unrolled: 1-line block ×16, first 2 shown]
	v_mov_b32_e32 v130, 0
	ds_read2_b64 v[132:135], v130 offset0:93 offset1:94
	v_cmp_lt_u32_e32 vcc, 29, v0
	s_waitcnt vmcnt(12) lgkmcnt(0)
	v_fma_f64 v[128:129], v[128:129], v[132:133], 0
	s_waitcnt vmcnt(10)
	v_fmac_f64_e32 v[128:129], v[136:137], v[134:135]
	ds_read2_b64 v[132:135], v130 offset0:95 offset1:96
	s_waitcnt vmcnt(8) lgkmcnt(0)
	v_fmac_f64_e32 v[128:129], v[138:139], v[132:133]
	s_waitcnt vmcnt(6)
	v_fmac_f64_e32 v[128:129], v[140:141], v[134:135]
	ds_read2_b64 v[132:135], v130 offset0:97 offset1:98
	s_waitcnt vmcnt(4) lgkmcnt(0)
	v_fmac_f64_e32 v[128:129], v[142:143], v[132:133]
	;; [unrolled: 5-line block ×3, first 2 shown]
	buffer_load_dword v133, off, s[0:3], 0 offset:308
	buffer_load_dword v132, off, s[0:3], 0 offset:304
	buffer_load_dword v137, off, s[0:3], 0 offset:316
	buffer_load_dword v136, off, s[0:3], 0 offset:312
	s_waitcnt vmcnt(2)
	v_fmac_f64_e32 v[128:129], v[132:133], v[134:135]
	ds_read2_b64 v[132:135], v130 offset0:101 offset1:102
	s_waitcnt vmcnt(0) lgkmcnt(0)
	v_fmac_f64_e32 v[128:129], v[136:137], v[132:133]
	buffer_load_dword v133, off, s[0:3], 0 offset:324
	buffer_load_dword v132, off, s[0:3], 0 offset:320
	buffer_load_dword v137, off, s[0:3], 0 offset:332
	buffer_load_dword v136, off, s[0:3], 0 offset:328
	s_waitcnt vmcnt(2)
	v_fmac_f64_e32 v[128:129], v[132:133], v[134:135]
	ds_read2_b64 v[132:135], v130 offset0:103 offset1:104
	s_waitcnt vmcnt(0) lgkmcnt(0)
	v_fmac_f64_e32 v[128:129], v[136:137], v[132:133]
	;; [unrolled: 9-line block ×11, first 2 shown]
	buffer_load_dword v133, off, s[0:3], 0 offset:484
	buffer_load_dword v132, off, s[0:3], 0 offset:480
	s_waitcnt vmcnt(0)
	v_fmac_f64_e32 v[128:129], v[132:133], v[134:135]
	buffer_load_dword v133, off, s[0:3], 0 offset:492
	buffer_load_dword v132, off, s[0:3], 0 offset:488
	ds_read_b64 v[134:135], v130 offset:984
	s_waitcnt vmcnt(0) lgkmcnt(0)
	v_fmac_f64_e32 v[128:129], v[132:133], v[134:135]
	v_add_f64 v[126:127], v[126:127], -v[128:129]
	buffer_store_dword v127, off, s[0:3], 0 offset:244
	buffer_store_dword v126, off, s[0:3], 0 offset:240
	s_and_saveexec_b64 s[4:5], vcc
	s_cbranch_execz .LBB61_321
; %bb.320:
	buffer_load_dword v126, off, s[0:3], 0 offset:232
	buffer_load_dword v127, off, s[0:3], 0 offset:236
	s_waitcnt vmcnt(0)
	ds_write_b64 v1, v[126:127]
	buffer_store_dword v130, off, s[0:3], 0 offset:232
	buffer_store_dword v130, off, s[0:3], 0 offset:236
.LBB61_321:
	s_or_b64 exec, exec, s[4:5]
	s_waitcnt lgkmcnt(0)
	; wave barrier
	s_waitcnt lgkmcnt(0)
	buffer_load_dword v126, off, s[0:3], 0 offset:232
	buffer_load_dword v127, off, s[0:3], 0 offset:236
	;; [unrolled: 1-line block ×16, first 2 shown]
	ds_read_b128 v[132:135], v130 offset:736
	ds_read_b128 v[136:139], v130 offset:752
	;; [unrolled: 1-line block ×4, first 2 shown]
	v_cmp_lt_u32_e32 vcc, 28, v0
	s_waitcnt vmcnt(12) lgkmcnt(3)
	v_fma_f64 v[128:129], v[128:129], v[132:133], 0
	buffer_load_dword v133, off, s[0:3], 0 offset:300
	buffer_load_dword v132, off, s[0:3], 0 offset:296
	s_waitcnt vmcnt(12)
	v_fmac_f64_e32 v[128:129], v[148:149], v[134:135]
	s_waitcnt vmcnt(10) lgkmcnt(2)
	v_fmac_f64_e32 v[128:129], v[150:151], v[136:137]
	buffer_load_dword v137, off, s[0:3], 0 offset:308
	buffer_load_dword v136, off, s[0:3], 0 offset:304
	s_waitcnt vmcnt(10)
	v_fmac_f64_e32 v[128:129], v[152:153], v[138:139]
	s_waitcnt vmcnt(8) lgkmcnt(1)
	v_fmac_f64_e32 v[128:129], v[154:155], v[140:141]
	s_waitcnt vmcnt(6)
	v_fmac_f64_e32 v[128:129], v[156:157], v[142:143]
	s_waitcnt vmcnt(4) lgkmcnt(0)
	v_fmac_f64_e32 v[128:129], v[158:159], v[144:145]
	s_waitcnt vmcnt(2)
	v_fmac_f64_e32 v[128:129], v[132:133], v[146:147]
	ds_read_b128 v[132:135], v130 offset:800
	s_waitcnt vmcnt(0) lgkmcnt(0)
	v_fmac_f64_e32 v[128:129], v[136:137], v[132:133]
	buffer_load_dword v133, off, s[0:3], 0 offset:316
	buffer_load_dword v132, off, s[0:3], 0 offset:312
	buffer_load_dword v137, off, s[0:3], 0 offset:324
	buffer_load_dword v136, off, s[0:3], 0 offset:320
	s_waitcnt vmcnt(2)
	v_fmac_f64_e32 v[128:129], v[132:133], v[134:135]
	ds_read_b128 v[132:135], v130 offset:816
	s_waitcnt vmcnt(0) lgkmcnt(0)
	v_fmac_f64_e32 v[128:129], v[136:137], v[132:133]
	buffer_load_dword v133, off, s[0:3], 0 offset:332
	buffer_load_dword v132, off, s[0:3], 0 offset:328
	buffer_load_dword v137, off, s[0:3], 0 offset:340
	buffer_load_dword v136, off, s[0:3], 0 offset:336
	;; [unrolled: 9-line block ×10, first 2 shown]
	s_waitcnt vmcnt(2)
	v_fmac_f64_e32 v[128:129], v[132:133], v[134:135]
	ds_read_b128 v[132:135], v130 offset:960
	s_waitcnt vmcnt(0) lgkmcnt(0)
	v_fmac_f64_e32 v[128:129], v[136:137], v[132:133]
	buffer_load_dword v133, off, s[0:3], 0 offset:476
	buffer_load_dword v132, off, s[0:3], 0 offset:472
	s_waitcnt vmcnt(0)
	v_fmac_f64_e32 v[128:129], v[132:133], v[134:135]
	buffer_load_dword v135, off, s[0:3], 0 offset:484
	buffer_load_dword v134, off, s[0:3], 0 offset:480
	ds_read_b128 v[130:133], v130 offset:976
	s_waitcnt vmcnt(0) lgkmcnt(0)
	v_fmac_f64_e32 v[128:129], v[134:135], v[130:131]
	buffer_load_dword v131, off, s[0:3], 0 offset:492
	buffer_load_dword v130, off, s[0:3], 0 offset:488
	s_waitcnt vmcnt(0)
	v_fmac_f64_e32 v[128:129], v[130:131], v[132:133]
	v_add_f64 v[126:127], v[126:127], -v[128:129]
	buffer_store_dword v127, off, s[0:3], 0 offset:236
	buffer_store_dword v126, off, s[0:3], 0 offset:232
	s_and_saveexec_b64 s[4:5], vcc
	s_cbranch_execz .LBB61_323
; %bb.322:
	buffer_load_dword v126, off, s[0:3], 0 offset:224
	buffer_load_dword v127, off, s[0:3], 0 offset:228
	v_mov_b32_e32 v128, 0
	buffer_store_dword v128, off, s[0:3], 0 offset:224
	buffer_store_dword v128, off, s[0:3], 0 offset:228
	s_waitcnt vmcnt(2)
	ds_write_b64 v1, v[126:127]
.LBB61_323:
	s_or_b64 exec, exec, s[4:5]
	s_waitcnt lgkmcnt(0)
	; wave barrier
	s_waitcnt lgkmcnt(0)
	buffer_load_dword v126, off, s[0:3], 0 offset:224
	buffer_load_dword v127, off, s[0:3], 0 offset:228
	;; [unrolled: 1-line block ×16, first 2 shown]
	v_mov_b32_e32 v130, 0
	ds_read2_b64 v[132:135], v130 offset0:91 offset1:92
	v_cmp_lt_u32_e32 vcc, 27, v0
	s_waitcnt vmcnt(12) lgkmcnt(0)
	v_fma_f64 v[128:129], v[128:129], v[132:133], 0
	s_waitcnt vmcnt(10)
	v_fmac_f64_e32 v[128:129], v[136:137], v[134:135]
	ds_read2_b64 v[132:135], v130 offset0:93 offset1:94
	s_waitcnt vmcnt(8) lgkmcnt(0)
	v_fmac_f64_e32 v[128:129], v[138:139], v[132:133]
	s_waitcnt vmcnt(6)
	v_fmac_f64_e32 v[128:129], v[140:141], v[134:135]
	ds_read2_b64 v[132:135], v130 offset0:95 offset1:96
	s_waitcnt vmcnt(4) lgkmcnt(0)
	v_fmac_f64_e32 v[128:129], v[142:143], v[132:133]
	;; [unrolled: 5-line block ×3, first 2 shown]
	buffer_load_dword v133, off, s[0:3], 0 offset:292
	buffer_load_dword v132, off, s[0:3], 0 offset:288
	buffer_load_dword v137, off, s[0:3], 0 offset:300
	buffer_load_dword v136, off, s[0:3], 0 offset:296
	s_waitcnt vmcnt(2)
	v_fmac_f64_e32 v[128:129], v[132:133], v[134:135]
	ds_read2_b64 v[132:135], v130 offset0:99 offset1:100
	s_waitcnt vmcnt(0) lgkmcnt(0)
	v_fmac_f64_e32 v[128:129], v[136:137], v[132:133]
	buffer_load_dword v133, off, s[0:3], 0 offset:308
	buffer_load_dword v132, off, s[0:3], 0 offset:304
	buffer_load_dword v137, off, s[0:3], 0 offset:316
	buffer_load_dword v136, off, s[0:3], 0 offset:312
	s_waitcnt vmcnt(2)
	v_fmac_f64_e32 v[128:129], v[132:133], v[134:135]
	ds_read2_b64 v[132:135], v130 offset0:101 offset1:102
	s_waitcnt vmcnt(0) lgkmcnt(0)
	v_fmac_f64_e32 v[128:129], v[136:137], v[132:133]
	;; [unrolled: 9-line block ×12, first 2 shown]
	buffer_load_dword v133, off, s[0:3], 0 offset:484
	buffer_load_dword v132, off, s[0:3], 0 offset:480
	s_waitcnt vmcnt(0)
	v_fmac_f64_e32 v[128:129], v[132:133], v[134:135]
	buffer_load_dword v133, off, s[0:3], 0 offset:492
	buffer_load_dword v132, off, s[0:3], 0 offset:488
	ds_read_b64 v[134:135], v130 offset:984
	s_waitcnt vmcnt(0) lgkmcnt(0)
	v_fmac_f64_e32 v[128:129], v[132:133], v[134:135]
	v_add_f64 v[126:127], v[126:127], -v[128:129]
	buffer_store_dword v127, off, s[0:3], 0 offset:228
	buffer_store_dword v126, off, s[0:3], 0 offset:224
	s_and_saveexec_b64 s[4:5], vcc
	s_cbranch_execz .LBB61_325
; %bb.324:
	buffer_load_dword v126, off, s[0:3], 0 offset:216
	buffer_load_dword v127, off, s[0:3], 0 offset:220
	s_waitcnt vmcnt(0)
	ds_write_b64 v1, v[126:127]
	buffer_store_dword v130, off, s[0:3], 0 offset:216
	buffer_store_dword v130, off, s[0:3], 0 offset:220
.LBB61_325:
	s_or_b64 exec, exec, s[4:5]
	s_waitcnt lgkmcnt(0)
	; wave barrier
	s_waitcnt lgkmcnt(0)
	buffer_load_dword v126, off, s[0:3], 0 offset:216
	buffer_load_dword v127, off, s[0:3], 0 offset:220
	;; [unrolled: 1-line block ×16, first 2 shown]
	ds_read_b128 v[132:135], v130 offset:720
	ds_read_b128 v[136:139], v130 offset:736
	;; [unrolled: 1-line block ×4, first 2 shown]
	v_cmp_lt_u32_e32 vcc, 26, v0
	s_waitcnt vmcnt(12) lgkmcnt(3)
	v_fma_f64 v[128:129], v[128:129], v[132:133], 0
	buffer_load_dword v133, off, s[0:3], 0 offset:284
	buffer_load_dword v132, off, s[0:3], 0 offset:280
	s_waitcnt vmcnt(12)
	v_fmac_f64_e32 v[128:129], v[148:149], v[134:135]
	s_waitcnt vmcnt(10) lgkmcnt(2)
	v_fmac_f64_e32 v[128:129], v[150:151], v[136:137]
	buffer_load_dword v137, off, s[0:3], 0 offset:292
	buffer_load_dword v136, off, s[0:3], 0 offset:288
	s_waitcnt vmcnt(10)
	v_fmac_f64_e32 v[128:129], v[152:153], v[138:139]
	s_waitcnt vmcnt(8) lgkmcnt(1)
	v_fmac_f64_e32 v[128:129], v[154:155], v[140:141]
	s_waitcnt vmcnt(6)
	v_fmac_f64_e32 v[128:129], v[156:157], v[142:143]
	s_waitcnt vmcnt(4) lgkmcnt(0)
	v_fmac_f64_e32 v[128:129], v[158:159], v[144:145]
	s_waitcnt vmcnt(2)
	v_fmac_f64_e32 v[128:129], v[132:133], v[146:147]
	ds_read_b128 v[132:135], v130 offset:784
	s_waitcnt vmcnt(0) lgkmcnt(0)
	v_fmac_f64_e32 v[128:129], v[136:137], v[132:133]
	buffer_load_dword v133, off, s[0:3], 0 offset:300
	buffer_load_dword v132, off, s[0:3], 0 offset:296
	buffer_load_dword v137, off, s[0:3], 0 offset:308
	buffer_load_dword v136, off, s[0:3], 0 offset:304
	s_waitcnt vmcnt(2)
	v_fmac_f64_e32 v[128:129], v[132:133], v[134:135]
	ds_read_b128 v[132:135], v130 offset:800
	s_waitcnt vmcnt(0) lgkmcnt(0)
	v_fmac_f64_e32 v[128:129], v[136:137], v[132:133]
	buffer_load_dword v133, off, s[0:3], 0 offset:316
	buffer_load_dword v132, off, s[0:3], 0 offset:312
	buffer_load_dword v137, off, s[0:3], 0 offset:324
	buffer_load_dword v136, off, s[0:3], 0 offset:320
	;; [unrolled: 9-line block ×11, first 2 shown]
	s_waitcnt vmcnt(2)
	v_fmac_f64_e32 v[128:129], v[132:133], v[134:135]
	ds_read_b128 v[132:135], v130 offset:960
	s_waitcnt vmcnt(0) lgkmcnt(0)
	v_fmac_f64_e32 v[128:129], v[136:137], v[132:133]
	buffer_load_dword v133, off, s[0:3], 0 offset:476
	buffer_load_dword v132, off, s[0:3], 0 offset:472
	s_waitcnt vmcnt(0)
	v_fmac_f64_e32 v[128:129], v[132:133], v[134:135]
	buffer_load_dword v135, off, s[0:3], 0 offset:484
	buffer_load_dword v134, off, s[0:3], 0 offset:480
	ds_read_b128 v[130:133], v130 offset:976
	s_waitcnt vmcnt(0) lgkmcnt(0)
	v_fmac_f64_e32 v[128:129], v[134:135], v[130:131]
	buffer_load_dword v131, off, s[0:3], 0 offset:492
	buffer_load_dword v130, off, s[0:3], 0 offset:488
	s_waitcnt vmcnt(0)
	v_fmac_f64_e32 v[128:129], v[130:131], v[132:133]
	v_add_f64 v[126:127], v[126:127], -v[128:129]
	buffer_store_dword v127, off, s[0:3], 0 offset:220
	buffer_store_dword v126, off, s[0:3], 0 offset:216
	s_and_saveexec_b64 s[4:5], vcc
	s_cbranch_execz .LBB61_327
; %bb.326:
	buffer_load_dword v126, off, s[0:3], 0 offset:208
	buffer_load_dword v127, off, s[0:3], 0 offset:212
	v_mov_b32_e32 v128, 0
	buffer_store_dword v128, off, s[0:3], 0 offset:208
	buffer_store_dword v128, off, s[0:3], 0 offset:212
	s_waitcnt vmcnt(2)
	ds_write_b64 v1, v[126:127]
.LBB61_327:
	s_or_b64 exec, exec, s[4:5]
	s_waitcnt lgkmcnt(0)
	; wave barrier
	s_waitcnt lgkmcnt(0)
	buffer_load_dword v126, off, s[0:3], 0 offset:208
	buffer_load_dword v127, off, s[0:3], 0 offset:212
	;; [unrolled: 1-line block ×16, first 2 shown]
	v_mov_b32_e32 v130, 0
	ds_read2_b64 v[132:135], v130 offset0:89 offset1:90
	v_cmp_lt_u32_e32 vcc, 25, v0
	s_waitcnt vmcnt(12) lgkmcnt(0)
	v_fma_f64 v[128:129], v[128:129], v[132:133], 0
	s_waitcnt vmcnt(10)
	v_fmac_f64_e32 v[128:129], v[136:137], v[134:135]
	ds_read2_b64 v[132:135], v130 offset0:91 offset1:92
	s_waitcnt vmcnt(8) lgkmcnt(0)
	v_fmac_f64_e32 v[128:129], v[138:139], v[132:133]
	s_waitcnt vmcnt(6)
	v_fmac_f64_e32 v[128:129], v[140:141], v[134:135]
	ds_read2_b64 v[132:135], v130 offset0:93 offset1:94
	s_waitcnt vmcnt(4) lgkmcnt(0)
	v_fmac_f64_e32 v[128:129], v[142:143], v[132:133]
	;; [unrolled: 5-line block ×3, first 2 shown]
	buffer_load_dword v133, off, s[0:3], 0 offset:276
	buffer_load_dword v132, off, s[0:3], 0 offset:272
	buffer_load_dword v137, off, s[0:3], 0 offset:284
	buffer_load_dword v136, off, s[0:3], 0 offset:280
	s_waitcnt vmcnt(2)
	v_fmac_f64_e32 v[128:129], v[132:133], v[134:135]
	ds_read2_b64 v[132:135], v130 offset0:97 offset1:98
	s_waitcnt vmcnt(0) lgkmcnt(0)
	v_fmac_f64_e32 v[128:129], v[136:137], v[132:133]
	buffer_load_dword v133, off, s[0:3], 0 offset:292
	buffer_load_dword v132, off, s[0:3], 0 offset:288
	buffer_load_dword v137, off, s[0:3], 0 offset:300
	buffer_load_dword v136, off, s[0:3], 0 offset:296
	s_waitcnt vmcnt(2)
	v_fmac_f64_e32 v[128:129], v[132:133], v[134:135]
	ds_read2_b64 v[132:135], v130 offset0:99 offset1:100
	s_waitcnt vmcnt(0) lgkmcnt(0)
	v_fmac_f64_e32 v[128:129], v[136:137], v[132:133]
	;; [unrolled: 9-line block ×13, first 2 shown]
	buffer_load_dword v133, off, s[0:3], 0 offset:484
	buffer_load_dword v132, off, s[0:3], 0 offset:480
	s_waitcnt vmcnt(0)
	v_fmac_f64_e32 v[128:129], v[132:133], v[134:135]
	buffer_load_dword v133, off, s[0:3], 0 offset:492
	buffer_load_dword v132, off, s[0:3], 0 offset:488
	ds_read_b64 v[134:135], v130 offset:984
	s_waitcnt vmcnt(0) lgkmcnt(0)
	v_fmac_f64_e32 v[128:129], v[132:133], v[134:135]
	v_add_f64 v[126:127], v[126:127], -v[128:129]
	buffer_store_dword v127, off, s[0:3], 0 offset:212
	buffer_store_dword v126, off, s[0:3], 0 offset:208
	s_and_saveexec_b64 s[4:5], vcc
	s_cbranch_execz .LBB61_329
; %bb.328:
	buffer_load_dword v126, off, s[0:3], 0 offset:200
	buffer_load_dword v127, off, s[0:3], 0 offset:204
	s_waitcnt vmcnt(0)
	ds_write_b64 v1, v[126:127]
	buffer_store_dword v130, off, s[0:3], 0 offset:200
	buffer_store_dword v130, off, s[0:3], 0 offset:204
.LBB61_329:
	s_or_b64 exec, exec, s[4:5]
	s_waitcnt lgkmcnt(0)
	; wave barrier
	s_waitcnt lgkmcnt(0)
	buffer_load_dword v126, off, s[0:3], 0 offset:200
	buffer_load_dword v127, off, s[0:3], 0 offset:204
	;; [unrolled: 1-line block ×16, first 2 shown]
	ds_read_b128 v[132:135], v130 offset:704
	ds_read_b128 v[136:139], v130 offset:720
	;; [unrolled: 1-line block ×4, first 2 shown]
	v_cmp_lt_u32_e32 vcc, 24, v0
	s_waitcnt vmcnt(12) lgkmcnt(3)
	v_fma_f64 v[128:129], v[128:129], v[132:133], 0
	buffer_load_dword v133, off, s[0:3], 0 offset:268
	buffer_load_dword v132, off, s[0:3], 0 offset:264
	s_waitcnt vmcnt(12)
	v_fmac_f64_e32 v[128:129], v[148:149], v[134:135]
	s_waitcnt vmcnt(10) lgkmcnt(2)
	v_fmac_f64_e32 v[128:129], v[150:151], v[136:137]
	buffer_load_dword v137, off, s[0:3], 0 offset:276
	buffer_load_dword v136, off, s[0:3], 0 offset:272
	s_waitcnt vmcnt(10)
	v_fmac_f64_e32 v[128:129], v[152:153], v[138:139]
	s_waitcnt vmcnt(8) lgkmcnt(1)
	v_fmac_f64_e32 v[128:129], v[154:155], v[140:141]
	s_waitcnt vmcnt(6)
	v_fmac_f64_e32 v[128:129], v[156:157], v[142:143]
	s_waitcnt vmcnt(4) lgkmcnt(0)
	v_fmac_f64_e32 v[128:129], v[158:159], v[144:145]
	s_waitcnt vmcnt(2)
	v_fmac_f64_e32 v[128:129], v[132:133], v[146:147]
	ds_read_b128 v[132:135], v130 offset:768
	s_waitcnt vmcnt(0) lgkmcnt(0)
	v_fmac_f64_e32 v[128:129], v[136:137], v[132:133]
	buffer_load_dword v133, off, s[0:3], 0 offset:284
	buffer_load_dword v132, off, s[0:3], 0 offset:280
	buffer_load_dword v137, off, s[0:3], 0 offset:292
	buffer_load_dword v136, off, s[0:3], 0 offset:288
	s_waitcnt vmcnt(2)
	v_fmac_f64_e32 v[128:129], v[132:133], v[134:135]
	ds_read_b128 v[132:135], v130 offset:784
	s_waitcnt vmcnt(0) lgkmcnt(0)
	v_fmac_f64_e32 v[128:129], v[136:137], v[132:133]
	buffer_load_dword v133, off, s[0:3], 0 offset:300
	buffer_load_dword v132, off, s[0:3], 0 offset:296
	buffer_load_dword v137, off, s[0:3], 0 offset:308
	buffer_load_dword v136, off, s[0:3], 0 offset:304
	;; [unrolled: 9-line block ×12, first 2 shown]
	s_waitcnt vmcnt(2)
	v_fmac_f64_e32 v[128:129], v[132:133], v[134:135]
	ds_read_b128 v[132:135], v130 offset:960
	s_waitcnt vmcnt(0) lgkmcnt(0)
	v_fmac_f64_e32 v[128:129], v[136:137], v[132:133]
	buffer_load_dword v133, off, s[0:3], 0 offset:476
	buffer_load_dword v132, off, s[0:3], 0 offset:472
	s_waitcnt vmcnt(0)
	v_fmac_f64_e32 v[128:129], v[132:133], v[134:135]
	buffer_load_dword v135, off, s[0:3], 0 offset:484
	buffer_load_dword v134, off, s[0:3], 0 offset:480
	ds_read_b128 v[130:133], v130 offset:976
	s_waitcnt vmcnt(0) lgkmcnt(0)
	v_fmac_f64_e32 v[128:129], v[134:135], v[130:131]
	buffer_load_dword v131, off, s[0:3], 0 offset:492
	buffer_load_dword v130, off, s[0:3], 0 offset:488
	s_waitcnt vmcnt(0)
	v_fmac_f64_e32 v[128:129], v[130:131], v[132:133]
	v_add_f64 v[126:127], v[126:127], -v[128:129]
	buffer_store_dword v127, off, s[0:3], 0 offset:204
	buffer_store_dword v126, off, s[0:3], 0 offset:200
	s_and_saveexec_b64 s[4:5], vcc
	s_cbranch_execz .LBB61_331
; %bb.330:
	buffer_load_dword v126, off, s[0:3], 0 offset:192
	buffer_load_dword v127, off, s[0:3], 0 offset:196
	v_mov_b32_e32 v128, 0
	buffer_store_dword v128, off, s[0:3], 0 offset:192
	buffer_store_dword v128, off, s[0:3], 0 offset:196
	s_waitcnt vmcnt(2)
	ds_write_b64 v1, v[126:127]
.LBB61_331:
	s_or_b64 exec, exec, s[4:5]
	s_waitcnt lgkmcnt(0)
	; wave barrier
	s_waitcnt lgkmcnt(0)
	buffer_load_dword v126, off, s[0:3], 0 offset:192
	buffer_load_dword v127, off, s[0:3], 0 offset:196
	;; [unrolled: 1-line block ×16, first 2 shown]
	v_mov_b32_e32 v130, 0
	ds_read2_b64 v[132:135], v130 offset0:87 offset1:88
	v_cmp_lt_u32_e32 vcc, 23, v0
	s_waitcnt vmcnt(12) lgkmcnt(0)
	v_fma_f64 v[128:129], v[128:129], v[132:133], 0
	s_waitcnt vmcnt(10)
	v_fmac_f64_e32 v[128:129], v[136:137], v[134:135]
	ds_read2_b64 v[132:135], v130 offset0:89 offset1:90
	s_waitcnt vmcnt(8) lgkmcnt(0)
	v_fmac_f64_e32 v[128:129], v[138:139], v[132:133]
	s_waitcnt vmcnt(6)
	v_fmac_f64_e32 v[128:129], v[140:141], v[134:135]
	ds_read2_b64 v[132:135], v130 offset0:91 offset1:92
	s_waitcnt vmcnt(4) lgkmcnt(0)
	v_fmac_f64_e32 v[128:129], v[142:143], v[132:133]
	;; [unrolled: 5-line block ×3, first 2 shown]
	buffer_load_dword v133, off, s[0:3], 0 offset:260
	buffer_load_dword v132, off, s[0:3], 0 offset:256
	buffer_load_dword v137, off, s[0:3], 0 offset:268
	buffer_load_dword v136, off, s[0:3], 0 offset:264
	s_waitcnt vmcnt(2)
	v_fmac_f64_e32 v[128:129], v[132:133], v[134:135]
	ds_read2_b64 v[132:135], v130 offset0:95 offset1:96
	s_waitcnt vmcnt(0) lgkmcnt(0)
	v_fmac_f64_e32 v[128:129], v[136:137], v[132:133]
	buffer_load_dword v133, off, s[0:3], 0 offset:276
	buffer_load_dword v132, off, s[0:3], 0 offset:272
	buffer_load_dword v137, off, s[0:3], 0 offset:284
	buffer_load_dword v136, off, s[0:3], 0 offset:280
	s_waitcnt vmcnt(2)
	v_fmac_f64_e32 v[128:129], v[132:133], v[134:135]
	ds_read2_b64 v[132:135], v130 offset0:97 offset1:98
	s_waitcnt vmcnt(0) lgkmcnt(0)
	v_fmac_f64_e32 v[128:129], v[136:137], v[132:133]
	;; [unrolled: 9-line block ×14, first 2 shown]
	buffer_load_dword v133, off, s[0:3], 0 offset:484
	buffer_load_dword v132, off, s[0:3], 0 offset:480
	s_waitcnt vmcnt(0)
	v_fmac_f64_e32 v[128:129], v[132:133], v[134:135]
	buffer_load_dword v133, off, s[0:3], 0 offset:492
	buffer_load_dword v132, off, s[0:3], 0 offset:488
	ds_read_b64 v[134:135], v130 offset:984
	s_waitcnt vmcnt(0) lgkmcnt(0)
	v_fmac_f64_e32 v[128:129], v[132:133], v[134:135]
	v_add_f64 v[126:127], v[126:127], -v[128:129]
	buffer_store_dword v127, off, s[0:3], 0 offset:196
	buffer_store_dword v126, off, s[0:3], 0 offset:192
	s_and_saveexec_b64 s[4:5], vcc
	s_cbranch_execz .LBB61_333
; %bb.332:
	buffer_load_dword v126, off, s[0:3], 0 offset:184
	buffer_load_dword v127, off, s[0:3], 0 offset:188
	s_waitcnt vmcnt(0)
	ds_write_b64 v1, v[126:127]
	buffer_store_dword v130, off, s[0:3], 0 offset:184
	buffer_store_dword v130, off, s[0:3], 0 offset:188
.LBB61_333:
	s_or_b64 exec, exec, s[4:5]
	s_waitcnt lgkmcnt(0)
	; wave barrier
	s_waitcnt lgkmcnt(0)
	buffer_load_dword v126, off, s[0:3], 0 offset:184
	buffer_load_dword v127, off, s[0:3], 0 offset:188
	;; [unrolled: 1-line block ×16, first 2 shown]
	ds_read_b128 v[132:135], v130 offset:688
	ds_read_b128 v[136:139], v130 offset:704
	;; [unrolled: 1-line block ×4, first 2 shown]
	v_cmp_lt_u32_e32 vcc, 22, v0
	s_waitcnt vmcnt(12) lgkmcnt(3)
	v_fma_f64 v[128:129], v[128:129], v[132:133], 0
	buffer_load_dword v133, off, s[0:3], 0 offset:252
	buffer_load_dword v132, off, s[0:3], 0 offset:248
	s_waitcnt vmcnt(12)
	v_fmac_f64_e32 v[128:129], v[148:149], v[134:135]
	s_waitcnt vmcnt(10) lgkmcnt(2)
	v_fmac_f64_e32 v[128:129], v[150:151], v[136:137]
	buffer_load_dword v137, off, s[0:3], 0 offset:260
	buffer_load_dword v136, off, s[0:3], 0 offset:256
	s_waitcnt vmcnt(10)
	v_fmac_f64_e32 v[128:129], v[152:153], v[138:139]
	s_waitcnt vmcnt(8) lgkmcnt(1)
	v_fmac_f64_e32 v[128:129], v[154:155], v[140:141]
	s_waitcnt vmcnt(6)
	v_fmac_f64_e32 v[128:129], v[156:157], v[142:143]
	s_waitcnt vmcnt(4) lgkmcnt(0)
	v_fmac_f64_e32 v[128:129], v[158:159], v[144:145]
	s_waitcnt vmcnt(2)
	v_fmac_f64_e32 v[128:129], v[132:133], v[146:147]
	ds_read_b128 v[132:135], v130 offset:752
	s_waitcnt vmcnt(0) lgkmcnt(0)
	v_fmac_f64_e32 v[128:129], v[136:137], v[132:133]
	buffer_load_dword v133, off, s[0:3], 0 offset:268
	buffer_load_dword v132, off, s[0:3], 0 offset:264
	buffer_load_dword v137, off, s[0:3], 0 offset:276
	buffer_load_dword v136, off, s[0:3], 0 offset:272
	s_waitcnt vmcnt(2)
	v_fmac_f64_e32 v[128:129], v[132:133], v[134:135]
	ds_read_b128 v[132:135], v130 offset:768
	s_waitcnt vmcnt(0) lgkmcnt(0)
	v_fmac_f64_e32 v[128:129], v[136:137], v[132:133]
	buffer_load_dword v133, off, s[0:3], 0 offset:284
	buffer_load_dword v132, off, s[0:3], 0 offset:280
	buffer_load_dword v137, off, s[0:3], 0 offset:292
	buffer_load_dword v136, off, s[0:3], 0 offset:288
	s_waitcnt vmcnt(2)
	v_fmac_f64_e32 v[128:129], v[132:133], v[134:135]
	ds_read_b128 v[132:135], v130 offset:784
	s_waitcnt vmcnt(0) lgkmcnt(0)
	v_fmac_f64_e32 v[128:129], v[136:137], v[132:133]
	buffer_load_dword v133, off, s[0:3], 0 offset:300
	buffer_load_dword v132, off, s[0:3], 0 offset:296
	buffer_load_dword v137, off, s[0:3], 0 offset:308
	buffer_load_dword v136, off, s[0:3], 0 offset:304
	s_waitcnt vmcnt(2)
	v_fmac_f64_e32 v[128:129], v[132:133], v[134:135]
	ds_read_b128 v[132:135], v130 offset:800
	s_waitcnt vmcnt(0) lgkmcnt(0)
	v_fmac_f64_e32 v[128:129], v[136:137], v[132:133]
	buffer_load_dword v133, off, s[0:3], 0 offset:316
	buffer_load_dword v132, off, s[0:3], 0 offset:312
	buffer_load_dword v137, off, s[0:3], 0 offset:324
	buffer_load_dword v136, off, s[0:3], 0 offset:320
	s_waitcnt vmcnt(2)
	v_fmac_f64_e32 v[128:129], v[132:133], v[134:135]
	ds_read_b128 v[132:135], v130 offset:816
	s_waitcnt vmcnt(0) lgkmcnt(0)
	v_fmac_f64_e32 v[128:129], v[136:137], v[132:133]
	buffer_load_dword v133, off, s[0:3], 0 offset:332
	buffer_load_dword v132, off, s[0:3], 0 offset:328
	buffer_load_dword v137, off, s[0:3], 0 offset:340
	buffer_load_dword v136, off, s[0:3], 0 offset:336
	s_waitcnt vmcnt(2)
	v_fmac_f64_e32 v[128:129], v[132:133], v[134:135]
	ds_read_b128 v[132:135], v130 offset:832
	s_waitcnt vmcnt(0) lgkmcnt(0)
	v_fmac_f64_e32 v[128:129], v[136:137], v[132:133]
	buffer_load_dword v133, off, s[0:3], 0 offset:348
	buffer_load_dword v132, off, s[0:3], 0 offset:344
	buffer_load_dword v137, off, s[0:3], 0 offset:356
	buffer_load_dword v136, off, s[0:3], 0 offset:352
	s_waitcnt vmcnt(2)
	v_fmac_f64_e32 v[128:129], v[132:133], v[134:135]
	ds_read_b128 v[132:135], v130 offset:848
	s_waitcnt vmcnt(0) lgkmcnt(0)
	v_fmac_f64_e32 v[128:129], v[136:137], v[132:133]
	buffer_load_dword v133, off, s[0:3], 0 offset:364
	buffer_load_dword v132, off, s[0:3], 0 offset:360
	buffer_load_dword v137, off, s[0:3], 0 offset:372
	buffer_load_dword v136, off, s[0:3], 0 offset:368
	s_waitcnt vmcnt(2)
	v_fmac_f64_e32 v[128:129], v[132:133], v[134:135]
	ds_read_b128 v[132:135], v130 offset:864
	s_waitcnt vmcnt(0) lgkmcnt(0)
	v_fmac_f64_e32 v[128:129], v[136:137], v[132:133]
	buffer_load_dword v133, off, s[0:3], 0 offset:380
	buffer_load_dword v132, off, s[0:3], 0 offset:376
	buffer_load_dword v137, off, s[0:3], 0 offset:388
	buffer_load_dword v136, off, s[0:3], 0 offset:384
	s_waitcnt vmcnt(2)
	v_fmac_f64_e32 v[128:129], v[132:133], v[134:135]
	ds_read_b128 v[132:135], v130 offset:880
	s_waitcnt vmcnt(0) lgkmcnt(0)
	v_fmac_f64_e32 v[128:129], v[136:137], v[132:133]
	buffer_load_dword v133, off, s[0:3], 0 offset:396
	buffer_load_dword v132, off, s[0:3], 0 offset:392
	buffer_load_dword v137, off, s[0:3], 0 offset:404
	buffer_load_dword v136, off, s[0:3], 0 offset:400
	s_waitcnt vmcnt(2)
	v_fmac_f64_e32 v[128:129], v[132:133], v[134:135]
	ds_read_b128 v[132:135], v130 offset:896
	s_waitcnt vmcnt(0) lgkmcnt(0)
	v_fmac_f64_e32 v[128:129], v[136:137], v[132:133]
	buffer_load_dword v133, off, s[0:3], 0 offset:412
	buffer_load_dword v132, off, s[0:3], 0 offset:408
	buffer_load_dword v137, off, s[0:3], 0 offset:420
	buffer_load_dword v136, off, s[0:3], 0 offset:416
	s_waitcnt vmcnt(2)
	v_fmac_f64_e32 v[128:129], v[132:133], v[134:135]
	ds_read_b128 v[132:135], v130 offset:912
	s_waitcnt vmcnt(0) lgkmcnt(0)
	v_fmac_f64_e32 v[128:129], v[136:137], v[132:133]
	buffer_load_dword v133, off, s[0:3], 0 offset:428
	buffer_load_dword v132, off, s[0:3], 0 offset:424
	buffer_load_dword v137, off, s[0:3], 0 offset:436
	buffer_load_dword v136, off, s[0:3], 0 offset:432
	s_waitcnt vmcnt(2)
	v_fmac_f64_e32 v[128:129], v[132:133], v[134:135]
	ds_read_b128 v[132:135], v130 offset:928
	s_waitcnt vmcnt(0) lgkmcnt(0)
	v_fmac_f64_e32 v[128:129], v[136:137], v[132:133]
	buffer_load_dword v133, off, s[0:3], 0 offset:444
	buffer_load_dword v132, off, s[0:3], 0 offset:440
	buffer_load_dword v137, off, s[0:3], 0 offset:452
	buffer_load_dword v136, off, s[0:3], 0 offset:448
	s_waitcnt vmcnt(2)
	v_fmac_f64_e32 v[128:129], v[132:133], v[134:135]
	ds_read_b128 v[132:135], v130 offset:944
	s_waitcnt vmcnt(0) lgkmcnt(0)
	v_fmac_f64_e32 v[128:129], v[136:137], v[132:133]
	buffer_load_dword v133, off, s[0:3], 0 offset:460
	buffer_load_dword v132, off, s[0:3], 0 offset:456
	buffer_load_dword v137, off, s[0:3], 0 offset:468
	buffer_load_dword v136, off, s[0:3], 0 offset:464
	s_waitcnt vmcnt(2)
	v_fmac_f64_e32 v[128:129], v[132:133], v[134:135]
	ds_read_b128 v[132:135], v130 offset:960
	s_waitcnt vmcnt(0) lgkmcnt(0)
	v_fmac_f64_e32 v[128:129], v[136:137], v[132:133]
	buffer_load_dword v133, off, s[0:3], 0 offset:476
	buffer_load_dword v132, off, s[0:3], 0 offset:472
	s_waitcnt vmcnt(0)
	v_fmac_f64_e32 v[128:129], v[132:133], v[134:135]
	buffer_load_dword v135, off, s[0:3], 0 offset:484
	buffer_load_dword v134, off, s[0:3], 0 offset:480
	ds_read_b128 v[130:133], v130 offset:976
	s_waitcnt vmcnt(0) lgkmcnt(0)
	v_fmac_f64_e32 v[128:129], v[134:135], v[130:131]
	buffer_load_dword v131, off, s[0:3], 0 offset:492
	buffer_load_dword v130, off, s[0:3], 0 offset:488
	s_waitcnt vmcnt(0)
	v_fmac_f64_e32 v[128:129], v[130:131], v[132:133]
	v_add_f64 v[126:127], v[126:127], -v[128:129]
	buffer_store_dword v127, off, s[0:3], 0 offset:188
	buffer_store_dword v126, off, s[0:3], 0 offset:184
	s_and_saveexec_b64 s[4:5], vcc
	s_cbranch_execz .LBB61_335
; %bb.334:
	buffer_load_dword v126, off, s[0:3], 0 offset:176
	buffer_load_dword v127, off, s[0:3], 0 offset:180
	v_mov_b32_e32 v128, 0
	buffer_store_dword v128, off, s[0:3], 0 offset:176
	buffer_store_dword v128, off, s[0:3], 0 offset:180
	s_waitcnt vmcnt(2)
	ds_write_b64 v1, v[126:127]
.LBB61_335:
	s_or_b64 exec, exec, s[4:5]
	s_waitcnt lgkmcnt(0)
	; wave barrier
	s_waitcnt lgkmcnt(0)
	buffer_load_dword v126, off, s[0:3], 0 offset:176
	buffer_load_dword v127, off, s[0:3], 0 offset:180
	;; [unrolled: 1-line block ×16, first 2 shown]
	v_mov_b32_e32 v130, 0
	ds_read2_b64 v[132:135], v130 offset0:85 offset1:86
	v_cmp_lt_u32_e32 vcc, 21, v0
	s_waitcnt vmcnt(12) lgkmcnt(0)
	v_fma_f64 v[128:129], v[128:129], v[132:133], 0
	s_waitcnt vmcnt(10)
	v_fmac_f64_e32 v[128:129], v[136:137], v[134:135]
	ds_read2_b64 v[132:135], v130 offset0:87 offset1:88
	s_waitcnt vmcnt(8) lgkmcnt(0)
	v_fmac_f64_e32 v[128:129], v[138:139], v[132:133]
	s_waitcnt vmcnt(6)
	v_fmac_f64_e32 v[128:129], v[140:141], v[134:135]
	ds_read2_b64 v[132:135], v130 offset0:89 offset1:90
	s_waitcnt vmcnt(4) lgkmcnt(0)
	v_fmac_f64_e32 v[128:129], v[142:143], v[132:133]
	s_waitcnt vmcnt(2)
	v_fmac_f64_e32 v[128:129], v[144:145], v[134:135]
	ds_read2_b64 v[132:135], v130 offset0:91 offset1:92
	s_waitcnt vmcnt(0) lgkmcnt(0)
	v_fmac_f64_e32 v[128:129], v[146:147], v[132:133]
	buffer_load_dword v133, off, s[0:3], 0 offset:244
	buffer_load_dword v132, off, s[0:3], 0 offset:240
	buffer_load_dword v137, off, s[0:3], 0 offset:252
	buffer_load_dword v136, off, s[0:3], 0 offset:248
	s_waitcnt vmcnt(2)
	v_fmac_f64_e32 v[128:129], v[132:133], v[134:135]
	ds_read2_b64 v[132:135], v130 offset0:93 offset1:94
	s_waitcnt vmcnt(0) lgkmcnt(0)
	v_fmac_f64_e32 v[128:129], v[136:137], v[132:133]
	buffer_load_dword v133, off, s[0:3], 0 offset:260
	buffer_load_dword v132, off, s[0:3], 0 offset:256
	buffer_load_dword v137, off, s[0:3], 0 offset:268
	buffer_load_dword v136, off, s[0:3], 0 offset:264
	s_waitcnt vmcnt(2)
	v_fmac_f64_e32 v[128:129], v[132:133], v[134:135]
	ds_read2_b64 v[132:135], v130 offset0:95 offset1:96
	s_waitcnt vmcnt(0) lgkmcnt(0)
	v_fmac_f64_e32 v[128:129], v[136:137], v[132:133]
	;; [unrolled: 9-line block ×15, first 2 shown]
	buffer_load_dword v133, off, s[0:3], 0 offset:484
	buffer_load_dword v132, off, s[0:3], 0 offset:480
	s_waitcnt vmcnt(0)
	v_fmac_f64_e32 v[128:129], v[132:133], v[134:135]
	buffer_load_dword v133, off, s[0:3], 0 offset:492
	buffer_load_dword v132, off, s[0:3], 0 offset:488
	ds_read_b64 v[134:135], v130 offset:984
	s_waitcnt vmcnt(0) lgkmcnt(0)
	v_fmac_f64_e32 v[128:129], v[132:133], v[134:135]
	v_add_f64 v[126:127], v[126:127], -v[128:129]
	buffer_store_dword v127, off, s[0:3], 0 offset:180
	buffer_store_dword v126, off, s[0:3], 0 offset:176
	s_and_saveexec_b64 s[4:5], vcc
	s_cbranch_execz .LBB61_337
; %bb.336:
	buffer_load_dword v126, off, s[0:3], 0 offset:168
	buffer_load_dword v127, off, s[0:3], 0 offset:172
	s_waitcnt vmcnt(0)
	ds_write_b64 v1, v[126:127]
	buffer_store_dword v130, off, s[0:3], 0 offset:168
	buffer_store_dword v130, off, s[0:3], 0 offset:172
.LBB61_337:
	s_or_b64 exec, exec, s[4:5]
	s_waitcnt lgkmcnt(0)
	; wave barrier
	s_waitcnt lgkmcnt(0)
	buffer_load_dword v126, off, s[0:3], 0 offset:168
	buffer_load_dword v127, off, s[0:3], 0 offset:172
	;; [unrolled: 1-line block ×16, first 2 shown]
	ds_read_b128 v[132:135], v130 offset:672
	ds_read_b128 v[136:139], v130 offset:688
	;; [unrolled: 1-line block ×4, first 2 shown]
	v_cmp_lt_u32_e32 vcc, 20, v0
	s_waitcnt vmcnt(12) lgkmcnt(3)
	v_fma_f64 v[128:129], v[128:129], v[132:133], 0
	buffer_load_dword v133, off, s[0:3], 0 offset:236
	buffer_load_dword v132, off, s[0:3], 0 offset:232
	s_waitcnt vmcnt(12)
	v_fmac_f64_e32 v[128:129], v[148:149], v[134:135]
	s_waitcnt vmcnt(10) lgkmcnt(2)
	v_fmac_f64_e32 v[128:129], v[150:151], v[136:137]
	buffer_load_dword v137, off, s[0:3], 0 offset:244
	buffer_load_dword v136, off, s[0:3], 0 offset:240
	s_waitcnt vmcnt(10)
	v_fmac_f64_e32 v[128:129], v[152:153], v[138:139]
	s_waitcnt vmcnt(8) lgkmcnt(1)
	v_fmac_f64_e32 v[128:129], v[154:155], v[140:141]
	s_waitcnt vmcnt(6)
	v_fmac_f64_e32 v[128:129], v[156:157], v[142:143]
	s_waitcnt vmcnt(4) lgkmcnt(0)
	v_fmac_f64_e32 v[128:129], v[158:159], v[144:145]
	s_waitcnt vmcnt(2)
	v_fmac_f64_e32 v[128:129], v[132:133], v[146:147]
	ds_read_b128 v[132:135], v130 offset:736
	s_waitcnt vmcnt(0) lgkmcnt(0)
	v_fmac_f64_e32 v[128:129], v[136:137], v[132:133]
	buffer_load_dword v133, off, s[0:3], 0 offset:252
	buffer_load_dword v132, off, s[0:3], 0 offset:248
	buffer_load_dword v137, off, s[0:3], 0 offset:260
	buffer_load_dword v136, off, s[0:3], 0 offset:256
	s_waitcnt vmcnt(2)
	v_fmac_f64_e32 v[128:129], v[132:133], v[134:135]
	ds_read_b128 v[132:135], v130 offset:752
	s_waitcnt vmcnt(0) lgkmcnt(0)
	v_fmac_f64_e32 v[128:129], v[136:137], v[132:133]
	buffer_load_dword v133, off, s[0:3], 0 offset:268
	buffer_load_dword v132, off, s[0:3], 0 offset:264
	buffer_load_dword v137, off, s[0:3], 0 offset:276
	buffer_load_dword v136, off, s[0:3], 0 offset:272
	;; [unrolled: 9-line block ×14, first 2 shown]
	s_waitcnt vmcnt(2)
	v_fmac_f64_e32 v[128:129], v[132:133], v[134:135]
	ds_read_b128 v[132:135], v130 offset:960
	s_waitcnt vmcnt(0) lgkmcnt(0)
	v_fmac_f64_e32 v[128:129], v[136:137], v[132:133]
	buffer_load_dword v133, off, s[0:3], 0 offset:476
	buffer_load_dword v132, off, s[0:3], 0 offset:472
	s_waitcnt vmcnt(0)
	v_fmac_f64_e32 v[128:129], v[132:133], v[134:135]
	buffer_load_dword v135, off, s[0:3], 0 offset:484
	buffer_load_dword v134, off, s[0:3], 0 offset:480
	ds_read_b128 v[130:133], v130 offset:976
	s_waitcnt vmcnt(0) lgkmcnt(0)
	v_fmac_f64_e32 v[128:129], v[134:135], v[130:131]
	buffer_load_dword v131, off, s[0:3], 0 offset:492
	buffer_load_dword v130, off, s[0:3], 0 offset:488
	s_waitcnt vmcnt(0)
	v_fmac_f64_e32 v[128:129], v[130:131], v[132:133]
	v_add_f64 v[126:127], v[126:127], -v[128:129]
	buffer_store_dword v127, off, s[0:3], 0 offset:172
	buffer_store_dword v126, off, s[0:3], 0 offset:168
	s_and_saveexec_b64 s[4:5], vcc
	s_cbranch_execz .LBB61_339
; %bb.338:
	buffer_load_dword v126, off, s[0:3], 0 offset:160
	buffer_load_dword v127, off, s[0:3], 0 offset:164
	v_mov_b32_e32 v128, 0
	buffer_store_dword v128, off, s[0:3], 0 offset:160
	buffer_store_dword v128, off, s[0:3], 0 offset:164
	s_waitcnt vmcnt(2)
	ds_write_b64 v1, v[126:127]
.LBB61_339:
	s_or_b64 exec, exec, s[4:5]
	s_waitcnt lgkmcnt(0)
	; wave barrier
	s_waitcnt lgkmcnt(0)
	buffer_load_dword v126, off, s[0:3], 0 offset:160
	buffer_load_dword v127, off, s[0:3], 0 offset:164
	;; [unrolled: 1-line block ×16, first 2 shown]
	v_mov_b32_e32 v130, 0
	ds_read2_b64 v[132:135], v130 offset0:83 offset1:84
	v_cmp_lt_u32_e32 vcc, 19, v0
	s_waitcnt vmcnt(12) lgkmcnt(0)
	v_fma_f64 v[128:129], v[128:129], v[132:133], 0
	s_waitcnt vmcnt(10)
	v_fmac_f64_e32 v[128:129], v[136:137], v[134:135]
	ds_read2_b64 v[132:135], v130 offset0:85 offset1:86
	s_waitcnt vmcnt(8) lgkmcnt(0)
	v_fmac_f64_e32 v[128:129], v[138:139], v[132:133]
	s_waitcnt vmcnt(6)
	v_fmac_f64_e32 v[128:129], v[140:141], v[134:135]
	ds_read2_b64 v[132:135], v130 offset0:87 offset1:88
	s_waitcnt vmcnt(4) lgkmcnt(0)
	v_fmac_f64_e32 v[128:129], v[142:143], v[132:133]
	;; [unrolled: 5-line block ×3, first 2 shown]
	buffer_load_dword v133, off, s[0:3], 0 offset:228
	buffer_load_dword v132, off, s[0:3], 0 offset:224
	buffer_load_dword v137, off, s[0:3], 0 offset:236
	buffer_load_dword v136, off, s[0:3], 0 offset:232
	s_waitcnt vmcnt(2)
	v_fmac_f64_e32 v[128:129], v[132:133], v[134:135]
	ds_read2_b64 v[132:135], v130 offset0:91 offset1:92
	s_waitcnt vmcnt(0) lgkmcnt(0)
	v_fmac_f64_e32 v[128:129], v[136:137], v[132:133]
	buffer_load_dword v133, off, s[0:3], 0 offset:244
	buffer_load_dword v132, off, s[0:3], 0 offset:240
	buffer_load_dword v137, off, s[0:3], 0 offset:252
	buffer_load_dword v136, off, s[0:3], 0 offset:248
	s_waitcnt vmcnt(2)
	v_fmac_f64_e32 v[128:129], v[132:133], v[134:135]
	ds_read2_b64 v[132:135], v130 offset0:93 offset1:94
	s_waitcnt vmcnt(0) lgkmcnt(0)
	v_fmac_f64_e32 v[128:129], v[136:137], v[132:133]
	;; [unrolled: 9-line block ×16, first 2 shown]
	buffer_load_dword v133, off, s[0:3], 0 offset:484
	buffer_load_dword v132, off, s[0:3], 0 offset:480
	s_waitcnt vmcnt(0)
	v_fmac_f64_e32 v[128:129], v[132:133], v[134:135]
	buffer_load_dword v133, off, s[0:3], 0 offset:492
	buffer_load_dword v132, off, s[0:3], 0 offset:488
	ds_read_b64 v[134:135], v130 offset:984
	s_waitcnt vmcnt(0) lgkmcnt(0)
	v_fmac_f64_e32 v[128:129], v[132:133], v[134:135]
	v_add_f64 v[126:127], v[126:127], -v[128:129]
	buffer_store_dword v127, off, s[0:3], 0 offset:164
	buffer_store_dword v126, off, s[0:3], 0 offset:160
	s_and_saveexec_b64 s[4:5], vcc
	s_cbranch_execz .LBB61_341
; %bb.340:
	buffer_load_dword v126, off, s[0:3], 0 offset:152
	buffer_load_dword v127, off, s[0:3], 0 offset:156
	s_waitcnt vmcnt(0)
	ds_write_b64 v1, v[126:127]
	buffer_store_dword v130, off, s[0:3], 0 offset:152
	buffer_store_dword v130, off, s[0:3], 0 offset:156
.LBB61_341:
	s_or_b64 exec, exec, s[4:5]
	s_waitcnt lgkmcnt(0)
	; wave barrier
	s_waitcnt lgkmcnt(0)
	buffer_load_dword v126, off, s[0:3], 0 offset:152
	buffer_load_dword v127, off, s[0:3], 0 offset:156
	buffer_load_dword v128, off, s[0:3], 0 offset:160
	buffer_load_dword v129, off, s[0:3], 0 offset:164
	buffer_load_dword v148, off, s[0:3], 0 offset:168
	buffer_load_dword v149, off, s[0:3], 0 offset:172
	buffer_load_dword v150, off, s[0:3], 0 offset:176
	buffer_load_dword v151, off, s[0:3], 0 offset:180
	buffer_load_dword v152, off, s[0:3], 0 offset:184
	buffer_load_dword v153, off, s[0:3], 0 offset:188
	buffer_load_dword v154, off, s[0:3], 0 offset:192
	buffer_load_dword v155, off, s[0:3], 0 offset:196
	buffer_load_dword v156, off, s[0:3], 0 offset:200
	buffer_load_dword v157, off, s[0:3], 0 offset:204
	buffer_load_dword v158, off, s[0:3], 0 offset:208
	buffer_load_dword v159, off, s[0:3], 0 offset:212
	ds_read_b128 v[132:135], v130 offset:656
	ds_read_b128 v[136:139], v130 offset:672
	;; [unrolled: 1-line block ×4, first 2 shown]
	v_cmp_lt_u32_e32 vcc, 18, v0
	s_waitcnt vmcnt(12) lgkmcnt(3)
	v_fma_f64 v[128:129], v[128:129], v[132:133], 0
	buffer_load_dword v133, off, s[0:3], 0 offset:220
	buffer_load_dword v132, off, s[0:3], 0 offset:216
	s_waitcnt vmcnt(12)
	v_fmac_f64_e32 v[128:129], v[148:149], v[134:135]
	s_waitcnt vmcnt(10) lgkmcnt(2)
	v_fmac_f64_e32 v[128:129], v[150:151], v[136:137]
	buffer_load_dword v137, off, s[0:3], 0 offset:228
	buffer_load_dword v136, off, s[0:3], 0 offset:224
	s_waitcnt vmcnt(10)
	v_fmac_f64_e32 v[128:129], v[152:153], v[138:139]
	s_waitcnt vmcnt(8) lgkmcnt(1)
	v_fmac_f64_e32 v[128:129], v[154:155], v[140:141]
	s_waitcnt vmcnt(6)
	v_fmac_f64_e32 v[128:129], v[156:157], v[142:143]
	s_waitcnt vmcnt(4) lgkmcnt(0)
	v_fmac_f64_e32 v[128:129], v[158:159], v[144:145]
	s_waitcnt vmcnt(2)
	v_fmac_f64_e32 v[128:129], v[132:133], v[146:147]
	ds_read_b128 v[132:135], v130 offset:720
	s_waitcnt vmcnt(0) lgkmcnt(0)
	v_fmac_f64_e32 v[128:129], v[136:137], v[132:133]
	buffer_load_dword v133, off, s[0:3], 0 offset:236
	buffer_load_dword v132, off, s[0:3], 0 offset:232
	buffer_load_dword v137, off, s[0:3], 0 offset:244
	buffer_load_dword v136, off, s[0:3], 0 offset:240
	s_waitcnt vmcnt(2)
	v_fmac_f64_e32 v[128:129], v[132:133], v[134:135]
	ds_read_b128 v[132:135], v130 offset:736
	s_waitcnt vmcnt(0) lgkmcnt(0)
	v_fmac_f64_e32 v[128:129], v[136:137], v[132:133]
	buffer_load_dword v133, off, s[0:3], 0 offset:252
	buffer_load_dword v132, off, s[0:3], 0 offset:248
	buffer_load_dword v137, off, s[0:3], 0 offset:260
	buffer_load_dword v136, off, s[0:3], 0 offset:256
	;; [unrolled: 9-line block ×15, first 2 shown]
	s_waitcnt vmcnt(2)
	v_fmac_f64_e32 v[128:129], v[132:133], v[134:135]
	ds_read_b128 v[132:135], v130 offset:960
	s_waitcnt vmcnt(0) lgkmcnt(0)
	v_fmac_f64_e32 v[128:129], v[136:137], v[132:133]
	buffer_load_dword v133, off, s[0:3], 0 offset:476
	buffer_load_dword v132, off, s[0:3], 0 offset:472
	s_waitcnt vmcnt(0)
	v_fmac_f64_e32 v[128:129], v[132:133], v[134:135]
	buffer_load_dword v135, off, s[0:3], 0 offset:484
	buffer_load_dword v134, off, s[0:3], 0 offset:480
	ds_read_b128 v[130:133], v130 offset:976
	s_waitcnt vmcnt(0) lgkmcnt(0)
	v_fmac_f64_e32 v[128:129], v[134:135], v[130:131]
	buffer_load_dword v131, off, s[0:3], 0 offset:492
	buffer_load_dword v130, off, s[0:3], 0 offset:488
	s_waitcnt vmcnt(0)
	v_fmac_f64_e32 v[128:129], v[130:131], v[132:133]
	v_add_f64 v[126:127], v[126:127], -v[128:129]
	buffer_store_dword v127, off, s[0:3], 0 offset:156
	buffer_store_dword v126, off, s[0:3], 0 offset:152
	s_and_saveexec_b64 s[4:5], vcc
	s_cbranch_execz .LBB61_343
; %bb.342:
	buffer_load_dword v126, off, s[0:3], 0 offset:144
	buffer_load_dword v127, off, s[0:3], 0 offset:148
	v_mov_b32_e32 v128, 0
	buffer_store_dword v128, off, s[0:3], 0 offset:144
	buffer_store_dword v128, off, s[0:3], 0 offset:148
	s_waitcnt vmcnt(2)
	ds_write_b64 v1, v[126:127]
.LBB61_343:
	s_or_b64 exec, exec, s[4:5]
	s_waitcnt lgkmcnt(0)
	; wave barrier
	s_waitcnt lgkmcnt(0)
	buffer_load_dword v126, off, s[0:3], 0 offset:144
	buffer_load_dword v127, off, s[0:3], 0 offset:148
	;; [unrolled: 1-line block ×16, first 2 shown]
	v_mov_b32_e32 v130, 0
	ds_read2_b64 v[132:135], v130 offset0:81 offset1:82
	v_cmp_lt_u32_e32 vcc, 17, v0
	s_waitcnt vmcnt(12) lgkmcnt(0)
	v_fma_f64 v[128:129], v[128:129], v[132:133], 0
	s_waitcnt vmcnt(10)
	v_fmac_f64_e32 v[128:129], v[136:137], v[134:135]
	ds_read2_b64 v[132:135], v130 offset0:83 offset1:84
	s_waitcnt vmcnt(8) lgkmcnt(0)
	v_fmac_f64_e32 v[128:129], v[138:139], v[132:133]
	s_waitcnt vmcnt(6)
	v_fmac_f64_e32 v[128:129], v[140:141], v[134:135]
	ds_read2_b64 v[132:135], v130 offset0:85 offset1:86
	s_waitcnt vmcnt(4) lgkmcnt(0)
	v_fmac_f64_e32 v[128:129], v[142:143], v[132:133]
	;; [unrolled: 5-line block ×3, first 2 shown]
	buffer_load_dword v133, off, s[0:3], 0 offset:212
	buffer_load_dword v132, off, s[0:3], 0 offset:208
	buffer_load_dword v137, off, s[0:3], 0 offset:220
	buffer_load_dword v136, off, s[0:3], 0 offset:216
	s_waitcnt vmcnt(2)
	v_fmac_f64_e32 v[128:129], v[132:133], v[134:135]
	ds_read2_b64 v[132:135], v130 offset0:89 offset1:90
	s_waitcnt vmcnt(0) lgkmcnt(0)
	v_fmac_f64_e32 v[128:129], v[136:137], v[132:133]
	buffer_load_dword v133, off, s[0:3], 0 offset:228
	buffer_load_dword v132, off, s[0:3], 0 offset:224
	buffer_load_dword v137, off, s[0:3], 0 offset:236
	buffer_load_dword v136, off, s[0:3], 0 offset:232
	s_waitcnt vmcnt(2)
	v_fmac_f64_e32 v[128:129], v[132:133], v[134:135]
	ds_read2_b64 v[132:135], v130 offset0:91 offset1:92
	s_waitcnt vmcnt(0) lgkmcnt(0)
	v_fmac_f64_e32 v[128:129], v[136:137], v[132:133]
	;; [unrolled: 9-line block ×17, first 2 shown]
	buffer_load_dword v133, off, s[0:3], 0 offset:484
	buffer_load_dword v132, off, s[0:3], 0 offset:480
	s_waitcnt vmcnt(0)
	v_fmac_f64_e32 v[128:129], v[132:133], v[134:135]
	buffer_load_dword v133, off, s[0:3], 0 offset:492
	buffer_load_dword v132, off, s[0:3], 0 offset:488
	ds_read_b64 v[134:135], v130 offset:984
	s_waitcnt vmcnt(0) lgkmcnt(0)
	v_fmac_f64_e32 v[128:129], v[132:133], v[134:135]
	v_add_f64 v[126:127], v[126:127], -v[128:129]
	buffer_store_dword v127, off, s[0:3], 0 offset:148
	buffer_store_dword v126, off, s[0:3], 0 offset:144
	s_and_saveexec_b64 s[4:5], vcc
	s_cbranch_execz .LBB61_345
; %bb.344:
	buffer_load_dword v126, off, s[0:3], 0 offset:136
	buffer_load_dword v127, off, s[0:3], 0 offset:140
	s_waitcnt vmcnt(0)
	ds_write_b64 v1, v[126:127]
	buffer_store_dword v130, off, s[0:3], 0 offset:136
	buffer_store_dword v130, off, s[0:3], 0 offset:140
.LBB61_345:
	s_or_b64 exec, exec, s[4:5]
	s_waitcnt lgkmcnt(0)
	; wave barrier
	s_waitcnt lgkmcnt(0)
	buffer_load_dword v126, off, s[0:3], 0 offset:136
	buffer_load_dword v127, off, s[0:3], 0 offset:140
	;; [unrolled: 1-line block ×16, first 2 shown]
	ds_read_b128 v[132:135], v130 offset:640
	ds_read_b128 v[136:139], v130 offset:656
	ds_read_b128 v[140:143], v130 offset:672
	ds_read_b128 v[144:147], v130 offset:688
	v_cmp_lt_u32_e32 vcc, 16, v0
	s_waitcnt vmcnt(12) lgkmcnt(3)
	v_fma_f64 v[128:129], v[128:129], v[132:133], 0
	buffer_load_dword v133, off, s[0:3], 0 offset:204
	buffer_load_dword v132, off, s[0:3], 0 offset:200
	s_waitcnt vmcnt(12)
	v_fmac_f64_e32 v[128:129], v[148:149], v[134:135]
	s_waitcnt vmcnt(10) lgkmcnt(2)
	v_fmac_f64_e32 v[128:129], v[150:151], v[136:137]
	buffer_load_dword v137, off, s[0:3], 0 offset:212
	buffer_load_dword v136, off, s[0:3], 0 offset:208
	s_waitcnt vmcnt(10)
	v_fmac_f64_e32 v[128:129], v[152:153], v[138:139]
	s_waitcnt vmcnt(8) lgkmcnt(1)
	v_fmac_f64_e32 v[128:129], v[154:155], v[140:141]
	s_waitcnt vmcnt(6)
	v_fmac_f64_e32 v[128:129], v[156:157], v[142:143]
	s_waitcnt vmcnt(4) lgkmcnt(0)
	v_fmac_f64_e32 v[128:129], v[158:159], v[144:145]
	s_waitcnt vmcnt(2)
	v_fmac_f64_e32 v[128:129], v[132:133], v[146:147]
	ds_read_b128 v[132:135], v130 offset:704
	s_waitcnt vmcnt(0) lgkmcnt(0)
	v_fmac_f64_e32 v[128:129], v[136:137], v[132:133]
	buffer_load_dword v133, off, s[0:3], 0 offset:220
	buffer_load_dword v132, off, s[0:3], 0 offset:216
	buffer_load_dword v137, off, s[0:3], 0 offset:228
	buffer_load_dword v136, off, s[0:3], 0 offset:224
	s_waitcnt vmcnt(2)
	v_fmac_f64_e32 v[128:129], v[132:133], v[134:135]
	ds_read_b128 v[132:135], v130 offset:720
	s_waitcnt vmcnt(0) lgkmcnt(0)
	v_fmac_f64_e32 v[128:129], v[136:137], v[132:133]
	buffer_load_dword v133, off, s[0:3], 0 offset:236
	buffer_load_dword v132, off, s[0:3], 0 offset:232
	buffer_load_dword v137, off, s[0:3], 0 offset:244
	buffer_load_dword v136, off, s[0:3], 0 offset:240
	;; [unrolled: 9-line block ×16, first 2 shown]
	s_waitcnt vmcnt(2)
	v_fmac_f64_e32 v[128:129], v[132:133], v[134:135]
	ds_read_b128 v[132:135], v130 offset:960
	s_waitcnt vmcnt(0) lgkmcnt(0)
	v_fmac_f64_e32 v[128:129], v[136:137], v[132:133]
	buffer_load_dword v133, off, s[0:3], 0 offset:476
	buffer_load_dword v132, off, s[0:3], 0 offset:472
	s_waitcnt vmcnt(0)
	v_fmac_f64_e32 v[128:129], v[132:133], v[134:135]
	buffer_load_dword v135, off, s[0:3], 0 offset:484
	buffer_load_dword v134, off, s[0:3], 0 offset:480
	ds_read_b128 v[130:133], v130 offset:976
	s_waitcnt vmcnt(0) lgkmcnt(0)
	v_fmac_f64_e32 v[128:129], v[134:135], v[130:131]
	buffer_load_dword v131, off, s[0:3], 0 offset:492
	buffer_load_dword v130, off, s[0:3], 0 offset:488
	s_waitcnt vmcnt(0)
	v_fmac_f64_e32 v[128:129], v[130:131], v[132:133]
	v_add_f64 v[126:127], v[126:127], -v[128:129]
	buffer_store_dword v127, off, s[0:3], 0 offset:140
	buffer_store_dword v126, off, s[0:3], 0 offset:136
	s_and_saveexec_b64 s[4:5], vcc
	s_cbranch_execz .LBB61_347
; %bb.346:
	buffer_load_dword v126, off, s[0:3], 0 offset:128
	buffer_load_dword v127, off, s[0:3], 0 offset:132
	v_mov_b32_e32 v128, 0
	buffer_store_dword v128, off, s[0:3], 0 offset:128
	buffer_store_dword v128, off, s[0:3], 0 offset:132
	s_waitcnt vmcnt(2)
	ds_write_b64 v1, v[126:127]
.LBB61_347:
	s_or_b64 exec, exec, s[4:5]
	s_waitcnt lgkmcnt(0)
	; wave barrier
	s_waitcnt lgkmcnt(0)
	buffer_load_dword v126, off, s[0:3], 0 offset:128
	buffer_load_dword v127, off, s[0:3], 0 offset:132
	;; [unrolled: 1-line block ×16, first 2 shown]
	v_mov_b32_e32 v130, 0
	ds_read2_b64 v[132:135], v130 offset0:79 offset1:80
	v_cmp_lt_u32_e32 vcc, 15, v0
	s_waitcnt vmcnt(12) lgkmcnt(0)
	v_fma_f64 v[128:129], v[128:129], v[132:133], 0
	s_waitcnt vmcnt(10)
	v_fmac_f64_e32 v[128:129], v[136:137], v[134:135]
	ds_read2_b64 v[132:135], v130 offset0:81 offset1:82
	s_waitcnt vmcnt(8) lgkmcnt(0)
	v_fmac_f64_e32 v[128:129], v[138:139], v[132:133]
	s_waitcnt vmcnt(6)
	v_fmac_f64_e32 v[128:129], v[140:141], v[134:135]
	ds_read2_b64 v[132:135], v130 offset0:83 offset1:84
	s_waitcnt vmcnt(4) lgkmcnt(0)
	v_fmac_f64_e32 v[128:129], v[142:143], v[132:133]
	;; [unrolled: 5-line block ×3, first 2 shown]
	buffer_load_dword v133, off, s[0:3], 0 offset:196
	buffer_load_dword v132, off, s[0:3], 0 offset:192
	buffer_load_dword v137, off, s[0:3], 0 offset:204
	buffer_load_dword v136, off, s[0:3], 0 offset:200
	s_waitcnt vmcnt(2)
	v_fmac_f64_e32 v[128:129], v[132:133], v[134:135]
	ds_read2_b64 v[132:135], v130 offset0:87 offset1:88
	s_waitcnt vmcnt(0) lgkmcnt(0)
	v_fmac_f64_e32 v[128:129], v[136:137], v[132:133]
	buffer_load_dword v133, off, s[0:3], 0 offset:212
	buffer_load_dword v132, off, s[0:3], 0 offset:208
	buffer_load_dword v137, off, s[0:3], 0 offset:220
	buffer_load_dword v136, off, s[0:3], 0 offset:216
	s_waitcnt vmcnt(2)
	v_fmac_f64_e32 v[128:129], v[132:133], v[134:135]
	ds_read2_b64 v[132:135], v130 offset0:89 offset1:90
	s_waitcnt vmcnt(0) lgkmcnt(0)
	v_fmac_f64_e32 v[128:129], v[136:137], v[132:133]
	;; [unrolled: 9-line block ×18, first 2 shown]
	buffer_load_dword v133, off, s[0:3], 0 offset:484
	buffer_load_dword v132, off, s[0:3], 0 offset:480
	s_waitcnt vmcnt(0)
	v_fmac_f64_e32 v[128:129], v[132:133], v[134:135]
	buffer_load_dword v133, off, s[0:3], 0 offset:492
	buffer_load_dword v132, off, s[0:3], 0 offset:488
	ds_read_b64 v[134:135], v130 offset:984
	s_waitcnt vmcnt(0) lgkmcnt(0)
	v_fmac_f64_e32 v[128:129], v[132:133], v[134:135]
	v_add_f64 v[126:127], v[126:127], -v[128:129]
	buffer_store_dword v127, off, s[0:3], 0 offset:132
	buffer_store_dword v126, off, s[0:3], 0 offset:128
	s_and_saveexec_b64 s[4:5], vcc
	s_cbranch_execz .LBB61_349
; %bb.348:
	buffer_load_dword v126, off, s[0:3], 0 offset:120
	buffer_load_dword v127, off, s[0:3], 0 offset:124
	s_waitcnt vmcnt(0)
	ds_write_b64 v1, v[126:127]
	buffer_store_dword v130, off, s[0:3], 0 offset:120
	buffer_store_dword v130, off, s[0:3], 0 offset:124
.LBB61_349:
	s_or_b64 exec, exec, s[4:5]
	s_waitcnt lgkmcnt(0)
	; wave barrier
	s_waitcnt lgkmcnt(0)
	buffer_load_dword v126, off, s[0:3], 0 offset:120
	buffer_load_dword v127, off, s[0:3], 0 offset:124
	;; [unrolled: 1-line block ×16, first 2 shown]
	ds_read_b128 v[132:135], v130 offset:624
	ds_read_b128 v[136:139], v130 offset:640
	;; [unrolled: 1-line block ×4, first 2 shown]
	v_cmp_lt_u32_e32 vcc, 14, v0
	s_waitcnt vmcnt(12) lgkmcnt(3)
	v_fma_f64 v[128:129], v[128:129], v[132:133], 0
	buffer_load_dword v133, off, s[0:3], 0 offset:188
	buffer_load_dword v132, off, s[0:3], 0 offset:184
	s_waitcnt vmcnt(12)
	v_fmac_f64_e32 v[128:129], v[148:149], v[134:135]
	s_waitcnt vmcnt(10) lgkmcnt(2)
	v_fmac_f64_e32 v[128:129], v[150:151], v[136:137]
	buffer_load_dword v137, off, s[0:3], 0 offset:196
	buffer_load_dword v136, off, s[0:3], 0 offset:192
	s_waitcnt vmcnt(10)
	v_fmac_f64_e32 v[128:129], v[152:153], v[138:139]
	s_waitcnt vmcnt(8) lgkmcnt(1)
	v_fmac_f64_e32 v[128:129], v[154:155], v[140:141]
	s_waitcnt vmcnt(6)
	v_fmac_f64_e32 v[128:129], v[156:157], v[142:143]
	s_waitcnt vmcnt(4) lgkmcnt(0)
	v_fmac_f64_e32 v[128:129], v[158:159], v[144:145]
	s_waitcnt vmcnt(2)
	v_fmac_f64_e32 v[128:129], v[132:133], v[146:147]
	ds_read_b128 v[132:135], v130 offset:688
	s_waitcnt vmcnt(0) lgkmcnt(0)
	v_fmac_f64_e32 v[128:129], v[136:137], v[132:133]
	buffer_load_dword v133, off, s[0:3], 0 offset:204
	buffer_load_dword v132, off, s[0:3], 0 offset:200
	buffer_load_dword v137, off, s[0:3], 0 offset:212
	buffer_load_dword v136, off, s[0:3], 0 offset:208
	s_waitcnt vmcnt(2)
	v_fmac_f64_e32 v[128:129], v[132:133], v[134:135]
	ds_read_b128 v[132:135], v130 offset:704
	s_waitcnt vmcnt(0) lgkmcnt(0)
	v_fmac_f64_e32 v[128:129], v[136:137], v[132:133]
	buffer_load_dword v133, off, s[0:3], 0 offset:220
	buffer_load_dword v132, off, s[0:3], 0 offset:216
	buffer_load_dword v137, off, s[0:3], 0 offset:228
	buffer_load_dword v136, off, s[0:3], 0 offset:224
	;; [unrolled: 9-line block ×17, first 2 shown]
	s_waitcnt vmcnt(2)
	v_fmac_f64_e32 v[128:129], v[132:133], v[134:135]
	ds_read_b128 v[132:135], v130 offset:960
	s_waitcnt vmcnt(0) lgkmcnt(0)
	v_fmac_f64_e32 v[128:129], v[136:137], v[132:133]
	buffer_load_dword v133, off, s[0:3], 0 offset:476
	buffer_load_dword v132, off, s[0:3], 0 offset:472
	s_waitcnt vmcnt(0)
	v_fmac_f64_e32 v[128:129], v[132:133], v[134:135]
	buffer_load_dword v135, off, s[0:3], 0 offset:484
	buffer_load_dword v134, off, s[0:3], 0 offset:480
	ds_read_b128 v[130:133], v130 offset:976
	s_waitcnt vmcnt(0) lgkmcnt(0)
	v_fmac_f64_e32 v[128:129], v[134:135], v[130:131]
	buffer_load_dword v131, off, s[0:3], 0 offset:492
	buffer_load_dword v130, off, s[0:3], 0 offset:488
	s_waitcnt vmcnt(0)
	v_fmac_f64_e32 v[128:129], v[130:131], v[132:133]
	v_add_f64 v[126:127], v[126:127], -v[128:129]
	buffer_store_dword v127, off, s[0:3], 0 offset:124
	buffer_store_dword v126, off, s[0:3], 0 offset:120
	s_and_saveexec_b64 s[4:5], vcc
	s_cbranch_execz .LBB61_351
; %bb.350:
	buffer_load_dword v126, off, s[0:3], 0 offset:112
	buffer_load_dword v127, off, s[0:3], 0 offset:116
	v_mov_b32_e32 v128, 0
	buffer_store_dword v128, off, s[0:3], 0 offset:112
	buffer_store_dword v128, off, s[0:3], 0 offset:116
	s_waitcnt vmcnt(2)
	ds_write_b64 v1, v[126:127]
.LBB61_351:
	s_or_b64 exec, exec, s[4:5]
	s_waitcnt lgkmcnt(0)
	; wave barrier
	s_waitcnt lgkmcnt(0)
	buffer_load_dword v126, off, s[0:3], 0 offset:112
	buffer_load_dword v127, off, s[0:3], 0 offset:116
	;; [unrolled: 1-line block ×16, first 2 shown]
	v_mov_b32_e32 v130, 0
	ds_read2_b64 v[132:135], v130 offset0:77 offset1:78
	v_cmp_lt_u32_e32 vcc, 13, v0
	s_waitcnt vmcnt(12) lgkmcnt(0)
	v_fma_f64 v[128:129], v[128:129], v[132:133], 0
	s_waitcnt vmcnt(10)
	v_fmac_f64_e32 v[128:129], v[136:137], v[134:135]
	ds_read2_b64 v[132:135], v130 offset0:79 offset1:80
	s_waitcnt vmcnt(8) lgkmcnt(0)
	v_fmac_f64_e32 v[128:129], v[138:139], v[132:133]
	s_waitcnt vmcnt(6)
	v_fmac_f64_e32 v[128:129], v[140:141], v[134:135]
	ds_read2_b64 v[132:135], v130 offset0:81 offset1:82
	s_waitcnt vmcnt(4) lgkmcnt(0)
	v_fmac_f64_e32 v[128:129], v[142:143], v[132:133]
	;; [unrolled: 5-line block ×3, first 2 shown]
	buffer_load_dword v133, off, s[0:3], 0 offset:180
	buffer_load_dword v132, off, s[0:3], 0 offset:176
	buffer_load_dword v137, off, s[0:3], 0 offset:188
	buffer_load_dword v136, off, s[0:3], 0 offset:184
	s_waitcnt vmcnt(2)
	v_fmac_f64_e32 v[128:129], v[132:133], v[134:135]
	ds_read2_b64 v[132:135], v130 offset0:85 offset1:86
	s_waitcnt vmcnt(0) lgkmcnt(0)
	v_fmac_f64_e32 v[128:129], v[136:137], v[132:133]
	buffer_load_dword v133, off, s[0:3], 0 offset:196
	buffer_load_dword v132, off, s[0:3], 0 offset:192
	buffer_load_dword v137, off, s[0:3], 0 offset:204
	buffer_load_dword v136, off, s[0:3], 0 offset:200
	s_waitcnt vmcnt(2)
	v_fmac_f64_e32 v[128:129], v[132:133], v[134:135]
	ds_read2_b64 v[132:135], v130 offset0:87 offset1:88
	s_waitcnt vmcnt(0) lgkmcnt(0)
	v_fmac_f64_e32 v[128:129], v[136:137], v[132:133]
	;; [unrolled: 9-line block ×19, first 2 shown]
	buffer_load_dword v133, off, s[0:3], 0 offset:484
	buffer_load_dword v132, off, s[0:3], 0 offset:480
	s_waitcnt vmcnt(0)
	v_fmac_f64_e32 v[128:129], v[132:133], v[134:135]
	buffer_load_dword v133, off, s[0:3], 0 offset:492
	buffer_load_dword v132, off, s[0:3], 0 offset:488
	ds_read_b64 v[134:135], v130 offset:984
	s_waitcnt vmcnt(0) lgkmcnt(0)
	v_fmac_f64_e32 v[128:129], v[132:133], v[134:135]
	v_add_f64 v[126:127], v[126:127], -v[128:129]
	buffer_store_dword v127, off, s[0:3], 0 offset:116
	buffer_store_dword v126, off, s[0:3], 0 offset:112
	s_and_saveexec_b64 s[4:5], vcc
	s_cbranch_execz .LBB61_353
; %bb.352:
	buffer_load_dword v126, off, s[0:3], 0 offset:104
	buffer_load_dword v127, off, s[0:3], 0 offset:108
	s_waitcnt vmcnt(0)
	ds_write_b64 v1, v[126:127]
	buffer_store_dword v130, off, s[0:3], 0 offset:104
	buffer_store_dword v130, off, s[0:3], 0 offset:108
.LBB61_353:
	s_or_b64 exec, exec, s[4:5]
	s_waitcnt lgkmcnt(0)
	; wave barrier
	s_waitcnt lgkmcnt(0)
	buffer_load_dword v126, off, s[0:3], 0 offset:104
	buffer_load_dword v127, off, s[0:3], 0 offset:108
	;; [unrolled: 1-line block ×16, first 2 shown]
	ds_read_b128 v[132:135], v130 offset:608
	ds_read_b128 v[136:139], v130 offset:624
	;; [unrolled: 1-line block ×4, first 2 shown]
	v_cmp_lt_u32_e32 vcc, 12, v0
	s_waitcnt vmcnt(12) lgkmcnt(3)
	v_fma_f64 v[128:129], v[128:129], v[132:133], 0
	buffer_load_dword v133, off, s[0:3], 0 offset:172
	buffer_load_dword v132, off, s[0:3], 0 offset:168
	s_waitcnt vmcnt(12)
	v_fmac_f64_e32 v[128:129], v[148:149], v[134:135]
	s_waitcnt vmcnt(10) lgkmcnt(2)
	v_fmac_f64_e32 v[128:129], v[150:151], v[136:137]
	buffer_load_dword v137, off, s[0:3], 0 offset:180
	buffer_load_dword v136, off, s[0:3], 0 offset:176
	s_waitcnt vmcnt(10)
	v_fmac_f64_e32 v[128:129], v[152:153], v[138:139]
	s_waitcnt vmcnt(8) lgkmcnt(1)
	v_fmac_f64_e32 v[128:129], v[154:155], v[140:141]
	s_waitcnt vmcnt(6)
	v_fmac_f64_e32 v[128:129], v[156:157], v[142:143]
	s_waitcnt vmcnt(4) lgkmcnt(0)
	v_fmac_f64_e32 v[128:129], v[158:159], v[144:145]
	s_waitcnt vmcnt(2)
	v_fmac_f64_e32 v[128:129], v[132:133], v[146:147]
	ds_read_b128 v[132:135], v130 offset:672
	s_waitcnt vmcnt(0) lgkmcnt(0)
	v_fmac_f64_e32 v[128:129], v[136:137], v[132:133]
	buffer_load_dword v133, off, s[0:3], 0 offset:188
	buffer_load_dword v132, off, s[0:3], 0 offset:184
	buffer_load_dword v137, off, s[0:3], 0 offset:196
	buffer_load_dword v136, off, s[0:3], 0 offset:192
	s_waitcnt vmcnt(2)
	v_fmac_f64_e32 v[128:129], v[132:133], v[134:135]
	ds_read_b128 v[132:135], v130 offset:688
	s_waitcnt vmcnt(0) lgkmcnt(0)
	v_fmac_f64_e32 v[128:129], v[136:137], v[132:133]
	buffer_load_dword v133, off, s[0:3], 0 offset:204
	buffer_load_dword v132, off, s[0:3], 0 offset:200
	buffer_load_dword v137, off, s[0:3], 0 offset:212
	buffer_load_dword v136, off, s[0:3], 0 offset:208
	;; [unrolled: 9-line block ×18, first 2 shown]
	s_waitcnt vmcnt(2)
	v_fmac_f64_e32 v[128:129], v[132:133], v[134:135]
	ds_read_b128 v[132:135], v130 offset:960
	s_waitcnt vmcnt(0) lgkmcnt(0)
	v_fmac_f64_e32 v[128:129], v[136:137], v[132:133]
	buffer_load_dword v133, off, s[0:3], 0 offset:476
	buffer_load_dword v132, off, s[0:3], 0 offset:472
	s_waitcnt vmcnt(0)
	v_fmac_f64_e32 v[128:129], v[132:133], v[134:135]
	buffer_load_dword v135, off, s[0:3], 0 offset:484
	buffer_load_dword v134, off, s[0:3], 0 offset:480
	ds_read_b128 v[130:133], v130 offset:976
	s_waitcnt vmcnt(0) lgkmcnt(0)
	v_fmac_f64_e32 v[128:129], v[134:135], v[130:131]
	buffer_load_dword v131, off, s[0:3], 0 offset:492
	buffer_load_dword v130, off, s[0:3], 0 offset:488
	s_waitcnt vmcnt(0)
	v_fmac_f64_e32 v[128:129], v[130:131], v[132:133]
	v_add_f64 v[126:127], v[126:127], -v[128:129]
	buffer_store_dword v127, off, s[0:3], 0 offset:108
	buffer_store_dword v126, off, s[0:3], 0 offset:104
	s_and_saveexec_b64 s[4:5], vcc
	s_cbranch_execz .LBB61_355
; %bb.354:
	buffer_load_dword v126, off, s[0:3], 0 offset:96
	buffer_load_dword v127, off, s[0:3], 0 offset:100
	v_mov_b32_e32 v128, 0
	buffer_store_dword v128, off, s[0:3], 0 offset:96
	buffer_store_dword v128, off, s[0:3], 0 offset:100
	s_waitcnt vmcnt(2)
	ds_write_b64 v1, v[126:127]
.LBB61_355:
	s_or_b64 exec, exec, s[4:5]
	s_waitcnt lgkmcnt(0)
	; wave barrier
	s_waitcnt lgkmcnt(0)
	buffer_load_dword v126, off, s[0:3], 0 offset:96
	buffer_load_dword v127, off, s[0:3], 0 offset:100
	buffer_load_dword v128, off, s[0:3], 0 offset:104
	buffer_load_dword v129, off, s[0:3], 0 offset:108
	buffer_load_dword v136, off, s[0:3], 0 offset:112
	buffer_load_dword v137, off, s[0:3], 0 offset:116
	buffer_load_dword v138, off, s[0:3], 0 offset:120
	buffer_load_dword v139, off, s[0:3], 0 offset:124
	buffer_load_dword v140, off, s[0:3], 0 offset:128
	buffer_load_dword v141, off, s[0:3], 0 offset:132
	buffer_load_dword v142, off, s[0:3], 0 offset:136
	buffer_load_dword v143, off, s[0:3], 0 offset:140
	buffer_load_dword v144, off, s[0:3], 0 offset:144
	buffer_load_dword v145, off, s[0:3], 0 offset:148
	buffer_load_dword v146, off, s[0:3], 0 offset:152
	buffer_load_dword v147, off, s[0:3], 0 offset:156
	v_mov_b32_e32 v130, 0
	ds_read2_b64 v[132:135], v130 offset0:75 offset1:76
	v_cmp_lt_u32_e32 vcc, 11, v0
	s_waitcnt vmcnt(12) lgkmcnt(0)
	v_fma_f64 v[128:129], v[128:129], v[132:133], 0
	s_waitcnt vmcnt(10)
	v_fmac_f64_e32 v[128:129], v[136:137], v[134:135]
	ds_read2_b64 v[132:135], v130 offset0:77 offset1:78
	s_waitcnt vmcnt(8) lgkmcnt(0)
	v_fmac_f64_e32 v[128:129], v[138:139], v[132:133]
	s_waitcnt vmcnt(6)
	v_fmac_f64_e32 v[128:129], v[140:141], v[134:135]
	ds_read2_b64 v[132:135], v130 offset0:79 offset1:80
	s_waitcnt vmcnt(4) lgkmcnt(0)
	v_fmac_f64_e32 v[128:129], v[142:143], v[132:133]
	;; [unrolled: 5-line block ×3, first 2 shown]
	buffer_load_dword v133, off, s[0:3], 0 offset:164
	buffer_load_dword v132, off, s[0:3], 0 offset:160
	buffer_load_dword v137, off, s[0:3], 0 offset:172
	buffer_load_dword v136, off, s[0:3], 0 offset:168
	s_waitcnt vmcnt(2)
	v_fmac_f64_e32 v[128:129], v[132:133], v[134:135]
	ds_read2_b64 v[132:135], v130 offset0:83 offset1:84
	s_waitcnt vmcnt(0) lgkmcnt(0)
	v_fmac_f64_e32 v[128:129], v[136:137], v[132:133]
	buffer_load_dword v133, off, s[0:3], 0 offset:180
	buffer_load_dword v132, off, s[0:3], 0 offset:176
	buffer_load_dword v137, off, s[0:3], 0 offset:188
	buffer_load_dword v136, off, s[0:3], 0 offset:184
	s_waitcnt vmcnt(2)
	v_fmac_f64_e32 v[128:129], v[132:133], v[134:135]
	ds_read2_b64 v[132:135], v130 offset0:85 offset1:86
	s_waitcnt vmcnt(0) lgkmcnt(0)
	v_fmac_f64_e32 v[128:129], v[136:137], v[132:133]
	;; [unrolled: 9-line block ×20, first 2 shown]
	buffer_load_dword v133, off, s[0:3], 0 offset:484
	buffer_load_dword v132, off, s[0:3], 0 offset:480
	s_waitcnt vmcnt(0)
	v_fmac_f64_e32 v[128:129], v[132:133], v[134:135]
	buffer_load_dword v133, off, s[0:3], 0 offset:492
	buffer_load_dword v132, off, s[0:3], 0 offset:488
	ds_read_b64 v[134:135], v130 offset:984
	s_waitcnt vmcnt(0) lgkmcnt(0)
	v_fmac_f64_e32 v[128:129], v[132:133], v[134:135]
	v_add_f64 v[126:127], v[126:127], -v[128:129]
	buffer_store_dword v127, off, s[0:3], 0 offset:100
	buffer_store_dword v126, off, s[0:3], 0 offset:96
	s_and_saveexec_b64 s[4:5], vcc
	s_cbranch_execz .LBB61_357
; %bb.356:
	buffer_load_dword v126, off, s[0:3], 0 offset:88
	buffer_load_dword v127, off, s[0:3], 0 offset:92
	s_waitcnt vmcnt(0)
	ds_write_b64 v1, v[126:127]
	buffer_store_dword v130, off, s[0:3], 0 offset:88
	buffer_store_dword v130, off, s[0:3], 0 offset:92
.LBB61_357:
	s_or_b64 exec, exec, s[4:5]
	s_waitcnt lgkmcnt(0)
	; wave barrier
	s_waitcnt lgkmcnt(0)
	buffer_load_dword v126, off, s[0:3], 0 offset:88
	buffer_load_dword v127, off, s[0:3], 0 offset:92
	;; [unrolled: 1-line block ×16, first 2 shown]
	ds_read_b128 v[132:135], v130 offset:592
	v_cmp_lt_u32_e32 vcc, 10, v0
	s_waitcnt vmcnt(12) lgkmcnt(0)
	v_fma_f64 v[128:129], v[128:129], v[132:133], 0
	s_waitcnt vmcnt(10)
	v_fmac_f64_e32 v[128:129], v[136:137], v[134:135]
	ds_read_b128 v[132:135], v130 offset:608
	s_waitcnt vmcnt(8) lgkmcnt(0)
	v_fmac_f64_e32 v[128:129], v[138:139], v[132:133]
	s_waitcnt vmcnt(6)
	v_fmac_f64_e32 v[128:129], v[140:141], v[134:135]
	ds_read_b128 v[132:135], v130 offset:624
	s_waitcnt vmcnt(4) lgkmcnt(0)
	v_fmac_f64_e32 v[128:129], v[142:143], v[132:133]
	;; [unrolled: 5-line block ×3, first 2 shown]
	buffer_load_dword v133, off, s[0:3], 0 offset:156
	buffer_load_dword v132, off, s[0:3], 0 offset:152
	buffer_load_dword v137, off, s[0:3], 0 offset:164
	buffer_load_dword v136, off, s[0:3], 0 offset:160
	s_waitcnt vmcnt(2)
	v_fmac_f64_e32 v[128:129], v[132:133], v[134:135]
	ds_read_b128 v[132:135], v130 offset:656
	s_waitcnt vmcnt(0) lgkmcnt(0)
	v_fmac_f64_e32 v[128:129], v[136:137], v[132:133]
	buffer_load_dword v133, off, s[0:3], 0 offset:172
	buffer_load_dword v132, off, s[0:3], 0 offset:168
	buffer_load_dword v137, off, s[0:3], 0 offset:180
	buffer_load_dword v136, off, s[0:3], 0 offset:176
	s_waitcnt vmcnt(2)
	v_fmac_f64_e32 v[128:129], v[132:133], v[134:135]
	ds_read_b128 v[132:135], v130 offset:672
	s_waitcnt vmcnt(0) lgkmcnt(0)
	v_fmac_f64_e32 v[128:129], v[136:137], v[132:133]
	;; [unrolled: 9-line block ×20, first 2 shown]
	buffer_load_dword v133, off, s[0:3], 0 offset:476
	buffer_load_dword v132, off, s[0:3], 0 offset:472
	s_waitcnt vmcnt(0)
	v_fmac_f64_e32 v[128:129], v[132:133], v[134:135]
	buffer_load_dword v135, off, s[0:3], 0 offset:484
	buffer_load_dword v134, off, s[0:3], 0 offset:480
	ds_read_b128 v[130:133], v130 offset:976
	s_waitcnt vmcnt(0) lgkmcnt(0)
	v_fmac_f64_e32 v[128:129], v[134:135], v[130:131]
	buffer_load_dword v131, off, s[0:3], 0 offset:492
	buffer_load_dword v130, off, s[0:3], 0 offset:488
	s_waitcnt vmcnt(0)
	v_fmac_f64_e32 v[128:129], v[130:131], v[132:133]
	v_add_f64 v[126:127], v[126:127], -v[128:129]
	buffer_store_dword v127, off, s[0:3], 0 offset:92
	buffer_store_dword v126, off, s[0:3], 0 offset:88
	s_and_saveexec_b64 s[4:5], vcc
	s_cbranch_execz .LBB61_359
; %bb.358:
	buffer_load_dword v126, off, s[0:3], 0 offset:80
	buffer_load_dword v127, off, s[0:3], 0 offset:84
	v_mov_b32_e32 v128, 0
	buffer_store_dword v128, off, s[0:3], 0 offset:80
	buffer_store_dword v128, off, s[0:3], 0 offset:84
	s_waitcnt vmcnt(2)
	ds_write_b64 v1, v[126:127]
.LBB61_359:
	s_or_b64 exec, exec, s[4:5]
	s_waitcnt lgkmcnt(0)
	; wave barrier
	s_waitcnt lgkmcnt(0)
	buffer_load_dword v126, off, s[0:3], 0 offset:80
	buffer_load_dword v127, off, s[0:3], 0 offset:84
	;; [unrolled: 1-line block ×16, first 2 shown]
	v_mov_b32_e32 v130, 0
	ds_read2_b64 v[132:135], v130 offset0:73 offset1:74
	v_cmp_lt_u32_e32 vcc, 9, v0
	s_waitcnt vmcnt(12) lgkmcnt(0)
	v_fma_f64 v[128:129], v[128:129], v[132:133], 0
	s_waitcnt vmcnt(10)
	v_fmac_f64_e32 v[128:129], v[136:137], v[134:135]
	ds_read2_b64 v[132:135], v130 offset0:75 offset1:76
	s_waitcnt vmcnt(8) lgkmcnt(0)
	v_fmac_f64_e32 v[128:129], v[138:139], v[132:133]
	s_waitcnt vmcnt(6)
	v_fmac_f64_e32 v[128:129], v[140:141], v[134:135]
	ds_read2_b64 v[132:135], v130 offset0:77 offset1:78
	s_waitcnt vmcnt(4) lgkmcnt(0)
	v_fmac_f64_e32 v[128:129], v[142:143], v[132:133]
	;; [unrolled: 5-line block ×3, first 2 shown]
	buffer_load_dword v133, off, s[0:3], 0 offset:148
	buffer_load_dword v132, off, s[0:3], 0 offset:144
	buffer_load_dword v137, off, s[0:3], 0 offset:156
	buffer_load_dword v136, off, s[0:3], 0 offset:152
	s_waitcnt vmcnt(2)
	v_fmac_f64_e32 v[128:129], v[132:133], v[134:135]
	ds_read2_b64 v[132:135], v130 offset0:81 offset1:82
	s_waitcnt vmcnt(0) lgkmcnt(0)
	v_fmac_f64_e32 v[128:129], v[136:137], v[132:133]
	buffer_load_dword v133, off, s[0:3], 0 offset:164
	buffer_load_dword v132, off, s[0:3], 0 offset:160
	buffer_load_dword v137, off, s[0:3], 0 offset:172
	buffer_load_dword v136, off, s[0:3], 0 offset:168
	s_waitcnt vmcnt(2)
	v_fmac_f64_e32 v[128:129], v[132:133], v[134:135]
	ds_read2_b64 v[132:135], v130 offset0:83 offset1:84
	s_waitcnt vmcnt(0) lgkmcnt(0)
	v_fmac_f64_e32 v[128:129], v[136:137], v[132:133]
	;; [unrolled: 9-line block ×21, first 2 shown]
	buffer_load_dword v133, off, s[0:3], 0 offset:484
	buffer_load_dword v132, off, s[0:3], 0 offset:480
	s_waitcnt vmcnt(0)
	v_fmac_f64_e32 v[128:129], v[132:133], v[134:135]
	buffer_load_dword v133, off, s[0:3], 0 offset:492
	buffer_load_dword v132, off, s[0:3], 0 offset:488
	ds_read_b64 v[134:135], v130 offset:984
	s_waitcnt vmcnt(0) lgkmcnt(0)
	v_fmac_f64_e32 v[128:129], v[132:133], v[134:135]
	v_add_f64 v[126:127], v[126:127], -v[128:129]
	buffer_store_dword v127, off, s[0:3], 0 offset:84
	buffer_store_dword v126, off, s[0:3], 0 offset:80
	s_and_saveexec_b64 s[4:5], vcc
	s_cbranch_execz .LBB61_361
; %bb.360:
	buffer_load_dword v126, off, s[0:3], 0 offset:72
	buffer_load_dword v127, off, s[0:3], 0 offset:76
	s_waitcnt vmcnt(0)
	ds_write_b64 v1, v[126:127]
	buffer_store_dword v130, off, s[0:3], 0 offset:72
	buffer_store_dword v130, off, s[0:3], 0 offset:76
.LBB61_361:
	s_or_b64 exec, exec, s[4:5]
	s_waitcnt lgkmcnt(0)
	; wave barrier
	s_waitcnt lgkmcnt(0)
	buffer_load_dword v126, off, s[0:3], 0 offset:72
	buffer_load_dword v127, off, s[0:3], 0 offset:76
	;; [unrolled: 1-line block ×16, first 2 shown]
	ds_read_b128 v[132:135], v130 offset:576
	v_cmp_lt_u32_e32 vcc, 8, v0
	s_waitcnt vmcnt(12) lgkmcnt(0)
	v_fma_f64 v[128:129], v[128:129], v[132:133], 0
	s_waitcnt vmcnt(10)
	v_fmac_f64_e32 v[128:129], v[136:137], v[134:135]
	ds_read_b128 v[132:135], v130 offset:592
	s_waitcnt vmcnt(8) lgkmcnt(0)
	v_fmac_f64_e32 v[128:129], v[138:139], v[132:133]
	s_waitcnt vmcnt(6)
	v_fmac_f64_e32 v[128:129], v[140:141], v[134:135]
	ds_read_b128 v[132:135], v130 offset:608
	s_waitcnt vmcnt(4) lgkmcnt(0)
	v_fmac_f64_e32 v[128:129], v[142:143], v[132:133]
	;; [unrolled: 5-line block ×3, first 2 shown]
	buffer_load_dword v133, off, s[0:3], 0 offset:140
	buffer_load_dword v132, off, s[0:3], 0 offset:136
	buffer_load_dword v137, off, s[0:3], 0 offset:148
	buffer_load_dword v136, off, s[0:3], 0 offset:144
	s_waitcnt vmcnt(2)
	v_fmac_f64_e32 v[128:129], v[132:133], v[134:135]
	ds_read_b128 v[132:135], v130 offset:640
	s_waitcnt vmcnt(0) lgkmcnt(0)
	v_fmac_f64_e32 v[128:129], v[136:137], v[132:133]
	buffer_load_dword v133, off, s[0:3], 0 offset:156
	buffer_load_dword v132, off, s[0:3], 0 offset:152
	buffer_load_dword v137, off, s[0:3], 0 offset:164
	buffer_load_dword v136, off, s[0:3], 0 offset:160
	s_waitcnt vmcnt(2)
	v_fmac_f64_e32 v[128:129], v[132:133], v[134:135]
	ds_read_b128 v[132:135], v130 offset:656
	s_waitcnt vmcnt(0) lgkmcnt(0)
	v_fmac_f64_e32 v[128:129], v[136:137], v[132:133]
	;; [unrolled: 9-line block ×21, first 2 shown]
	buffer_load_dword v133, off, s[0:3], 0 offset:476
	buffer_load_dword v132, off, s[0:3], 0 offset:472
	s_waitcnt vmcnt(0)
	v_fmac_f64_e32 v[128:129], v[132:133], v[134:135]
	buffer_load_dword v135, off, s[0:3], 0 offset:484
	buffer_load_dword v134, off, s[0:3], 0 offset:480
	ds_read_b128 v[130:133], v130 offset:976
	s_waitcnt vmcnt(0) lgkmcnt(0)
	v_fmac_f64_e32 v[128:129], v[134:135], v[130:131]
	buffer_load_dword v131, off, s[0:3], 0 offset:492
	buffer_load_dword v130, off, s[0:3], 0 offset:488
	s_waitcnt vmcnt(0)
	v_fmac_f64_e32 v[128:129], v[130:131], v[132:133]
	v_add_f64 v[126:127], v[126:127], -v[128:129]
	buffer_store_dword v127, off, s[0:3], 0 offset:76
	buffer_store_dword v126, off, s[0:3], 0 offset:72
	s_and_saveexec_b64 s[4:5], vcc
	s_cbranch_execz .LBB61_363
; %bb.362:
	buffer_load_dword v126, off, s[0:3], 0 offset:64
	buffer_load_dword v127, off, s[0:3], 0 offset:68
	v_mov_b32_e32 v128, 0
	buffer_store_dword v128, off, s[0:3], 0 offset:64
	buffer_store_dword v128, off, s[0:3], 0 offset:68
	s_waitcnt vmcnt(2)
	ds_write_b64 v1, v[126:127]
.LBB61_363:
	s_or_b64 exec, exec, s[4:5]
	s_waitcnt lgkmcnt(0)
	; wave barrier
	s_waitcnt lgkmcnt(0)
	buffer_load_dword v126, off, s[0:3], 0 offset:64
	buffer_load_dword v127, off, s[0:3], 0 offset:68
	;; [unrolled: 1-line block ×16, first 2 shown]
	v_mov_b32_e32 v130, 0
	ds_read2_b64 v[132:135], v130 offset0:71 offset1:72
	v_cmp_lt_u32_e32 vcc, 7, v0
	s_waitcnt vmcnt(12) lgkmcnt(0)
	v_fma_f64 v[128:129], v[128:129], v[132:133], 0
	s_waitcnt vmcnt(10)
	v_fmac_f64_e32 v[128:129], v[136:137], v[134:135]
	ds_read2_b64 v[132:135], v130 offset0:73 offset1:74
	s_waitcnt vmcnt(8) lgkmcnt(0)
	v_fmac_f64_e32 v[128:129], v[138:139], v[132:133]
	s_waitcnt vmcnt(6)
	v_fmac_f64_e32 v[128:129], v[140:141], v[134:135]
	ds_read2_b64 v[132:135], v130 offset0:75 offset1:76
	s_waitcnt vmcnt(4) lgkmcnt(0)
	v_fmac_f64_e32 v[128:129], v[142:143], v[132:133]
	;; [unrolled: 5-line block ×3, first 2 shown]
	buffer_load_dword v133, off, s[0:3], 0 offset:132
	buffer_load_dword v132, off, s[0:3], 0 offset:128
	buffer_load_dword v137, off, s[0:3], 0 offset:140
	buffer_load_dword v136, off, s[0:3], 0 offset:136
	s_waitcnt vmcnt(2)
	v_fmac_f64_e32 v[128:129], v[132:133], v[134:135]
	ds_read2_b64 v[132:135], v130 offset0:79 offset1:80
	s_waitcnt vmcnt(0) lgkmcnt(0)
	v_fmac_f64_e32 v[128:129], v[136:137], v[132:133]
	buffer_load_dword v133, off, s[0:3], 0 offset:148
	buffer_load_dword v132, off, s[0:3], 0 offset:144
	buffer_load_dword v137, off, s[0:3], 0 offset:156
	buffer_load_dword v136, off, s[0:3], 0 offset:152
	s_waitcnt vmcnt(2)
	v_fmac_f64_e32 v[128:129], v[132:133], v[134:135]
	ds_read2_b64 v[132:135], v130 offset0:81 offset1:82
	s_waitcnt vmcnt(0) lgkmcnt(0)
	v_fmac_f64_e32 v[128:129], v[136:137], v[132:133]
	;; [unrolled: 9-line block ×22, first 2 shown]
	buffer_load_dword v133, off, s[0:3], 0 offset:484
	buffer_load_dword v132, off, s[0:3], 0 offset:480
	s_waitcnt vmcnt(0)
	v_fmac_f64_e32 v[128:129], v[132:133], v[134:135]
	buffer_load_dword v133, off, s[0:3], 0 offset:492
	buffer_load_dword v132, off, s[0:3], 0 offset:488
	ds_read_b64 v[134:135], v130 offset:984
	s_waitcnt vmcnt(0) lgkmcnt(0)
	v_fmac_f64_e32 v[128:129], v[132:133], v[134:135]
	v_add_f64 v[126:127], v[126:127], -v[128:129]
	buffer_store_dword v127, off, s[0:3], 0 offset:68
	buffer_store_dword v126, off, s[0:3], 0 offset:64
	s_and_saveexec_b64 s[4:5], vcc
	s_cbranch_execz .LBB61_365
; %bb.364:
	buffer_load_dword v126, off, s[0:3], 0 offset:56
	buffer_load_dword v127, off, s[0:3], 0 offset:60
	s_waitcnt vmcnt(0)
	ds_write_b64 v1, v[126:127]
	buffer_store_dword v130, off, s[0:3], 0 offset:56
	buffer_store_dword v130, off, s[0:3], 0 offset:60
.LBB61_365:
	s_or_b64 exec, exec, s[4:5]
	s_waitcnt lgkmcnt(0)
	; wave barrier
	s_waitcnt lgkmcnt(0)
	buffer_load_dword v126, off, s[0:3], 0 offset:56
	buffer_load_dword v127, off, s[0:3], 0 offset:60
	;; [unrolled: 1-line block ×16, first 2 shown]
	ds_read_b128 v[132:135], v130 offset:560
	v_cmp_lt_u32_e32 vcc, 6, v0
	s_waitcnt vmcnt(12) lgkmcnt(0)
	v_fma_f64 v[128:129], v[128:129], v[132:133], 0
	s_waitcnt vmcnt(10)
	v_fmac_f64_e32 v[128:129], v[136:137], v[134:135]
	ds_read_b128 v[132:135], v130 offset:576
	s_waitcnt vmcnt(8) lgkmcnt(0)
	v_fmac_f64_e32 v[128:129], v[138:139], v[132:133]
	s_waitcnt vmcnt(6)
	v_fmac_f64_e32 v[128:129], v[140:141], v[134:135]
	ds_read_b128 v[132:135], v130 offset:592
	s_waitcnt vmcnt(4) lgkmcnt(0)
	v_fmac_f64_e32 v[128:129], v[142:143], v[132:133]
	;; [unrolled: 5-line block ×3, first 2 shown]
	buffer_load_dword v133, off, s[0:3], 0 offset:124
	buffer_load_dword v132, off, s[0:3], 0 offset:120
	buffer_load_dword v137, off, s[0:3], 0 offset:132
	buffer_load_dword v136, off, s[0:3], 0 offset:128
	s_waitcnt vmcnt(2)
	v_fmac_f64_e32 v[128:129], v[132:133], v[134:135]
	ds_read_b128 v[132:135], v130 offset:624
	s_waitcnt vmcnt(0) lgkmcnt(0)
	v_fmac_f64_e32 v[128:129], v[136:137], v[132:133]
	buffer_load_dword v133, off, s[0:3], 0 offset:140
	buffer_load_dword v132, off, s[0:3], 0 offset:136
	buffer_load_dword v137, off, s[0:3], 0 offset:148
	buffer_load_dword v136, off, s[0:3], 0 offset:144
	s_waitcnt vmcnt(2)
	v_fmac_f64_e32 v[128:129], v[132:133], v[134:135]
	ds_read_b128 v[132:135], v130 offset:640
	s_waitcnt vmcnt(0) lgkmcnt(0)
	v_fmac_f64_e32 v[128:129], v[136:137], v[132:133]
	buffer_load_dword v133, off, s[0:3], 0 offset:156
	buffer_load_dword v132, off, s[0:3], 0 offset:152
	buffer_load_dword v137, off, s[0:3], 0 offset:164
	buffer_load_dword v136, off, s[0:3], 0 offset:160
	s_waitcnt vmcnt(2)
	v_fmac_f64_e32 v[128:129], v[132:133], v[134:135]
	ds_read_b128 v[132:135], v130 offset:656
	s_waitcnt vmcnt(0) lgkmcnt(0)
	v_fmac_f64_e32 v[128:129], v[136:137], v[132:133]
	buffer_load_dword v133, off, s[0:3], 0 offset:172
	buffer_load_dword v132, off, s[0:3], 0 offset:168
	buffer_load_dword v137, off, s[0:3], 0 offset:180
	buffer_load_dword v136, off, s[0:3], 0 offset:176
	s_waitcnt vmcnt(2)
	v_fmac_f64_e32 v[128:129], v[132:133], v[134:135]
	ds_read_b128 v[132:135], v130 offset:672
	s_waitcnt vmcnt(0) lgkmcnt(0)
	v_fmac_f64_e32 v[128:129], v[136:137], v[132:133]
	buffer_load_dword v133, off, s[0:3], 0 offset:188
	buffer_load_dword v132, off, s[0:3], 0 offset:184
	buffer_load_dword v137, off, s[0:3], 0 offset:196
	buffer_load_dword v136, off, s[0:3], 0 offset:192
	s_waitcnt vmcnt(2)
	v_fmac_f64_e32 v[128:129], v[132:133], v[134:135]
	ds_read_b128 v[132:135], v130 offset:688
	s_waitcnt vmcnt(0) lgkmcnt(0)
	v_fmac_f64_e32 v[128:129], v[136:137], v[132:133]
	buffer_load_dword v133, off, s[0:3], 0 offset:204
	buffer_load_dword v132, off, s[0:3], 0 offset:200
	buffer_load_dword v137, off, s[0:3], 0 offset:212
	buffer_load_dword v136, off, s[0:3], 0 offset:208
	s_waitcnt vmcnt(2)
	v_fmac_f64_e32 v[128:129], v[132:133], v[134:135]
	ds_read_b128 v[132:135], v130 offset:704
	s_waitcnt vmcnt(0) lgkmcnt(0)
	v_fmac_f64_e32 v[128:129], v[136:137], v[132:133]
	buffer_load_dword v133, off, s[0:3], 0 offset:220
	buffer_load_dword v132, off, s[0:3], 0 offset:216
	buffer_load_dword v137, off, s[0:3], 0 offset:228
	buffer_load_dword v136, off, s[0:3], 0 offset:224
	s_waitcnt vmcnt(2)
	v_fmac_f64_e32 v[128:129], v[132:133], v[134:135]
	ds_read_b128 v[132:135], v130 offset:720
	s_waitcnt vmcnt(0) lgkmcnt(0)
	v_fmac_f64_e32 v[128:129], v[136:137], v[132:133]
	buffer_load_dword v133, off, s[0:3], 0 offset:236
	buffer_load_dword v132, off, s[0:3], 0 offset:232
	buffer_load_dword v137, off, s[0:3], 0 offset:244
	buffer_load_dword v136, off, s[0:3], 0 offset:240
	s_waitcnt vmcnt(2)
	v_fmac_f64_e32 v[128:129], v[132:133], v[134:135]
	ds_read_b128 v[132:135], v130 offset:736
	s_waitcnt vmcnt(0) lgkmcnt(0)
	v_fmac_f64_e32 v[128:129], v[136:137], v[132:133]
	buffer_load_dword v133, off, s[0:3], 0 offset:252
	buffer_load_dword v132, off, s[0:3], 0 offset:248
	buffer_load_dword v137, off, s[0:3], 0 offset:260
	buffer_load_dword v136, off, s[0:3], 0 offset:256
	s_waitcnt vmcnt(2)
	v_fmac_f64_e32 v[128:129], v[132:133], v[134:135]
	ds_read_b128 v[132:135], v130 offset:752
	s_waitcnt vmcnt(0) lgkmcnt(0)
	v_fmac_f64_e32 v[128:129], v[136:137], v[132:133]
	buffer_load_dword v133, off, s[0:3], 0 offset:268
	buffer_load_dword v132, off, s[0:3], 0 offset:264
	buffer_load_dword v137, off, s[0:3], 0 offset:276
	buffer_load_dword v136, off, s[0:3], 0 offset:272
	s_waitcnt vmcnt(2)
	v_fmac_f64_e32 v[128:129], v[132:133], v[134:135]
	ds_read_b128 v[132:135], v130 offset:768
	s_waitcnt vmcnt(0) lgkmcnt(0)
	v_fmac_f64_e32 v[128:129], v[136:137], v[132:133]
	buffer_load_dword v133, off, s[0:3], 0 offset:284
	buffer_load_dword v132, off, s[0:3], 0 offset:280
	buffer_load_dword v137, off, s[0:3], 0 offset:292
	buffer_load_dword v136, off, s[0:3], 0 offset:288
	s_waitcnt vmcnt(2)
	v_fmac_f64_e32 v[128:129], v[132:133], v[134:135]
	ds_read_b128 v[132:135], v130 offset:784
	s_waitcnt vmcnt(0) lgkmcnt(0)
	v_fmac_f64_e32 v[128:129], v[136:137], v[132:133]
	buffer_load_dword v133, off, s[0:3], 0 offset:300
	buffer_load_dword v132, off, s[0:3], 0 offset:296
	buffer_load_dword v137, off, s[0:3], 0 offset:308
	buffer_load_dword v136, off, s[0:3], 0 offset:304
	s_waitcnt vmcnt(2)
	v_fmac_f64_e32 v[128:129], v[132:133], v[134:135]
	ds_read_b128 v[132:135], v130 offset:800
	s_waitcnt vmcnt(0) lgkmcnt(0)
	v_fmac_f64_e32 v[128:129], v[136:137], v[132:133]
	buffer_load_dword v133, off, s[0:3], 0 offset:316
	buffer_load_dword v132, off, s[0:3], 0 offset:312
	buffer_load_dword v137, off, s[0:3], 0 offset:324
	buffer_load_dword v136, off, s[0:3], 0 offset:320
	s_waitcnt vmcnt(2)
	v_fmac_f64_e32 v[128:129], v[132:133], v[134:135]
	ds_read_b128 v[132:135], v130 offset:816
	s_waitcnt vmcnt(0) lgkmcnt(0)
	v_fmac_f64_e32 v[128:129], v[136:137], v[132:133]
	buffer_load_dword v133, off, s[0:3], 0 offset:332
	buffer_load_dword v132, off, s[0:3], 0 offset:328
	buffer_load_dword v137, off, s[0:3], 0 offset:340
	buffer_load_dword v136, off, s[0:3], 0 offset:336
	s_waitcnt vmcnt(2)
	v_fmac_f64_e32 v[128:129], v[132:133], v[134:135]
	ds_read_b128 v[132:135], v130 offset:832
	s_waitcnt vmcnt(0) lgkmcnt(0)
	v_fmac_f64_e32 v[128:129], v[136:137], v[132:133]
	buffer_load_dword v133, off, s[0:3], 0 offset:348
	buffer_load_dword v132, off, s[0:3], 0 offset:344
	buffer_load_dword v137, off, s[0:3], 0 offset:356
	buffer_load_dword v136, off, s[0:3], 0 offset:352
	s_waitcnt vmcnt(2)
	v_fmac_f64_e32 v[128:129], v[132:133], v[134:135]
	ds_read_b128 v[132:135], v130 offset:848
	s_waitcnt vmcnt(0) lgkmcnt(0)
	v_fmac_f64_e32 v[128:129], v[136:137], v[132:133]
	buffer_load_dword v133, off, s[0:3], 0 offset:364
	buffer_load_dword v132, off, s[0:3], 0 offset:360
	buffer_load_dword v137, off, s[0:3], 0 offset:372
	buffer_load_dword v136, off, s[0:3], 0 offset:368
	s_waitcnt vmcnt(2)
	v_fmac_f64_e32 v[128:129], v[132:133], v[134:135]
	ds_read_b128 v[132:135], v130 offset:864
	s_waitcnt vmcnt(0) lgkmcnt(0)
	v_fmac_f64_e32 v[128:129], v[136:137], v[132:133]
	buffer_load_dword v133, off, s[0:3], 0 offset:380
	buffer_load_dword v132, off, s[0:3], 0 offset:376
	buffer_load_dword v137, off, s[0:3], 0 offset:388
	buffer_load_dword v136, off, s[0:3], 0 offset:384
	s_waitcnt vmcnt(2)
	v_fmac_f64_e32 v[128:129], v[132:133], v[134:135]
	ds_read_b128 v[132:135], v130 offset:880
	s_waitcnt vmcnt(0) lgkmcnt(0)
	v_fmac_f64_e32 v[128:129], v[136:137], v[132:133]
	buffer_load_dword v133, off, s[0:3], 0 offset:396
	buffer_load_dword v132, off, s[0:3], 0 offset:392
	buffer_load_dword v137, off, s[0:3], 0 offset:404
	buffer_load_dword v136, off, s[0:3], 0 offset:400
	s_waitcnt vmcnt(2)
	v_fmac_f64_e32 v[128:129], v[132:133], v[134:135]
	ds_read_b128 v[132:135], v130 offset:896
	s_waitcnt vmcnt(0) lgkmcnt(0)
	v_fmac_f64_e32 v[128:129], v[136:137], v[132:133]
	buffer_load_dword v133, off, s[0:3], 0 offset:412
	buffer_load_dword v132, off, s[0:3], 0 offset:408
	buffer_load_dword v137, off, s[0:3], 0 offset:420
	buffer_load_dword v136, off, s[0:3], 0 offset:416
	s_waitcnt vmcnt(2)
	v_fmac_f64_e32 v[128:129], v[132:133], v[134:135]
	ds_read_b128 v[132:135], v130 offset:912
	s_waitcnt vmcnt(0) lgkmcnt(0)
	v_fmac_f64_e32 v[128:129], v[136:137], v[132:133]
	buffer_load_dword v133, off, s[0:3], 0 offset:428
	buffer_load_dword v132, off, s[0:3], 0 offset:424
	buffer_load_dword v137, off, s[0:3], 0 offset:436
	buffer_load_dword v136, off, s[0:3], 0 offset:432
	s_waitcnt vmcnt(2)
	v_fmac_f64_e32 v[128:129], v[132:133], v[134:135]
	ds_read_b128 v[132:135], v130 offset:928
	s_waitcnt vmcnt(0) lgkmcnt(0)
	v_fmac_f64_e32 v[128:129], v[136:137], v[132:133]
	buffer_load_dword v133, off, s[0:3], 0 offset:444
	buffer_load_dword v132, off, s[0:3], 0 offset:440
	buffer_load_dword v137, off, s[0:3], 0 offset:452
	buffer_load_dword v136, off, s[0:3], 0 offset:448
	s_waitcnt vmcnt(2)
	v_fmac_f64_e32 v[128:129], v[132:133], v[134:135]
	ds_read_b128 v[132:135], v130 offset:944
	s_waitcnt vmcnt(0) lgkmcnt(0)
	v_fmac_f64_e32 v[128:129], v[136:137], v[132:133]
	buffer_load_dword v133, off, s[0:3], 0 offset:460
	buffer_load_dword v132, off, s[0:3], 0 offset:456
	buffer_load_dword v137, off, s[0:3], 0 offset:468
	buffer_load_dword v136, off, s[0:3], 0 offset:464
	s_waitcnt vmcnt(2)
	v_fmac_f64_e32 v[128:129], v[132:133], v[134:135]
	ds_read_b128 v[132:135], v130 offset:960
	s_waitcnt vmcnt(0) lgkmcnt(0)
	v_fmac_f64_e32 v[128:129], v[136:137], v[132:133]
	buffer_load_dword v133, off, s[0:3], 0 offset:476
	buffer_load_dword v132, off, s[0:3], 0 offset:472
	s_waitcnt vmcnt(0)
	v_fmac_f64_e32 v[128:129], v[132:133], v[134:135]
	buffer_load_dword v135, off, s[0:3], 0 offset:484
	buffer_load_dword v134, off, s[0:3], 0 offset:480
	ds_read_b128 v[130:133], v130 offset:976
	s_waitcnt vmcnt(0) lgkmcnt(0)
	v_fmac_f64_e32 v[128:129], v[134:135], v[130:131]
	buffer_load_dword v131, off, s[0:3], 0 offset:492
	buffer_load_dword v130, off, s[0:3], 0 offset:488
	s_waitcnt vmcnt(0)
	v_fmac_f64_e32 v[128:129], v[130:131], v[132:133]
	v_add_f64 v[126:127], v[126:127], -v[128:129]
	buffer_store_dword v127, off, s[0:3], 0 offset:60
	buffer_store_dword v126, off, s[0:3], 0 offset:56
	s_and_saveexec_b64 s[4:5], vcc
	s_cbranch_execz .LBB61_367
; %bb.366:
	buffer_load_dword v126, off, s[0:3], 0 offset:48
	buffer_load_dword v127, off, s[0:3], 0 offset:52
	v_mov_b32_e32 v128, 0
	buffer_store_dword v128, off, s[0:3], 0 offset:48
	buffer_store_dword v128, off, s[0:3], 0 offset:52
	s_waitcnt vmcnt(2)
	ds_write_b64 v1, v[126:127]
.LBB61_367:
	s_or_b64 exec, exec, s[4:5]
	s_waitcnt lgkmcnt(0)
	; wave barrier
	s_waitcnt lgkmcnt(0)
	buffer_load_dword v126, off, s[0:3], 0 offset:48
	buffer_load_dword v127, off, s[0:3], 0 offset:52
	;; [unrolled: 1-line block ×16, first 2 shown]
	v_mov_b32_e32 v130, 0
	ds_read2_b64 v[132:135], v130 offset0:69 offset1:70
	v_cmp_lt_u32_e32 vcc, 5, v0
	s_waitcnt vmcnt(12) lgkmcnt(0)
	v_fma_f64 v[128:129], v[128:129], v[132:133], 0
	s_waitcnt vmcnt(10)
	v_fmac_f64_e32 v[128:129], v[136:137], v[134:135]
	ds_read2_b64 v[132:135], v130 offset0:71 offset1:72
	s_waitcnt vmcnt(8) lgkmcnt(0)
	v_fmac_f64_e32 v[128:129], v[138:139], v[132:133]
	s_waitcnt vmcnt(6)
	v_fmac_f64_e32 v[128:129], v[140:141], v[134:135]
	ds_read2_b64 v[132:135], v130 offset0:73 offset1:74
	s_waitcnt vmcnt(4) lgkmcnt(0)
	v_fmac_f64_e32 v[128:129], v[142:143], v[132:133]
	s_waitcnt vmcnt(2)
	v_fmac_f64_e32 v[128:129], v[144:145], v[134:135]
	ds_read2_b64 v[132:135], v130 offset0:75 offset1:76
	s_waitcnt vmcnt(0) lgkmcnt(0)
	v_fmac_f64_e32 v[128:129], v[146:147], v[132:133]
	buffer_load_dword v133, off, s[0:3], 0 offset:116
	buffer_load_dword v132, off, s[0:3], 0 offset:112
	buffer_load_dword v137, off, s[0:3], 0 offset:124
	buffer_load_dword v136, off, s[0:3], 0 offset:120
	s_waitcnt vmcnt(2)
	v_fmac_f64_e32 v[128:129], v[132:133], v[134:135]
	ds_read2_b64 v[132:135], v130 offset0:77 offset1:78
	s_waitcnt vmcnt(0) lgkmcnt(0)
	v_fmac_f64_e32 v[128:129], v[136:137], v[132:133]
	buffer_load_dword v133, off, s[0:3], 0 offset:132
	buffer_load_dword v132, off, s[0:3], 0 offset:128
	buffer_load_dword v137, off, s[0:3], 0 offset:140
	buffer_load_dword v136, off, s[0:3], 0 offset:136
	s_waitcnt vmcnt(2)
	v_fmac_f64_e32 v[128:129], v[132:133], v[134:135]
	ds_read2_b64 v[132:135], v130 offset0:79 offset1:80
	s_waitcnt vmcnt(0) lgkmcnt(0)
	v_fmac_f64_e32 v[128:129], v[136:137], v[132:133]
	;; [unrolled: 9-line block ×23, first 2 shown]
	buffer_load_dword v133, off, s[0:3], 0 offset:484
	buffer_load_dword v132, off, s[0:3], 0 offset:480
	s_waitcnt vmcnt(0)
	v_fmac_f64_e32 v[128:129], v[132:133], v[134:135]
	buffer_load_dword v133, off, s[0:3], 0 offset:492
	buffer_load_dword v132, off, s[0:3], 0 offset:488
	ds_read_b64 v[134:135], v130 offset:984
	s_waitcnt vmcnt(0) lgkmcnt(0)
	v_fmac_f64_e32 v[128:129], v[132:133], v[134:135]
	v_add_f64 v[126:127], v[126:127], -v[128:129]
	buffer_store_dword v127, off, s[0:3], 0 offset:52
	buffer_store_dword v126, off, s[0:3], 0 offset:48
	s_and_saveexec_b64 s[4:5], vcc
	s_cbranch_execz .LBB61_369
; %bb.368:
	buffer_load_dword v126, off, s[0:3], 0 offset:40
	buffer_load_dword v127, off, s[0:3], 0 offset:44
	s_waitcnt vmcnt(0)
	ds_write_b64 v1, v[126:127]
	buffer_store_dword v130, off, s[0:3], 0 offset:40
	buffer_store_dword v130, off, s[0:3], 0 offset:44
.LBB61_369:
	s_or_b64 exec, exec, s[4:5]
	s_waitcnt lgkmcnt(0)
	; wave barrier
	s_waitcnt lgkmcnt(0)
	buffer_load_dword v126, off, s[0:3], 0 offset:40
	buffer_load_dword v127, off, s[0:3], 0 offset:44
	;; [unrolled: 1-line block ×16, first 2 shown]
	ds_read_b128 v[132:135], v130 offset:544
	v_cmp_lt_u32_e32 vcc, 4, v0
	s_waitcnt vmcnt(12) lgkmcnt(0)
	v_fma_f64 v[128:129], v[128:129], v[132:133], 0
	s_waitcnt vmcnt(10)
	v_fmac_f64_e32 v[128:129], v[136:137], v[134:135]
	ds_read_b128 v[132:135], v130 offset:560
	s_waitcnt vmcnt(8) lgkmcnt(0)
	v_fmac_f64_e32 v[128:129], v[138:139], v[132:133]
	s_waitcnt vmcnt(6)
	v_fmac_f64_e32 v[128:129], v[140:141], v[134:135]
	ds_read_b128 v[132:135], v130 offset:576
	s_waitcnt vmcnt(4) lgkmcnt(0)
	v_fmac_f64_e32 v[128:129], v[142:143], v[132:133]
	;; [unrolled: 5-line block ×3, first 2 shown]
	buffer_load_dword v133, off, s[0:3], 0 offset:108
	buffer_load_dword v132, off, s[0:3], 0 offset:104
	buffer_load_dword v137, off, s[0:3], 0 offset:116
	buffer_load_dword v136, off, s[0:3], 0 offset:112
	s_waitcnt vmcnt(2)
	v_fmac_f64_e32 v[128:129], v[132:133], v[134:135]
	ds_read_b128 v[132:135], v130 offset:608
	s_waitcnt vmcnt(0) lgkmcnt(0)
	v_fmac_f64_e32 v[128:129], v[136:137], v[132:133]
	buffer_load_dword v133, off, s[0:3], 0 offset:124
	buffer_load_dword v132, off, s[0:3], 0 offset:120
	buffer_load_dword v137, off, s[0:3], 0 offset:132
	buffer_load_dword v136, off, s[0:3], 0 offset:128
	s_waitcnt vmcnt(2)
	v_fmac_f64_e32 v[128:129], v[132:133], v[134:135]
	ds_read_b128 v[132:135], v130 offset:624
	s_waitcnt vmcnt(0) lgkmcnt(0)
	v_fmac_f64_e32 v[128:129], v[136:137], v[132:133]
	;; [unrolled: 9-line block ×23, first 2 shown]
	buffer_load_dword v133, off, s[0:3], 0 offset:476
	buffer_load_dword v132, off, s[0:3], 0 offset:472
	s_waitcnt vmcnt(0)
	v_fmac_f64_e32 v[128:129], v[132:133], v[134:135]
	buffer_load_dword v135, off, s[0:3], 0 offset:484
	buffer_load_dword v134, off, s[0:3], 0 offset:480
	ds_read_b128 v[130:133], v130 offset:976
	s_waitcnt vmcnt(0) lgkmcnt(0)
	v_fmac_f64_e32 v[128:129], v[134:135], v[130:131]
	buffer_load_dword v131, off, s[0:3], 0 offset:492
	buffer_load_dword v130, off, s[0:3], 0 offset:488
	s_waitcnt vmcnt(0)
	v_fmac_f64_e32 v[128:129], v[130:131], v[132:133]
	v_add_f64 v[126:127], v[126:127], -v[128:129]
	buffer_store_dword v127, off, s[0:3], 0 offset:44
	buffer_store_dword v126, off, s[0:3], 0 offset:40
	s_and_saveexec_b64 s[4:5], vcc
	s_cbranch_execz .LBB61_371
; %bb.370:
	buffer_load_dword v126, off, s[0:3], 0 offset:32
	buffer_load_dword v127, off, s[0:3], 0 offset:36
	v_mov_b32_e32 v128, 0
	buffer_store_dword v128, off, s[0:3], 0 offset:32
	buffer_store_dword v128, off, s[0:3], 0 offset:36
	s_waitcnt vmcnt(2)
	ds_write_b64 v1, v[126:127]
.LBB61_371:
	s_or_b64 exec, exec, s[4:5]
	s_waitcnt lgkmcnt(0)
	; wave barrier
	s_waitcnt lgkmcnt(0)
	buffer_load_dword v126, off, s[0:3], 0 offset:32
	buffer_load_dword v127, off, s[0:3], 0 offset:36
	;; [unrolled: 1-line block ×16, first 2 shown]
	v_mov_b32_e32 v130, 0
	ds_read2_b64 v[132:135], v130 offset0:67 offset1:68
	v_cmp_lt_u32_e32 vcc, 3, v0
	s_waitcnt vmcnt(12) lgkmcnt(0)
	v_fma_f64 v[128:129], v[128:129], v[132:133], 0
	s_waitcnt vmcnt(10)
	v_fmac_f64_e32 v[128:129], v[136:137], v[134:135]
	ds_read2_b64 v[132:135], v130 offset0:69 offset1:70
	s_waitcnt vmcnt(8) lgkmcnt(0)
	v_fmac_f64_e32 v[128:129], v[138:139], v[132:133]
	s_waitcnt vmcnt(6)
	v_fmac_f64_e32 v[128:129], v[140:141], v[134:135]
	ds_read2_b64 v[132:135], v130 offset0:71 offset1:72
	s_waitcnt vmcnt(4) lgkmcnt(0)
	v_fmac_f64_e32 v[128:129], v[142:143], v[132:133]
	;; [unrolled: 5-line block ×3, first 2 shown]
	buffer_load_dword v133, off, s[0:3], 0 offset:100
	buffer_load_dword v132, off, s[0:3], 0 offset:96
	buffer_load_dword v137, off, s[0:3], 0 offset:108
	buffer_load_dword v136, off, s[0:3], 0 offset:104
	s_waitcnt vmcnt(2)
	v_fmac_f64_e32 v[128:129], v[132:133], v[134:135]
	ds_read2_b64 v[132:135], v130 offset0:75 offset1:76
	s_waitcnt vmcnt(0) lgkmcnt(0)
	v_fmac_f64_e32 v[128:129], v[136:137], v[132:133]
	buffer_load_dword v133, off, s[0:3], 0 offset:116
	buffer_load_dword v132, off, s[0:3], 0 offset:112
	buffer_load_dword v137, off, s[0:3], 0 offset:124
	buffer_load_dword v136, off, s[0:3], 0 offset:120
	s_waitcnt vmcnt(2)
	v_fmac_f64_e32 v[128:129], v[132:133], v[134:135]
	ds_read2_b64 v[132:135], v130 offset0:77 offset1:78
	s_waitcnt vmcnt(0) lgkmcnt(0)
	v_fmac_f64_e32 v[128:129], v[136:137], v[132:133]
	;; [unrolled: 9-line block ×24, first 2 shown]
	buffer_load_dword v133, off, s[0:3], 0 offset:484
	buffer_load_dword v132, off, s[0:3], 0 offset:480
	s_waitcnt vmcnt(0)
	v_fmac_f64_e32 v[128:129], v[132:133], v[134:135]
	buffer_load_dword v133, off, s[0:3], 0 offset:492
	buffer_load_dword v132, off, s[0:3], 0 offset:488
	ds_read_b64 v[134:135], v130 offset:984
	s_waitcnt vmcnt(0) lgkmcnt(0)
	v_fmac_f64_e32 v[128:129], v[132:133], v[134:135]
	v_add_f64 v[126:127], v[126:127], -v[128:129]
	buffer_store_dword v127, off, s[0:3], 0 offset:36
	buffer_store_dword v126, off, s[0:3], 0 offset:32
	s_and_saveexec_b64 s[4:5], vcc
	s_cbranch_execz .LBB61_373
; %bb.372:
	buffer_load_dword v126, off, s[0:3], 0 offset:24
	buffer_load_dword v127, off, s[0:3], 0 offset:28
	s_waitcnt vmcnt(0)
	ds_write_b64 v1, v[126:127]
	buffer_store_dword v130, off, s[0:3], 0 offset:24
	buffer_store_dword v130, off, s[0:3], 0 offset:28
.LBB61_373:
	s_or_b64 exec, exec, s[4:5]
	s_waitcnt lgkmcnt(0)
	; wave barrier
	s_waitcnt lgkmcnt(0)
	buffer_load_dword v126, off, s[0:3], 0 offset:24
	buffer_load_dword v127, off, s[0:3], 0 offset:28
	;; [unrolled: 1-line block ×16, first 2 shown]
	ds_read_b128 v[132:135], v130 offset:528
	v_cmp_lt_u32_e32 vcc, 2, v0
	s_waitcnt vmcnt(12) lgkmcnt(0)
	v_fma_f64 v[128:129], v[128:129], v[132:133], 0
	s_waitcnt vmcnt(10)
	v_fmac_f64_e32 v[128:129], v[136:137], v[134:135]
	ds_read_b128 v[132:135], v130 offset:544
	s_waitcnt vmcnt(8) lgkmcnt(0)
	v_fmac_f64_e32 v[128:129], v[138:139], v[132:133]
	s_waitcnt vmcnt(6)
	v_fmac_f64_e32 v[128:129], v[140:141], v[134:135]
	ds_read_b128 v[132:135], v130 offset:560
	s_waitcnt vmcnt(4) lgkmcnt(0)
	v_fmac_f64_e32 v[128:129], v[142:143], v[132:133]
	;; [unrolled: 5-line block ×3, first 2 shown]
	buffer_load_dword v133, off, s[0:3], 0 offset:92
	buffer_load_dword v132, off, s[0:3], 0 offset:88
	buffer_load_dword v137, off, s[0:3], 0 offset:100
	buffer_load_dword v136, off, s[0:3], 0 offset:96
	s_waitcnt vmcnt(2)
	v_fmac_f64_e32 v[128:129], v[132:133], v[134:135]
	ds_read_b128 v[132:135], v130 offset:592
	s_waitcnt vmcnt(0) lgkmcnt(0)
	v_fmac_f64_e32 v[128:129], v[136:137], v[132:133]
	buffer_load_dword v133, off, s[0:3], 0 offset:108
	buffer_load_dword v132, off, s[0:3], 0 offset:104
	buffer_load_dword v137, off, s[0:3], 0 offset:116
	buffer_load_dword v136, off, s[0:3], 0 offset:112
	s_waitcnt vmcnt(2)
	v_fmac_f64_e32 v[128:129], v[132:133], v[134:135]
	ds_read_b128 v[132:135], v130 offset:608
	s_waitcnt vmcnt(0) lgkmcnt(0)
	v_fmac_f64_e32 v[128:129], v[136:137], v[132:133]
	;; [unrolled: 9-line block ×24, first 2 shown]
	buffer_load_dword v133, off, s[0:3], 0 offset:476
	buffer_load_dword v132, off, s[0:3], 0 offset:472
	s_waitcnt vmcnt(0)
	v_fmac_f64_e32 v[128:129], v[132:133], v[134:135]
	buffer_load_dword v135, off, s[0:3], 0 offset:484
	buffer_load_dword v134, off, s[0:3], 0 offset:480
	ds_read_b128 v[130:133], v130 offset:976
	s_waitcnt vmcnt(0) lgkmcnt(0)
	v_fmac_f64_e32 v[128:129], v[134:135], v[130:131]
	buffer_load_dword v131, off, s[0:3], 0 offset:492
	buffer_load_dword v130, off, s[0:3], 0 offset:488
	s_waitcnt vmcnt(0)
	v_fmac_f64_e32 v[128:129], v[130:131], v[132:133]
	v_add_f64 v[126:127], v[126:127], -v[128:129]
	buffer_store_dword v127, off, s[0:3], 0 offset:28
	buffer_store_dword v126, off, s[0:3], 0 offset:24
	s_and_saveexec_b64 s[4:5], vcc
	s_cbranch_execz .LBB61_375
; %bb.374:
	buffer_load_dword v126, off, s[0:3], 0 offset:16
	buffer_load_dword v127, off, s[0:3], 0 offset:20
	v_mov_b32_e32 v128, 0
	buffer_store_dword v128, off, s[0:3], 0 offset:16
	buffer_store_dword v128, off, s[0:3], 0 offset:20
	s_waitcnt vmcnt(2)
	ds_write_b64 v1, v[126:127]
.LBB61_375:
	s_or_b64 exec, exec, s[4:5]
	s_waitcnt lgkmcnt(0)
	; wave barrier
	s_waitcnt lgkmcnt(0)
	buffer_load_dword v126, off, s[0:3], 0 offset:16
	buffer_load_dword v127, off, s[0:3], 0 offset:20
	;; [unrolled: 1-line block ×16, first 2 shown]
	v_mov_b32_e32 v130, 0
	ds_read2_b64 v[132:135], v130 offset0:65 offset1:66
	v_cmp_lt_u32_e32 vcc, 1, v0
	s_waitcnt vmcnt(12) lgkmcnt(0)
	v_fma_f64 v[128:129], v[128:129], v[132:133], 0
	s_waitcnt vmcnt(10)
	v_fmac_f64_e32 v[128:129], v[136:137], v[134:135]
	ds_read2_b64 v[132:135], v130 offset0:67 offset1:68
	s_waitcnt vmcnt(8) lgkmcnt(0)
	v_fmac_f64_e32 v[128:129], v[138:139], v[132:133]
	s_waitcnt vmcnt(6)
	v_fmac_f64_e32 v[128:129], v[140:141], v[134:135]
	ds_read2_b64 v[132:135], v130 offset0:69 offset1:70
	s_waitcnt vmcnt(4) lgkmcnt(0)
	v_fmac_f64_e32 v[128:129], v[142:143], v[132:133]
	;; [unrolled: 5-line block ×3, first 2 shown]
	buffer_load_dword v133, off, s[0:3], 0 offset:84
	buffer_load_dword v132, off, s[0:3], 0 offset:80
	buffer_load_dword v137, off, s[0:3], 0 offset:92
	buffer_load_dword v136, off, s[0:3], 0 offset:88
	s_waitcnt vmcnt(2)
	v_fmac_f64_e32 v[128:129], v[132:133], v[134:135]
	ds_read2_b64 v[132:135], v130 offset0:73 offset1:74
	s_waitcnt vmcnt(0) lgkmcnt(0)
	v_fmac_f64_e32 v[128:129], v[136:137], v[132:133]
	buffer_load_dword v133, off, s[0:3], 0 offset:100
	buffer_load_dword v132, off, s[0:3], 0 offset:96
	buffer_load_dword v137, off, s[0:3], 0 offset:108
	buffer_load_dword v136, off, s[0:3], 0 offset:104
	s_waitcnt vmcnt(2)
	v_fmac_f64_e32 v[128:129], v[132:133], v[134:135]
	ds_read2_b64 v[132:135], v130 offset0:75 offset1:76
	s_waitcnt vmcnt(0) lgkmcnt(0)
	v_fmac_f64_e32 v[128:129], v[136:137], v[132:133]
	;; [unrolled: 9-line block ×25, first 2 shown]
	buffer_load_dword v133, off, s[0:3], 0 offset:484
	buffer_load_dword v132, off, s[0:3], 0 offset:480
	s_waitcnt vmcnt(0)
	v_fmac_f64_e32 v[128:129], v[132:133], v[134:135]
	buffer_load_dword v133, off, s[0:3], 0 offset:492
	buffer_load_dword v132, off, s[0:3], 0 offset:488
	ds_read_b64 v[134:135], v130 offset:984
	s_waitcnt vmcnt(0) lgkmcnt(0)
	v_fmac_f64_e32 v[128:129], v[132:133], v[134:135]
	v_add_f64 v[126:127], v[126:127], -v[128:129]
	buffer_store_dword v127, off, s[0:3], 0 offset:20
	buffer_store_dword v126, off, s[0:3], 0 offset:16
	s_and_saveexec_b64 s[4:5], vcc
	s_cbranch_execz .LBB61_377
; %bb.376:
	buffer_load_dword v126, off, s[0:3], 0 offset:8
	buffer_load_dword v127, off, s[0:3], 0 offset:12
	s_waitcnt vmcnt(0)
	ds_write_b64 v1, v[126:127]
	buffer_store_dword v130, off, s[0:3], 0 offset:8
	buffer_store_dword v130, off, s[0:3], 0 offset:12
.LBB61_377:
	s_or_b64 exec, exec, s[4:5]
	s_waitcnt lgkmcnt(0)
	; wave barrier
	s_waitcnt lgkmcnt(0)
	buffer_load_dword v126, off, s[0:3], 0 offset:8
	buffer_load_dword v127, off, s[0:3], 0 offset:12
	;; [unrolled: 1-line block ×16, first 2 shown]
	ds_read_b128 v[132:135], v130 offset:512
	v_cmp_ne_u32_e32 vcc, 0, v0
	s_waitcnt vmcnt(12) lgkmcnt(0)
	v_fma_f64 v[128:129], v[128:129], v[132:133], 0
	s_waitcnt vmcnt(10)
	v_fmac_f64_e32 v[128:129], v[136:137], v[134:135]
	ds_read_b128 v[132:135], v130 offset:528
	s_waitcnt vmcnt(8) lgkmcnt(0)
	v_fmac_f64_e32 v[128:129], v[138:139], v[132:133]
	s_waitcnt vmcnt(6)
	v_fmac_f64_e32 v[128:129], v[140:141], v[134:135]
	ds_read_b128 v[132:135], v130 offset:544
	s_waitcnt vmcnt(4) lgkmcnt(0)
	v_fmac_f64_e32 v[128:129], v[142:143], v[132:133]
	;; [unrolled: 5-line block ×3, first 2 shown]
	buffer_load_dword v133, off, s[0:3], 0 offset:76
	buffer_load_dword v132, off, s[0:3], 0 offset:72
	buffer_load_dword v137, off, s[0:3], 0 offset:84
	buffer_load_dword v136, off, s[0:3], 0 offset:80
	s_waitcnt vmcnt(2)
	v_fmac_f64_e32 v[128:129], v[132:133], v[134:135]
	ds_read_b128 v[132:135], v130 offset:576
	s_waitcnt vmcnt(0) lgkmcnt(0)
	v_fmac_f64_e32 v[128:129], v[136:137], v[132:133]
	buffer_load_dword v133, off, s[0:3], 0 offset:92
	buffer_load_dword v132, off, s[0:3], 0 offset:88
	buffer_load_dword v137, off, s[0:3], 0 offset:100
	buffer_load_dword v136, off, s[0:3], 0 offset:96
	s_waitcnt vmcnt(2)
	v_fmac_f64_e32 v[128:129], v[132:133], v[134:135]
	ds_read_b128 v[132:135], v130 offset:592
	s_waitcnt vmcnt(0) lgkmcnt(0)
	v_fmac_f64_e32 v[128:129], v[136:137], v[132:133]
	;; [unrolled: 9-line block ×25, first 2 shown]
	buffer_load_dword v133, off, s[0:3], 0 offset:476
	buffer_load_dword v132, off, s[0:3], 0 offset:472
	s_waitcnt vmcnt(0)
	v_fmac_f64_e32 v[128:129], v[132:133], v[134:135]
	buffer_load_dword v135, off, s[0:3], 0 offset:484
	buffer_load_dword v134, off, s[0:3], 0 offset:480
	ds_read_b128 v[130:133], v130 offset:976
	s_waitcnt vmcnt(0) lgkmcnt(0)
	v_fmac_f64_e32 v[128:129], v[134:135], v[130:131]
	buffer_load_dword v131, off, s[0:3], 0 offset:492
	buffer_load_dword v130, off, s[0:3], 0 offset:488
	s_waitcnt vmcnt(0)
	v_fmac_f64_e32 v[128:129], v[130:131], v[132:133]
	v_add_f64 v[126:127], v[126:127], -v[128:129]
	buffer_store_dword v127, off, s[0:3], 0 offset:12
	buffer_store_dword v126, off, s[0:3], 0 offset:8
	s_and_saveexec_b64 s[4:5], vcc
	s_cbranch_execz .LBB61_379
; %bb.378:
	buffer_load_dword v126, off, s[0:3], 0
	buffer_load_dword v127, off, s[0:3], 0 offset:4
	v_mov_b32_e32 v0, 0
	buffer_store_dword v0, off, s[0:3], 0
	buffer_store_dword v0, off, s[0:3], 0 offset:4
	s_waitcnt vmcnt(2)
	ds_write_b64 v1, v[126:127]
.LBB61_379:
	s_or_b64 exec, exec, s[4:5]
	s_waitcnt lgkmcnt(0)
	; wave barrier
	s_waitcnt lgkmcnt(0)
	buffer_load_dword v0, off, s[0:3], 0
	buffer_load_dword v1, off, s[0:3], 0 offset:4
	buffer_load_dword v132, off, s[0:3], 0 offset:8
	;; [unrolled: 1-line block ×15, first 2 shown]
	v_mov_b32_e32 v130, 0
	ds_read2_b64 v[126:129], v130 offset0:63 offset1:64
	s_and_b64 vcc, exec, s[20:21]
	s_waitcnt vmcnt(12) lgkmcnt(0)
	v_fma_f64 v[126:127], v[132:133], v[126:127], 0
	s_waitcnt vmcnt(10)
	v_fmac_f64_e32 v[126:127], v[134:135], v[128:129]
	ds_read2_b64 v[132:135], v130 offset0:65 offset1:66
	s_waitcnt vmcnt(8) lgkmcnt(0)
	v_fmac_f64_e32 v[126:127], v[136:137], v[132:133]
	s_waitcnt vmcnt(6)
	v_fmac_f64_e32 v[126:127], v[138:139], v[134:135]
	ds_read2_b64 v[132:135], v130 offset0:67 offset1:68
	s_waitcnt vmcnt(4) lgkmcnt(0)
	v_fmac_f64_e32 v[126:127], v[140:141], v[132:133]
	s_waitcnt vmcnt(2)
	v_fmac_f64_e32 v[126:127], v[142:143], v[134:135]
	ds_read2_b64 v[132:135], v130 offset0:69 offset1:70
	buffer_load_dword v129, off, s[0:3], 0 offset:68
	buffer_load_dword v128, off, s[0:3], 0 offset:64
	s_waitcnt vmcnt(2) lgkmcnt(0)
	v_fmac_f64_e32 v[126:127], v[144:145], v[132:133]
	s_waitcnt vmcnt(0)
	v_fmac_f64_e32 v[126:127], v[128:129], v[134:135]
	buffer_load_dword v129, off, s[0:3], 0 offset:76
	buffer_load_dword v128, off, s[0:3], 0 offset:72
	ds_read2_b64 v[132:135], v130 offset0:71 offset1:72
	s_waitcnt vmcnt(0) lgkmcnt(0)
	v_fmac_f64_e32 v[126:127], v[128:129], v[132:133]
	buffer_load_dword v129, off, s[0:3], 0 offset:84
	buffer_load_dword v128, off, s[0:3], 0 offset:80
	s_waitcnt vmcnt(0)
	v_fmac_f64_e32 v[126:127], v[128:129], v[134:135]
	buffer_load_dword v129, off, s[0:3], 0 offset:92
	buffer_load_dword v128, off, s[0:3], 0 offset:88
	ds_read2_b64 v[132:135], v130 offset0:73 offset1:74
	s_waitcnt vmcnt(0) lgkmcnt(0)
	v_fmac_f64_e32 v[126:127], v[128:129], v[132:133]
	buffer_load_dword v129, off, s[0:3], 0 offset:100
	buffer_load_dword v128, off, s[0:3], 0 offset:96
	;; [unrolled: 9-line block ×26, first 2 shown]
	buffer_load_dword v133, off, s[0:3], 0 offset:492
	buffer_load_dword v132, off, s[0:3], 0 offset:488
	ds_read_b64 v[130:131], v130 offset:984
	s_waitcnt vmcnt(2)
	v_fmac_f64_e32 v[126:127], v[128:129], v[134:135]
	s_waitcnt vmcnt(0) lgkmcnt(0)
	v_fmac_f64_e32 v[126:127], v[132:133], v[130:131]
	v_add_f64 v[0:1], v[0:1], -v[126:127]
	buffer_store_dword v1, off, s[0:3], 0 offset:4
	buffer_store_dword v0, off, s[0:3], 0
	s_cbranch_vccz .LBB61_503
; %bb.380:
	v_pk_mov_b32 v[0:1], s[10:11], s[10:11] op_sel:[0,1]
	flat_load_dword v0, v[0:1] offset:240
	s_waitcnt vmcnt(0) lgkmcnt(0)
	v_add_u32_e32 v0, -1, v0
	v_cmp_ne_u32_e32 vcc, 60, v0
	s_and_saveexec_b64 s[4:5], vcc
	s_cbranch_execz .LBB61_382
; %bb.381:
	v_mov_b32_e32 v1, 0
	v_lshl_add_u32 v0, v0, 3, v1
	buffer_load_dword v1, v0, s[0:3], 0 offen offset:4
	buffer_load_dword v126, v0, s[0:3], 0 offen
	s_waitcnt vmcnt(1)
	buffer_store_dword v1, off, s[0:3], 0 offset:484
	s_waitcnt vmcnt(1)
	buffer_store_dword v126, off, s[0:3], 0 offset:480
	buffer_store_dword v129, v0, s[0:3], 0 offen offset:4
	buffer_store_dword v128, v0, s[0:3], 0 offen
.LBB61_382:
	s_or_b64 exec, exec, s[4:5]
	v_pk_mov_b32 v[0:1], s[10:11], s[10:11] op_sel:[0,1]
	flat_load_dword v0, v[0:1] offset:236
	s_waitcnt vmcnt(0) lgkmcnt(0)
	v_add_u32_e32 v0, -1, v0
	v_cmp_ne_u32_e32 vcc, 59, v0
	s_and_saveexec_b64 s[4:5], vcc
	s_cbranch_execz .LBB61_384
; %bb.383:
	v_mov_b32_e32 v1, 0
	v_lshl_add_u32 v0, v0, 3, v1
	buffer_load_dword v1, v0, s[0:3], 0 offen
	buffer_load_dword v126, v0, s[0:3], 0 offen offset:4
	buffer_load_dword v127, off, s[0:3], 0 offset:472
	buffer_load_dword v128, off, s[0:3], 0 offset:476
	s_waitcnt vmcnt(3)
	buffer_store_dword v1, off, s[0:3], 0 offset:472
	s_waitcnt vmcnt(3)
	buffer_store_dword v126, off, s[0:3], 0 offset:476
	s_waitcnt vmcnt(3)
	buffer_store_dword v127, v0, s[0:3], 0 offen
	s_waitcnt vmcnt(3)
	buffer_store_dword v128, v0, s[0:3], 0 offen offset:4
.LBB61_384:
	s_or_b64 exec, exec, s[4:5]
	v_pk_mov_b32 v[0:1], s[10:11], s[10:11] op_sel:[0,1]
	flat_load_dword v0, v[0:1] offset:232
	s_waitcnt vmcnt(0) lgkmcnt(0)
	v_add_u32_e32 v0, -1, v0
	v_cmp_ne_u32_e32 vcc, 58, v0
	s_and_saveexec_b64 s[4:5], vcc
	s_cbranch_execz .LBB61_386
; %bb.385:
	v_mov_b32_e32 v1, 0
	v_lshl_add_u32 v0, v0, 3, v1
	buffer_load_dword v1, v0, s[0:3], 0 offen
	buffer_load_dword v126, v0, s[0:3], 0 offen offset:4
	buffer_load_dword v127, off, s[0:3], 0 offset:468
	buffer_load_dword v128, off, s[0:3], 0 offset:464
	s_waitcnt vmcnt(3)
	buffer_store_dword v1, off, s[0:3], 0 offset:464
	s_waitcnt vmcnt(3)
	buffer_store_dword v126, off, s[0:3], 0 offset:468
	s_waitcnt vmcnt(3)
	buffer_store_dword v127, v0, s[0:3], 0 offen offset:4
	s_waitcnt vmcnt(3)
	buffer_store_dword v128, v0, s[0:3], 0 offen
.LBB61_386:
	s_or_b64 exec, exec, s[4:5]
	v_pk_mov_b32 v[0:1], s[10:11], s[10:11] op_sel:[0,1]
	flat_load_dword v0, v[0:1] offset:228
	s_waitcnt vmcnt(0) lgkmcnt(0)
	v_add_u32_e32 v0, -1, v0
	v_cmp_ne_u32_e32 vcc, 57, v0
	s_and_saveexec_b64 s[4:5], vcc
	s_cbranch_execz .LBB61_388
; %bb.387:
	v_mov_b32_e32 v1, 0
	v_lshl_add_u32 v0, v0, 3, v1
	buffer_load_dword v1, v0, s[0:3], 0 offen
	buffer_load_dword v126, v0, s[0:3], 0 offen offset:4
	buffer_load_dword v127, off, s[0:3], 0 offset:456
	buffer_load_dword v128, off, s[0:3], 0 offset:460
	s_waitcnt vmcnt(3)
	buffer_store_dword v1, off, s[0:3], 0 offset:456
	s_waitcnt vmcnt(3)
	buffer_store_dword v126, off, s[0:3], 0 offset:460
	s_waitcnt vmcnt(3)
	buffer_store_dword v127, v0, s[0:3], 0 offen
	s_waitcnt vmcnt(3)
	buffer_store_dword v128, v0, s[0:3], 0 offen offset:4
.LBB61_388:
	s_or_b64 exec, exec, s[4:5]
	v_pk_mov_b32 v[0:1], s[10:11], s[10:11] op_sel:[0,1]
	flat_load_dword v0, v[0:1] offset:224
	s_waitcnt vmcnt(0) lgkmcnt(0)
	v_add_u32_e32 v0, -1, v0
	v_cmp_ne_u32_e32 vcc, 56, v0
	s_and_saveexec_b64 s[4:5], vcc
	s_cbranch_execz .LBB61_390
; %bb.389:
	v_mov_b32_e32 v1, 0
	v_lshl_add_u32 v0, v0, 3, v1
	buffer_load_dword v1, v0, s[0:3], 0 offen
	buffer_load_dword v126, v0, s[0:3], 0 offen offset:4
	buffer_load_dword v127, off, s[0:3], 0 offset:452
	buffer_load_dword v128, off, s[0:3], 0 offset:448
	s_waitcnt vmcnt(3)
	buffer_store_dword v1, off, s[0:3], 0 offset:448
	s_waitcnt vmcnt(3)
	buffer_store_dword v126, off, s[0:3], 0 offset:452
	s_waitcnt vmcnt(3)
	buffer_store_dword v127, v0, s[0:3], 0 offen offset:4
	s_waitcnt vmcnt(3)
	buffer_store_dword v128, v0, s[0:3], 0 offen
.LBB61_390:
	;; [unrolled: 48-line block ×29, first 2 shown]
	s_or_b64 exec, exec, s[4:5]
	v_pk_mov_b32 v[0:1], s[10:11], s[10:11] op_sel:[0,1]
	flat_load_dword v0, v[0:1] offset:4
	s_waitcnt vmcnt(0) lgkmcnt(0)
	v_add_u32_e32 v0, -1, v0
	v_cmp_ne_u32_e32 vcc, 1, v0
	s_and_saveexec_b64 s[4:5], vcc
	s_cbranch_execz .LBB61_500
; %bb.499:
	v_mov_b32_e32 v1, 0
	v_lshl_add_u32 v0, v0, 3, v1
	buffer_load_dword v1, v0, s[0:3], 0 offen
	buffer_load_dword v126, v0, s[0:3], 0 offen offset:4
	buffer_load_dword v127, off, s[0:3], 0 offset:8
	buffer_load_dword v128, off, s[0:3], 0 offset:12
	s_waitcnt vmcnt(3)
	buffer_store_dword v1, off, s[0:3], 0 offset:8
	s_waitcnt vmcnt(3)
	buffer_store_dword v126, off, s[0:3], 0 offset:12
	s_waitcnt vmcnt(3)
	buffer_store_dword v127, v0, s[0:3], 0 offen
	s_waitcnt vmcnt(3)
	buffer_store_dword v128, v0, s[0:3], 0 offen offset:4
.LBB61_500:
	s_or_b64 exec, exec, s[4:5]
	v_pk_mov_b32 v[0:1], s[10:11], s[10:11] op_sel:[0,1]
	flat_load_dword v126, v[0:1]
	s_nop 0
	buffer_load_dword v0, off, s[0:3], 0
	buffer_load_dword v1, off, s[0:3], 0 offset:4
	s_waitcnt vmcnt(0) lgkmcnt(0)
	v_add_u32_e32 v126, -1, v126
	v_cmp_ne_u32_e32 vcc, 0, v126
	s_and_saveexec_b64 s[4:5], vcc
	s_cbranch_execz .LBB61_502
; %bb.501:
	v_mov_b32_e32 v127, 0
	v_lshl_add_u32 v126, v126, 3, v127
	buffer_load_dword v127, v126, s[0:3], 0 offen offset:4
	buffer_load_dword v128, v126, s[0:3], 0 offen
	s_waitcnt vmcnt(1)
	buffer_store_dword v127, off, s[0:3], 0 offset:4
	s_waitcnt vmcnt(1)
	buffer_store_dword v128, off, s[0:3], 0
	buffer_store_dword v1, v126, s[0:3], 0 offen offset:4
	buffer_store_dword v0, v126, s[0:3], 0 offen
	buffer_load_dword v0, off, s[0:3], 0
	s_nop 0
	buffer_load_dword v1, off, s[0:3], 0 offset:4
.LBB61_502:
	s_or_b64 exec, exec, s[4:5]
.LBB61_503:
	s_waitcnt vmcnt(0)
	global_store_dwordx2 v[4:5], v[0:1], off
	buffer_load_dword v0, off, s[0:3], 0 offset:8
	s_nop 0
	buffer_load_dword v1, off, s[0:3], 0 offset:12
	buffer_load_dword v4, off, s[0:3], 0 offset:16
	;; [unrolled: 1-line block ×15, first 2 shown]
	s_waitcnt vmcnt(14)
	global_store_dwordx2 v[2:3], v[0:1], off
	s_waitcnt vmcnt(13)
	global_store_dwordx2 v[8:9], v[4:5], off
	;; [unrolled: 2-line block ×8, first 2 shown]
	buffer_load_dword v0, off, s[0:3], 0 offset:72
	buffer_load_dword v1, off, s[0:3], 0 offset:76
	s_waitcnt vmcnt(0)
	global_store_dwordx2 v[32:33], v[0:1], off
	buffer_load_dword v0, off, s[0:3], 0 offset:80
	s_nop 0
	buffer_load_dword v1, off, s[0:3], 0 offset:84
	s_waitcnt vmcnt(0)
	global_store_dwordx2 v[26:27], v[0:1], off
	buffer_load_dword v0, off, s[0:3], 0 offset:88
	s_nop 0
	;; [unrolled: 5-line block ×52, first 2 shown]
	buffer_load_dword v1, off, s[0:3], 0 offset:492
	s_waitcnt vmcnt(0)
	global_store_dwordx2 v[6:7], v[0:1], off
	s_endpgm
	.section	.rodata,"a",@progbits
	.p2align	6, 0x0
	.amdhsa_kernel _ZN9rocsolver6v33100L18getri_kernel_smallILi62EdPdEEvT1_iilPiilS4_bb
		.amdhsa_group_segment_fixed_size 1000
		.amdhsa_private_segment_fixed_size 512
		.amdhsa_kernarg_size 60
		.amdhsa_user_sgpr_count 8
		.amdhsa_user_sgpr_private_segment_buffer 1
		.amdhsa_user_sgpr_dispatch_ptr 0
		.amdhsa_user_sgpr_queue_ptr 0
		.amdhsa_user_sgpr_kernarg_segment_ptr 1
		.amdhsa_user_sgpr_dispatch_id 0
		.amdhsa_user_sgpr_flat_scratch_init 1
		.amdhsa_user_sgpr_kernarg_preload_length 0
		.amdhsa_user_sgpr_kernarg_preload_offset 0
		.amdhsa_user_sgpr_private_segment_size 0
		.amdhsa_uses_dynamic_stack 0
		.amdhsa_system_sgpr_private_segment_wavefront_offset 1
		.amdhsa_system_sgpr_workgroup_id_x 1
		.amdhsa_system_sgpr_workgroup_id_y 0
		.amdhsa_system_sgpr_workgroup_id_z 0
		.amdhsa_system_sgpr_workgroup_info 0
		.amdhsa_system_vgpr_workitem_id 0
		.amdhsa_next_free_vgpr 168
		.amdhsa_next_free_sgpr 23
		.amdhsa_accum_offset 168
		.amdhsa_reserve_vcc 1
		.amdhsa_reserve_flat_scratch 1
		.amdhsa_float_round_mode_32 0
		.amdhsa_float_round_mode_16_64 0
		.amdhsa_float_denorm_mode_32 3
		.amdhsa_float_denorm_mode_16_64 3
		.amdhsa_dx10_clamp 1
		.amdhsa_ieee_mode 1
		.amdhsa_fp16_overflow 0
		.amdhsa_tg_split 0
		.amdhsa_exception_fp_ieee_invalid_op 0
		.amdhsa_exception_fp_denorm_src 0
		.amdhsa_exception_fp_ieee_div_zero 0
		.amdhsa_exception_fp_ieee_overflow 0
		.amdhsa_exception_fp_ieee_underflow 0
		.amdhsa_exception_fp_ieee_inexact 0
		.amdhsa_exception_int_div_zero 0
	.end_amdhsa_kernel
	.section	.text._ZN9rocsolver6v33100L18getri_kernel_smallILi62EdPdEEvT1_iilPiilS4_bb,"axG",@progbits,_ZN9rocsolver6v33100L18getri_kernel_smallILi62EdPdEEvT1_iilPiilS4_bb,comdat
.Lfunc_end61:
	.size	_ZN9rocsolver6v33100L18getri_kernel_smallILi62EdPdEEvT1_iilPiilS4_bb, .Lfunc_end61-_ZN9rocsolver6v33100L18getri_kernel_smallILi62EdPdEEvT1_iilPiilS4_bb
                                        ; -- End function
	.section	.AMDGPU.csdata,"",@progbits
; Kernel info:
; codeLenInByte = 85584
; NumSgprs: 29
; NumVgprs: 168
; NumAgprs: 0
; TotalNumVgprs: 168
; ScratchSize: 512
; MemoryBound: 1
; FloatMode: 240
; IeeeMode: 1
; LDSByteSize: 1000 bytes/workgroup (compile time only)
; SGPRBlocks: 3
; VGPRBlocks: 20
; NumSGPRsForWavesPerEU: 29
; NumVGPRsForWavesPerEU: 168
; AccumOffset: 168
; Occupancy: 3
; WaveLimiterHint : 1
; COMPUTE_PGM_RSRC2:SCRATCH_EN: 1
; COMPUTE_PGM_RSRC2:USER_SGPR: 8
; COMPUTE_PGM_RSRC2:TRAP_HANDLER: 0
; COMPUTE_PGM_RSRC2:TGID_X_EN: 1
; COMPUTE_PGM_RSRC2:TGID_Y_EN: 0
; COMPUTE_PGM_RSRC2:TGID_Z_EN: 0
; COMPUTE_PGM_RSRC2:TIDIG_COMP_CNT: 0
; COMPUTE_PGM_RSRC3_GFX90A:ACCUM_OFFSET: 41
; COMPUTE_PGM_RSRC3_GFX90A:TG_SPLIT: 0
	.section	.text._ZN9rocsolver6v33100L18getri_kernel_smallILi63EdPdEEvT1_iilPiilS4_bb,"axG",@progbits,_ZN9rocsolver6v33100L18getri_kernel_smallILi63EdPdEEvT1_iilPiilS4_bb,comdat
	.globl	_ZN9rocsolver6v33100L18getri_kernel_smallILi63EdPdEEvT1_iilPiilS4_bb ; -- Begin function _ZN9rocsolver6v33100L18getri_kernel_smallILi63EdPdEEvT1_iilPiilS4_bb
	.p2align	8
	.type	_ZN9rocsolver6v33100L18getri_kernel_smallILi63EdPdEEvT1_iilPiilS4_bb,@function
_ZN9rocsolver6v33100L18getri_kernel_smallILi63EdPdEEvT1_iilPiilS4_bb: ; @_ZN9rocsolver6v33100L18getri_kernel_smallILi63EdPdEEvT1_iilPiilS4_bb
; %bb.0:
	s_add_u32 flat_scratch_lo, s6, s9
	s_addc_u32 flat_scratch_hi, s7, 0
	s_add_u32 s0, s0, s9
	s_addc_u32 s1, s1, 0
	v_cmp_gt_u32_e32 vcc, 63, v0
	s_and_saveexec_b64 s[6:7], vcc
	s_cbranch_execz .LBB62_260
; %bb.1:
	s_load_dword s22, s[4:5], 0x38
	s_load_dwordx4 s[16:19], s[4:5], 0x10
	s_load_dwordx4 s[12:15], s[4:5], 0x28
                                        ; implicit-def: $sgpr10_sgpr11
	s_waitcnt lgkmcnt(0)
	s_bitcmp1_b32 s22, 8
	s_cselect_b64 s[20:21], -1, 0
	s_ashr_i32 s9, s8, 31
	s_bfe_u32 s6, s22, 0x10008
	s_cmp_eq_u32 s6, 0
	s_cbranch_scc1 .LBB62_3
; %bb.2:
	s_load_dword s6, s[4:5], 0x20
	s_mul_i32 s7, s8, s13
	s_mul_hi_u32 s10, s8, s12
	s_mul_i32 s11, s9, s12
	s_add_i32 s10, s10, s7
	s_add_i32 s11, s10, s11
	s_mul_i32 s10, s8, s12
	s_waitcnt lgkmcnt(0)
	s_ashr_i32 s7, s6, 31
	s_lshl_b64 s[10:11], s[10:11], 2
	s_add_u32 s10, s18, s10
	s_addc_u32 s11, s19, s11
	s_lshl_b64 s[6:7], s[6:7], 2
	s_add_u32 s10, s10, s6
	s_addc_u32 s11, s11, s7
.LBB62_3:
	s_load_dwordx4 s[4:7], s[4:5], 0x0
	s_mul_i32 s12, s8, s17
	s_mul_hi_u32 s13, s8, s16
	s_add_i32 s17, s13, s12
	s_waitcnt lgkmcnt(0)
	s_ashr_i32 s13, s6, 31
	s_mov_b32 s12, s6
	s_mul_i32 s6, s9, s16
	s_add_i32 s17, s17, s6
	s_mul_i32 s16, s8, s16
	s_lshl_b64 s[16:17], s[16:17], 3
	s_add_u32 s6, s4, s16
	s_addc_u32 s16, s5, s17
	s_lshl_b64 s[4:5], s[12:13], 3
	s_add_u32 s4, s6, s4
	s_addc_u32 s5, s16, s5
	s_add_i32 s6, s7, s7
	v_add_u32_e32 v4, s6, v0
	v_ashrrev_i32_e32 v5, 31, v4
	v_lshlrev_b64 v[2:3], 3, v[4:5]
	v_add_u32_e32 v6, s7, v4
	v_mov_b32_e32 v1, s5
	v_add_co_u32_e32 v2, vcc, s4, v2
	v_ashrrev_i32_e32 v7, 31, v6
	v_addc_co_u32_e32 v3, vcc, v1, v3, vcc
	v_lshlrev_b64 v[4:5], 3, v[6:7]
	v_add_u32_e32 v8, s7, v6
	v_add_co_u32_e32 v4, vcc, s4, v4
	v_ashrrev_i32_e32 v9, 31, v8
	v_addc_co_u32_e32 v5, vcc, v1, v5, vcc
	v_lshlrev_b64 v[6:7], 3, v[8:9]
	v_add_u32_e32 v10, s7, v8
	;; [unrolled: 5-line block ×5, first 2 shown]
	v_add_co_u32_e32 v12, vcc, s4, v12
	v_ashrrev_i32_e32 v15, 31, v14
	v_addc_co_u32_e32 v13, vcc, v1, v13, vcc
	v_lshlrev_b64 v[16:17], 3, v[14:15]
	v_add_co_u32_e32 v18, vcc, s4, v16
	v_add_u32_e32 v16, s7, v14
	v_addc_co_u32_e32 v19, vcc, v1, v17, vcc
	v_ashrrev_i32_e32 v17, 31, v16
	v_lshlrev_b64 v[14:15], 3, v[16:17]
	v_add_u32_e32 v20, s7, v16
	v_add_co_u32_e32 v14, vcc, s4, v14
	v_ashrrev_i32_e32 v21, 31, v20
	v_addc_co_u32_e32 v15, vcc, v1, v15, vcc
	v_lshlrev_b64 v[16:17], 3, v[20:21]
	v_add_u32_e32 v22, s7, v20
	v_add_co_u32_e32 v16, vcc, s4, v16
	v_ashrrev_i32_e32 v23, 31, v22
	v_addc_co_u32_e32 v17, vcc, v1, v17, vcc
	;; [unrolled: 5-line block ×45, first 2 shown]
	v_lshlrev_b64 v[106:107], 3, v[108:109]
	v_add_co_u32_e32 v106, vcc, s4, v106
	v_add_u32_e32 v108, s7, v108
	v_addc_co_u32_e32 v107, vcc, v1, v107, vcc
	v_ashrrev_i32_e32 v109, 31, v108
	v_lshlrev_b32_e32 v1, 3, v0
	v_lshlrev_b64 v[110:111], 3, v[108:109]
	v_mov_b32_e32 v109, s5
	v_add_co_u32_e32 v126, vcc, s4, v1
	s_ashr_i32 s13, s7, 31
	s_mov_b32 s12, s7
	v_addc_co_u32_e32 v127, vcc, 0, v109, vcc
	s_lshl_b64 s[12:13], s[12:13], 3
	v_mov_b32_e32 v109, s13
	v_add_co_u32_e32 v124, vcc, s12, v126
	global_load_dwordx2 v[130:131], v1, s[4:5]
	global_load_dwordx2 v[134:135], v[2:3], off
	global_load_dwordx2 v[136:137], v[4:5], off
	;; [unrolled: 1-line block ×3, first 2 shown]
	v_addc_co_u32_e32 v125, vcc, v127, v109, vcc
	global_load_dwordx2 v[132:133], v[124:125], off
	global_load_dwordx2 v[140:141], v[8:9], off
	;; [unrolled: 1-line block ×8, first 2 shown]
	v_add_u32_e32 v108, s7, v108
	v_mov_b32_e32 v112, s5
	v_add_co_u32_e32 v110, vcc, s4, v110
	v_ashrrev_i32_e32 v109, 31, v108
	v_addc_co_u32_e32 v111, vcc, v112, v111, vcc
	v_lshlrev_b64 v[112:113], 3, v[108:109]
	v_add_u32_e32 v108, s7, v108
	v_mov_b32_e32 v114, s5
	v_add_co_u32_e32 v112, vcc, s4, v112
	v_ashrrev_i32_e32 v109, 31, v108
	v_addc_co_u32_e32 v113, vcc, v114, v113, vcc
	v_lshlrev_b64 v[114:115], 3, v[108:109]
	;; [unrolled: 6-line block ×6, first 2 shown]
	v_add_u32_e32 v108, s7, v108
	v_mov_b32_e32 v128, s5
	v_add_co_u32_e32 v122, vcc, s4, v122
	v_ashrrev_i32_e32 v109, 31, v108
	global_load_dwordx2 v[154:155], v[22:23], off
	global_load_dwordx2 v[156:157], v[24:25], off
	;; [unrolled: 1-line block ×4, first 2 shown]
	v_addc_co_u32_e32 v123, vcc, v128, v123, vcc
	v_lshlrev_b64 v[108:109], 3, v[108:109]
	v_add_co_u32_e32 v108, vcc, s4, v108
	v_addc_co_u32_e32 v109, vcc, v128, v109, vcc
	global_load_dwordx2 v[162:163], v[30:31], off
	global_load_dwordx2 v[128:129], v[108:109], off
	s_waitcnt vmcnt(17)
	buffer_store_dword v131, off, s[0:3], 0 offset:4
	buffer_store_dword v130, off, s[0:3], 0
	global_load_dwordx2 v[130:131], v[32:33], off
	s_waitcnt vmcnt(16)
	buffer_store_dword v133, off, s[0:3], 0 offset:12
	buffer_store_dword v132, off, s[0:3], 0 offset:8
	global_load_dwordx2 v[132:133], v[34:35], off
	s_nop 0
	buffer_store_dword v135, off, s[0:3], 0 offset:20
	buffer_store_dword v134, off, s[0:3], 0 offset:16
	global_load_dwordx2 v[134:135], v[36:37], off
	s_nop 0
	;; [unrolled: 4-line block ×3, first 2 shown]
	buffer_store_dword v139, off, s[0:3], 0 offset:36
	buffer_store_dword v138, off, s[0:3], 0 offset:32
	global_load_dwordx2 v[138:139], v[40:41], off
	s_waitcnt vmcnt(27)
	buffer_store_dword v141, off, s[0:3], 0 offset:44
	buffer_store_dword v140, off, s[0:3], 0 offset:40
	global_load_dwordx2 v[140:141], v[42:43], off
	s_waitcnt vmcnt(29)
	;; [unrolled: 4-line block ×6, first 2 shown]
	buffer_store_dword v150, off, s[0:3], 0 offset:80
	buffer_store_dword v151, off, s[0:3], 0 offset:84
	global_load_dwordx2 v[150:151], v[52:53], off
	s_nop 0
	buffer_store_dword v152, off, s[0:3], 0 offset:88
	buffer_store_dword v153, off, s[0:3], 0 offset:92
	s_waitcnt vmcnt(40)
	buffer_store_dword v154, off, s[0:3], 0 offset:96
	buffer_store_dword v155, off, s[0:3], 0 offset:100
	s_waitcnt vmcnt(41)
	;; [unrolled: 3-line block ×4, first 2 shown]
	buffer_store_dword v160, off, s[0:3], 0 offset:120
	buffer_store_dword v161, off, s[0:3], 0 offset:124
	global_load_dwordx2 v[152:153], v[54:55], off
	global_load_dwordx2 v[154:155], v[56:57], off
	;; [unrolled: 1-line block ×4, first 2 shown]
	s_nop 0
	global_load_dwordx2 v[160:161], v[64:65], off
	s_bitcmp0_b32 s22, 0
	s_waitcnt vmcnt(49)
	buffer_store_dword v162, off, s[0:3], 0 offset:128
	buffer_store_dword v163, off, s[0:3], 0 offset:132
	global_load_dwordx2 v[162:163], v[68:69], off
	s_mov_b64 s[6:7], -1
	s_waitcnt vmcnt(48)
	buffer_store_dword v130, off, s[0:3], 0 offset:136
	buffer_store_dword v131, off, s[0:3], 0 offset:140
	global_load_dwordx2 v[130:131], v[62:63], off
	s_waitcnt vmcnt(48)
	buffer_store_dword v132, off, s[0:3], 0 offset:144
	buffer_store_dword v133, off, s[0:3], 0 offset:148
	global_load_dwordx2 v[132:133], v[66:67], off
	;; [unrolled: 4-line block ×11, first 2 shown]
	s_waitcnt vmcnt(40)
	buffer_store_dword v152, off, s[0:3], 0 offset:224
	buffer_store_dword v153, off, s[0:3], 0 offset:228
	s_waitcnt vmcnt(41)
	buffer_store_dword v154, off, s[0:3], 0 offset:232
	buffer_store_dword v155, off, s[0:3], 0 offset:236
	;; [unrolled: 3-line block ×5, first 2 shown]
	buffer_store_dword v160, off, s[0:3], 0 offset:264
	buffer_store_dword v161, off, s[0:3], 0 offset:268
	s_waitcnt vmcnt(39)
	buffer_store_dword v132, off, s[0:3], 0 offset:272
	buffer_store_dword v133, off, s[0:3], 0 offset:276
	;; [unrolled: 1-line block ×4, first 2 shown]
	s_waitcnt vmcnt(40)
	buffer_store_dword v134, off, s[0:3], 0 offset:288
	buffer_store_dword v135, off, s[0:3], 0 offset:292
	global_load_dwordx2 v[130:131], v[88:89], off
	global_load_dwordx2 v[132:133], v[90:91], off
	s_nop 0
	global_load_dwordx2 v[134:135], v[92:93], off
	global_load_dwordx2 v[152:153], v[98:99], off
	;; [unrolled: 1-line block ×7, first 2 shown]
	s_waitcnt vmcnt(48)
	buffer_store_dword v137, off, s[0:3], 0 offset:300
	buffer_store_dword v136, off, s[0:3], 0 offset:296
	global_load_dwordx2 v[136:137], v[94:95], off
	s_waitcnt vmcnt(48)
	buffer_store_dword v139, off, s[0:3], 0 offset:308
	buffer_store_dword v138, off, s[0:3], 0 offset:304
	global_load_dwordx2 v[138:139], v[96:97], off
	;; [unrolled: 4-line block ×8, first 2 shown]
	s_waitcnt vmcnt(32)
	buffer_store_dword v130, off, s[0:3], 0 offset:360
	buffer_store_dword v131, off, s[0:3], 0 offset:364
	s_waitcnt vmcnt(33)
	buffer_store_dword v132, off, s[0:3], 0 offset:368
	buffer_store_dword v133, off, s[0:3], 0 offset:372
	;; [unrolled: 3-line block ×5, first 2 shown]
	buffer_store_dword v153, off, s[0:3], 0 offset:404
	buffer_store_dword v152, off, s[0:3], 0 offset:400
	s_waitcnt vmcnt(27)
	buffer_store_dword v140, off, s[0:3], 0 offset:408
	buffer_store_dword v141, off, s[0:3], 0 offset:412
	buffer_store_dword v154, off, s[0:3], 0 offset:416
	buffer_store_dword v155, off, s[0:3], 0 offset:420
	s_waitcnt vmcnt(28)
	buffer_store_dword v142, off, s[0:3], 0 offset:424
	buffer_store_dword v143, off, s[0:3], 0 offset:428
	buffer_store_dword v156, off, s[0:3], 0 offset:432
	buffer_store_dword v157, off, s[0:3], 0 offset:436
	s_waitcnt vmcnt(29)
	buffer_store_dword v145, off, s[0:3], 0 offset:444
	buffer_store_dword v144, off, s[0:3], 0 offset:440
	buffer_store_dword v159, off, s[0:3], 0 offset:452
	buffer_store_dword v158, off, s[0:3], 0 offset:448
	s_waitcnt vmcnt(30)
	buffer_store_dword v146, off, s[0:3], 0 offset:456
	buffer_store_dword v147, off, s[0:3], 0 offset:460
	buffer_store_dword v160, off, s[0:3], 0 offset:464
	buffer_store_dword v161, off, s[0:3], 0 offset:468
	s_waitcnt vmcnt(31)
	buffer_store_dword v148, off, s[0:3], 0 offset:472
	buffer_store_dword v149, off, s[0:3], 0 offset:476
	buffer_store_dword v162, off, s[0:3], 0 offset:480
	buffer_store_dword v163, off, s[0:3], 0 offset:484
	s_waitcnt vmcnt(32)
	buffer_store_dword v151, off, s[0:3], 0 offset:492
	buffer_store_dword v150, off, s[0:3], 0 offset:488
	buffer_store_dword v129, off, s[0:3], 0 offset:500
	buffer_store_dword v128, off, s[0:3], 0 offset:496
	s_cbranch_scc1 .LBB62_258
; %bb.4:
	v_cmp_eq_u32_e64 s[4:5], 0, v0
	s_and_saveexec_b64 s[6:7], s[4:5]
	s_cbranch_execz .LBB62_6
; %bb.5:
	v_mov_b32_e32 v128, 0
	ds_write_b32 v128, v128 offset:504
.LBB62_6:
	s_or_b64 exec, exec, s[6:7]
	v_mov_b32_e32 v128, 0
	v_lshl_add_u32 v128, v0, 3, v128
	s_waitcnt lgkmcnt(0)
	; wave barrier
	s_waitcnt lgkmcnt(0)
	buffer_load_dword v130, v128, s[0:3], 0 offen
	buffer_load_dword v131, v128, s[0:3], 0 offen offset:4
	s_waitcnt vmcnt(0)
	v_cmp_eq_f64_e32 vcc, 0, v[130:131]
	s_and_saveexec_b64 s[12:13], vcc
	s_cbranch_execz .LBB62_10
; %bb.7:
	v_mov_b32_e32 v129, 0
	ds_read_b32 v131, v129 offset:504
	v_add_u32_e32 v130, 1, v0
	s_waitcnt lgkmcnt(0)
	v_readfirstlane_b32 s6, v131
	s_cmp_eq_u32 s6, 0
	s_cselect_b64 s[16:17], -1, 0
	v_cmp_gt_i32_e32 vcc, s6, v130
	s_or_b64 s[16:17], s[16:17], vcc
	s_and_b64 exec, exec, s[16:17]
	s_cbranch_execz .LBB62_10
; %bb.8:
	s_mov_b64 s[16:17], 0
	v_mov_b32_e32 v131, s6
.LBB62_9:                               ; =>This Inner Loop Header: Depth=1
	ds_cmpst_rtn_b32 v131, v129, v131, v130 offset:504
	s_waitcnt lgkmcnt(0)
	v_cmp_ne_u32_e32 vcc, 0, v131
	v_cmp_le_i32_e64 s[6:7], v131, v130
	s_and_b64 s[6:7], vcc, s[6:7]
	s_and_b64 s[6:7], exec, s[6:7]
	s_or_b64 s[16:17], s[6:7], s[16:17]
	s_andn2_b64 exec, exec, s[16:17]
	s_cbranch_execnz .LBB62_9
.LBB62_10:
	s_or_b64 exec, exec, s[12:13]
	v_mov_b32_e32 v130, 0
	s_waitcnt lgkmcnt(0)
	; wave barrier
	ds_read_b32 v129, v130 offset:504
	s_and_saveexec_b64 s[6:7], s[4:5]
	s_cbranch_execz .LBB62_12
; %bb.11:
	s_lshl_b64 s[12:13], s[8:9], 2
	s_add_u32 s12, s14, s12
	s_addc_u32 s13, s15, s13
	s_waitcnt lgkmcnt(0)
	global_store_dword v130, v129, s[12:13]
.LBB62_12:
	s_or_b64 exec, exec, s[6:7]
	s_waitcnt lgkmcnt(0)
	v_cmp_ne_u32_e32 vcc, 0, v129
	s_mov_b64 s[6:7], 0
	s_cbranch_vccnz .LBB62_258
; %bb.13:
	buffer_load_dword v130, v128, s[0:3], 0 offen
	buffer_load_dword v131, v128, s[0:3], 0 offen offset:4
	s_waitcnt vmcnt(0)
	v_div_scale_f64 v[132:133], s[6:7], v[130:131], v[130:131], 1.0
	v_rcp_f64_e32 v[134:135], v[132:133]
	v_div_scale_f64 v[136:137], vcc, 1.0, v[130:131], 1.0
	v_fma_f64 v[138:139], -v[132:133], v[134:135], 1.0
	v_fmac_f64_e32 v[134:135], v[134:135], v[138:139]
	v_fma_f64 v[138:139], -v[132:133], v[134:135], 1.0
	v_fmac_f64_e32 v[134:135], v[134:135], v[138:139]
	v_mul_f64 v[138:139], v[136:137], v[134:135]
	v_fma_f64 v[132:133], -v[132:133], v[138:139], v[136:137]
	v_div_fmas_f64 v[132:133], v[132:133], v[134:135], v[138:139]
	v_div_fixup_f64 v[132:133], v[132:133], v[130:131], 1.0
	buffer_store_dword v133, v128, s[0:3], 0 offen offset:4
	buffer_store_dword v132, v128, s[0:3], 0 offen
	buffer_load_dword v135, off, s[0:3], 0 offset:12
	buffer_load_dword v134, off, s[0:3], 0 offset:8
	v_or_b32_e32 v130, 0x200, v1
	v_xor_b32_e32 v133, 0x80000000, v133
	s_waitcnt vmcnt(0)
	ds_write2st64_b64 v1, v[132:133], v[134:135] offset1:1
	s_waitcnt lgkmcnt(0)
	; wave barrier
	s_waitcnt lgkmcnt(0)
	s_and_saveexec_b64 s[6:7], s[4:5]
	s_cbranch_execz .LBB62_15
; %bb.14:
	buffer_load_dword v132, v128, s[0:3], 0 offen
	buffer_load_dword v133, v128, s[0:3], 0 offen offset:4
	v_mov_b32_e32 v129, 0
	ds_read_b64 v[134:135], v130
	ds_read_b64 v[136:137], v129 offset:8
	s_waitcnt vmcnt(0) lgkmcnt(1)
	v_fma_f64 v[132:133], v[132:133], v[134:135], 0
	s_waitcnt lgkmcnt(0)
	v_mul_f64 v[132:133], v[132:133], v[136:137]
	buffer_store_dword v132, off, s[0:3], 0 offset:8
	buffer_store_dword v133, off, s[0:3], 0 offset:12
.LBB62_15:
	s_or_b64 exec, exec, s[6:7]
	s_waitcnt lgkmcnt(0)
	; wave barrier
	buffer_load_dword v132, off, s[0:3], 0 offset:16
	buffer_load_dword v133, off, s[0:3], 0 offset:20
	v_cmp_gt_u32_e32 vcc, 2, v0
	s_waitcnt vmcnt(0)
	ds_write_b64 v130, v[132:133]
	s_waitcnt lgkmcnt(0)
	; wave barrier
	s_waitcnt lgkmcnt(0)
	s_and_saveexec_b64 s[6:7], vcc
	s_cbranch_execz .LBB62_17
; %bb.16:
	buffer_load_dword v129, v128, s[0:3], 0 offen offset:4
	buffer_load_dword v136, off, s[0:3], 0 offset:8
	s_nop 0
	buffer_load_dword v128, v128, s[0:3], 0 offen
	s_nop 0
	buffer_load_dword v137, off, s[0:3], 0 offset:12
	ds_read_b64 v[138:139], v130
	v_mov_b32_e32 v131, 0
	ds_read2_b64 v[132:135], v131 offset0:2 offset1:65
	s_waitcnt vmcnt(1) lgkmcnt(1)
	v_fma_f64 v[128:129], v[128:129], v[138:139], 0
	s_waitcnt vmcnt(0) lgkmcnt(0)
	v_fma_f64 v[134:135], v[136:137], v[134:135], v[128:129]
	v_cndmask_b32_e64 v129, v129, v135, s[4:5]
	v_cndmask_b32_e64 v128, v128, v134, s[4:5]
	v_mul_f64 v[128:129], v[128:129], v[132:133]
	buffer_store_dword v129, off, s[0:3], 0 offset:20
	buffer_store_dword v128, off, s[0:3], 0 offset:16
.LBB62_17:
	s_or_b64 exec, exec, s[6:7]
	s_waitcnt lgkmcnt(0)
	; wave barrier
	buffer_load_dword v128, off, s[0:3], 0 offset:24
	buffer_load_dword v129, off, s[0:3], 0 offset:28
	v_cmp_gt_u32_e32 vcc, 3, v0
	v_add_u32_e32 v131, -1, v0
	s_waitcnt vmcnt(0)
	ds_write_b64 v130, v[128:129]
	s_waitcnt lgkmcnt(0)
	; wave barrier
	s_waitcnt lgkmcnt(0)
	s_and_saveexec_b64 s[4:5], vcc
	s_cbranch_execz .LBB62_21
; %bb.18:
	v_add_u32_e32 v132, -1, v0
	v_or_b32_e32 v133, 0x200, v1
	v_add_u32_e32 v134, 0, v1
	s_mov_b64 s[6:7], 0
	v_pk_mov_b32 v[128:129], 0, 0
.LBB62_19:                              ; =>This Inner Loop Header: Depth=1
	buffer_load_dword v136, v134, s[0:3], 0 offen
	buffer_load_dword v137, v134, s[0:3], 0 offen offset:4
	ds_read_b64 v[138:139], v133
	v_add_u32_e32 v132, 1, v132
	v_cmp_lt_u32_e32 vcc, 1, v132
	v_add_u32_e32 v133, 8, v133
	v_add_u32_e32 v134, 8, v134
	s_or_b64 s[6:7], vcc, s[6:7]
	s_waitcnt vmcnt(0) lgkmcnt(0)
	v_fmac_f64_e32 v[128:129], v[136:137], v[138:139]
	s_andn2_b64 exec, exec, s[6:7]
	s_cbranch_execnz .LBB62_19
; %bb.20:
	s_or_b64 exec, exec, s[6:7]
	v_mov_b32_e32 v132, 0
	ds_read_b64 v[132:133], v132 offset:24
	s_waitcnt lgkmcnt(0)
	v_mul_f64 v[128:129], v[128:129], v[132:133]
	buffer_store_dword v129, off, s[0:3], 0 offset:28
	buffer_store_dword v128, off, s[0:3], 0 offset:24
.LBB62_21:
	s_or_b64 exec, exec, s[4:5]
	s_waitcnt lgkmcnt(0)
	; wave barrier
	buffer_load_dword v128, off, s[0:3], 0 offset:32
	buffer_load_dword v129, off, s[0:3], 0 offset:36
	v_cmp_gt_u32_e32 vcc, 4, v0
	s_waitcnt vmcnt(0)
	ds_write_b64 v130, v[128:129]
	s_waitcnt lgkmcnt(0)
	; wave barrier
	s_waitcnt lgkmcnt(0)
	s_and_saveexec_b64 s[4:5], vcc
	s_cbranch_execz .LBB62_25
; %bb.22:
	v_add_u32_e32 v132, -1, v0
	v_or_b32_e32 v133, 0x200, v1
	v_add_u32_e32 v134, 0, v1
	s_mov_b64 s[6:7], 0
	v_pk_mov_b32 v[128:129], 0, 0
.LBB62_23:                              ; =>This Inner Loop Header: Depth=1
	buffer_load_dword v136, v134, s[0:3], 0 offen
	buffer_load_dword v137, v134, s[0:3], 0 offen offset:4
	ds_read_b64 v[138:139], v133
	v_add_u32_e32 v132, 1, v132
	v_cmp_lt_u32_e32 vcc, 2, v132
	v_add_u32_e32 v133, 8, v133
	v_add_u32_e32 v134, 8, v134
	s_or_b64 s[6:7], vcc, s[6:7]
	s_waitcnt vmcnt(0) lgkmcnt(0)
	v_fmac_f64_e32 v[128:129], v[136:137], v[138:139]
	s_andn2_b64 exec, exec, s[6:7]
	s_cbranch_execnz .LBB62_23
; %bb.24:
	s_or_b64 exec, exec, s[6:7]
	v_mov_b32_e32 v132, 0
	ds_read_b64 v[132:133], v132 offset:32
	s_waitcnt lgkmcnt(0)
	v_mul_f64 v[128:129], v[128:129], v[132:133]
	buffer_store_dword v129, off, s[0:3], 0 offset:36
	buffer_store_dword v128, off, s[0:3], 0 offset:32
.LBB62_25:
	s_or_b64 exec, exec, s[4:5]
	s_waitcnt lgkmcnt(0)
	; wave barrier
	buffer_load_dword v128, off, s[0:3], 0 offset:40
	buffer_load_dword v129, off, s[0:3], 0 offset:44
	v_cmp_gt_u32_e32 vcc, 5, v0
	;; [unrolled: 41-line block ×21, first 2 shown]
	s_waitcnt vmcnt(0)
	ds_write_b64 v130, v[128:129]
	s_waitcnt lgkmcnt(0)
	; wave barrier
	s_waitcnt lgkmcnt(0)
	s_and_saveexec_b64 s[4:5], vcc
	s_cbranch_execz .LBB62_105
; %bb.102:
	v_add_u32_e32 v132, -1, v0
	v_or_b32_e32 v133, 0x200, v1
	v_add_u32_e32 v134, 0, v1
	s_mov_b64 s[6:7], 0
	v_pk_mov_b32 v[128:129], 0, 0
.LBB62_103:                             ; =>This Inner Loop Header: Depth=1
	buffer_load_dword v136, v134, s[0:3], 0 offen
	buffer_load_dword v137, v134, s[0:3], 0 offen offset:4
	ds_read_b64 v[138:139], v133
	v_add_u32_e32 v132, 1, v132
	v_cmp_lt_u32_e32 vcc, 22, v132
	v_add_u32_e32 v133, 8, v133
	v_add_u32_e32 v134, 8, v134
	s_or_b64 s[6:7], vcc, s[6:7]
	s_waitcnt vmcnt(0) lgkmcnt(0)
	v_fmac_f64_e32 v[128:129], v[136:137], v[138:139]
	s_andn2_b64 exec, exec, s[6:7]
	s_cbranch_execnz .LBB62_103
; %bb.104:
	s_or_b64 exec, exec, s[6:7]
	v_mov_b32_e32 v132, 0
	ds_read_b64 v[132:133], v132 offset:192
	s_waitcnt lgkmcnt(0)
	v_mul_f64 v[128:129], v[128:129], v[132:133]
	buffer_store_dword v129, off, s[0:3], 0 offset:196
	buffer_store_dword v128, off, s[0:3], 0 offset:192
.LBB62_105:
	s_or_b64 exec, exec, s[4:5]
	s_waitcnt lgkmcnt(0)
	; wave barrier
	buffer_load_dword v128, off, s[0:3], 0 offset:200
	buffer_load_dword v129, off, s[0:3], 0 offset:204
	v_cmp_gt_u32_e32 vcc, 25, v0
	s_waitcnt vmcnt(0)
	ds_write_b64 v130, v[128:129]
	s_waitcnt lgkmcnt(0)
	; wave barrier
	s_waitcnt lgkmcnt(0)
	s_and_saveexec_b64 s[4:5], vcc
	s_cbranch_execz .LBB62_109
; %bb.106:
	v_add_u32_e32 v132, -1, v0
	v_or_b32_e32 v133, 0x200, v1
	v_add_u32_e32 v134, 0, v1
	s_mov_b64 s[6:7], 0
	v_pk_mov_b32 v[128:129], 0, 0
.LBB62_107:                             ; =>This Inner Loop Header: Depth=1
	buffer_load_dword v136, v134, s[0:3], 0 offen
	buffer_load_dword v137, v134, s[0:3], 0 offen offset:4
	ds_read_b64 v[138:139], v133
	v_add_u32_e32 v132, 1, v132
	v_cmp_lt_u32_e32 vcc, 23, v132
	v_add_u32_e32 v133, 8, v133
	v_add_u32_e32 v134, 8, v134
	s_or_b64 s[6:7], vcc, s[6:7]
	s_waitcnt vmcnt(0) lgkmcnt(0)
	v_fmac_f64_e32 v[128:129], v[136:137], v[138:139]
	s_andn2_b64 exec, exec, s[6:7]
	s_cbranch_execnz .LBB62_107
; %bb.108:
	s_or_b64 exec, exec, s[6:7]
	v_mov_b32_e32 v132, 0
	ds_read_b64 v[132:133], v132 offset:200
	s_waitcnt lgkmcnt(0)
	v_mul_f64 v[128:129], v[128:129], v[132:133]
	buffer_store_dword v129, off, s[0:3], 0 offset:204
	buffer_store_dword v128, off, s[0:3], 0 offset:200
.LBB62_109:
	s_or_b64 exec, exec, s[4:5]
	s_waitcnt lgkmcnt(0)
	; wave barrier
	buffer_load_dword v128, off, s[0:3], 0 offset:208
	buffer_load_dword v129, off, s[0:3], 0 offset:212
	v_cmp_gt_u32_e32 vcc, 26, v0
	;; [unrolled: 41-line block ×37, first 2 shown]
	s_waitcnt vmcnt(0)
	ds_write_b64 v130, v[128:129]
	s_waitcnt lgkmcnt(0)
	; wave barrier
	s_waitcnt lgkmcnt(0)
	s_and_saveexec_b64 s[4:5], vcc
	s_cbranch_execz .LBB62_253
; %bb.250:
	v_add_u32_e32 v132, -1, v0
	v_or_b32_e32 v133, 0x200, v1
	v_add_u32_e32 v134, 0, v1
	s_mov_b64 s[6:7], 0
	v_pk_mov_b32 v[128:129], 0, 0
.LBB62_251:                             ; =>This Inner Loop Header: Depth=1
	buffer_load_dword v136, v134, s[0:3], 0 offen
	buffer_load_dword v137, v134, s[0:3], 0 offen offset:4
	ds_read_b64 v[138:139], v133
	v_add_u32_e32 v132, 1, v132
	v_cmp_lt_u32_e32 vcc, 59, v132
	v_add_u32_e32 v133, 8, v133
	v_add_u32_e32 v134, 8, v134
	s_or_b64 s[6:7], vcc, s[6:7]
	s_waitcnt vmcnt(0) lgkmcnt(0)
	v_fmac_f64_e32 v[128:129], v[136:137], v[138:139]
	s_andn2_b64 exec, exec, s[6:7]
	s_cbranch_execnz .LBB62_251
; %bb.252:
	s_or_b64 exec, exec, s[6:7]
	v_mov_b32_e32 v132, 0
	ds_read_b64 v[132:133], v132 offset:488
	s_waitcnt lgkmcnt(0)
	v_mul_f64 v[128:129], v[128:129], v[132:133]
	buffer_store_dword v129, off, s[0:3], 0 offset:492
	buffer_store_dword v128, off, s[0:3], 0 offset:488
.LBB62_253:
	s_or_b64 exec, exec, s[4:5]
	s_waitcnt lgkmcnt(0)
	; wave barrier
	buffer_load_dword v128, off, s[0:3], 0 offset:496
	buffer_load_dword v129, off, s[0:3], 0 offset:500
	v_cmp_ne_u32_e32 vcc, 62, v0
	s_waitcnt vmcnt(0)
	ds_write_b64 v130, v[128:129]
	s_waitcnt lgkmcnt(0)
	; wave barrier
	s_waitcnt lgkmcnt(0)
	s_and_saveexec_b64 s[4:5], vcc
	s_cbranch_execz .LBB62_257
; %bb.254:
	v_or_b32_e32 v130, 0x200, v1
	v_add_u32_e32 v1, 0, v1
	s_mov_b64 s[6:7], 0
	v_pk_mov_b32 v[128:129], 0, 0
.LBB62_255:                             ; =>This Inner Loop Header: Depth=1
	buffer_load_dword v132, v1, s[0:3], 0 offen
	buffer_load_dword v133, v1, s[0:3], 0 offen offset:4
	ds_read_b64 v[134:135], v130
	v_add_u32_e32 v131, 1, v131
	v_cmp_lt_u32_e32 vcc, 60, v131
	v_add_u32_e32 v130, 8, v130
	v_add_u32_e32 v1, 8, v1
	s_or_b64 s[6:7], vcc, s[6:7]
	s_waitcnt vmcnt(0) lgkmcnt(0)
	v_fmac_f64_e32 v[128:129], v[132:133], v[134:135]
	s_andn2_b64 exec, exec, s[6:7]
	s_cbranch_execnz .LBB62_255
; %bb.256:
	s_or_b64 exec, exec, s[6:7]
	v_mov_b32_e32 v1, 0
	ds_read_b64 v[130:131], v1 offset:496
	s_waitcnt lgkmcnt(0)
	v_mul_f64 v[128:129], v[128:129], v[130:131]
	buffer_store_dword v129, off, s[0:3], 0 offset:500
	buffer_store_dword v128, off, s[0:3], 0 offset:496
.LBB62_257:
	s_or_b64 exec, exec, s[4:5]
	s_mov_b64 s[6:7], -1
	s_waitcnt lgkmcnt(0)
	; wave barrier
.LBB62_258:
	s_and_b64 vcc, exec, s[6:7]
	s_cbranch_vccz .LBB62_260
; %bb.259:
	s_lshl_b64 s[4:5], s[8:9], 2
	s_add_u32 s4, s14, s4
	s_addc_u32 s5, s15, s5
	v_mov_b32_e32 v1, 0
	global_load_dword v1, v1, s[4:5]
	s_waitcnt vmcnt(0)
	v_cmp_ne_u32_e32 vcc, 0, v1
	s_cbranch_vccz .LBB62_261
.LBB62_260:
	s_endpgm
.LBB62_261:
	v_mov_b32_e32 v1, 0x200
	v_lshl_or_b32 v1, v0, 3, v1
	v_cmp_eq_u32_e32 vcc, 62, v0
	s_and_saveexec_b64 s[4:5], vcc
	s_cbranch_execz .LBB62_263
; %bb.262:
	buffer_load_dword v128, off, s[0:3], 0 offset:488
	buffer_load_dword v129, off, s[0:3], 0 offset:492
	v_mov_b32_e32 v130, 0
	buffer_store_dword v130, off, s[0:3], 0 offset:488
	buffer_store_dword v130, off, s[0:3], 0 offset:492
	s_waitcnt vmcnt(2)
	ds_write_b64 v1, v[128:129]
.LBB62_263:
	s_or_b64 exec, exec, s[4:5]
	s_waitcnt lgkmcnt(0)
	; wave barrier
	s_waitcnt lgkmcnt(0)
	buffer_load_dword v130, off, s[0:3], 0 offset:496
	buffer_load_dword v131, off, s[0:3], 0 offset:500
	;; [unrolled: 1-line block ×4, first 2 shown]
	v_mov_b32_e32 v128, 0
	ds_read_b64 v[134:135], v128 offset:1008
	v_cmp_lt_u32_e32 vcc, 60, v0
	s_waitcnt vmcnt(2) lgkmcnt(0)
	v_fma_f64 v[130:131], v[130:131], v[134:135], 0
	s_waitcnt vmcnt(0)
	v_add_f64 v[130:131], v[132:133], -v[130:131]
	buffer_store_dword v130, off, s[0:3], 0 offset:488
	buffer_store_dword v131, off, s[0:3], 0 offset:492
	s_and_saveexec_b64 s[4:5], vcc
	s_cbranch_execz .LBB62_265
; %bb.264:
	buffer_load_dword v130, off, s[0:3], 0 offset:480
	buffer_load_dword v131, off, s[0:3], 0 offset:484
	s_waitcnt vmcnt(0)
	ds_write_b64 v1, v[130:131]
	buffer_store_dword v128, off, s[0:3], 0 offset:480
	buffer_store_dword v128, off, s[0:3], 0 offset:484
.LBB62_265:
	s_or_b64 exec, exec, s[4:5]
	s_waitcnt lgkmcnt(0)
	; wave barrier
	s_waitcnt lgkmcnt(0)
	buffer_load_dword v132, off, s[0:3], 0 offset:488
	buffer_load_dword v133, off, s[0:3], 0 offset:492
	;; [unrolled: 1-line block ×6, first 2 shown]
	ds_read2_b64 v[128:131], v128 offset0:125 offset1:126
	v_cmp_lt_u32_e32 vcc, 59, v0
	s_waitcnt vmcnt(4) lgkmcnt(0)
	v_fma_f64 v[128:129], v[132:133], v[128:129], 0
	s_waitcnt vmcnt(2)
	v_fmac_f64_e32 v[128:129], v[134:135], v[130:131]
	s_waitcnt vmcnt(0)
	v_add_f64 v[128:129], v[136:137], -v[128:129]
	buffer_store_dword v128, off, s[0:3], 0 offset:480
	buffer_store_dword v129, off, s[0:3], 0 offset:484
	s_and_saveexec_b64 s[4:5], vcc
	s_cbranch_execz .LBB62_267
; %bb.266:
	buffer_load_dword v128, off, s[0:3], 0 offset:472
	buffer_load_dword v129, off, s[0:3], 0 offset:476
	v_mov_b32_e32 v130, 0
	buffer_store_dword v130, off, s[0:3], 0 offset:472
	buffer_store_dword v130, off, s[0:3], 0 offset:476
	s_waitcnt vmcnt(2)
	ds_write_b64 v1, v[128:129]
.LBB62_267:
	s_or_b64 exec, exec, s[4:5]
	s_waitcnt lgkmcnt(0)
	; wave barrier
	s_waitcnt lgkmcnt(0)
	buffer_load_dword v134, off, s[0:3], 0 offset:480
	buffer_load_dword v135, off, s[0:3], 0 offset:484
	;; [unrolled: 1-line block ×8, first 2 shown]
	v_mov_b32_e32 v128, 0
	ds_read_b128 v[130:133], v128 offset:992
	ds_read_b64 v[142:143], v128 offset:1008
	v_cmp_lt_u32_e32 vcc, 58, v0
	s_waitcnt vmcnt(6) lgkmcnt(1)
	v_fma_f64 v[130:131], v[134:135], v[130:131], 0
	s_waitcnt vmcnt(4)
	v_fmac_f64_e32 v[130:131], v[136:137], v[132:133]
	s_waitcnt vmcnt(2) lgkmcnt(0)
	v_fmac_f64_e32 v[130:131], v[138:139], v[142:143]
	s_waitcnt vmcnt(0)
	v_add_f64 v[130:131], v[140:141], -v[130:131]
	buffer_store_dword v130, off, s[0:3], 0 offset:472
	buffer_store_dword v131, off, s[0:3], 0 offset:476
	s_and_saveexec_b64 s[4:5], vcc
	s_cbranch_execz .LBB62_269
; %bb.268:
	buffer_load_dword v130, off, s[0:3], 0 offset:464
	buffer_load_dword v131, off, s[0:3], 0 offset:468
	s_waitcnt vmcnt(0)
	ds_write_b64 v1, v[130:131]
	buffer_store_dword v128, off, s[0:3], 0 offset:464
	buffer_store_dword v128, off, s[0:3], 0 offset:468
.LBB62_269:
	s_or_b64 exec, exec, s[4:5]
	s_waitcnt lgkmcnt(0)
	; wave barrier
	s_waitcnt lgkmcnt(0)
	buffer_load_dword v138, off, s[0:3], 0 offset:472
	buffer_load_dword v139, off, s[0:3], 0 offset:476
	buffer_load_dword v140, off, s[0:3], 0 offset:480
	buffer_load_dword v141, off, s[0:3], 0 offset:484
	buffer_load_dword v142, off, s[0:3], 0 offset:488
	buffer_load_dword v143, off, s[0:3], 0 offset:492
	buffer_load_dword v144, off, s[0:3], 0 offset:496
	buffer_load_dword v145, off, s[0:3], 0 offset:500
	buffer_load_dword v146, off, s[0:3], 0 offset:464
	buffer_load_dword v147, off, s[0:3], 0 offset:468
	ds_read2_b64 v[130:133], v128 offset0:123 offset1:124
	ds_read2_b64 v[134:137], v128 offset0:125 offset1:126
	v_cmp_lt_u32_e32 vcc, 57, v0
	s_waitcnt vmcnt(8) lgkmcnt(1)
	v_fma_f64 v[128:129], v[138:139], v[130:131], 0
	s_waitcnt vmcnt(6)
	v_fmac_f64_e32 v[128:129], v[140:141], v[132:133]
	s_waitcnt vmcnt(4) lgkmcnt(0)
	v_fmac_f64_e32 v[128:129], v[142:143], v[134:135]
	s_waitcnt vmcnt(2)
	v_fmac_f64_e32 v[128:129], v[144:145], v[136:137]
	s_waitcnt vmcnt(0)
	v_add_f64 v[128:129], v[146:147], -v[128:129]
	buffer_store_dword v128, off, s[0:3], 0 offset:464
	buffer_store_dword v129, off, s[0:3], 0 offset:468
	s_and_saveexec_b64 s[4:5], vcc
	s_cbranch_execz .LBB62_271
; %bb.270:
	buffer_load_dword v128, off, s[0:3], 0 offset:456
	buffer_load_dword v129, off, s[0:3], 0 offset:460
	v_mov_b32_e32 v130, 0
	buffer_store_dword v130, off, s[0:3], 0 offset:456
	buffer_store_dword v130, off, s[0:3], 0 offset:460
	s_waitcnt vmcnt(2)
	ds_write_b64 v1, v[128:129]
.LBB62_271:
	s_or_b64 exec, exec, s[4:5]
	s_waitcnt lgkmcnt(0)
	; wave barrier
	s_waitcnt lgkmcnt(0)
	buffer_load_dword v138, off, s[0:3], 0 offset:464
	buffer_load_dword v139, off, s[0:3], 0 offset:468
	;; [unrolled: 1-line block ×12, first 2 shown]
	v_mov_b32_e32 v128, 0
	ds_read_b128 v[130:133], v128 offset:976
	ds_read_b128 v[134:137], v128 offset:992
	ds_read_b64 v[150:151], v128 offset:1008
	v_cmp_lt_u32_e32 vcc, 56, v0
	s_waitcnt vmcnt(10) lgkmcnt(2)
	v_fma_f64 v[130:131], v[138:139], v[130:131], 0
	s_waitcnt vmcnt(8)
	v_fmac_f64_e32 v[130:131], v[140:141], v[132:133]
	s_waitcnt vmcnt(6) lgkmcnt(1)
	v_fmac_f64_e32 v[130:131], v[142:143], v[134:135]
	s_waitcnt vmcnt(4)
	v_fmac_f64_e32 v[130:131], v[144:145], v[136:137]
	s_waitcnt vmcnt(2) lgkmcnt(0)
	v_fmac_f64_e32 v[130:131], v[146:147], v[150:151]
	s_waitcnt vmcnt(0)
	v_add_f64 v[130:131], v[148:149], -v[130:131]
	buffer_store_dword v130, off, s[0:3], 0 offset:456
	buffer_store_dword v131, off, s[0:3], 0 offset:460
	s_and_saveexec_b64 s[4:5], vcc
	s_cbranch_execz .LBB62_273
; %bb.272:
	buffer_load_dword v130, off, s[0:3], 0 offset:448
	buffer_load_dword v131, off, s[0:3], 0 offset:452
	s_waitcnt vmcnt(0)
	ds_write_b64 v1, v[130:131]
	buffer_store_dword v128, off, s[0:3], 0 offset:448
	buffer_store_dword v128, off, s[0:3], 0 offset:452
.LBB62_273:
	s_or_b64 exec, exec, s[4:5]
	s_waitcnt lgkmcnt(0)
	; wave barrier
	s_waitcnt lgkmcnt(0)
	buffer_load_dword v142, off, s[0:3], 0 offset:456
	buffer_load_dword v143, off, s[0:3], 0 offset:460
	;; [unrolled: 1-line block ×14, first 2 shown]
	ds_read2_b64 v[130:133], v128 offset0:121 offset1:122
	ds_read2_b64 v[134:137], v128 offset0:123 offset1:124
	;; [unrolled: 1-line block ×3, first 2 shown]
	v_cmp_lt_u32_e32 vcc, 55, v0
	s_waitcnt vmcnt(12) lgkmcnt(2)
	v_fma_f64 v[128:129], v[142:143], v[130:131], 0
	s_waitcnt vmcnt(10)
	v_fmac_f64_e32 v[128:129], v[144:145], v[132:133]
	s_waitcnt vmcnt(8) lgkmcnt(1)
	v_fmac_f64_e32 v[128:129], v[146:147], v[134:135]
	s_waitcnt vmcnt(6)
	v_fmac_f64_e32 v[128:129], v[148:149], v[136:137]
	s_waitcnt vmcnt(4) lgkmcnt(0)
	v_fmac_f64_e32 v[128:129], v[150:151], v[138:139]
	s_waitcnt vmcnt(2)
	v_fmac_f64_e32 v[128:129], v[152:153], v[140:141]
	s_waitcnt vmcnt(0)
	v_add_f64 v[128:129], v[154:155], -v[128:129]
	buffer_store_dword v128, off, s[0:3], 0 offset:448
	buffer_store_dword v129, off, s[0:3], 0 offset:452
	s_and_saveexec_b64 s[4:5], vcc
	s_cbranch_execz .LBB62_275
; %bb.274:
	buffer_load_dword v128, off, s[0:3], 0 offset:440
	buffer_load_dword v129, off, s[0:3], 0 offset:444
	v_mov_b32_e32 v130, 0
	buffer_store_dword v130, off, s[0:3], 0 offset:440
	buffer_store_dword v130, off, s[0:3], 0 offset:444
	s_waitcnt vmcnt(2)
	ds_write_b64 v1, v[128:129]
.LBB62_275:
	s_or_b64 exec, exec, s[4:5]
	s_waitcnt lgkmcnt(0)
	; wave barrier
	s_waitcnt lgkmcnt(0)
	buffer_load_dword v142, off, s[0:3], 0 offset:448
	buffer_load_dword v143, off, s[0:3], 0 offset:452
	;; [unrolled: 1-line block ×16, first 2 shown]
	v_mov_b32_e32 v128, 0
	ds_read_b128 v[130:133], v128 offset:960
	ds_read_b128 v[134:137], v128 offset:976
	;; [unrolled: 1-line block ×3, first 2 shown]
	ds_read_b64 v[158:159], v128 offset:1008
	v_cmp_lt_u32_e32 vcc, 54, v0
	s_waitcnt vmcnt(14) lgkmcnt(3)
	v_fma_f64 v[130:131], v[142:143], v[130:131], 0
	s_waitcnt vmcnt(12)
	v_fmac_f64_e32 v[130:131], v[144:145], v[132:133]
	s_waitcnt vmcnt(10) lgkmcnt(2)
	v_fmac_f64_e32 v[130:131], v[146:147], v[134:135]
	s_waitcnt vmcnt(8)
	v_fmac_f64_e32 v[130:131], v[148:149], v[136:137]
	s_waitcnt vmcnt(6) lgkmcnt(1)
	v_fmac_f64_e32 v[130:131], v[150:151], v[138:139]
	;; [unrolled: 4-line block ×3, first 2 shown]
	s_waitcnt vmcnt(0)
	v_add_f64 v[130:131], v[156:157], -v[130:131]
	buffer_store_dword v130, off, s[0:3], 0 offset:440
	buffer_store_dword v131, off, s[0:3], 0 offset:444
	s_and_saveexec_b64 s[4:5], vcc
	s_cbranch_execz .LBB62_277
; %bb.276:
	buffer_load_dword v130, off, s[0:3], 0 offset:432
	buffer_load_dword v131, off, s[0:3], 0 offset:436
	s_waitcnt vmcnt(0)
	ds_write_b64 v1, v[130:131]
	buffer_store_dword v128, off, s[0:3], 0 offset:432
	buffer_store_dword v128, off, s[0:3], 0 offset:436
.LBB62_277:
	s_or_b64 exec, exec, s[4:5]
	s_waitcnt lgkmcnt(0)
	; wave barrier
	s_waitcnt lgkmcnt(0)
	buffer_load_dword v146, off, s[0:3], 0 offset:440
	buffer_load_dword v147, off, s[0:3], 0 offset:444
	;; [unrolled: 1-line block ×18, first 2 shown]
	ds_read2_b64 v[130:133], v128 offset0:119 offset1:120
	ds_read2_b64 v[134:137], v128 offset0:121 offset1:122
	;; [unrolled: 1-line block ×4, first 2 shown]
	v_cmp_lt_u32_e32 vcc, 53, v0
	s_waitcnt vmcnt(16) lgkmcnt(3)
	v_fma_f64 v[128:129], v[146:147], v[130:131], 0
	s_waitcnt vmcnt(14)
	v_fmac_f64_e32 v[128:129], v[148:149], v[132:133]
	s_waitcnt vmcnt(12) lgkmcnt(2)
	v_fmac_f64_e32 v[128:129], v[150:151], v[134:135]
	s_waitcnt vmcnt(10)
	v_fmac_f64_e32 v[128:129], v[152:153], v[136:137]
	s_waitcnt vmcnt(8) lgkmcnt(1)
	v_fmac_f64_e32 v[128:129], v[154:155], v[138:139]
	;; [unrolled: 4-line block ×3, first 2 shown]
	s_waitcnt vmcnt(2)
	v_fmac_f64_e32 v[128:129], v[160:161], v[144:145]
	s_waitcnt vmcnt(0)
	v_add_f64 v[128:129], v[162:163], -v[128:129]
	buffer_store_dword v128, off, s[0:3], 0 offset:432
	buffer_store_dword v129, off, s[0:3], 0 offset:436
	s_and_saveexec_b64 s[4:5], vcc
	s_cbranch_execz .LBB62_279
; %bb.278:
	buffer_load_dword v128, off, s[0:3], 0 offset:424
	buffer_load_dword v129, off, s[0:3], 0 offset:428
	v_mov_b32_e32 v130, 0
	buffer_store_dword v130, off, s[0:3], 0 offset:424
	buffer_store_dword v130, off, s[0:3], 0 offset:428
	s_waitcnt vmcnt(2)
	ds_write_b64 v1, v[128:129]
.LBB62_279:
	s_or_b64 exec, exec, s[4:5]
	s_waitcnt lgkmcnt(0)
	; wave barrier
	s_waitcnt lgkmcnt(0)
	buffer_load_dword v146, off, s[0:3], 0 offset:424
	buffer_load_dword v147, off, s[0:3], 0 offset:428
	;; [unrolled: 1-line block ×16, first 2 shown]
	v_mov_b32_e32 v128, 0
	ds_read_b128 v[130:133], v128 offset:944
	ds_read_b128 v[134:137], v128 offset:960
	;; [unrolled: 1-line block ×4, first 2 shown]
	v_cmp_lt_u32_e32 vcc, 52, v0
	s_waitcnt vmcnt(12) lgkmcnt(3)
	v_fma_f64 v[130:131], v[148:149], v[130:131], 0
	s_waitcnt vmcnt(10)
	v_fmac_f64_e32 v[130:131], v[150:151], v[132:133]
	buffer_load_dword v133, off, s[0:3], 0 offset:492
	buffer_load_dword v132, off, s[0:3], 0 offset:488
	s_waitcnt vmcnt(10) lgkmcnt(2)
	v_fmac_f64_e32 v[130:131], v[152:153], v[134:135]
	s_waitcnt vmcnt(8)
	v_fmac_f64_e32 v[130:131], v[154:155], v[136:137]
	s_waitcnt vmcnt(6) lgkmcnt(1)
	v_fmac_f64_e32 v[130:131], v[156:157], v[138:139]
	s_waitcnt vmcnt(4)
	v_fmac_f64_e32 v[130:131], v[158:159], v[140:141]
	;; [unrolled: 4-line block ×3, first 2 shown]
	buffer_load_dword v133, off, s[0:3], 0 offset:500
	buffer_load_dword v132, off, s[0:3], 0 offset:496
	ds_read_b64 v[134:135], v128 offset:1008
	s_waitcnt vmcnt(0) lgkmcnt(0)
	v_fmac_f64_e32 v[130:131], v[132:133], v[134:135]
	v_add_f64 v[130:131], v[146:147], -v[130:131]
	buffer_store_dword v130, off, s[0:3], 0 offset:424
	buffer_store_dword v131, off, s[0:3], 0 offset:428
	s_and_saveexec_b64 s[4:5], vcc
	s_cbranch_execz .LBB62_281
; %bb.280:
	buffer_load_dword v130, off, s[0:3], 0 offset:416
	buffer_load_dword v131, off, s[0:3], 0 offset:420
	s_waitcnt vmcnt(0)
	ds_write_b64 v1, v[130:131]
	buffer_store_dword v128, off, s[0:3], 0 offset:416
	buffer_store_dword v128, off, s[0:3], 0 offset:420
.LBB62_281:
	s_or_b64 exec, exec, s[4:5]
	s_waitcnt lgkmcnt(0)
	; wave barrier
	s_waitcnt lgkmcnt(0)
	buffer_load_dword v134, off, s[0:3], 0 offset:416
	buffer_load_dword v135, off, s[0:3], 0 offset:420
	buffer_load_dword v136, off, s[0:3], 0 offset:424
	buffer_load_dword v137, off, s[0:3], 0 offset:428
	buffer_load_dword v138, off, s[0:3], 0 offset:432
	buffer_load_dword v139, off, s[0:3], 0 offset:436
	buffer_load_dword v140, off, s[0:3], 0 offset:440
	buffer_load_dword v141, off, s[0:3], 0 offset:444
	buffer_load_dword v142, off, s[0:3], 0 offset:448
	buffer_load_dword v143, off, s[0:3], 0 offset:452
	buffer_load_dword v144, off, s[0:3], 0 offset:456
	buffer_load_dword v145, off, s[0:3], 0 offset:460
	buffer_load_dword v146, off, s[0:3], 0 offset:464
	buffer_load_dword v147, off, s[0:3], 0 offset:468
	buffer_load_dword v148, off, s[0:3], 0 offset:472
	buffer_load_dword v149, off, s[0:3], 0 offset:476
	ds_read2_b64 v[130:133], v128 offset0:117 offset1:118
	v_cmp_lt_u32_e32 vcc, 51, v0
	s_waitcnt vmcnt(12) lgkmcnt(0)
	v_fma_f64 v[136:137], v[136:137], v[130:131], 0
	s_waitcnt vmcnt(10)
	v_fmac_f64_e32 v[136:137], v[138:139], v[132:133]
	ds_read2_b64 v[130:133], v128 offset0:119 offset1:120
	s_waitcnt vmcnt(8) lgkmcnt(0)
	v_fmac_f64_e32 v[136:137], v[140:141], v[130:131]
	s_waitcnt vmcnt(6)
	v_fmac_f64_e32 v[136:137], v[142:143], v[132:133]
	ds_read2_b64 v[130:133], v128 offset0:121 offset1:122
	s_waitcnt vmcnt(4) lgkmcnt(0)
	v_fmac_f64_e32 v[136:137], v[144:145], v[130:131]
	;; [unrolled: 5-line block ×3, first 2 shown]
	buffer_load_dword v131, off, s[0:3], 0 offset:484
	buffer_load_dword v130, off, s[0:3], 0 offset:480
	s_waitcnt vmcnt(0)
	v_fmac_f64_e32 v[136:137], v[130:131], v[132:133]
	buffer_load_dword v133, off, s[0:3], 0 offset:492
	buffer_load_dword v132, off, s[0:3], 0 offset:488
	ds_read2_b64 v[128:131], v128 offset0:125 offset1:126
	s_waitcnt vmcnt(0) lgkmcnt(0)
	v_fmac_f64_e32 v[136:137], v[132:133], v[128:129]
	buffer_load_dword v129, off, s[0:3], 0 offset:500
	buffer_load_dword v128, off, s[0:3], 0 offset:496
	s_waitcnt vmcnt(0)
	v_fmac_f64_e32 v[136:137], v[128:129], v[130:131]
	v_add_f64 v[128:129], v[134:135], -v[136:137]
	buffer_store_dword v128, off, s[0:3], 0 offset:416
	buffer_store_dword v129, off, s[0:3], 0 offset:420
	s_and_saveexec_b64 s[4:5], vcc
	s_cbranch_execz .LBB62_283
; %bb.282:
	buffer_load_dword v128, off, s[0:3], 0 offset:408
	buffer_load_dword v129, off, s[0:3], 0 offset:412
	v_mov_b32_e32 v130, 0
	buffer_store_dword v130, off, s[0:3], 0 offset:408
	buffer_store_dword v130, off, s[0:3], 0 offset:412
	s_waitcnt vmcnt(2)
	ds_write_b64 v1, v[128:129]
.LBB62_283:
	s_or_b64 exec, exec, s[4:5]
	s_waitcnt lgkmcnt(0)
	; wave barrier
	s_waitcnt lgkmcnt(0)
	buffer_load_dword v146, off, s[0:3], 0 offset:408
	buffer_load_dword v147, off, s[0:3], 0 offset:412
	;; [unrolled: 1-line block ×16, first 2 shown]
	v_mov_b32_e32 v128, 0
	ds_read_b128 v[130:133], v128 offset:928
	ds_read_b128 v[134:137], v128 offset:944
	;; [unrolled: 1-line block ×4, first 2 shown]
	v_cmp_lt_u32_e32 vcc, 50, v0
	s_waitcnt vmcnt(12) lgkmcnt(3)
	v_fma_f64 v[148:149], v[148:149], v[130:131], 0
	buffer_load_dword v131, off, s[0:3], 0 offset:476
	buffer_load_dword v130, off, s[0:3], 0 offset:472
	s_waitcnt vmcnt(12)
	v_fmac_f64_e32 v[148:149], v[150:151], v[132:133]
	s_waitcnt vmcnt(10) lgkmcnt(2)
	v_fmac_f64_e32 v[148:149], v[152:153], v[134:135]
	buffer_load_dword v135, off, s[0:3], 0 offset:484
	buffer_load_dword v134, off, s[0:3], 0 offset:480
	s_waitcnt vmcnt(10)
	v_fmac_f64_e32 v[148:149], v[154:155], v[136:137]
	s_waitcnt vmcnt(8) lgkmcnt(1)
	v_fmac_f64_e32 v[148:149], v[156:157], v[138:139]
	s_waitcnt vmcnt(6)
	v_fmac_f64_e32 v[148:149], v[158:159], v[140:141]
	s_waitcnt vmcnt(4) lgkmcnt(0)
	v_fmac_f64_e32 v[148:149], v[160:161], v[142:143]
	s_waitcnt vmcnt(2)
	v_fmac_f64_e32 v[148:149], v[130:131], v[144:145]
	ds_read_b128 v[130:133], v128 offset:992
	s_waitcnt vmcnt(0) lgkmcnt(0)
	v_fmac_f64_e32 v[148:149], v[134:135], v[130:131]
	buffer_load_dword v131, off, s[0:3], 0 offset:492
	buffer_load_dword v130, off, s[0:3], 0 offset:488
	s_waitcnt vmcnt(0)
	v_fmac_f64_e32 v[148:149], v[130:131], v[132:133]
	buffer_load_dword v131, off, s[0:3], 0 offset:500
	buffer_load_dword v130, off, s[0:3], 0 offset:496
	ds_read_b64 v[132:133], v128 offset:1008
	s_waitcnt vmcnt(0) lgkmcnt(0)
	v_fmac_f64_e32 v[148:149], v[130:131], v[132:133]
	v_add_f64 v[130:131], v[146:147], -v[148:149]
	buffer_store_dword v131, off, s[0:3], 0 offset:412
	buffer_store_dword v130, off, s[0:3], 0 offset:408
	s_and_saveexec_b64 s[4:5], vcc
	s_cbranch_execz .LBB62_285
; %bb.284:
	buffer_load_dword v130, off, s[0:3], 0 offset:400
	buffer_load_dword v131, off, s[0:3], 0 offset:404
	s_waitcnt vmcnt(0)
	ds_write_b64 v1, v[130:131]
	buffer_store_dword v128, off, s[0:3], 0 offset:400
	buffer_store_dword v128, off, s[0:3], 0 offset:404
.LBB62_285:
	s_or_b64 exec, exec, s[4:5]
	s_waitcnt lgkmcnt(0)
	; wave barrier
	s_waitcnt lgkmcnt(0)
	buffer_load_dword v134, off, s[0:3], 0 offset:400
	buffer_load_dword v135, off, s[0:3], 0 offset:404
	;; [unrolled: 1-line block ×16, first 2 shown]
	ds_read2_b64 v[130:133], v128 offset0:115 offset1:116
	v_cmp_lt_u32_e32 vcc, 49, v0
	s_waitcnt vmcnt(12) lgkmcnt(0)
	v_fma_f64 v[136:137], v[136:137], v[130:131], 0
	s_waitcnt vmcnt(10)
	v_fmac_f64_e32 v[136:137], v[138:139], v[132:133]
	ds_read2_b64 v[130:133], v128 offset0:117 offset1:118
	s_waitcnt vmcnt(8) lgkmcnt(0)
	v_fmac_f64_e32 v[136:137], v[140:141], v[130:131]
	s_waitcnt vmcnt(6)
	v_fmac_f64_e32 v[136:137], v[142:143], v[132:133]
	ds_read2_b64 v[130:133], v128 offset0:119 offset1:120
	s_waitcnt vmcnt(4) lgkmcnt(0)
	v_fmac_f64_e32 v[136:137], v[144:145], v[130:131]
	;; [unrolled: 5-line block ×3, first 2 shown]
	buffer_load_dword v131, off, s[0:3], 0 offset:468
	buffer_load_dword v130, off, s[0:3], 0 offset:464
	;; [unrolled: 1-line block ×4, first 2 shown]
	s_waitcnt vmcnt(2)
	v_fmac_f64_e32 v[136:137], v[130:131], v[132:133]
	ds_read2_b64 v[130:133], v128 offset0:123 offset1:124
	s_waitcnt vmcnt(0) lgkmcnt(0)
	v_fmac_f64_e32 v[136:137], v[138:139], v[130:131]
	buffer_load_dword v131, off, s[0:3], 0 offset:484
	buffer_load_dword v130, off, s[0:3], 0 offset:480
	s_waitcnt vmcnt(0)
	v_fmac_f64_e32 v[136:137], v[130:131], v[132:133]
	buffer_load_dword v133, off, s[0:3], 0 offset:492
	buffer_load_dword v132, off, s[0:3], 0 offset:488
	ds_read2_b64 v[128:131], v128 offset0:125 offset1:126
	s_waitcnt vmcnt(0) lgkmcnt(0)
	v_fmac_f64_e32 v[136:137], v[132:133], v[128:129]
	buffer_load_dword v129, off, s[0:3], 0 offset:500
	buffer_load_dword v128, off, s[0:3], 0 offset:496
	s_waitcnt vmcnt(0)
	v_fmac_f64_e32 v[136:137], v[128:129], v[130:131]
	v_add_f64 v[128:129], v[134:135], -v[136:137]
	buffer_store_dword v129, off, s[0:3], 0 offset:404
	buffer_store_dword v128, off, s[0:3], 0 offset:400
	s_and_saveexec_b64 s[4:5], vcc
	s_cbranch_execz .LBB62_287
; %bb.286:
	buffer_load_dword v128, off, s[0:3], 0 offset:392
	buffer_load_dword v129, off, s[0:3], 0 offset:396
	v_mov_b32_e32 v130, 0
	buffer_store_dword v130, off, s[0:3], 0 offset:392
	buffer_store_dword v130, off, s[0:3], 0 offset:396
	s_waitcnt vmcnt(2)
	ds_write_b64 v1, v[128:129]
.LBB62_287:
	s_or_b64 exec, exec, s[4:5]
	s_waitcnt lgkmcnt(0)
	; wave barrier
	s_waitcnt lgkmcnt(0)
	buffer_load_dword v146, off, s[0:3], 0 offset:392
	buffer_load_dword v147, off, s[0:3], 0 offset:396
	;; [unrolled: 1-line block ×16, first 2 shown]
	v_mov_b32_e32 v128, 0
	ds_read_b128 v[130:133], v128 offset:912
	ds_read_b128 v[134:137], v128 offset:928
	;; [unrolled: 1-line block ×4, first 2 shown]
	v_cmp_lt_u32_e32 vcc, 48, v0
	s_waitcnt vmcnt(12) lgkmcnt(3)
	v_fma_f64 v[148:149], v[148:149], v[130:131], 0
	buffer_load_dword v131, off, s[0:3], 0 offset:460
	buffer_load_dword v130, off, s[0:3], 0 offset:456
	s_waitcnt vmcnt(12)
	v_fmac_f64_e32 v[148:149], v[150:151], v[132:133]
	s_waitcnt vmcnt(10) lgkmcnt(2)
	v_fmac_f64_e32 v[148:149], v[152:153], v[134:135]
	buffer_load_dword v135, off, s[0:3], 0 offset:468
	buffer_load_dword v134, off, s[0:3], 0 offset:464
	s_waitcnt vmcnt(10)
	v_fmac_f64_e32 v[148:149], v[154:155], v[136:137]
	s_waitcnt vmcnt(8) lgkmcnt(1)
	v_fmac_f64_e32 v[148:149], v[156:157], v[138:139]
	s_waitcnt vmcnt(6)
	v_fmac_f64_e32 v[148:149], v[158:159], v[140:141]
	s_waitcnt vmcnt(4) lgkmcnt(0)
	v_fmac_f64_e32 v[148:149], v[160:161], v[142:143]
	s_waitcnt vmcnt(2)
	v_fmac_f64_e32 v[148:149], v[130:131], v[144:145]
	ds_read_b128 v[130:133], v128 offset:976
	s_waitcnt vmcnt(0) lgkmcnt(0)
	v_fmac_f64_e32 v[148:149], v[134:135], v[130:131]
	buffer_load_dword v131, off, s[0:3], 0 offset:476
	buffer_load_dword v130, off, s[0:3], 0 offset:472
	;; [unrolled: 1-line block ×4, first 2 shown]
	s_waitcnt vmcnt(2)
	v_fmac_f64_e32 v[148:149], v[130:131], v[132:133]
	ds_read_b128 v[130:133], v128 offset:992
	s_waitcnt vmcnt(0) lgkmcnt(0)
	v_fmac_f64_e32 v[148:149], v[134:135], v[130:131]
	buffer_load_dword v131, off, s[0:3], 0 offset:492
	buffer_load_dword v130, off, s[0:3], 0 offset:488
	s_waitcnt vmcnt(0)
	v_fmac_f64_e32 v[148:149], v[130:131], v[132:133]
	buffer_load_dword v131, off, s[0:3], 0 offset:500
	buffer_load_dword v130, off, s[0:3], 0 offset:496
	ds_read_b64 v[132:133], v128 offset:1008
	s_waitcnt vmcnt(0) lgkmcnt(0)
	v_fmac_f64_e32 v[148:149], v[130:131], v[132:133]
	v_add_f64 v[130:131], v[146:147], -v[148:149]
	buffer_store_dword v131, off, s[0:3], 0 offset:396
	buffer_store_dword v130, off, s[0:3], 0 offset:392
	s_and_saveexec_b64 s[4:5], vcc
	s_cbranch_execz .LBB62_289
; %bb.288:
	buffer_load_dword v130, off, s[0:3], 0 offset:384
	buffer_load_dword v131, off, s[0:3], 0 offset:388
	s_waitcnt vmcnt(0)
	ds_write_b64 v1, v[130:131]
	buffer_store_dword v128, off, s[0:3], 0 offset:384
	buffer_store_dword v128, off, s[0:3], 0 offset:388
.LBB62_289:
	s_or_b64 exec, exec, s[4:5]
	s_waitcnt lgkmcnt(0)
	; wave barrier
	s_waitcnt lgkmcnt(0)
	buffer_load_dword v134, off, s[0:3], 0 offset:384
	buffer_load_dword v135, off, s[0:3], 0 offset:388
	;; [unrolled: 1-line block ×16, first 2 shown]
	ds_read2_b64 v[130:133], v128 offset0:113 offset1:114
	v_cmp_lt_u32_e32 vcc, 47, v0
	s_waitcnt vmcnt(12) lgkmcnt(0)
	v_fma_f64 v[136:137], v[136:137], v[130:131], 0
	s_waitcnt vmcnt(10)
	v_fmac_f64_e32 v[136:137], v[138:139], v[132:133]
	ds_read2_b64 v[130:133], v128 offset0:115 offset1:116
	s_waitcnt vmcnt(8) lgkmcnt(0)
	v_fmac_f64_e32 v[136:137], v[140:141], v[130:131]
	s_waitcnt vmcnt(6)
	v_fmac_f64_e32 v[136:137], v[142:143], v[132:133]
	ds_read2_b64 v[130:133], v128 offset0:117 offset1:118
	s_waitcnt vmcnt(4) lgkmcnt(0)
	v_fmac_f64_e32 v[136:137], v[144:145], v[130:131]
	;; [unrolled: 5-line block ×3, first 2 shown]
	buffer_load_dword v131, off, s[0:3], 0 offset:452
	buffer_load_dword v130, off, s[0:3], 0 offset:448
	;; [unrolled: 1-line block ×4, first 2 shown]
	s_waitcnt vmcnt(2)
	v_fmac_f64_e32 v[136:137], v[130:131], v[132:133]
	ds_read2_b64 v[130:133], v128 offset0:121 offset1:122
	s_waitcnt vmcnt(0) lgkmcnt(0)
	v_fmac_f64_e32 v[136:137], v[138:139], v[130:131]
	buffer_load_dword v131, off, s[0:3], 0 offset:468
	buffer_load_dword v130, off, s[0:3], 0 offset:464
	;; [unrolled: 1-line block ×4, first 2 shown]
	s_waitcnt vmcnt(2)
	v_fmac_f64_e32 v[136:137], v[130:131], v[132:133]
	ds_read2_b64 v[130:133], v128 offset0:123 offset1:124
	s_waitcnt vmcnt(0) lgkmcnt(0)
	v_fmac_f64_e32 v[136:137], v[138:139], v[130:131]
	buffer_load_dword v131, off, s[0:3], 0 offset:484
	buffer_load_dword v130, off, s[0:3], 0 offset:480
	s_waitcnt vmcnt(0)
	v_fmac_f64_e32 v[136:137], v[130:131], v[132:133]
	buffer_load_dword v133, off, s[0:3], 0 offset:492
	buffer_load_dword v132, off, s[0:3], 0 offset:488
	ds_read2_b64 v[128:131], v128 offset0:125 offset1:126
	s_waitcnt vmcnt(0) lgkmcnt(0)
	v_fmac_f64_e32 v[136:137], v[132:133], v[128:129]
	buffer_load_dword v129, off, s[0:3], 0 offset:500
	buffer_load_dword v128, off, s[0:3], 0 offset:496
	s_waitcnt vmcnt(0)
	v_fmac_f64_e32 v[136:137], v[128:129], v[130:131]
	v_add_f64 v[128:129], v[134:135], -v[136:137]
	buffer_store_dword v129, off, s[0:3], 0 offset:388
	buffer_store_dword v128, off, s[0:3], 0 offset:384
	s_and_saveexec_b64 s[4:5], vcc
	s_cbranch_execz .LBB62_291
; %bb.290:
	buffer_load_dword v128, off, s[0:3], 0 offset:376
	buffer_load_dword v129, off, s[0:3], 0 offset:380
	v_mov_b32_e32 v130, 0
	buffer_store_dword v130, off, s[0:3], 0 offset:376
	buffer_store_dword v130, off, s[0:3], 0 offset:380
	s_waitcnt vmcnt(2)
	ds_write_b64 v1, v[128:129]
.LBB62_291:
	s_or_b64 exec, exec, s[4:5]
	s_waitcnt lgkmcnt(0)
	; wave barrier
	s_waitcnt lgkmcnt(0)
	buffer_load_dword v146, off, s[0:3], 0 offset:376
	buffer_load_dword v147, off, s[0:3], 0 offset:380
	;; [unrolled: 1-line block ×16, first 2 shown]
	v_mov_b32_e32 v128, 0
	ds_read_b128 v[130:133], v128 offset:896
	ds_read_b128 v[134:137], v128 offset:912
	;; [unrolled: 1-line block ×4, first 2 shown]
	v_cmp_lt_u32_e32 vcc, 46, v0
	s_waitcnt vmcnt(12) lgkmcnt(3)
	v_fma_f64 v[148:149], v[148:149], v[130:131], 0
	buffer_load_dword v131, off, s[0:3], 0 offset:444
	buffer_load_dword v130, off, s[0:3], 0 offset:440
	s_waitcnt vmcnt(12)
	v_fmac_f64_e32 v[148:149], v[150:151], v[132:133]
	s_waitcnt vmcnt(10) lgkmcnt(2)
	v_fmac_f64_e32 v[148:149], v[152:153], v[134:135]
	buffer_load_dword v135, off, s[0:3], 0 offset:452
	buffer_load_dword v134, off, s[0:3], 0 offset:448
	s_waitcnt vmcnt(10)
	v_fmac_f64_e32 v[148:149], v[154:155], v[136:137]
	s_waitcnt vmcnt(8) lgkmcnt(1)
	v_fmac_f64_e32 v[148:149], v[156:157], v[138:139]
	s_waitcnt vmcnt(6)
	v_fmac_f64_e32 v[148:149], v[158:159], v[140:141]
	s_waitcnt vmcnt(4) lgkmcnt(0)
	v_fmac_f64_e32 v[148:149], v[160:161], v[142:143]
	s_waitcnt vmcnt(2)
	v_fmac_f64_e32 v[148:149], v[130:131], v[144:145]
	ds_read_b128 v[130:133], v128 offset:960
	s_waitcnt vmcnt(0) lgkmcnt(0)
	v_fmac_f64_e32 v[148:149], v[134:135], v[130:131]
	buffer_load_dword v131, off, s[0:3], 0 offset:460
	buffer_load_dword v130, off, s[0:3], 0 offset:456
	;; [unrolled: 1-line block ×4, first 2 shown]
	s_waitcnt vmcnt(2)
	v_fmac_f64_e32 v[148:149], v[130:131], v[132:133]
	ds_read_b128 v[130:133], v128 offset:976
	s_waitcnt vmcnt(0) lgkmcnt(0)
	v_fmac_f64_e32 v[148:149], v[134:135], v[130:131]
	buffer_load_dword v131, off, s[0:3], 0 offset:476
	buffer_load_dword v130, off, s[0:3], 0 offset:472
	;; [unrolled: 1-line block ×4, first 2 shown]
	s_waitcnt vmcnt(2)
	v_fmac_f64_e32 v[148:149], v[130:131], v[132:133]
	ds_read_b128 v[130:133], v128 offset:992
	s_waitcnt vmcnt(0) lgkmcnt(0)
	v_fmac_f64_e32 v[148:149], v[134:135], v[130:131]
	buffer_load_dword v131, off, s[0:3], 0 offset:492
	buffer_load_dword v130, off, s[0:3], 0 offset:488
	s_waitcnt vmcnt(0)
	v_fmac_f64_e32 v[148:149], v[130:131], v[132:133]
	buffer_load_dword v131, off, s[0:3], 0 offset:500
	buffer_load_dword v130, off, s[0:3], 0 offset:496
	ds_read_b64 v[132:133], v128 offset:1008
	s_waitcnt vmcnt(0) lgkmcnt(0)
	v_fmac_f64_e32 v[148:149], v[130:131], v[132:133]
	v_add_f64 v[130:131], v[146:147], -v[148:149]
	buffer_store_dword v131, off, s[0:3], 0 offset:380
	buffer_store_dword v130, off, s[0:3], 0 offset:376
	s_and_saveexec_b64 s[4:5], vcc
	s_cbranch_execz .LBB62_293
; %bb.292:
	buffer_load_dword v130, off, s[0:3], 0 offset:368
	buffer_load_dword v131, off, s[0:3], 0 offset:372
	s_waitcnt vmcnt(0)
	ds_write_b64 v1, v[130:131]
	buffer_store_dword v128, off, s[0:3], 0 offset:368
	buffer_store_dword v128, off, s[0:3], 0 offset:372
.LBB62_293:
	s_or_b64 exec, exec, s[4:5]
	s_waitcnt lgkmcnt(0)
	; wave barrier
	s_waitcnt lgkmcnt(0)
	buffer_load_dword v134, off, s[0:3], 0 offset:368
	buffer_load_dword v135, off, s[0:3], 0 offset:372
	;; [unrolled: 1-line block ×16, first 2 shown]
	ds_read2_b64 v[130:133], v128 offset0:111 offset1:112
	v_cmp_lt_u32_e32 vcc, 45, v0
	s_waitcnt vmcnt(12) lgkmcnt(0)
	v_fma_f64 v[136:137], v[136:137], v[130:131], 0
	s_waitcnt vmcnt(10)
	v_fmac_f64_e32 v[136:137], v[138:139], v[132:133]
	ds_read2_b64 v[130:133], v128 offset0:113 offset1:114
	s_waitcnt vmcnt(8) lgkmcnt(0)
	v_fmac_f64_e32 v[136:137], v[140:141], v[130:131]
	s_waitcnt vmcnt(6)
	v_fmac_f64_e32 v[136:137], v[142:143], v[132:133]
	ds_read2_b64 v[130:133], v128 offset0:115 offset1:116
	s_waitcnt vmcnt(4) lgkmcnt(0)
	v_fmac_f64_e32 v[136:137], v[144:145], v[130:131]
	;; [unrolled: 5-line block ×3, first 2 shown]
	buffer_load_dword v131, off, s[0:3], 0 offset:436
	buffer_load_dword v130, off, s[0:3], 0 offset:432
	buffer_load_dword v139, off, s[0:3], 0 offset:444
	buffer_load_dword v138, off, s[0:3], 0 offset:440
	s_waitcnt vmcnt(2)
	v_fmac_f64_e32 v[136:137], v[130:131], v[132:133]
	ds_read2_b64 v[130:133], v128 offset0:119 offset1:120
	s_waitcnt vmcnt(0) lgkmcnt(0)
	v_fmac_f64_e32 v[136:137], v[138:139], v[130:131]
	buffer_load_dword v131, off, s[0:3], 0 offset:452
	buffer_load_dword v130, off, s[0:3], 0 offset:448
	buffer_load_dword v139, off, s[0:3], 0 offset:460
	buffer_load_dword v138, off, s[0:3], 0 offset:456
	s_waitcnt vmcnt(2)
	v_fmac_f64_e32 v[136:137], v[130:131], v[132:133]
	ds_read2_b64 v[130:133], v128 offset0:121 offset1:122
	s_waitcnt vmcnt(0) lgkmcnt(0)
	v_fmac_f64_e32 v[136:137], v[138:139], v[130:131]
	;; [unrolled: 9-line block ×3, first 2 shown]
	buffer_load_dword v131, off, s[0:3], 0 offset:484
	buffer_load_dword v130, off, s[0:3], 0 offset:480
	s_waitcnt vmcnt(0)
	v_fmac_f64_e32 v[136:137], v[130:131], v[132:133]
	buffer_load_dword v133, off, s[0:3], 0 offset:492
	buffer_load_dword v132, off, s[0:3], 0 offset:488
	ds_read2_b64 v[128:131], v128 offset0:125 offset1:126
	s_waitcnt vmcnt(0) lgkmcnt(0)
	v_fmac_f64_e32 v[136:137], v[132:133], v[128:129]
	buffer_load_dword v129, off, s[0:3], 0 offset:500
	buffer_load_dword v128, off, s[0:3], 0 offset:496
	s_waitcnt vmcnt(0)
	v_fmac_f64_e32 v[136:137], v[128:129], v[130:131]
	v_add_f64 v[128:129], v[134:135], -v[136:137]
	buffer_store_dword v129, off, s[0:3], 0 offset:372
	buffer_store_dword v128, off, s[0:3], 0 offset:368
	s_and_saveexec_b64 s[4:5], vcc
	s_cbranch_execz .LBB62_295
; %bb.294:
	buffer_load_dword v128, off, s[0:3], 0 offset:360
	buffer_load_dword v129, off, s[0:3], 0 offset:364
	v_mov_b32_e32 v130, 0
	buffer_store_dword v130, off, s[0:3], 0 offset:360
	buffer_store_dword v130, off, s[0:3], 0 offset:364
	s_waitcnt vmcnt(2)
	ds_write_b64 v1, v[128:129]
.LBB62_295:
	s_or_b64 exec, exec, s[4:5]
	s_waitcnt lgkmcnt(0)
	; wave barrier
	s_waitcnt lgkmcnt(0)
	buffer_load_dword v128, off, s[0:3], 0 offset:360
	buffer_load_dword v129, off, s[0:3], 0 offset:364
	;; [unrolled: 1-line block ×16, first 2 shown]
	v_mov_b32_e32 v132, 0
	ds_read_b128 v[134:137], v132 offset:880
	ds_read_b128 v[138:141], v132 offset:896
	;; [unrolled: 1-line block ×4, first 2 shown]
	v_cmp_lt_u32_e32 vcc, 44, v0
	s_waitcnt vmcnt(12) lgkmcnt(3)
	v_fma_f64 v[130:131], v[130:131], v[134:135], 0
	buffer_load_dword v135, off, s[0:3], 0 offset:428
	buffer_load_dword v134, off, s[0:3], 0 offset:424
	s_waitcnt vmcnt(12)
	v_fmac_f64_e32 v[130:131], v[150:151], v[136:137]
	s_waitcnt vmcnt(10) lgkmcnt(2)
	v_fmac_f64_e32 v[130:131], v[152:153], v[138:139]
	buffer_load_dword v139, off, s[0:3], 0 offset:436
	buffer_load_dword v138, off, s[0:3], 0 offset:432
	s_waitcnt vmcnt(10)
	v_fmac_f64_e32 v[130:131], v[154:155], v[140:141]
	s_waitcnt vmcnt(8) lgkmcnt(1)
	v_fmac_f64_e32 v[130:131], v[156:157], v[142:143]
	s_waitcnt vmcnt(6)
	v_fmac_f64_e32 v[130:131], v[158:159], v[144:145]
	s_waitcnt vmcnt(4) lgkmcnt(0)
	v_fmac_f64_e32 v[130:131], v[160:161], v[146:147]
	s_waitcnt vmcnt(2)
	v_fmac_f64_e32 v[130:131], v[134:135], v[148:149]
	ds_read_b128 v[134:137], v132 offset:944
	s_waitcnt vmcnt(0) lgkmcnt(0)
	v_fmac_f64_e32 v[130:131], v[138:139], v[134:135]
	buffer_load_dword v135, off, s[0:3], 0 offset:444
	buffer_load_dword v134, off, s[0:3], 0 offset:440
	buffer_load_dword v139, off, s[0:3], 0 offset:452
	buffer_load_dword v138, off, s[0:3], 0 offset:448
	s_waitcnt vmcnt(2)
	v_fmac_f64_e32 v[130:131], v[134:135], v[136:137]
	ds_read_b128 v[134:137], v132 offset:960
	s_waitcnt vmcnt(0) lgkmcnt(0)
	v_fmac_f64_e32 v[130:131], v[138:139], v[134:135]
	buffer_load_dword v135, off, s[0:3], 0 offset:460
	buffer_load_dword v134, off, s[0:3], 0 offset:456
	buffer_load_dword v139, off, s[0:3], 0 offset:468
	buffer_load_dword v138, off, s[0:3], 0 offset:464
	;; [unrolled: 9-line block ×3, first 2 shown]
	s_waitcnt vmcnt(2)
	v_fmac_f64_e32 v[130:131], v[134:135], v[136:137]
	ds_read_b128 v[134:137], v132 offset:992
	s_waitcnt vmcnt(0) lgkmcnt(0)
	v_fmac_f64_e32 v[130:131], v[138:139], v[134:135]
	buffer_load_dword v135, off, s[0:3], 0 offset:492
	buffer_load_dword v134, off, s[0:3], 0 offset:488
	s_waitcnt vmcnt(0)
	v_fmac_f64_e32 v[130:131], v[134:135], v[136:137]
	buffer_load_dword v135, off, s[0:3], 0 offset:500
	buffer_load_dword v134, off, s[0:3], 0 offset:496
	ds_read_b64 v[136:137], v132 offset:1008
	s_waitcnt vmcnt(0) lgkmcnt(0)
	v_fmac_f64_e32 v[130:131], v[134:135], v[136:137]
	v_add_f64 v[128:129], v[128:129], -v[130:131]
	buffer_store_dword v129, off, s[0:3], 0 offset:364
	buffer_store_dword v128, off, s[0:3], 0 offset:360
	s_and_saveexec_b64 s[4:5], vcc
	s_cbranch_execz .LBB62_297
; %bb.296:
	buffer_load_dword v128, off, s[0:3], 0 offset:352
	buffer_load_dword v129, off, s[0:3], 0 offset:356
	s_waitcnt vmcnt(0)
	ds_write_b64 v1, v[128:129]
	buffer_store_dword v132, off, s[0:3], 0 offset:352
	buffer_store_dword v132, off, s[0:3], 0 offset:356
.LBB62_297:
	s_or_b64 exec, exec, s[4:5]
	s_waitcnt lgkmcnt(0)
	; wave barrier
	s_waitcnt lgkmcnt(0)
	buffer_load_dword v128, off, s[0:3], 0 offset:352
	buffer_load_dword v129, off, s[0:3], 0 offset:356
	;; [unrolled: 1-line block ×16, first 2 shown]
	ds_read2_b64 v[134:137], v132 offset0:109 offset1:110
	v_cmp_lt_u32_e32 vcc, 43, v0
	s_waitcnt vmcnt(12) lgkmcnt(0)
	v_fma_f64 v[130:131], v[130:131], v[134:135], 0
	s_waitcnt vmcnt(10)
	v_fmac_f64_e32 v[130:131], v[138:139], v[136:137]
	ds_read2_b64 v[134:137], v132 offset0:111 offset1:112
	s_waitcnt vmcnt(8) lgkmcnt(0)
	v_fmac_f64_e32 v[130:131], v[140:141], v[134:135]
	s_waitcnt vmcnt(6)
	v_fmac_f64_e32 v[130:131], v[142:143], v[136:137]
	ds_read2_b64 v[134:137], v132 offset0:113 offset1:114
	s_waitcnt vmcnt(4) lgkmcnt(0)
	v_fmac_f64_e32 v[130:131], v[144:145], v[134:135]
	;; [unrolled: 5-line block ×3, first 2 shown]
	buffer_load_dword v135, off, s[0:3], 0 offset:420
	buffer_load_dword v134, off, s[0:3], 0 offset:416
	buffer_load_dword v139, off, s[0:3], 0 offset:428
	buffer_load_dword v138, off, s[0:3], 0 offset:424
	s_waitcnt vmcnt(2)
	v_fmac_f64_e32 v[130:131], v[134:135], v[136:137]
	ds_read2_b64 v[134:137], v132 offset0:117 offset1:118
	s_waitcnt vmcnt(0) lgkmcnt(0)
	v_fmac_f64_e32 v[130:131], v[138:139], v[134:135]
	buffer_load_dword v135, off, s[0:3], 0 offset:436
	buffer_load_dword v134, off, s[0:3], 0 offset:432
	buffer_load_dword v139, off, s[0:3], 0 offset:444
	buffer_load_dword v138, off, s[0:3], 0 offset:440
	s_waitcnt vmcnt(2)
	v_fmac_f64_e32 v[130:131], v[134:135], v[136:137]
	ds_read2_b64 v[134:137], v132 offset0:119 offset1:120
	s_waitcnt vmcnt(0) lgkmcnt(0)
	v_fmac_f64_e32 v[130:131], v[138:139], v[134:135]
	;; [unrolled: 9-line block ×4, first 2 shown]
	buffer_load_dword v135, off, s[0:3], 0 offset:484
	buffer_load_dword v134, off, s[0:3], 0 offset:480
	s_waitcnt vmcnt(0)
	v_fmac_f64_e32 v[130:131], v[134:135], v[136:137]
	buffer_load_dword v137, off, s[0:3], 0 offset:492
	buffer_load_dword v136, off, s[0:3], 0 offset:488
	ds_read2_b64 v[132:135], v132 offset0:125 offset1:126
	s_waitcnt vmcnt(0) lgkmcnt(0)
	v_fmac_f64_e32 v[130:131], v[136:137], v[132:133]
	buffer_load_dword v133, off, s[0:3], 0 offset:500
	buffer_load_dword v132, off, s[0:3], 0 offset:496
	s_waitcnt vmcnt(0)
	v_fmac_f64_e32 v[130:131], v[132:133], v[134:135]
	v_add_f64 v[128:129], v[128:129], -v[130:131]
	buffer_store_dword v129, off, s[0:3], 0 offset:356
	buffer_store_dword v128, off, s[0:3], 0 offset:352
	s_and_saveexec_b64 s[4:5], vcc
	s_cbranch_execz .LBB62_299
; %bb.298:
	buffer_load_dword v128, off, s[0:3], 0 offset:344
	buffer_load_dword v129, off, s[0:3], 0 offset:348
	v_mov_b32_e32 v130, 0
	buffer_store_dword v130, off, s[0:3], 0 offset:344
	buffer_store_dword v130, off, s[0:3], 0 offset:348
	s_waitcnt vmcnt(2)
	ds_write_b64 v1, v[128:129]
.LBB62_299:
	s_or_b64 exec, exec, s[4:5]
	s_waitcnt lgkmcnt(0)
	; wave barrier
	s_waitcnt lgkmcnt(0)
	buffer_load_dword v128, off, s[0:3], 0 offset:344
	buffer_load_dword v129, off, s[0:3], 0 offset:348
	;; [unrolled: 1-line block ×16, first 2 shown]
	v_mov_b32_e32 v132, 0
	ds_read_b128 v[134:137], v132 offset:864
	ds_read_b128 v[138:141], v132 offset:880
	;; [unrolled: 1-line block ×4, first 2 shown]
	v_cmp_lt_u32_e32 vcc, 42, v0
	s_waitcnt vmcnt(12) lgkmcnt(3)
	v_fma_f64 v[130:131], v[130:131], v[134:135], 0
	buffer_load_dword v135, off, s[0:3], 0 offset:412
	buffer_load_dword v134, off, s[0:3], 0 offset:408
	s_waitcnt vmcnt(12)
	v_fmac_f64_e32 v[130:131], v[150:151], v[136:137]
	s_waitcnt vmcnt(10) lgkmcnt(2)
	v_fmac_f64_e32 v[130:131], v[152:153], v[138:139]
	buffer_load_dword v139, off, s[0:3], 0 offset:420
	buffer_load_dword v138, off, s[0:3], 0 offset:416
	s_waitcnt vmcnt(10)
	v_fmac_f64_e32 v[130:131], v[154:155], v[140:141]
	s_waitcnt vmcnt(8) lgkmcnt(1)
	v_fmac_f64_e32 v[130:131], v[156:157], v[142:143]
	s_waitcnt vmcnt(6)
	v_fmac_f64_e32 v[130:131], v[158:159], v[144:145]
	s_waitcnt vmcnt(4) lgkmcnt(0)
	v_fmac_f64_e32 v[130:131], v[160:161], v[146:147]
	s_waitcnt vmcnt(2)
	v_fmac_f64_e32 v[130:131], v[134:135], v[148:149]
	ds_read_b128 v[134:137], v132 offset:928
	s_waitcnt vmcnt(0) lgkmcnt(0)
	v_fmac_f64_e32 v[130:131], v[138:139], v[134:135]
	buffer_load_dword v135, off, s[0:3], 0 offset:428
	buffer_load_dword v134, off, s[0:3], 0 offset:424
	buffer_load_dword v139, off, s[0:3], 0 offset:436
	buffer_load_dword v138, off, s[0:3], 0 offset:432
	s_waitcnt vmcnt(2)
	v_fmac_f64_e32 v[130:131], v[134:135], v[136:137]
	ds_read_b128 v[134:137], v132 offset:944
	s_waitcnt vmcnt(0) lgkmcnt(0)
	v_fmac_f64_e32 v[130:131], v[138:139], v[134:135]
	buffer_load_dword v135, off, s[0:3], 0 offset:444
	buffer_load_dword v134, off, s[0:3], 0 offset:440
	buffer_load_dword v139, off, s[0:3], 0 offset:452
	buffer_load_dword v138, off, s[0:3], 0 offset:448
	;; [unrolled: 9-line block ×4, first 2 shown]
	s_waitcnt vmcnt(2)
	v_fmac_f64_e32 v[130:131], v[134:135], v[136:137]
	ds_read_b128 v[134:137], v132 offset:992
	s_waitcnt vmcnt(0) lgkmcnt(0)
	v_fmac_f64_e32 v[130:131], v[138:139], v[134:135]
	buffer_load_dword v135, off, s[0:3], 0 offset:492
	buffer_load_dword v134, off, s[0:3], 0 offset:488
	s_waitcnt vmcnt(0)
	v_fmac_f64_e32 v[130:131], v[134:135], v[136:137]
	buffer_load_dword v135, off, s[0:3], 0 offset:500
	buffer_load_dword v134, off, s[0:3], 0 offset:496
	ds_read_b64 v[136:137], v132 offset:1008
	s_waitcnt vmcnt(0) lgkmcnt(0)
	v_fmac_f64_e32 v[130:131], v[134:135], v[136:137]
	v_add_f64 v[128:129], v[128:129], -v[130:131]
	buffer_store_dword v129, off, s[0:3], 0 offset:348
	buffer_store_dword v128, off, s[0:3], 0 offset:344
	s_and_saveexec_b64 s[4:5], vcc
	s_cbranch_execz .LBB62_301
; %bb.300:
	buffer_load_dword v128, off, s[0:3], 0 offset:336
	buffer_load_dword v129, off, s[0:3], 0 offset:340
	s_waitcnt vmcnt(0)
	ds_write_b64 v1, v[128:129]
	buffer_store_dword v132, off, s[0:3], 0 offset:336
	buffer_store_dword v132, off, s[0:3], 0 offset:340
.LBB62_301:
	s_or_b64 exec, exec, s[4:5]
	s_waitcnt lgkmcnt(0)
	; wave barrier
	s_waitcnt lgkmcnt(0)
	buffer_load_dword v128, off, s[0:3], 0 offset:336
	buffer_load_dword v129, off, s[0:3], 0 offset:340
	;; [unrolled: 1-line block ×16, first 2 shown]
	ds_read2_b64 v[134:137], v132 offset0:107 offset1:108
	v_cmp_lt_u32_e32 vcc, 41, v0
	s_waitcnt vmcnt(12) lgkmcnt(0)
	v_fma_f64 v[130:131], v[130:131], v[134:135], 0
	s_waitcnt vmcnt(10)
	v_fmac_f64_e32 v[130:131], v[138:139], v[136:137]
	ds_read2_b64 v[134:137], v132 offset0:109 offset1:110
	s_waitcnt vmcnt(8) lgkmcnt(0)
	v_fmac_f64_e32 v[130:131], v[140:141], v[134:135]
	s_waitcnt vmcnt(6)
	v_fmac_f64_e32 v[130:131], v[142:143], v[136:137]
	ds_read2_b64 v[134:137], v132 offset0:111 offset1:112
	s_waitcnt vmcnt(4) lgkmcnt(0)
	v_fmac_f64_e32 v[130:131], v[144:145], v[134:135]
	;; [unrolled: 5-line block ×3, first 2 shown]
	buffer_load_dword v135, off, s[0:3], 0 offset:404
	buffer_load_dword v134, off, s[0:3], 0 offset:400
	buffer_load_dword v139, off, s[0:3], 0 offset:412
	buffer_load_dword v138, off, s[0:3], 0 offset:408
	s_waitcnt vmcnt(2)
	v_fmac_f64_e32 v[130:131], v[134:135], v[136:137]
	ds_read2_b64 v[134:137], v132 offset0:115 offset1:116
	s_waitcnt vmcnt(0) lgkmcnt(0)
	v_fmac_f64_e32 v[130:131], v[138:139], v[134:135]
	buffer_load_dword v135, off, s[0:3], 0 offset:420
	buffer_load_dword v134, off, s[0:3], 0 offset:416
	buffer_load_dword v139, off, s[0:3], 0 offset:428
	buffer_load_dword v138, off, s[0:3], 0 offset:424
	s_waitcnt vmcnt(2)
	v_fmac_f64_e32 v[130:131], v[134:135], v[136:137]
	ds_read2_b64 v[134:137], v132 offset0:117 offset1:118
	s_waitcnt vmcnt(0) lgkmcnt(0)
	v_fmac_f64_e32 v[130:131], v[138:139], v[134:135]
	;; [unrolled: 9-line block ×5, first 2 shown]
	buffer_load_dword v135, off, s[0:3], 0 offset:484
	buffer_load_dword v134, off, s[0:3], 0 offset:480
	s_waitcnt vmcnt(0)
	v_fmac_f64_e32 v[130:131], v[134:135], v[136:137]
	buffer_load_dword v137, off, s[0:3], 0 offset:492
	buffer_load_dword v136, off, s[0:3], 0 offset:488
	ds_read2_b64 v[132:135], v132 offset0:125 offset1:126
	s_waitcnt vmcnt(0) lgkmcnt(0)
	v_fmac_f64_e32 v[130:131], v[136:137], v[132:133]
	buffer_load_dword v133, off, s[0:3], 0 offset:500
	buffer_load_dword v132, off, s[0:3], 0 offset:496
	s_waitcnt vmcnt(0)
	v_fmac_f64_e32 v[130:131], v[132:133], v[134:135]
	v_add_f64 v[128:129], v[128:129], -v[130:131]
	buffer_store_dword v129, off, s[0:3], 0 offset:340
	buffer_store_dword v128, off, s[0:3], 0 offset:336
	s_and_saveexec_b64 s[4:5], vcc
	s_cbranch_execz .LBB62_303
; %bb.302:
	buffer_load_dword v128, off, s[0:3], 0 offset:328
	buffer_load_dword v129, off, s[0:3], 0 offset:332
	v_mov_b32_e32 v130, 0
	buffer_store_dword v130, off, s[0:3], 0 offset:328
	buffer_store_dword v130, off, s[0:3], 0 offset:332
	s_waitcnt vmcnt(2)
	ds_write_b64 v1, v[128:129]
.LBB62_303:
	s_or_b64 exec, exec, s[4:5]
	s_waitcnt lgkmcnt(0)
	; wave barrier
	s_waitcnt lgkmcnt(0)
	buffer_load_dword v128, off, s[0:3], 0 offset:328
	buffer_load_dword v129, off, s[0:3], 0 offset:332
	;; [unrolled: 1-line block ×16, first 2 shown]
	v_mov_b32_e32 v132, 0
	ds_read_b128 v[134:137], v132 offset:848
	ds_read_b128 v[138:141], v132 offset:864
	;; [unrolled: 1-line block ×4, first 2 shown]
	v_cmp_lt_u32_e32 vcc, 40, v0
	s_waitcnt vmcnt(12) lgkmcnt(3)
	v_fma_f64 v[130:131], v[130:131], v[134:135], 0
	buffer_load_dword v135, off, s[0:3], 0 offset:396
	buffer_load_dword v134, off, s[0:3], 0 offset:392
	s_waitcnt vmcnt(12)
	v_fmac_f64_e32 v[130:131], v[150:151], v[136:137]
	s_waitcnt vmcnt(10) lgkmcnt(2)
	v_fmac_f64_e32 v[130:131], v[152:153], v[138:139]
	buffer_load_dword v139, off, s[0:3], 0 offset:404
	buffer_load_dword v138, off, s[0:3], 0 offset:400
	s_waitcnt vmcnt(10)
	v_fmac_f64_e32 v[130:131], v[154:155], v[140:141]
	s_waitcnt vmcnt(8) lgkmcnt(1)
	v_fmac_f64_e32 v[130:131], v[156:157], v[142:143]
	s_waitcnt vmcnt(6)
	v_fmac_f64_e32 v[130:131], v[158:159], v[144:145]
	s_waitcnt vmcnt(4) lgkmcnt(0)
	v_fmac_f64_e32 v[130:131], v[160:161], v[146:147]
	s_waitcnt vmcnt(2)
	v_fmac_f64_e32 v[130:131], v[134:135], v[148:149]
	ds_read_b128 v[134:137], v132 offset:912
	s_waitcnt vmcnt(0) lgkmcnt(0)
	v_fmac_f64_e32 v[130:131], v[138:139], v[134:135]
	buffer_load_dword v135, off, s[0:3], 0 offset:412
	buffer_load_dword v134, off, s[0:3], 0 offset:408
	buffer_load_dword v139, off, s[0:3], 0 offset:420
	buffer_load_dword v138, off, s[0:3], 0 offset:416
	s_waitcnt vmcnt(2)
	v_fmac_f64_e32 v[130:131], v[134:135], v[136:137]
	ds_read_b128 v[134:137], v132 offset:928
	s_waitcnt vmcnt(0) lgkmcnt(0)
	v_fmac_f64_e32 v[130:131], v[138:139], v[134:135]
	buffer_load_dword v135, off, s[0:3], 0 offset:428
	buffer_load_dword v134, off, s[0:3], 0 offset:424
	buffer_load_dword v139, off, s[0:3], 0 offset:436
	buffer_load_dword v138, off, s[0:3], 0 offset:432
	;; [unrolled: 9-line block ×5, first 2 shown]
	s_waitcnt vmcnt(2)
	v_fmac_f64_e32 v[130:131], v[134:135], v[136:137]
	ds_read_b128 v[134:137], v132 offset:992
	s_waitcnt vmcnt(0) lgkmcnt(0)
	v_fmac_f64_e32 v[130:131], v[138:139], v[134:135]
	buffer_load_dword v135, off, s[0:3], 0 offset:492
	buffer_load_dword v134, off, s[0:3], 0 offset:488
	s_waitcnt vmcnt(0)
	v_fmac_f64_e32 v[130:131], v[134:135], v[136:137]
	buffer_load_dword v135, off, s[0:3], 0 offset:500
	buffer_load_dword v134, off, s[0:3], 0 offset:496
	ds_read_b64 v[136:137], v132 offset:1008
	s_waitcnt vmcnt(0) lgkmcnt(0)
	v_fmac_f64_e32 v[130:131], v[134:135], v[136:137]
	v_add_f64 v[128:129], v[128:129], -v[130:131]
	buffer_store_dword v129, off, s[0:3], 0 offset:332
	buffer_store_dword v128, off, s[0:3], 0 offset:328
	s_and_saveexec_b64 s[4:5], vcc
	s_cbranch_execz .LBB62_305
; %bb.304:
	buffer_load_dword v128, off, s[0:3], 0 offset:320
	buffer_load_dword v129, off, s[0:3], 0 offset:324
	s_waitcnt vmcnt(0)
	ds_write_b64 v1, v[128:129]
	buffer_store_dword v132, off, s[0:3], 0 offset:320
	buffer_store_dword v132, off, s[0:3], 0 offset:324
.LBB62_305:
	s_or_b64 exec, exec, s[4:5]
	s_waitcnt lgkmcnt(0)
	; wave barrier
	s_waitcnt lgkmcnt(0)
	buffer_load_dword v128, off, s[0:3], 0 offset:320
	buffer_load_dword v129, off, s[0:3], 0 offset:324
	;; [unrolled: 1-line block ×16, first 2 shown]
	ds_read2_b64 v[134:137], v132 offset0:105 offset1:106
	v_cmp_lt_u32_e32 vcc, 39, v0
	s_waitcnt vmcnt(12) lgkmcnt(0)
	v_fma_f64 v[130:131], v[130:131], v[134:135], 0
	s_waitcnt vmcnt(10)
	v_fmac_f64_e32 v[130:131], v[138:139], v[136:137]
	ds_read2_b64 v[134:137], v132 offset0:107 offset1:108
	s_waitcnt vmcnt(8) lgkmcnt(0)
	v_fmac_f64_e32 v[130:131], v[140:141], v[134:135]
	s_waitcnt vmcnt(6)
	v_fmac_f64_e32 v[130:131], v[142:143], v[136:137]
	ds_read2_b64 v[134:137], v132 offset0:109 offset1:110
	s_waitcnt vmcnt(4) lgkmcnt(0)
	v_fmac_f64_e32 v[130:131], v[144:145], v[134:135]
	;; [unrolled: 5-line block ×3, first 2 shown]
	buffer_load_dword v135, off, s[0:3], 0 offset:388
	buffer_load_dword v134, off, s[0:3], 0 offset:384
	buffer_load_dword v139, off, s[0:3], 0 offset:396
	buffer_load_dword v138, off, s[0:3], 0 offset:392
	s_waitcnt vmcnt(2)
	v_fmac_f64_e32 v[130:131], v[134:135], v[136:137]
	ds_read2_b64 v[134:137], v132 offset0:113 offset1:114
	s_waitcnt vmcnt(0) lgkmcnt(0)
	v_fmac_f64_e32 v[130:131], v[138:139], v[134:135]
	buffer_load_dword v135, off, s[0:3], 0 offset:404
	buffer_load_dword v134, off, s[0:3], 0 offset:400
	buffer_load_dword v139, off, s[0:3], 0 offset:412
	buffer_load_dword v138, off, s[0:3], 0 offset:408
	s_waitcnt vmcnt(2)
	v_fmac_f64_e32 v[130:131], v[134:135], v[136:137]
	ds_read2_b64 v[134:137], v132 offset0:115 offset1:116
	s_waitcnt vmcnt(0) lgkmcnt(0)
	v_fmac_f64_e32 v[130:131], v[138:139], v[134:135]
	buffer_load_dword v135, off, s[0:3], 0 offset:420
	buffer_load_dword v134, off, s[0:3], 0 offset:416
	buffer_load_dword v139, off, s[0:3], 0 offset:428
	buffer_load_dword v138, off, s[0:3], 0 offset:424
	s_waitcnt vmcnt(2)
	v_fmac_f64_e32 v[130:131], v[134:135], v[136:137]
	ds_read2_b64 v[134:137], v132 offset0:117 offset1:118
	s_waitcnt vmcnt(0) lgkmcnt(0)
	v_fmac_f64_e32 v[130:131], v[138:139], v[134:135]
	buffer_load_dword v135, off, s[0:3], 0 offset:436
	buffer_load_dword v134, off, s[0:3], 0 offset:432
	buffer_load_dword v139, off, s[0:3], 0 offset:444
	buffer_load_dword v138, off, s[0:3], 0 offset:440
	s_waitcnt vmcnt(2)
	v_fmac_f64_e32 v[130:131], v[134:135], v[136:137]
	ds_read2_b64 v[134:137], v132 offset0:119 offset1:120
	s_waitcnt vmcnt(0) lgkmcnt(0)
	v_fmac_f64_e32 v[130:131], v[138:139], v[134:135]
	buffer_load_dword v135, off, s[0:3], 0 offset:452
	buffer_load_dword v134, off, s[0:3], 0 offset:448
	buffer_load_dword v139, off, s[0:3], 0 offset:460
	buffer_load_dword v138, off, s[0:3], 0 offset:456
	s_waitcnt vmcnt(2)
	v_fmac_f64_e32 v[130:131], v[134:135], v[136:137]
	ds_read2_b64 v[134:137], v132 offset0:121 offset1:122
	s_waitcnt vmcnt(0) lgkmcnt(0)
	v_fmac_f64_e32 v[130:131], v[138:139], v[134:135]
	buffer_load_dword v135, off, s[0:3], 0 offset:468
	buffer_load_dword v134, off, s[0:3], 0 offset:464
	buffer_load_dword v139, off, s[0:3], 0 offset:476
	buffer_load_dword v138, off, s[0:3], 0 offset:472
	s_waitcnt vmcnt(2)
	v_fmac_f64_e32 v[130:131], v[134:135], v[136:137]
	ds_read2_b64 v[134:137], v132 offset0:123 offset1:124
	s_waitcnt vmcnt(0) lgkmcnt(0)
	v_fmac_f64_e32 v[130:131], v[138:139], v[134:135]
	buffer_load_dword v135, off, s[0:3], 0 offset:484
	buffer_load_dword v134, off, s[0:3], 0 offset:480
	s_waitcnt vmcnt(0)
	v_fmac_f64_e32 v[130:131], v[134:135], v[136:137]
	buffer_load_dword v137, off, s[0:3], 0 offset:492
	buffer_load_dword v136, off, s[0:3], 0 offset:488
	ds_read2_b64 v[132:135], v132 offset0:125 offset1:126
	s_waitcnt vmcnt(0) lgkmcnt(0)
	v_fmac_f64_e32 v[130:131], v[136:137], v[132:133]
	buffer_load_dword v133, off, s[0:3], 0 offset:500
	buffer_load_dword v132, off, s[0:3], 0 offset:496
	s_waitcnt vmcnt(0)
	v_fmac_f64_e32 v[130:131], v[132:133], v[134:135]
	v_add_f64 v[128:129], v[128:129], -v[130:131]
	buffer_store_dword v129, off, s[0:3], 0 offset:324
	buffer_store_dword v128, off, s[0:3], 0 offset:320
	s_and_saveexec_b64 s[4:5], vcc
	s_cbranch_execz .LBB62_307
; %bb.306:
	buffer_load_dword v128, off, s[0:3], 0 offset:312
	buffer_load_dword v129, off, s[0:3], 0 offset:316
	v_mov_b32_e32 v130, 0
	buffer_store_dword v130, off, s[0:3], 0 offset:312
	buffer_store_dword v130, off, s[0:3], 0 offset:316
	s_waitcnt vmcnt(2)
	ds_write_b64 v1, v[128:129]
.LBB62_307:
	s_or_b64 exec, exec, s[4:5]
	s_waitcnt lgkmcnt(0)
	; wave barrier
	s_waitcnt lgkmcnt(0)
	buffer_load_dword v128, off, s[0:3], 0 offset:312
	buffer_load_dword v129, off, s[0:3], 0 offset:316
	;; [unrolled: 1-line block ×16, first 2 shown]
	v_mov_b32_e32 v132, 0
	ds_read_b128 v[134:137], v132 offset:832
	ds_read_b128 v[138:141], v132 offset:848
	ds_read_b128 v[142:145], v132 offset:864
	ds_read_b128 v[146:149], v132 offset:880
	v_cmp_lt_u32_e32 vcc, 38, v0
	s_waitcnt vmcnt(12) lgkmcnt(3)
	v_fma_f64 v[130:131], v[130:131], v[134:135], 0
	buffer_load_dword v135, off, s[0:3], 0 offset:380
	buffer_load_dword v134, off, s[0:3], 0 offset:376
	s_waitcnt vmcnt(12)
	v_fmac_f64_e32 v[130:131], v[150:151], v[136:137]
	s_waitcnt vmcnt(10) lgkmcnt(2)
	v_fmac_f64_e32 v[130:131], v[152:153], v[138:139]
	buffer_load_dword v139, off, s[0:3], 0 offset:388
	buffer_load_dword v138, off, s[0:3], 0 offset:384
	s_waitcnt vmcnt(10)
	v_fmac_f64_e32 v[130:131], v[154:155], v[140:141]
	s_waitcnt vmcnt(8) lgkmcnt(1)
	v_fmac_f64_e32 v[130:131], v[156:157], v[142:143]
	s_waitcnt vmcnt(6)
	v_fmac_f64_e32 v[130:131], v[158:159], v[144:145]
	s_waitcnt vmcnt(4) lgkmcnt(0)
	v_fmac_f64_e32 v[130:131], v[160:161], v[146:147]
	s_waitcnt vmcnt(2)
	v_fmac_f64_e32 v[130:131], v[134:135], v[148:149]
	ds_read_b128 v[134:137], v132 offset:896
	s_waitcnt vmcnt(0) lgkmcnt(0)
	v_fmac_f64_e32 v[130:131], v[138:139], v[134:135]
	buffer_load_dword v135, off, s[0:3], 0 offset:396
	buffer_load_dword v134, off, s[0:3], 0 offset:392
	buffer_load_dword v139, off, s[0:3], 0 offset:404
	buffer_load_dword v138, off, s[0:3], 0 offset:400
	s_waitcnt vmcnt(2)
	v_fmac_f64_e32 v[130:131], v[134:135], v[136:137]
	ds_read_b128 v[134:137], v132 offset:912
	s_waitcnt vmcnt(0) lgkmcnt(0)
	v_fmac_f64_e32 v[130:131], v[138:139], v[134:135]
	buffer_load_dword v135, off, s[0:3], 0 offset:412
	buffer_load_dword v134, off, s[0:3], 0 offset:408
	buffer_load_dword v139, off, s[0:3], 0 offset:420
	buffer_load_dword v138, off, s[0:3], 0 offset:416
	s_waitcnt vmcnt(2)
	v_fmac_f64_e32 v[130:131], v[134:135], v[136:137]
	ds_read_b128 v[134:137], v132 offset:928
	s_waitcnt vmcnt(0) lgkmcnt(0)
	v_fmac_f64_e32 v[130:131], v[138:139], v[134:135]
	buffer_load_dword v135, off, s[0:3], 0 offset:428
	buffer_load_dword v134, off, s[0:3], 0 offset:424
	buffer_load_dword v139, off, s[0:3], 0 offset:436
	buffer_load_dword v138, off, s[0:3], 0 offset:432
	s_waitcnt vmcnt(2)
	v_fmac_f64_e32 v[130:131], v[134:135], v[136:137]
	ds_read_b128 v[134:137], v132 offset:944
	s_waitcnt vmcnt(0) lgkmcnt(0)
	v_fmac_f64_e32 v[130:131], v[138:139], v[134:135]
	buffer_load_dword v135, off, s[0:3], 0 offset:444
	buffer_load_dword v134, off, s[0:3], 0 offset:440
	buffer_load_dword v139, off, s[0:3], 0 offset:452
	buffer_load_dword v138, off, s[0:3], 0 offset:448
	s_waitcnt vmcnt(2)
	v_fmac_f64_e32 v[130:131], v[134:135], v[136:137]
	ds_read_b128 v[134:137], v132 offset:960
	s_waitcnt vmcnt(0) lgkmcnt(0)
	v_fmac_f64_e32 v[130:131], v[138:139], v[134:135]
	buffer_load_dword v135, off, s[0:3], 0 offset:460
	buffer_load_dword v134, off, s[0:3], 0 offset:456
	buffer_load_dword v139, off, s[0:3], 0 offset:468
	buffer_load_dword v138, off, s[0:3], 0 offset:464
	s_waitcnt vmcnt(2)
	v_fmac_f64_e32 v[130:131], v[134:135], v[136:137]
	ds_read_b128 v[134:137], v132 offset:976
	s_waitcnt vmcnt(0) lgkmcnt(0)
	v_fmac_f64_e32 v[130:131], v[138:139], v[134:135]
	buffer_load_dword v135, off, s[0:3], 0 offset:476
	buffer_load_dword v134, off, s[0:3], 0 offset:472
	buffer_load_dword v139, off, s[0:3], 0 offset:484
	buffer_load_dword v138, off, s[0:3], 0 offset:480
	s_waitcnt vmcnt(2)
	v_fmac_f64_e32 v[130:131], v[134:135], v[136:137]
	ds_read_b128 v[134:137], v132 offset:992
	s_waitcnt vmcnt(0) lgkmcnt(0)
	v_fmac_f64_e32 v[130:131], v[138:139], v[134:135]
	buffer_load_dword v135, off, s[0:3], 0 offset:492
	buffer_load_dword v134, off, s[0:3], 0 offset:488
	s_waitcnt vmcnt(0)
	v_fmac_f64_e32 v[130:131], v[134:135], v[136:137]
	buffer_load_dword v135, off, s[0:3], 0 offset:500
	buffer_load_dword v134, off, s[0:3], 0 offset:496
	ds_read_b64 v[136:137], v132 offset:1008
	s_waitcnt vmcnt(0) lgkmcnt(0)
	v_fmac_f64_e32 v[130:131], v[134:135], v[136:137]
	v_add_f64 v[128:129], v[128:129], -v[130:131]
	buffer_store_dword v129, off, s[0:3], 0 offset:316
	buffer_store_dword v128, off, s[0:3], 0 offset:312
	s_and_saveexec_b64 s[4:5], vcc
	s_cbranch_execz .LBB62_309
; %bb.308:
	buffer_load_dword v128, off, s[0:3], 0 offset:304
	buffer_load_dword v129, off, s[0:3], 0 offset:308
	s_waitcnt vmcnt(0)
	ds_write_b64 v1, v[128:129]
	buffer_store_dword v132, off, s[0:3], 0 offset:304
	buffer_store_dword v132, off, s[0:3], 0 offset:308
.LBB62_309:
	s_or_b64 exec, exec, s[4:5]
	s_waitcnt lgkmcnt(0)
	; wave barrier
	s_waitcnt lgkmcnt(0)
	buffer_load_dword v128, off, s[0:3], 0 offset:304
	buffer_load_dword v129, off, s[0:3], 0 offset:308
	;; [unrolled: 1-line block ×16, first 2 shown]
	ds_read2_b64 v[134:137], v132 offset0:103 offset1:104
	v_cmp_lt_u32_e32 vcc, 37, v0
	s_waitcnt vmcnt(12) lgkmcnt(0)
	v_fma_f64 v[130:131], v[130:131], v[134:135], 0
	s_waitcnt vmcnt(10)
	v_fmac_f64_e32 v[130:131], v[138:139], v[136:137]
	ds_read2_b64 v[134:137], v132 offset0:105 offset1:106
	s_waitcnt vmcnt(8) lgkmcnt(0)
	v_fmac_f64_e32 v[130:131], v[140:141], v[134:135]
	s_waitcnt vmcnt(6)
	v_fmac_f64_e32 v[130:131], v[142:143], v[136:137]
	ds_read2_b64 v[134:137], v132 offset0:107 offset1:108
	s_waitcnt vmcnt(4) lgkmcnt(0)
	v_fmac_f64_e32 v[130:131], v[144:145], v[134:135]
	;; [unrolled: 5-line block ×3, first 2 shown]
	buffer_load_dword v135, off, s[0:3], 0 offset:372
	buffer_load_dword v134, off, s[0:3], 0 offset:368
	buffer_load_dword v139, off, s[0:3], 0 offset:380
	buffer_load_dword v138, off, s[0:3], 0 offset:376
	s_waitcnt vmcnt(2)
	v_fmac_f64_e32 v[130:131], v[134:135], v[136:137]
	ds_read2_b64 v[134:137], v132 offset0:111 offset1:112
	s_waitcnt vmcnt(0) lgkmcnt(0)
	v_fmac_f64_e32 v[130:131], v[138:139], v[134:135]
	buffer_load_dword v135, off, s[0:3], 0 offset:388
	buffer_load_dword v134, off, s[0:3], 0 offset:384
	buffer_load_dword v139, off, s[0:3], 0 offset:396
	buffer_load_dword v138, off, s[0:3], 0 offset:392
	s_waitcnt vmcnt(2)
	v_fmac_f64_e32 v[130:131], v[134:135], v[136:137]
	ds_read2_b64 v[134:137], v132 offset0:113 offset1:114
	s_waitcnt vmcnt(0) lgkmcnt(0)
	v_fmac_f64_e32 v[130:131], v[138:139], v[134:135]
	;; [unrolled: 9-line block ×7, first 2 shown]
	buffer_load_dword v135, off, s[0:3], 0 offset:484
	buffer_load_dword v134, off, s[0:3], 0 offset:480
	s_waitcnt vmcnt(0)
	v_fmac_f64_e32 v[130:131], v[134:135], v[136:137]
	buffer_load_dword v137, off, s[0:3], 0 offset:492
	buffer_load_dword v136, off, s[0:3], 0 offset:488
	ds_read2_b64 v[132:135], v132 offset0:125 offset1:126
	s_waitcnt vmcnt(0) lgkmcnt(0)
	v_fmac_f64_e32 v[130:131], v[136:137], v[132:133]
	buffer_load_dword v133, off, s[0:3], 0 offset:500
	buffer_load_dword v132, off, s[0:3], 0 offset:496
	s_waitcnt vmcnt(0)
	v_fmac_f64_e32 v[130:131], v[132:133], v[134:135]
	v_add_f64 v[128:129], v[128:129], -v[130:131]
	buffer_store_dword v129, off, s[0:3], 0 offset:308
	buffer_store_dword v128, off, s[0:3], 0 offset:304
	s_and_saveexec_b64 s[4:5], vcc
	s_cbranch_execz .LBB62_311
; %bb.310:
	buffer_load_dword v128, off, s[0:3], 0 offset:296
	buffer_load_dword v129, off, s[0:3], 0 offset:300
	v_mov_b32_e32 v130, 0
	buffer_store_dword v130, off, s[0:3], 0 offset:296
	buffer_store_dword v130, off, s[0:3], 0 offset:300
	s_waitcnt vmcnt(2)
	ds_write_b64 v1, v[128:129]
.LBB62_311:
	s_or_b64 exec, exec, s[4:5]
	s_waitcnt lgkmcnt(0)
	; wave barrier
	s_waitcnt lgkmcnt(0)
	buffer_load_dword v128, off, s[0:3], 0 offset:296
	buffer_load_dword v129, off, s[0:3], 0 offset:300
	;; [unrolled: 1-line block ×16, first 2 shown]
	v_mov_b32_e32 v132, 0
	ds_read_b128 v[134:137], v132 offset:816
	ds_read_b128 v[138:141], v132 offset:832
	;; [unrolled: 1-line block ×4, first 2 shown]
	v_cmp_lt_u32_e32 vcc, 36, v0
	s_waitcnt vmcnt(12) lgkmcnt(3)
	v_fma_f64 v[130:131], v[130:131], v[134:135], 0
	buffer_load_dword v135, off, s[0:3], 0 offset:364
	buffer_load_dword v134, off, s[0:3], 0 offset:360
	s_waitcnt vmcnt(12)
	v_fmac_f64_e32 v[130:131], v[150:151], v[136:137]
	s_waitcnt vmcnt(10) lgkmcnt(2)
	v_fmac_f64_e32 v[130:131], v[152:153], v[138:139]
	buffer_load_dword v139, off, s[0:3], 0 offset:372
	buffer_load_dword v138, off, s[0:3], 0 offset:368
	s_waitcnt vmcnt(10)
	v_fmac_f64_e32 v[130:131], v[154:155], v[140:141]
	s_waitcnt vmcnt(8) lgkmcnt(1)
	v_fmac_f64_e32 v[130:131], v[156:157], v[142:143]
	s_waitcnt vmcnt(6)
	v_fmac_f64_e32 v[130:131], v[158:159], v[144:145]
	s_waitcnt vmcnt(4) lgkmcnt(0)
	v_fmac_f64_e32 v[130:131], v[160:161], v[146:147]
	s_waitcnt vmcnt(2)
	v_fmac_f64_e32 v[130:131], v[134:135], v[148:149]
	ds_read_b128 v[134:137], v132 offset:880
	s_waitcnt vmcnt(0) lgkmcnt(0)
	v_fmac_f64_e32 v[130:131], v[138:139], v[134:135]
	buffer_load_dword v135, off, s[0:3], 0 offset:380
	buffer_load_dword v134, off, s[0:3], 0 offset:376
	buffer_load_dword v139, off, s[0:3], 0 offset:388
	buffer_load_dword v138, off, s[0:3], 0 offset:384
	s_waitcnt vmcnt(2)
	v_fmac_f64_e32 v[130:131], v[134:135], v[136:137]
	ds_read_b128 v[134:137], v132 offset:896
	s_waitcnt vmcnt(0) lgkmcnt(0)
	v_fmac_f64_e32 v[130:131], v[138:139], v[134:135]
	buffer_load_dword v135, off, s[0:3], 0 offset:396
	buffer_load_dword v134, off, s[0:3], 0 offset:392
	buffer_load_dword v139, off, s[0:3], 0 offset:404
	buffer_load_dword v138, off, s[0:3], 0 offset:400
	;; [unrolled: 9-line block ×7, first 2 shown]
	s_waitcnt vmcnt(2)
	v_fmac_f64_e32 v[130:131], v[134:135], v[136:137]
	ds_read_b128 v[134:137], v132 offset:992
	s_waitcnt vmcnt(0) lgkmcnt(0)
	v_fmac_f64_e32 v[130:131], v[138:139], v[134:135]
	buffer_load_dword v135, off, s[0:3], 0 offset:492
	buffer_load_dword v134, off, s[0:3], 0 offset:488
	s_waitcnt vmcnt(0)
	v_fmac_f64_e32 v[130:131], v[134:135], v[136:137]
	buffer_load_dword v135, off, s[0:3], 0 offset:500
	buffer_load_dword v134, off, s[0:3], 0 offset:496
	ds_read_b64 v[136:137], v132 offset:1008
	s_waitcnt vmcnt(0) lgkmcnt(0)
	v_fmac_f64_e32 v[130:131], v[134:135], v[136:137]
	v_add_f64 v[128:129], v[128:129], -v[130:131]
	buffer_store_dword v129, off, s[0:3], 0 offset:300
	buffer_store_dword v128, off, s[0:3], 0 offset:296
	s_and_saveexec_b64 s[4:5], vcc
	s_cbranch_execz .LBB62_313
; %bb.312:
	buffer_load_dword v128, off, s[0:3], 0 offset:288
	buffer_load_dword v129, off, s[0:3], 0 offset:292
	s_waitcnt vmcnt(0)
	ds_write_b64 v1, v[128:129]
	buffer_store_dword v132, off, s[0:3], 0 offset:288
	buffer_store_dword v132, off, s[0:3], 0 offset:292
.LBB62_313:
	s_or_b64 exec, exec, s[4:5]
	s_waitcnt lgkmcnt(0)
	; wave barrier
	s_waitcnt lgkmcnt(0)
	buffer_load_dword v128, off, s[0:3], 0 offset:288
	buffer_load_dword v129, off, s[0:3], 0 offset:292
	;; [unrolled: 1-line block ×16, first 2 shown]
	ds_read2_b64 v[134:137], v132 offset0:101 offset1:102
	v_cmp_lt_u32_e32 vcc, 35, v0
	s_waitcnt vmcnt(12) lgkmcnt(0)
	v_fma_f64 v[130:131], v[130:131], v[134:135], 0
	s_waitcnt vmcnt(10)
	v_fmac_f64_e32 v[130:131], v[138:139], v[136:137]
	ds_read2_b64 v[134:137], v132 offset0:103 offset1:104
	s_waitcnt vmcnt(8) lgkmcnt(0)
	v_fmac_f64_e32 v[130:131], v[140:141], v[134:135]
	s_waitcnt vmcnt(6)
	v_fmac_f64_e32 v[130:131], v[142:143], v[136:137]
	ds_read2_b64 v[134:137], v132 offset0:105 offset1:106
	s_waitcnt vmcnt(4) lgkmcnt(0)
	v_fmac_f64_e32 v[130:131], v[144:145], v[134:135]
	;; [unrolled: 5-line block ×3, first 2 shown]
	buffer_load_dword v135, off, s[0:3], 0 offset:356
	buffer_load_dword v134, off, s[0:3], 0 offset:352
	buffer_load_dword v139, off, s[0:3], 0 offset:364
	buffer_load_dword v138, off, s[0:3], 0 offset:360
	s_waitcnt vmcnt(2)
	v_fmac_f64_e32 v[130:131], v[134:135], v[136:137]
	ds_read2_b64 v[134:137], v132 offset0:109 offset1:110
	s_waitcnt vmcnt(0) lgkmcnt(0)
	v_fmac_f64_e32 v[130:131], v[138:139], v[134:135]
	buffer_load_dword v135, off, s[0:3], 0 offset:372
	buffer_load_dword v134, off, s[0:3], 0 offset:368
	buffer_load_dword v139, off, s[0:3], 0 offset:380
	buffer_load_dword v138, off, s[0:3], 0 offset:376
	s_waitcnt vmcnt(2)
	v_fmac_f64_e32 v[130:131], v[134:135], v[136:137]
	ds_read2_b64 v[134:137], v132 offset0:111 offset1:112
	s_waitcnt vmcnt(0) lgkmcnt(0)
	v_fmac_f64_e32 v[130:131], v[138:139], v[134:135]
	;; [unrolled: 9-line block ×8, first 2 shown]
	buffer_load_dword v135, off, s[0:3], 0 offset:484
	buffer_load_dword v134, off, s[0:3], 0 offset:480
	s_waitcnt vmcnt(0)
	v_fmac_f64_e32 v[130:131], v[134:135], v[136:137]
	buffer_load_dword v137, off, s[0:3], 0 offset:492
	buffer_load_dword v136, off, s[0:3], 0 offset:488
	ds_read2_b64 v[132:135], v132 offset0:125 offset1:126
	s_waitcnt vmcnt(0) lgkmcnt(0)
	v_fmac_f64_e32 v[130:131], v[136:137], v[132:133]
	buffer_load_dword v133, off, s[0:3], 0 offset:500
	buffer_load_dword v132, off, s[0:3], 0 offset:496
	s_waitcnt vmcnt(0)
	v_fmac_f64_e32 v[130:131], v[132:133], v[134:135]
	v_add_f64 v[128:129], v[128:129], -v[130:131]
	buffer_store_dword v129, off, s[0:3], 0 offset:292
	buffer_store_dword v128, off, s[0:3], 0 offset:288
	s_and_saveexec_b64 s[4:5], vcc
	s_cbranch_execz .LBB62_315
; %bb.314:
	buffer_load_dword v128, off, s[0:3], 0 offset:280
	buffer_load_dword v129, off, s[0:3], 0 offset:284
	v_mov_b32_e32 v130, 0
	buffer_store_dword v130, off, s[0:3], 0 offset:280
	buffer_store_dword v130, off, s[0:3], 0 offset:284
	s_waitcnt vmcnt(2)
	ds_write_b64 v1, v[128:129]
.LBB62_315:
	s_or_b64 exec, exec, s[4:5]
	s_waitcnt lgkmcnt(0)
	; wave barrier
	s_waitcnt lgkmcnt(0)
	buffer_load_dword v128, off, s[0:3], 0 offset:280
	buffer_load_dword v129, off, s[0:3], 0 offset:284
	;; [unrolled: 1-line block ×16, first 2 shown]
	v_mov_b32_e32 v132, 0
	ds_read_b128 v[134:137], v132 offset:800
	ds_read_b128 v[138:141], v132 offset:816
	;; [unrolled: 1-line block ×4, first 2 shown]
	v_cmp_lt_u32_e32 vcc, 34, v0
	s_waitcnt vmcnt(12) lgkmcnt(3)
	v_fma_f64 v[130:131], v[130:131], v[134:135], 0
	buffer_load_dword v135, off, s[0:3], 0 offset:348
	buffer_load_dword v134, off, s[0:3], 0 offset:344
	s_waitcnt vmcnt(12)
	v_fmac_f64_e32 v[130:131], v[150:151], v[136:137]
	s_waitcnt vmcnt(10) lgkmcnt(2)
	v_fmac_f64_e32 v[130:131], v[152:153], v[138:139]
	buffer_load_dword v139, off, s[0:3], 0 offset:356
	buffer_load_dword v138, off, s[0:3], 0 offset:352
	s_waitcnt vmcnt(10)
	v_fmac_f64_e32 v[130:131], v[154:155], v[140:141]
	s_waitcnt vmcnt(8) lgkmcnt(1)
	v_fmac_f64_e32 v[130:131], v[156:157], v[142:143]
	s_waitcnt vmcnt(6)
	v_fmac_f64_e32 v[130:131], v[158:159], v[144:145]
	s_waitcnt vmcnt(4) lgkmcnt(0)
	v_fmac_f64_e32 v[130:131], v[160:161], v[146:147]
	s_waitcnt vmcnt(2)
	v_fmac_f64_e32 v[130:131], v[134:135], v[148:149]
	ds_read_b128 v[134:137], v132 offset:864
	s_waitcnt vmcnt(0) lgkmcnt(0)
	v_fmac_f64_e32 v[130:131], v[138:139], v[134:135]
	buffer_load_dword v135, off, s[0:3], 0 offset:364
	buffer_load_dword v134, off, s[0:3], 0 offset:360
	buffer_load_dword v139, off, s[0:3], 0 offset:372
	buffer_load_dword v138, off, s[0:3], 0 offset:368
	s_waitcnt vmcnt(2)
	v_fmac_f64_e32 v[130:131], v[134:135], v[136:137]
	ds_read_b128 v[134:137], v132 offset:880
	s_waitcnt vmcnt(0) lgkmcnt(0)
	v_fmac_f64_e32 v[130:131], v[138:139], v[134:135]
	buffer_load_dword v135, off, s[0:3], 0 offset:380
	buffer_load_dword v134, off, s[0:3], 0 offset:376
	buffer_load_dword v139, off, s[0:3], 0 offset:388
	buffer_load_dword v138, off, s[0:3], 0 offset:384
	s_waitcnt vmcnt(2)
	v_fmac_f64_e32 v[130:131], v[134:135], v[136:137]
	ds_read_b128 v[134:137], v132 offset:896
	s_waitcnt vmcnt(0) lgkmcnt(0)
	v_fmac_f64_e32 v[130:131], v[138:139], v[134:135]
	buffer_load_dword v135, off, s[0:3], 0 offset:396
	buffer_load_dword v134, off, s[0:3], 0 offset:392
	buffer_load_dword v139, off, s[0:3], 0 offset:404
	buffer_load_dword v138, off, s[0:3], 0 offset:400
	s_waitcnt vmcnt(2)
	v_fmac_f64_e32 v[130:131], v[134:135], v[136:137]
	ds_read_b128 v[134:137], v132 offset:912
	s_waitcnt vmcnt(0) lgkmcnt(0)
	v_fmac_f64_e32 v[130:131], v[138:139], v[134:135]
	buffer_load_dword v135, off, s[0:3], 0 offset:412
	buffer_load_dword v134, off, s[0:3], 0 offset:408
	buffer_load_dword v139, off, s[0:3], 0 offset:420
	buffer_load_dword v138, off, s[0:3], 0 offset:416
	s_waitcnt vmcnt(2)
	v_fmac_f64_e32 v[130:131], v[134:135], v[136:137]
	ds_read_b128 v[134:137], v132 offset:928
	s_waitcnt vmcnt(0) lgkmcnt(0)
	v_fmac_f64_e32 v[130:131], v[138:139], v[134:135]
	buffer_load_dword v135, off, s[0:3], 0 offset:428
	buffer_load_dword v134, off, s[0:3], 0 offset:424
	buffer_load_dword v139, off, s[0:3], 0 offset:436
	buffer_load_dword v138, off, s[0:3], 0 offset:432
	s_waitcnt vmcnt(2)
	v_fmac_f64_e32 v[130:131], v[134:135], v[136:137]
	ds_read_b128 v[134:137], v132 offset:944
	s_waitcnt vmcnt(0) lgkmcnt(0)
	v_fmac_f64_e32 v[130:131], v[138:139], v[134:135]
	buffer_load_dword v135, off, s[0:3], 0 offset:444
	buffer_load_dword v134, off, s[0:3], 0 offset:440
	buffer_load_dword v139, off, s[0:3], 0 offset:452
	buffer_load_dword v138, off, s[0:3], 0 offset:448
	s_waitcnt vmcnt(2)
	v_fmac_f64_e32 v[130:131], v[134:135], v[136:137]
	ds_read_b128 v[134:137], v132 offset:960
	s_waitcnt vmcnt(0) lgkmcnt(0)
	v_fmac_f64_e32 v[130:131], v[138:139], v[134:135]
	buffer_load_dword v135, off, s[0:3], 0 offset:460
	buffer_load_dword v134, off, s[0:3], 0 offset:456
	buffer_load_dword v139, off, s[0:3], 0 offset:468
	buffer_load_dword v138, off, s[0:3], 0 offset:464
	s_waitcnt vmcnt(2)
	v_fmac_f64_e32 v[130:131], v[134:135], v[136:137]
	ds_read_b128 v[134:137], v132 offset:976
	s_waitcnt vmcnt(0) lgkmcnt(0)
	v_fmac_f64_e32 v[130:131], v[138:139], v[134:135]
	buffer_load_dword v135, off, s[0:3], 0 offset:476
	buffer_load_dword v134, off, s[0:3], 0 offset:472
	buffer_load_dword v139, off, s[0:3], 0 offset:484
	buffer_load_dword v138, off, s[0:3], 0 offset:480
	s_waitcnt vmcnt(2)
	v_fmac_f64_e32 v[130:131], v[134:135], v[136:137]
	ds_read_b128 v[134:137], v132 offset:992
	s_waitcnt vmcnt(0) lgkmcnt(0)
	v_fmac_f64_e32 v[130:131], v[138:139], v[134:135]
	buffer_load_dword v135, off, s[0:3], 0 offset:492
	buffer_load_dword v134, off, s[0:3], 0 offset:488
	s_waitcnt vmcnt(0)
	v_fmac_f64_e32 v[130:131], v[134:135], v[136:137]
	buffer_load_dword v135, off, s[0:3], 0 offset:500
	buffer_load_dword v134, off, s[0:3], 0 offset:496
	ds_read_b64 v[136:137], v132 offset:1008
	s_waitcnt vmcnt(0) lgkmcnt(0)
	v_fmac_f64_e32 v[130:131], v[134:135], v[136:137]
	v_add_f64 v[128:129], v[128:129], -v[130:131]
	buffer_store_dword v129, off, s[0:3], 0 offset:284
	buffer_store_dword v128, off, s[0:3], 0 offset:280
	s_and_saveexec_b64 s[4:5], vcc
	s_cbranch_execz .LBB62_317
; %bb.316:
	buffer_load_dword v128, off, s[0:3], 0 offset:272
	buffer_load_dword v129, off, s[0:3], 0 offset:276
	s_waitcnt vmcnt(0)
	ds_write_b64 v1, v[128:129]
	buffer_store_dword v132, off, s[0:3], 0 offset:272
	buffer_store_dword v132, off, s[0:3], 0 offset:276
.LBB62_317:
	s_or_b64 exec, exec, s[4:5]
	s_waitcnt lgkmcnt(0)
	; wave barrier
	s_waitcnt lgkmcnt(0)
	buffer_load_dword v128, off, s[0:3], 0 offset:272
	buffer_load_dword v129, off, s[0:3], 0 offset:276
	;; [unrolled: 1-line block ×16, first 2 shown]
	ds_read2_b64 v[134:137], v132 offset0:99 offset1:100
	v_cmp_lt_u32_e32 vcc, 33, v0
	s_waitcnt vmcnt(12) lgkmcnt(0)
	v_fma_f64 v[130:131], v[130:131], v[134:135], 0
	s_waitcnt vmcnt(10)
	v_fmac_f64_e32 v[130:131], v[138:139], v[136:137]
	ds_read2_b64 v[134:137], v132 offset0:101 offset1:102
	s_waitcnt vmcnt(8) lgkmcnt(0)
	v_fmac_f64_e32 v[130:131], v[140:141], v[134:135]
	s_waitcnt vmcnt(6)
	v_fmac_f64_e32 v[130:131], v[142:143], v[136:137]
	ds_read2_b64 v[134:137], v132 offset0:103 offset1:104
	s_waitcnt vmcnt(4) lgkmcnt(0)
	v_fmac_f64_e32 v[130:131], v[144:145], v[134:135]
	;; [unrolled: 5-line block ×3, first 2 shown]
	buffer_load_dword v135, off, s[0:3], 0 offset:340
	buffer_load_dword v134, off, s[0:3], 0 offset:336
	buffer_load_dword v139, off, s[0:3], 0 offset:348
	buffer_load_dword v138, off, s[0:3], 0 offset:344
	s_waitcnt vmcnt(2)
	v_fmac_f64_e32 v[130:131], v[134:135], v[136:137]
	ds_read2_b64 v[134:137], v132 offset0:107 offset1:108
	s_waitcnt vmcnt(0) lgkmcnt(0)
	v_fmac_f64_e32 v[130:131], v[138:139], v[134:135]
	buffer_load_dword v135, off, s[0:3], 0 offset:356
	buffer_load_dword v134, off, s[0:3], 0 offset:352
	buffer_load_dword v139, off, s[0:3], 0 offset:364
	buffer_load_dword v138, off, s[0:3], 0 offset:360
	s_waitcnt vmcnt(2)
	v_fmac_f64_e32 v[130:131], v[134:135], v[136:137]
	ds_read2_b64 v[134:137], v132 offset0:109 offset1:110
	s_waitcnt vmcnt(0) lgkmcnt(0)
	v_fmac_f64_e32 v[130:131], v[138:139], v[134:135]
	;; [unrolled: 9-line block ×9, first 2 shown]
	buffer_load_dword v135, off, s[0:3], 0 offset:484
	buffer_load_dword v134, off, s[0:3], 0 offset:480
	s_waitcnt vmcnt(0)
	v_fmac_f64_e32 v[130:131], v[134:135], v[136:137]
	buffer_load_dword v137, off, s[0:3], 0 offset:492
	buffer_load_dword v136, off, s[0:3], 0 offset:488
	ds_read2_b64 v[132:135], v132 offset0:125 offset1:126
	s_waitcnt vmcnt(0) lgkmcnt(0)
	v_fmac_f64_e32 v[130:131], v[136:137], v[132:133]
	buffer_load_dword v133, off, s[0:3], 0 offset:500
	buffer_load_dword v132, off, s[0:3], 0 offset:496
	s_waitcnt vmcnt(0)
	v_fmac_f64_e32 v[130:131], v[132:133], v[134:135]
	v_add_f64 v[128:129], v[128:129], -v[130:131]
	buffer_store_dword v129, off, s[0:3], 0 offset:276
	buffer_store_dword v128, off, s[0:3], 0 offset:272
	s_and_saveexec_b64 s[4:5], vcc
	s_cbranch_execz .LBB62_319
; %bb.318:
	buffer_load_dword v128, off, s[0:3], 0 offset:264
	buffer_load_dword v129, off, s[0:3], 0 offset:268
	v_mov_b32_e32 v130, 0
	buffer_store_dword v130, off, s[0:3], 0 offset:264
	buffer_store_dword v130, off, s[0:3], 0 offset:268
	s_waitcnt vmcnt(2)
	ds_write_b64 v1, v[128:129]
.LBB62_319:
	s_or_b64 exec, exec, s[4:5]
	s_waitcnt lgkmcnt(0)
	; wave barrier
	s_waitcnt lgkmcnt(0)
	buffer_load_dword v128, off, s[0:3], 0 offset:264
	buffer_load_dword v129, off, s[0:3], 0 offset:268
	;; [unrolled: 1-line block ×16, first 2 shown]
	v_mov_b32_e32 v132, 0
	ds_read_b128 v[134:137], v132 offset:784
	ds_read_b128 v[138:141], v132 offset:800
	;; [unrolled: 1-line block ×4, first 2 shown]
	v_cmp_lt_u32_e32 vcc, 32, v0
	s_waitcnt vmcnt(12) lgkmcnt(3)
	v_fma_f64 v[130:131], v[130:131], v[134:135], 0
	buffer_load_dword v135, off, s[0:3], 0 offset:332
	buffer_load_dword v134, off, s[0:3], 0 offset:328
	s_waitcnt vmcnt(12)
	v_fmac_f64_e32 v[130:131], v[150:151], v[136:137]
	s_waitcnt vmcnt(10) lgkmcnt(2)
	v_fmac_f64_e32 v[130:131], v[152:153], v[138:139]
	buffer_load_dword v139, off, s[0:3], 0 offset:340
	buffer_load_dword v138, off, s[0:3], 0 offset:336
	s_waitcnt vmcnt(10)
	v_fmac_f64_e32 v[130:131], v[154:155], v[140:141]
	s_waitcnt vmcnt(8) lgkmcnt(1)
	v_fmac_f64_e32 v[130:131], v[156:157], v[142:143]
	s_waitcnt vmcnt(6)
	v_fmac_f64_e32 v[130:131], v[158:159], v[144:145]
	s_waitcnt vmcnt(4) lgkmcnt(0)
	v_fmac_f64_e32 v[130:131], v[160:161], v[146:147]
	s_waitcnt vmcnt(2)
	v_fmac_f64_e32 v[130:131], v[134:135], v[148:149]
	ds_read_b128 v[134:137], v132 offset:848
	s_waitcnt vmcnt(0) lgkmcnt(0)
	v_fmac_f64_e32 v[130:131], v[138:139], v[134:135]
	buffer_load_dword v135, off, s[0:3], 0 offset:348
	buffer_load_dword v134, off, s[0:3], 0 offset:344
	buffer_load_dword v139, off, s[0:3], 0 offset:356
	buffer_load_dword v138, off, s[0:3], 0 offset:352
	s_waitcnt vmcnt(2)
	v_fmac_f64_e32 v[130:131], v[134:135], v[136:137]
	ds_read_b128 v[134:137], v132 offset:864
	s_waitcnt vmcnt(0) lgkmcnt(0)
	v_fmac_f64_e32 v[130:131], v[138:139], v[134:135]
	buffer_load_dword v135, off, s[0:3], 0 offset:364
	buffer_load_dword v134, off, s[0:3], 0 offset:360
	buffer_load_dword v139, off, s[0:3], 0 offset:372
	buffer_load_dword v138, off, s[0:3], 0 offset:368
	;; [unrolled: 9-line block ×9, first 2 shown]
	s_waitcnt vmcnt(2)
	v_fmac_f64_e32 v[130:131], v[134:135], v[136:137]
	ds_read_b128 v[134:137], v132 offset:992
	s_waitcnt vmcnt(0) lgkmcnt(0)
	v_fmac_f64_e32 v[130:131], v[138:139], v[134:135]
	buffer_load_dword v135, off, s[0:3], 0 offset:492
	buffer_load_dword v134, off, s[0:3], 0 offset:488
	s_waitcnt vmcnt(0)
	v_fmac_f64_e32 v[130:131], v[134:135], v[136:137]
	buffer_load_dword v135, off, s[0:3], 0 offset:500
	buffer_load_dword v134, off, s[0:3], 0 offset:496
	ds_read_b64 v[136:137], v132 offset:1008
	s_waitcnt vmcnt(0) lgkmcnt(0)
	v_fmac_f64_e32 v[130:131], v[134:135], v[136:137]
	v_add_f64 v[128:129], v[128:129], -v[130:131]
	buffer_store_dword v129, off, s[0:3], 0 offset:268
	buffer_store_dword v128, off, s[0:3], 0 offset:264
	s_and_saveexec_b64 s[4:5], vcc
	s_cbranch_execz .LBB62_321
; %bb.320:
	buffer_load_dword v128, off, s[0:3], 0 offset:256
	buffer_load_dword v129, off, s[0:3], 0 offset:260
	s_waitcnt vmcnt(0)
	ds_write_b64 v1, v[128:129]
	buffer_store_dword v132, off, s[0:3], 0 offset:256
	buffer_store_dword v132, off, s[0:3], 0 offset:260
.LBB62_321:
	s_or_b64 exec, exec, s[4:5]
	s_waitcnt lgkmcnt(0)
	; wave barrier
	s_waitcnt lgkmcnt(0)
	buffer_load_dword v128, off, s[0:3], 0 offset:256
	buffer_load_dword v129, off, s[0:3], 0 offset:260
	;; [unrolled: 1-line block ×16, first 2 shown]
	ds_read2_b64 v[134:137], v132 offset0:97 offset1:98
	v_cmp_lt_u32_e32 vcc, 31, v0
	s_waitcnt vmcnt(12) lgkmcnt(0)
	v_fma_f64 v[130:131], v[130:131], v[134:135], 0
	s_waitcnt vmcnt(10)
	v_fmac_f64_e32 v[130:131], v[138:139], v[136:137]
	ds_read2_b64 v[134:137], v132 offset0:99 offset1:100
	s_waitcnt vmcnt(8) lgkmcnt(0)
	v_fmac_f64_e32 v[130:131], v[140:141], v[134:135]
	s_waitcnt vmcnt(6)
	v_fmac_f64_e32 v[130:131], v[142:143], v[136:137]
	ds_read2_b64 v[134:137], v132 offset0:101 offset1:102
	s_waitcnt vmcnt(4) lgkmcnt(0)
	v_fmac_f64_e32 v[130:131], v[144:145], v[134:135]
	;; [unrolled: 5-line block ×3, first 2 shown]
	buffer_load_dword v135, off, s[0:3], 0 offset:324
	buffer_load_dword v134, off, s[0:3], 0 offset:320
	buffer_load_dword v139, off, s[0:3], 0 offset:332
	buffer_load_dword v138, off, s[0:3], 0 offset:328
	s_waitcnt vmcnt(2)
	v_fmac_f64_e32 v[130:131], v[134:135], v[136:137]
	ds_read2_b64 v[134:137], v132 offset0:105 offset1:106
	s_waitcnt vmcnt(0) lgkmcnt(0)
	v_fmac_f64_e32 v[130:131], v[138:139], v[134:135]
	buffer_load_dword v135, off, s[0:3], 0 offset:340
	buffer_load_dword v134, off, s[0:3], 0 offset:336
	buffer_load_dword v139, off, s[0:3], 0 offset:348
	buffer_load_dword v138, off, s[0:3], 0 offset:344
	s_waitcnt vmcnt(2)
	v_fmac_f64_e32 v[130:131], v[134:135], v[136:137]
	ds_read2_b64 v[134:137], v132 offset0:107 offset1:108
	s_waitcnt vmcnt(0) lgkmcnt(0)
	v_fmac_f64_e32 v[130:131], v[138:139], v[134:135]
	;; [unrolled: 9-line block ×10, first 2 shown]
	buffer_load_dword v135, off, s[0:3], 0 offset:484
	buffer_load_dword v134, off, s[0:3], 0 offset:480
	s_waitcnt vmcnt(0)
	v_fmac_f64_e32 v[130:131], v[134:135], v[136:137]
	buffer_load_dword v137, off, s[0:3], 0 offset:492
	buffer_load_dword v136, off, s[0:3], 0 offset:488
	ds_read2_b64 v[132:135], v132 offset0:125 offset1:126
	s_waitcnt vmcnt(0) lgkmcnt(0)
	v_fmac_f64_e32 v[130:131], v[136:137], v[132:133]
	buffer_load_dword v133, off, s[0:3], 0 offset:500
	buffer_load_dword v132, off, s[0:3], 0 offset:496
	s_waitcnt vmcnt(0)
	v_fmac_f64_e32 v[130:131], v[132:133], v[134:135]
	v_add_f64 v[128:129], v[128:129], -v[130:131]
	buffer_store_dword v129, off, s[0:3], 0 offset:260
	buffer_store_dword v128, off, s[0:3], 0 offset:256
	s_and_saveexec_b64 s[4:5], vcc
	s_cbranch_execz .LBB62_323
; %bb.322:
	buffer_load_dword v128, off, s[0:3], 0 offset:248
	buffer_load_dword v129, off, s[0:3], 0 offset:252
	v_mov_b32_e32 v130, 0
	buffer_store_dword v130, off, s[0:3], 0 offset:248
	buffer_store_dword v130, off, s[0:3], 0 offset:252
	s_waitcnt vmcnt(2)
	ds_write_b64 v1, v[128:129]
.LBB62_323:
	s_or_b64 exec, exec, s[4:5]
	s_waitcnt lgkmcnt(0)
	; wave barrier
	s_waitcnt lgkmcnt(0)
	buffer_load_dword v128, off, s[0:3], 0 offset:248
	buffer_load_dword v129, off, s[0:3], 0 offset:252
	;; [unrolled: 1-line block ×16, first 2 shown]
	v_mov_b32_e32 v132, 0
	ds_read_b128 v[134:137], v132 offset:768
	ds_read_b128 v[138:141], v132 offset:784
	;; [unrolled: 1-line block ×4, first 2 shown]
	v_cmp_lt_u32_e32 vcc, 30, v0
	s_waitcnt vmcnt(12) lgkmcnt(3)
	v_fma_f64 v[130:131], v[130:131], v[134:135], 0
	buffer_load_dword v135, off, s[0:3], 0 offset:316
	buffer_load_dword v134, off, s[0:3], 0 offset:312
	s_waitcnt vmcnt(12)
	v_fmac_f64_e32 v[130:131], v[150:151], v[136:137]
	s_waitcnt vmcnt(10) lgkmcnt(2)
	v_fmac_f64_e32 v[130:131], v[152:153], v[138:139]
	buffer_load_dword v139, off, s[0:3], 0 offset:324
	buffer_load_dword v138, off, s[0:3], 0 offset:320
	s_waitcnt vmcnt(10)
	v_fmac_f64_e32 v[130:131], v[154:155], v[140:141]
	s_waitcnt vmcnt(8) lgkmcnt(1)
	v_fmac_f64_e32 v[130:131], v[156:157], v[142:143]
	s_waitcnt vmcnt(6)
	v_fmac_f64_e32 v[130:131], v[158:159], v[144:145]
	s_waitcnt vmcnt(4) lgkmcnt(0)
	v_fmac_f64_e32 v[130:131], v[160:161], v[146:147]
	s_waitcnt vmcnt(2)
	v_fmac_f64_e32 v[130:131], v[134:135], v[148:149]
	ds_read_b128 v[134:137], v132 offset:832
	s_waitcnt vmcnt(0) lgkmcnt(0)
	v_fmac_f64_e32 v[130:131], v[138:139], v[134:135]
	buffer_load_dword v135, off, s[0:3], 0 offset:332
	buffer_load_dword v134, off, s[0:3], 0 offset:328
	buffer_load_dword v139, off, s[0:3], 0 offset:340
	buffer_load_dword v138, off, s[0:3], 0 offset:336
	s_waitcnt vmcnt(2)
	v_fmac_f64_e32 v[130:131], v[134:135], v[136:137]
	ds_read_b128 v[134:137], v132 offset:848
	s_waitcnt vmcnt(0) lgkmcnt(0)
	v_fmac_f64_e32 v[130:131], v[138:139], v[134:135]
	buffer_load_dword v135, off, s[0:3], 0 offset:348
	buffer_load_dword v134, off, s[0:3], 0 offset:344
	buffer_load_dword v139, off, s[0:3], 0 offset:356
	buffer_load_dword v138, off, s[0:3], 0 offset:352
	;; [unrolled: 9-line block ×10, first 2 shown]
	s_waitcnt vmcnt(2)
	v_fmac_f64_e32 v[130:131], v[134:135], v[136:137]
	ds_read_b128 v[134:137], v132 offset:992
	s_waitcnt vmcnt(0) lgkmcnt(0)
	v_fmac_f64_e32 v[130:131], v[138:139], v[134:135]
	buffer_load_dword v135, off, s[0:3], 0 offset:492
	buffer_load_dword v134, off, s[0:3], 0 offset:488
	s_waitcnt vmcnt(0)
	v_fmac_f64_e32 v[130:131], v[134:135], v[136:137]
	buffer_load_dword v135, off, s[0:3], 0 offset:500
	buffer_load_dword v134, off, s[0:3], 0 offset:496
	ds_read_b64 v[136:137], v132 offset:1008
	s_waitcnt vmcnt(0) lgkmcnt(0)
	v_fmac_f64_e32 v[130:131], v[134:135], v[136:137]
	v_add_f64 v[128:129], v[128:129], -v[130:131]
	buffer_store_dword v129, off, s[0:3], 0 offset:252
	buffer_store_dword v128, off, s[0:3], 0 offset:248
	s_and_saveexec_b64 s[4:5], vcc
	s_cbranch_execz .LBB62_325
; %bb.324:
	buffer_load_dword v128, off, s[0:3], 0 offset:240
	buffer_load_dword v129, off, s[0:3], 0 offset:244
	s_waitcnt vmcnt(0)
	ds_write_b64 v1, v[128:129]
	buffer_store_dword v132, off, s[0:3], 0 offset:240
	buffer_store_dword v132, off, s[0:3], 0 offset:244
.LBB62_325:
	s_or_b64 exec, exec, s[4:5]
	s_waitcnt lgkmcnt(0)
	; wave barrier
	s_waitcnt lgkmcnt(0)
	buffer_load_dword v128, off, s[0:3], 0 offset:240
	buffer_load_dword v129, off, s[0:3], 0 offset:244
	;; [unrolled: 1-line block ×16, first 2 shown]
	ds_read2_b64 v[134:137], v132 offset0:95 offset1:96
	v_cmp_lt_u32_e32 vcc, 29, v0
	s_waitcnt vmcnt(12) lgkmcnt(0)
	v_fma_f64 v[130:131], v[130:131], v[134:135], 0
	s_waitcnt vmcnt(10)
	v_fmac_f64_e32 v[130:131], v[138:139], v[136:137]
	ds_read2_b64 v[134:137], v132 offset0:97 offset1:98
	s_waitcnt vmcnt(8) lgkmcnt(0)
	v_fmac_f64_e32 v[130:131], v[140:141], v[134:135]
	s_waitcnt vmcnt(6)
	v_fmac_f64_e32 v[130:131], v[142:143], v[136:137]
	ds_read2_b64 v[134:137], v132 offset0:99 offset1:100
	s_waitcnt vmcnt(4) lgkmcnt(0)
	v_fmac_f64_e32 v[130:131], v[144:145], v[134:135]
	;; [unrolled: 5-line block ×3, first 2 shown]
	buffer_load_dword v135, off, s[0:3], 0 offset:308
	buffer_load_dword v134, off, s[0:3], 0 offset:304
	buffer_load_dword v139, off, s[0:3], 0 offset:316
	buffer_load_dword v138, off, s[0:3], 0 offset:312
	s_waitcnt vmcnt(2)
	v_fmac_f64_e32 v[130:131], v[134:135], v[136:137]
	ds_read2_b64 v[134:137], v132 offset0:103 offset1:104
	s_waitcnt vmcnt(0) lgkmcnt(0)
	v_fmac_f64_e32 v[130:131], v[138:139], v[134:135]
	buffer_load_dword v135, off, s[0:3], 0 offset:324
	buffer_load_dword v134, off, s[0:3], 0 offset:320
	buffer_load_dword v139, off, s[0:3], 0 offset:332
	buffer_load_dword v138, off, s[0:3], 0 offset:328
	s_waitcnt vmcnt(2)
	v_fmac_f64_e32 v[130:131], v[134:135], v[136:137]
	ds_read2_b64 v[134:137], v132 offset0:105 offset1:106
	s_waitcnt vmcnt(0) lgkmcnt(0)
	v_fmac_f64_e32 v[130:131], v[138:139], v[134:135]
	;; [unrolled: 9-line block ×11, first 2 shown]
	buffer_load_dword v135, off, s[0:3], 0 offset:484
	buffer_load_dword v134, off, s[0:3], 0 offset:480
	s_waitcnt vmcnt(0)
	v_fmac_f64_e32 v[130:131], v[134:135], v[136:137]
	buffer_load_dword v137, off, s[0:3], 0 offset:492
	buffer_load_dword v136, off, s[0:3], 0 offset:488
	ds_read2_b64 v[132:135], v132 offset0:125 offset1:126
	s_waitcnt vmcnt(0) lgkmcnt(0)
	v_fmac_f64_e32 v[130:131], v[136:137], v[132:133]
	buffer_load_dword v133, off, s[0:3], 0 offset:500
	buffer_load_dword v132, off, s[0:3], 0 offset:496
	s_waitcnt vmcnt(0)
	v_fmac_f64_e32 v[130:131], v[132:133], v[134:135]
	v_add_f64 v[128:129], v[128:129], -v[130:131]
	buffer_store_dword v129, off, s[0:3], 0 offset:244
	buffer_store_dword v128, off, s[0:3], 0 offset:240
	s_and_saveexec_b64 s[4:5], vcc
	s_cbranch_execz .LBB62_327
; %bb.326:
	buffer_load_dword v128, off, s[0:3], 0 offset:232
	buffer_load_dword v129, off, s[0:3], 0 offset:236
	v_mov_b32_e32 v130, 0
	buffer_store_dword v130, off, s[0:3], 0 offset:232
	buffer_store_dword v130, off, s[0:3], 0 offset:236
	s_waitcnt vmcnt(2)
	ds_write_b64 v1, v[128:129]
.LBB62_327:
	s_or_b64 exec, exec, s[4:5]
	s_waitcnt lgkmcnt(0)
	; wave barrier
	s_waitcnt lgkmcnt(0)
	buffer_load_dword v128, off, s[0:3], 0 offset:232
	buffer_load_dword v129, off, s[0:3], 0 offset:236
	;; [unrolled: 1-line block ×16, first 2 shown]
	v_mov_b32_e32 v132, 0
	ds_read_b128 v[134:137], v132 offset:752
	ds_read_b128 v[138:141], v132 offset:768
	;; [unrolled: 1-line block ×4, first 2 shown]
	v_cmp_lt_u32_e32 vcc, 28, v0
	s_waitcnt vmcnt(12) lgkmcnt(3)
	v_fma_f64 v[130:131], v[130:131], v[134:135], 0
	buffer_load_dword v135, off, s[0:3], 0 offset:300
	buffer_load_dword v134, off, s[0:3], 0 offset:296
	s_waitcnt vmcnt(12)
	v_fmac_f64_e32 v[130:131], v[150:151], v[136:137]
	s_waitcnt vmcnt(10) lgkmcnt(2)
	v_fmac_f64_e32 v[130:131], v[152:153], v[138:139]
	buffer_load_dword v139, off, s[0:3], 0 offset:308
	buffer_load_dword v138, off, s[0:3], 0 offset:304
	s_waitcnt vmcnt(10)
	v_fmac_f64_e32 v[130:131], v[154:155], v[140:141]
	s_waitcnt vmcnt(8) lgkmcnt(1)
	v_fmac_f64_e32 v[130:131], v[156:157], v[142:143]
	s_waitcnt vmcnt(6)
	v_fmac_f64_e32 v[130:131], v[158:159], v[144:145]
	s_waitcnt vmcnt(4) lgkmcnt(0)
	v_fmac_f64_e32 v[130:131], v[160:161], v[146:147]
	s_waitcnt vmcnt(2)
	v_fmac_f64_e32 v[130:131], v[134:135], v[148:149]
	ds_read_b128 v[134:137], v132 offset:816
	s_waitcnt vmcnt(0) lgkmcnt(0)
	v_fmac_f64_e32 v[130:131], v[138:139], v[134:135]
	buffer_load_dword v135, off, s[0:3], 0 offset:316
	buffer_load_dword v134, off, s[0:3], 0 offset:312
	buffer_load_dword v139, off, s[0:3], 0 offset:324
	buffer_load_dword v138, off, s[0:3], 0 offset:320
	s_waitcnt vmcnt(2)
	v_fmac_f64_e32 v[130:131], v[134:135], v[136:137]
	ds_read_b128 v[134:137], v132 offset:832
	s_waitcnt vmcnt(0) lgkmcnt(0)
	v_fmac_f64_e32 v[130:131], v[138:139], v[134:135]
	buffer_load_dword v135, off, s[0:3], 0 offset:332
	buffer_load_dword v134, off, s[0:3], 0 offset:328
	buffer_load_dword v139, off, s[0:3], 0 offset:340
	buffer_load_dword v138, off, s[0:3], 0 offset:336
	s_waitcnt vmcnt(2)
	v_fmac_f64_e32 v[130:131], v[134:135], v[136:137]
	ds_read_b128 v[134:137], v132 offset:848
	s_waitcnt vmcnt(0) lgkmcnt(0)
	v_fmac_f64_e32 v[130:131], v[138:139], v[134:135]
	buffer_load_dword v135, off, s[0:3], 0 offset:348
	buffer_load_dword v134, off, s[0:3], 0 offset:344
	buffer_load_dword v139, off, s[0:3], 0 offset:356
	buffer_load_dword v138, off, s[0:3], 0 offset:352
	s_waitcnt vmcnt(2)
	v_fmac_f64_e32 v[130:131], v[134:135], v[136:137]
	ds_read_b128 v[134:137], v132 offset:864
	s_waitcnt vmcnt(0) lgkmcnt(0)
	v_fmac_f64_e32 v[130:131], v[138:139], v[134:135]
	buffer_load_dword v135, off, s[0:3], 0 offset:364
	buffer_load_dword v134, off, s[0:3], 0 offset:360
	buffer_load_dword v139, off, s[0:3], 0 offset:372
	buffer_load_dword v138, off, s[0:3], 0 offset:368
	s_waitcnt vmcnt(2)
	v_fmac_f64_e32 v[130:131], v[134:135], v[136:137]
	ds_read_b128 v[134:137], v132 offset:880
	s_waitcnt vmcnt(0) lgkmcnt(0)
	v_fmac_f64_e32 v[130:131], v[138:139], v[134:135]
	buffer_load_dword v135, off, s[0:3], 0 offset:380
	buffer_load_dword v134, off, s[0:3], 0 offset:376
	buffer_load_dword v139, off, s[0:3], 0 offset:388
	buffer_load_dword v138, off, s[0:3], 0 offset:384
	s_waitcnt vmcnt(2)
	v_fmac_f64_e32 v[130:131], v[134:135], v[136:137]
	ds_read_b128 v[134:137], v132 offset:896
	s_waitcnt vmcnt(0) lgkmcnt(0)
	v_fmac_f64_e32 v[130:131], v[138:139], v[134:135]
	buffer_load_dword v135, off, s[0:3], 0 offset:396
	buffer_load_dword v134, off, s[0:3], 0 offset:392
	buffer_load_dword v139, off, s[0:3], 0 offset:404
	buffer_load_dword v138, off, s[0:3], 0 offset:400
	s_waitcnt vmcnt(2)
	v_fmac_f64_e32 v[130:131], v[134:135], v[136:137]
	ds_read_b128 v[134:137], v132 offset:912
	s_waitcnt vmcnt(0) lgkmcnt(0)
	v_fmac_f64_e32 v[130:131], v[138:139], v[134:135]
	buffer_load_dword v135, off, s[0:3], 0 offset:412
	buffer_load_dword v134, off, s[0:3], 0 offset:408
	buffer_load_dword v139, off, s[0:3], 0 offset:420
	buffer_load_dword v138, off, s[0:3], 0 offset:416
	s_waitcnt vmcnt(2)
	v_fmac_f64_e32 v[130:131], v[134:135], v[136:137]
	ds_read_b128 v[134:137], v132 offset:928
	s_waitcnt vmcnt(0) lgkmcnt(0)
	v_fmac_f64_e32 v[130:131], v[138:139], v[134:135]
	buffer_load_dword v135, off, s[0:3], 0 offset:428
	buffer_load_dword v134, off, s[0:3], 0 offset:424
	buffer_load_dword v139, off, s[0:3], 0 offset:436
	buffer_load_dword v138, off, s[0:3], 0 offset:432
	s_waitcnt vmcnt(2)
	v_fmac_f64_e32 v[130:131], v[134:135], v[136:137]
	ds_read_b128 v[134:137], v132 offset:944
	s_waitcnt vmcnt(0) lgkmcnt(0)
	v_fmac_f64_e32 v[130:131], v[138:139], v[134:135]
	buffer_load_dword v135, off, s[0:3], 0 offset:444
	buffer_load_dword v134, off, s[0:3], 0 offset:440
	buffer_load_dword v139, off, s[0:3], 0 offset:452
	buffer_load_dword v138, off, s[0:3], 0 offset:448
	s_waitcnt vmcnt(2)
	v_fmac_f64_e32 v[130:131], v[134:135], v[136:137]
	ds_read_b128 v[134:137], v132 offset:960
	s_waitcnt vmcnt(0) lgkmcnt(0)
	v_fmac_f64_e32 v[130:131], v[138:139], v[134:135]
	buffer_load_dword v135, off, s[0:3], 0 offset:460
	buffer_load_dword v134, off, s[0:3], 0 offset:456
	buffer_load_dword v139, off, s[0:3], 0 offset:468
	buffer_load_dword v138, off, s[0:3], 0 offset:464
	s_waitcnt vmcnt(2)
	v_fmac_f64_e32 v[130:131], v[134:135], v[136:137]
	ds_read_b128 v[134:137], v132 offset:976
	s_waitcnt vmcnt(0) lgkmcnt(0)
	v_fmac_f64_e32 v[130:131], v[138:139], v[134:135]
	buffer_load_dword v135, off, s[0:3], 0 offset:476
	buffer_load_dword v134, off, s[0:3], 0 offset:472
	buffer_load_dword v139, off, s[0:3], 0 offset:484
	buffer_load_dword v138, off, s[0:3], 0 offset:480
	s_waitcnt vmcnt(2)
	v_fmac_f64_e32 v[130:131], v[134:135], v[136:137]
	ds_read_b128 v[134:137], v132 offset:992
	s_waitcnt vmcnt(0) lgkmcnt(0)
	v_fmac_f64_e32 v[130:131], v[138:139], v[134:135]
	buffer_load_dword v135, off, s[0:3], 0 offset:492
	buffer_load_dword v134, off, s[0:3], 0 offset:488
	s_waitcnt vmcnt(0)
	v_fmac_f64_e32 v[130:131], v[134:135], v[136:137]
	buffer_load_dword v135, off, s[0:3], 0 offset:500
	buffer_load_dword v134, off, s[0:3], 0 offset:496
	ds_read_b64 v[136:137], v132 offset:1008
	s_waitcnt vmcnt(0) lgkmcnt(0)
	v_fmac_f64_e32 v[130:131], v[134:135], v[136:137]
	v_add_f64 v[128:129], v[128:129], -v[130:131]
	buffer_store_dword v129, off, s[0:3], 0 offset:236
	buffer_store_dword v128, off, s[0:3], 0 offset:232
	s_and_saveexec_b64 s[4:5], vcc
	s_cbranch_execz .LBB62_329
; %bb.328:
	buffer_load_dword v128, off, s[0:3], 0 offset:224
	buffer_load_dword v129, off, s[0:3], 0 offset:228
	s_waitcnt vmcnt(0)
	ds_write_b64 v1, v[128:129]
	buffer_store_dword v132, off, s[0:3], 0 offset:224
	buffer_store_dword v132, off, s[0:3], 0 offset:228
.LBB62_329:
	s_or_b64 exec, exec, s[4:5]
	s_waitcnt lgkmcnt(0)
	; wave barrier
	s_waitcnt lgkmcnt(0)
	buffer_load_dword v128, off, s[0:3], 0 offset:224
	buffer_load_dword v129, off, s[0:3], 0 offset:228
	;; [unrolled: 1-line block ×16, first 2 shown]
	ds_read2_b64 v[134:137], v132 offset0:93 offset1:94
	v_cmp_lt_u32_e32 vcc, 27, v0
	s_waitcnt vmcnt(12) lgkmcnt(0)
	v_fma_f64 v[130:131], v[130:131], v[134:135], 0
	s_waitcnt vmcnt(10)
	v_fmac_f64_e32 v[130:131], v[138:139], v[136:137]
	ds_read2_b64 v[134:137], v132 offset0:95 offset1:96
	s_waitcnt vmcnt(8) lgkmcnt(0)
	v_fmac_f64_e32 v[130:131], v[140:141], v[134:135]
	s_waitcnt vmcnt(6)
	v_fmac_f64_e32 v[130:131], v[142:143], v[136:137]
	ds_read2_b64 v[134:137], v132 offset0:97 offset1:98
	s_waitcnt vmcnt(4) lgkmcnt(0)
	v_fmac_f64_e32 v[130:131], v[144:145], v[134:135]
	;; [unrolled: 5-line block ×3, first 2 shown]
	buffer_load_dword v135, off, s[0:3], 0 offset:292
	buffer_load_dword v134, off, s[0:3], 0 offset:288
	buffer_load_dword v139, off, s[0:3], 0 offset:300
	buffer_load_dword v138, off, s[0:3], 0 offset:296
	s_waitcnt vmcnt(2)
	v_fmac_f64_e32 v[130:131], v[134:135], v[136:137]
	ds_read2_b64 v[134:137], v132 offset0:101 offset1:102
	s_waitcnt vmcnt(0) lgkmcnt(0)
	v_fmac_f64_e32 v[130:131], v[138:139], v[134:135]
	buffer_load_dword v135, off, s[0:3], 0 offset:308
	buffer_load_dword v134, off, s[0:3], 0 offset:304
	buffer_load_dword v139, off, s[0:3], 0 offset:316
	buffer_load_dword v138, off, s[0:3], 0 offset:312
	s_waitcnt vmcnt(2)
	v_fmac_f64_e32 v[130:131], v[134:135], v[136:137]
	ds_read2_b64 v[134:137], v132 offset0:103 offset1:104
	s_waitcnt vmcnt(0) lgkmcnt(0)
	v_fmac_f64_e32 v[130:131], v[138:139], v[134:135]
	;; [unrolled: 9-line block ×12, first 2 shown]
	buffer_load_dword v135, off, s[0:3], 0 offset:484
	buffer_load_dword v134, off, s[0:3], 0 offset:480
	s_waitcnt vmcnt(0)
	v_fmac_f64_e32 v[130:131], v[134:135], v[136:137]
	buffer_load_dword v137, off, s[0:3], 0 offset:492
	buffer_load_dword v136, off, s[0:3], 0 offset:488
	ds_read2_b64 v[132:135], v132 offset0:125 offset1:126
	s_waitcnt vmcnt(0) lgkmcnt(0)
	v_fmac_f64_e32 v[130:131], v[136:137], v[132:133]
	buffer_load_dword v133, off, s[0:3], 0 offset:500
	buffer_load_dword v132, off, s[0:3], 0 offset:496
	s_waitcnt vmcnt(0)
	v_fmac_f64_e32 v[130:131], v[132:133], v[134:135]
	v_add_f64 v[128:129], v[128:129], -v[130:131]
	buffer_store_dword v129, off, s[0:3], 0 offset:228
	buffer_store_dword v128, off, s[0:3], 0 offset:224
	s_and_saveexec_b64 s[4:5], vcc
	s_cbranch_execz .LBB62_331
; %bb.330:
	buffer_load_dword v128, off, s[0:3], 0 offset:216
	buffer_load_dword v129, off, s[0:3], 0 offset:220
	v_mov_b32_e32 v130, 0
	buffer_store_dword v130, off, s[0:3], 0 offset:216
	buffer_store_dword v130, off, s[0:3], 0 offset:220
	s_waitcnt vmcnt(2)
	ds_write_b64 v1, v[128:129]
.LBB62_331:
	s_or_b64 exec, exec, s[4:5]
	s_waitcnt lgkmcnt(0)
	; wave barrier
	s_waitcnt lgkmcnt(0)
	buffer_load_dword v128, off, s[0:3], 0 offset:216
	buffer_load_dword v129, off, s[0:3], 0 offset:220
	;; [unrolled: 1-line block ×16, first 2 shown]
	v_mov_b32_e32 v132, 0
	ds_read_b128 v[134:137], v132 offset:736
	ds_read_b128 v[138:141], v132 offset:752
	;; [unrolled: 1-line block ×4, first 2 shown]
	v_cmp_lt_u32_e32 vcc, 26, v0
	s_waitcnt vmcnt(12) lgkmcnt(3)
	v_fma_f64 v[130:131], v[130:131], v[134:135], 0
	buffer_load_dword v135, off, s[0:3], 0 offset:284
	buffer_load_dword v134, off, s[0:3], 0 offset:280
	s_waitcnt vmcnt(12)
	v_fmac_f64_e32 v[130:131], v[150:151], v[136:137]
	s_waitcnt vmcnt(10) lgkmcnt(2)
	v_fmac_f64_e32 v[130:131], v[152:153], v[138:139]
	buffer_load_dword v139, off, s[0:3], 0 offset:292
	buffer_load_dword v138, off, s[0:3], 0 offset:288
	s_waitcnt vmcnt(10)
	v_fmac_f64_e32 v[130:131], v[154:155], v[140:141]
	s_waitcnt vmcnt(8) lgkmcnt(1)
	v_fmac_f64_e32 v[130:131], v[156:157], v[142:143]
	s_waitcnt vmcnt(6)
	v_fmac_f64_e32 v[130:131], v[158:159], v[144:145]
	s_waitcnt vmcnt(4) lgkmcnt(0)
	v_fmac_f64_e32 v[130:131], v[160:161], v[146:147]
	s_waitcnt vmcnt(2)
	v_fmac_f64_e32 v[130:131], v[134:135], v[148:149]
	ds_read_b128 v[134:137], v132 offset:800
	s_waitcnt vmcnt(0) lgkmcnt(0)
	v_fmac_f64_e32 v[130:131], v[138:139], v[134:135]
	buffer_load_dword v135, off, s[0:3], 0 offset:300
	buffer_load_dword v134, off, s[0:3], 0 offset:296
	buffer_load_dword v139, off, s[0:3], 0 offset:308
	buffer_load_dword v138, off, s[0:3], 0 offset:304
	s_waitcnt vmcnt(2)
	v_fmac_f64_e32 v[130:131], v[134:135], v[136:137]
	ds_read_b128 v[134:137], v132 offset:816
	s_waitcnt vmcnt(0) lgkmcnt(0)
	v_fmac_f64_e32 v[130:131], v[138:139], v[134:135]
	buffer_load_dword v135, off, s[0:3], 0 offset:316
	buffer_load_dword v134, off, s[0:3], 0 offset:312
	buffer_load_dword v139, off, s[0:3], 0 offset:324
	buffer_load_dword v138, off, s[0:3], 0 offset:320
	;; [unrolled: 9-line block ×12, first 2 shown]
	s_waitcnt vmcnt(2)
	v_fmac_f64_e32 v[130:131], v[134:135], v[136:137]
	ds_read_b128 v[134:137], v132 offset:992
	s_waitcnt vmcnt(0) lgkmcnt(0)
	v_fmac_f64_e32 v[130:131], v[138:139], v[134:135]
	buffer_load_dword v135, off, s[0:3], 0 offset:492
	buffer_load_dword v134, off, s[0:3], 0 offset:488
	s_waitcnt vmcnt(0)
	v_fmac_f64_e32 v[130:131], v[134:135], v[136:137]
	buffer_load_dword v135, off, s[0:3], 0 offset:500
	buffer_load_dword v134, off, s[0:3], 0 offset:496
	ds_read_b64 v[136:137], v132 offset:1008
	s_waitcnt vmcnt(0) lgkmcnt(0)
	v_fmac_f64_e32 v[130:131], v[134:135], v[136:137]
	v_add_f64 v[128:129], v[128:129], -v[130:131]
	buffer_store_dword v129, off, s[0:3], 0 offset:220
	buffer_store_dword v128, off, s[0:3], 0 offset:216
	s_and_saveexec_b64 s[4:5], vcc
	s_cbranch_execz .LBB62_333
; %bb.332:
	buffer_load_dword v128, off, s[0:3], 0 offset:208
	buffer_load_dword v129, off, s[0:3], 0 offset:212
	s_waitcnt vmcnt(0)
	ds_write_b64 v1, v[128:129]
	buffer_store_dword v132, off, s[0:3], 0 offset:208
	buffer_store_dword v132, off, s[0:3], 0 offset:212
.LBB62_333:
	s_or_b64 exec, exec, s[4:5]
	s_waitcnt lgkmcnt(0)
	; wave barrier
	s_waitcnt lgkmcnt(0)
	buffer_load_dword v128, off, s[0:3], 0 offset:208
	buffer_load_dword v129, off, s[0:3], 0 offset:212
	;; [unrolled: 1-line block ×16, first 2 shown]
	ds_read2_b64 v[134:137], v132 offset0:91 offset1:92
	v_cmp_lt_u32_e32 vcc, 25, v0
	s_waitcnt vmcnt(12) lgkmcnt(0)
	v_fma_f64 v[130:131], v[130:131], v[134:135], 0
	s_waitcnt vmcnt(10)
	v_fmac_f64_e32 v[130:131], v[138:139], v[136:137]
	ds_read2_b64 v[134:137], v132 offset0:93 offset1:94
	s_waitcnt vmcnt(8) lgkmcnt(0)
	v_fmac_f64_e32 v[130:131], v[140:141], v[134:135]
	s_waitcnt vmcnt(6)
	v_fmac_f64_e32 v[130:131], v[142:143], v[136:137]
	ds_read2_b64 v[134:137], v132 offset0:95 offset1:96
	s_waitcnt vmcnt(4) lgkmcnt(0)
	v_fmac_f64_e32 v[130:131], v[144:145], v[134:135]
	;; [unrolled: 5-line block ×3, first 2 shown]
	buffer_load_dword v135, off, s[0:3], 0 offset:276
	buffer_load_dword v134, off, s[0:3], 0 offset:272
	buffer_load_dword v139, off, s[0:3], 0 offset:284
	buffer_load_dword v138, off, s[0:3], 0 offset:280
	s_waitcnt vmcnt(2)
	v_fmac_f64_e32 v[130:131], v[134:135], v[136:137]
	ds_read2_b64 v[134:137], v132 offset0:99 offset1:100
	s_waitcnt vmcnt(0) lgkmcnt(0)
	v_fmac_f64_e32 v[130:131], v[138:139], v[134:135]
	buffer_load_dword v135, off, s[0:3], 0 offset:292
	buffer_load_dword v134, off, s[0:3], 0 offset:288
	buffer_load_dword v139, off, s[0:3], 0 offset:300
	buffer_load_dword v138, off, s[0:3], 0 offset:296
	s_waitcnt vmcnt(2)
	v_fmac_f64_e32 v[130:131], v[134:135], v[136:137]
	ds_read2_b64 v[134:137], v132 offset0:101 offset1:102
	s_waitcnt vmcnt(0) lgkmcnt(0)
	v_fmac_f64_e32 v[130:131], v[138:139], v[134:135]
	;; [unrolled: 9-line block ×13, first 2 shown]
	buffer_load_dword v135, off, s[0:3], 0 offset:484
	buffer_load_dword v134, off, s[0:3], 0 offset:480
	s_waitcnt vmcnt(0)
	v_fmac_f64_e32 v[130:131], v[134:135], v[136:137]
	buffer_load_dword v137, off, s[0:3], 0 offset:492
	buffer_load_dword v136, off, s[0:3], 0 offset:488
	ds_read2_b64 v[132:135], v132 offset0:125 offset1:126
	s_waitcnt vmcnt(0) lgkmcnt(0)
	v_fmac_f64_e32 v[130:131], v[136:137], v[132:133]
	buffer_load_dword v133, off, s[0:3], 0 offset:500
	buffer_load_dword v132, off, s[0:3], 0 offset:496
	s_waitcnt vmcnt(0)
	v_fmac_f64_e32 v[130:131], v[132:133], v[134:135]
	v_add_f64 v[128:129], v[128:129], -v[130:131]
	buffer_store_dword v129, off, s[0:3], 0 offset:212
	buffer_store_dword v128, off, s[0:3], 0 offset:208
	s_and_saveexec_b64 s[4:5], vcc
	s_cbranch_execz .LBB62_335
; %bb.334:
	buffer_load_dword v128, off, s[0:3], 0 offset:200
	buffer_load_dword v129, off, s[0:3], 0 offset:204
	v_mov_b32_e32 v130, 0
	buffer_store_dword v130, off, s[0:3], 0 offset:200
	buffer_store_dword v130, off, s[0:3], 0 offset:204
	s_waitcnt vmcnt(2)
	ds_write_b64 v1, v[128:129]
.LBB62_335:
	s_or_b64 exec, exec, s[4:5]
	s_waitcnt lgkmcnt(0)
	; wave barrier
	s_waitcnt lgkmcnt(0)
	buffer_load_dword v128, off, s[0:3], 0 offset:200
	buffer_load_dword v129, off, s[0:3], 0 offset:204
	;; [unrolled: 1-line block ×16, first 2 shown]
	v_mov_b32_e32 v132, 0
	ds_read_b128 v[134:137], v132 offset:720
	ds_read_b128 v[138:141], v132 offset:736
	;; [unrolled: 1-line block ×4, first 2 shown]
	v_cmp_lt_u32_e32 vcc, 24, v0
	s_waitcnt vmcnt(12) lgkmcnt(3)
	v_fma_f64 v[130:131], v[130:131], v[134:135], 0
	buffer_load_dword v135, off, s[0:3], 0 offset:268
	buffer_load_dword v134, off, s[0:3], 0 offset:264
	s_waitcnt vmcnt(12)
	v_fmac_f64_e32 v[130:131], v[150:151], v[136:137]
	s_waitcnt vmcnt(10) lgkmcnt(2)
	v_fmac_f64_e32 v[130:131], v[152:153], v[138:139]
	buffer_load_dword v139, off, s[0:3], 0 offset:276
	buffer_load_dword v138, off, s[0:3], 0 offset:272
	s_waitcnt vmcnt(10)
	v_fmac_f64_e32 v[130:131], v[154:155], v[140:141]
	s_waitcnt vmcnt(8) lgkmcnt(1)
	v_fmac_f64_e32 v[130:131], v[156:157], v[142:143]
	s_waitcnt vmcnt(6)
	v_fmac_f64_e32 v[130:131], v[158:159], v[144:145]
	s_waitcnt vmcnt(4) lgkmcnt(0)
	v_fmac_f64_e32 v[130:131], v[160:161], v[146:147]
	s_waitcnt vmcnt(2)
	v_fmac_f64_e32 v[130:131], v[134:135], v[148:149]
	ds_read_b128 v[134:137], v132 offset:784
	s_waitcnt vmcnt(0) lgkmcnt(0)
	v_fmac_f64_e32 v[130:131], v[138:139], v[134:135]
	buffer_load_dword v135, off, s[0:3], 0 offset:284
	buffer_load_dword v134, off, s[0:3], 0 offset:280
	buffer_load_dword v139, off, s[0:3], 0 offset:292
	buffer_load_dword v138, off, s[0:3], 0 offset:288
	s_waitcnt vmcnt(2)
	v_fmac_f64_e32 v[130:131], v[134:135], v[136:137]
	ds_read_b128 v[134:137], v132 offset:800
	s_waitcnt vmcnt(0) lgkmcnt(0)
	v_fmac_f64_e32 v[130:131], v[138:139], v[134:135]
	buffer_load_dword v135, off, s[0:3], 0 offset:300
	buffer_load_dword v134, off, s[0:3], 0 offset:296
	buffer_load_dword v139, off, s[0:3], 0 offset:308
	buffer_load_dword v138, off, s[0:3], 0 offset:304
	s_waitcnt vmcnt(2)
	v_fmac_f64_e32 v[130:131], v[134:135], v[136:137]
	ds_read_b128 v[134:137], v132 offset:816
	s_waitcnt vmcnt(0) lgkmcnt(0)
	v_fmac_f64_e32 v[130:131], v[138:139], v[134:135]
	buffer_load_dword v135, off, s[0:3], 0 offset:316
	buffer_load_dword v134, off, s[0:3], 0 offset:312
	buffer_load_dword v139, off, s[0:3], 0 offset:324
	buffer_load_dword v138, off, s[0:3], 0 offset:320
	s_waitcnt vmcnt(2)
	v_fmac_f64_e32 v[130:131], v[134:135], v[136:137]
	ds_read_b128 v[134:137], v132 offset:832
	s_waitcnt vmcnt(0) lgkmcnt(0)
	v_fmac_f64_e32 v[130:131], v[138:139], v[134:135]
	buffer_load_dword v135, off, s[0:3], 0 offset:332
	buffer_load_dword v134, off, s[0:3], 0 offset:328
	buffer_load_dword v139, off, s[0:3], 0 offset:340
	buffer_load_dword v138, off, s[0:3], 0 offset:336
	s_waitcnt vmcnt(2)
	v_fmac_f64_e32 v[130:131], v[134:135], v[136:137]
	ds_read_b128 v[134:137], v132 offset:848
	s_waitcnt vmcnt(0) lgkmcnt(0)
	v_fmac_f64_e32 v[130:131], v[138:139], v[134:135]
	buffer_load_dword v135, off, s[0:3], 0 offset:348
	buffer_load_dword v134, off, s[0:3], 0 offset:344
	buffer_load_dword v139, off, s[0:3], 0 offset:356
	buffer_load_dword v138, off, s[0:3], 0 offset:352
	s_waitcnt vmcnt(2)
	v_fmac_f64_e32 v[130:131], v[134:135], v[136:137]
	ds_read_b128 v[134:137], v132 offset:864
	s_waitcnt vmcnt(0) lgkmcnt(0)
	v_fmac_f64_e32 v[130:131], v[138:139], v[134:135]
	buffer_load_dword v135, off, s[0:3], 0 offset:364
	buffer_load_dword v134, off, s[0:3], 0 offset:360
	buffer_load_dword v139, off, s[0:3], 0 offset:372
	buffer_load_dword v138, off, s[0:3], 0 offset:368
	s_waitcnt vmcnt(2)
	v_fmac_f64_e32 v[130:131], v[134:135], v[136:137]
	ds_read_b128 v[134:137], v132 offset:880
	s_waitcnt vmcnt(0) lgkmcnt(0)
	v_fmac_f64_e32 v[130:131], v[138:139], v[134:135]
	buffer_load_dword v135, off, s[0:3], 0 offset:380
	buffer_load_dword v134, off, s[0:3], 0 offset:376
	buffer_load_dword v139, off, s[0:3], 0 offset:388
	buffer_load_dword v138, off, s[0:3], 0 offset:384
	s_waitcnt vmcnt(2)
	v_fmac_f64_e32 v[130:131], v[134:135], v[136:137]
	ds_read_b128 v[134:137], v132 offset:896
	s_waitcnt vmcnt(0) lgkmcnt(0)
	v_fmac_f64_e32 v[130:131], v[138:139], v[134:135]
	buffer_load_dword v135, off, s[0:3], 0 offset:396
	buffer_load_dword v134, off, s[0:3], 0 offset:392
	buffer_load_dword v139, off, s[0:3], 0 offset:404
	buffer_load_dword v138, off, s[0:3], 0 offset:400
	s_waitcnt vmcnt(2)
	v_fmac_f64_e32 v[130:131], v[134:135], v[136:137]
	ds_read_b128 v[134:137], v132 offset:912
	s_waitcnt vmcnt(0) lgkmcnt(0)
	v_fmac_f64_e32 v[130:131], v[138:139], v[134:135]
	buffer_load_dword v135, off, s[0:3], 0 offset:412
	buffer_load_dword v134, off, s[0:3], 0 offset:408
	buffer_load_dword v139, off, s[0:3], 0 offset:420
	buffer_load_dword v138, off, s[0:3], 0 offset:416
	s_waitcnt vmcnt(2)
	v_fmac_f64_e32 v[130:131], v[134:135], v[136:137]
	ds_read_b128 v[134:137], v132 offset:928
	s_waitcnt vmcnt(0) lgkmcnt(0)
	v_fmac_f64_e32 v[130:131], v[138:139], v[134:135]
	buffer_load_dword v135, off, s[0:3], 0 offset:428
	buffer_load_dword v134, off, s[0:3], 0 offset:424
	buffer_load_dword v139, off, s[0:3], 0 offset:436
	buffer_load_dword v138, off, s[0:3], 0 offset:432
	s_waitcnt vmcnt(2)
	v_fmac_f64_e32 v[130:131], v[134:135], v[136:137]
	ds_read_b128 v[134:137], v132 offset:944
	s_waitcnt vmcnt(0) lgkmcnt(0)
	v_fmac_f64_e32 v[130:131], v[138:139], v[134:135]
	buffer_load_dword v135, off, s[0:3], 0 offset:444
	buffer_load_dword v134, off, s[0:3], 0 offset:440
	buffer_load_dword v139, off, s[0:3], 0 offset:452
	buffer_load_dword v138, off, s[0:3], 0 offset:448
	s_waitcnt vmcnt(2)
	v_fmac_f64_e32 v[130:131], v[134:135], v[136:137]
	ds_read_b128 v[134:137], v132 offset:960
	s_waitcnt vmcnt(0) lgkmcnt(0)
	v_fmac_f64_e32 v[130:131], v[138:139], v[134:135]
	buffer_load_dword v135, off, s[0:3], 0 offset:460
	buffer_load_dword v134, off, s[0:3], 0 offset:456
	buffer_load_dword v139, off, s[0:3], 0 offset:468
	buffer_load_dword v138, off, s[0:3], 0 offset:464
	s_waitcnt vmcnt(2)
	v_fmac_f64_e32 v[130:131], v[134:135], v[136:137]
	ds_read_b128 v[134:137], v132 offset:976
	s_waitcnt vmcnt(0) lgkmcnt(0)
	v_fmac_f64_e32 v[130:131], v[138:139], v[134:135]
	buffer_load_dword v135, off, s[0:3], 0 offset:476
	buffer_load_dword v134, off, s[0:3], 0 offset:472
	buffer_load_dword v139, off, s[0:3], 0 offset:484
	buffer_load_dword v138, off, s[0:3], 0 offset:480
	s_waitcnt vmcnt(2)
	v_fmac_f64_e32 v[130:131], v[134:135], v[136:137]
	ds_read_b128 v[134:137], v132 offset:992
	s_waitcnt vmcnt(0) lgkmcnt(0)
	v_fmac_f64_e32 v[130:131], v[138:139], v[134:135]
	buffer_load_dword v135, off, s[0:3], 0 offset:492
	buffer_load_dword v134, off, s[0:3], 0 offset:488
	s_waitcnt vmcnt(0)
	v_fmac_f64_e32 v[130:131], v[134:135], v[136:137]
	buffer_load_dword v135, off, s[0:3], 0 offset:500
	buffer_load_dword v134, off, s[0:3], 0 offset:496
	ds_read_b64 v[136:137], v132 offset:1008
	s_waitcnt vmcnt(0) lgkmcnt(0)
	v_fmac_f64_e32 v[130:131], v[134:135], v[136:137]
	v_add_f64 v[128:129], v[128:129], -v[130:131]
	buffer_store_dword v129, off, s[0:3], 0 offset:204
	buffer_store_dword v128, off, s[0:3], 0 offset:200
	s_and_saveexec_b64 s[4:5], vcc
	s_cbranch_execz .LBB62_337
; %bb.336:
	buffer_load_dword v128, off, s[0:3], 0 offset:192
	buffer_load_dword v129, off, s[0:3], 0 offset:196
	s_waitcnt vmcnt(0)
	ds_write_b64 v1, v[128:129]
	buffer_store_dword v132, off, s[0:3], 0 offset:192
	buffer_store_dword v132, off, s[0:3], 0 offset:196
.LBB62_337:
	s_or_b64 exec, exec, s[4:5]
	s_waitcnt lgkmcnt(0)
	; wave barrier
	s_waitcnt lgkmcnt(0)
	buffer_load_dword v128, off, s[0:3], 0 offset:192
	buffer_load_dword v129, off, s[0:3], 0 offset:196
	;; [unrolled: 1-line block ×16, first 2 shown]
	ds_read2_b64 v[134:137], v132 offset0:89 offset1:90
	v_cmp_lt_u32_e32 vcc, 23, v0
	s_waitcnt vmcnt(12) lgkmcnt(0)
	v_fma_f64 v[130:131], v[130:131], v[134:135], 0
	s_waitcnt vmcnt(10)
	v_fmac_f64_e32 v[130:131], v[138:139], v[136:137]
	ds_read2_b64 v[134:137], v132 offset0:91 offset1:92
	s_waitcnt vmcnt(8) lgkmcnt(0)
	v_fmac_f64_e32 v[130:131], v[140:141], v[134:135]
	s_waitcnt vmcnt(6)
	v_fmac_f64_e32 v[130:131], v[142:143], v[136:137]
	ds_read2_b64 v[134:137], v132 offset0:93 offset1:94
	s_waitcnt vmcnt(4) lgkmcnt(0)
	v_fmac_f64_e32 v[130:131], v[144:145], v[134:135]
	;; [unrolled: 5-line block ×3, first 2 shown]
	buffer_load_dword v135, off, s[0:3], 0 offset:260
	buffer_load_dword v134, off, s[0:3], 0 offset:256
	buffer_load_dword v139, off, s[0:3], 0 offset:268
	buffer_load_dword v138, off, s[0:3], 0 offset:264
	s_waitcnt vmcnt(2)
	v_fmac_f64_e32 v[130:131], v[134:135], v[136:137]
	ds_read2_b64 v[134:137], v132 offset0:97 offset1:98
	s_waitcnt vmcnt(0) lgkmcnt(0)
	v_fmac_f64_e32 v[130:131], v[138:139], v[134:135]
	buffer_load_dword v135, off, s[0:3], 0 offset:276
	buffer_load_dword v134, off, s[0:3], 0 offset:272
	buffer_load_dword v139, off, s[0:3], 0 offset:284
	buffer_load_dword v138, off, s[0:3], 0 offset:280
	s_waitcnt vmcnt(2)
	v_fmac_f64_e32 v[130:131], v[134:135], v[136:137]
	ds_read2_b64 v[134:137], v132 offset0:99 offset1:100
	s_waitcnt vmcnt(0) lgkmcnt(0)
	v_fmac_f64_e32 v[130:131], v[138:139], v[134:135]
	;; [unrolled: 9-line block ×14, first 2 shown]
	buffer_load_dword v135, off, s[0:3], 0 offset:484
	buffer_load_dword v134, off, s[0:3], 0 offset:480
	s_waitcnt vmcnt(0)
	v_fmac_f64_e32 v[130:131], v[134:135], v[136:137]
	buffer_load_dword v137, off, s[0:3], 0 offset:492
	buffer_load_dword v136, off, s[0:3], 0 offset:488
	ds_read2_b64 v[132:135], v132 offset0:125 offset1:126
	s_waitcnt vmcnt(0) lgkmcnt(0)
	v_fmac_f64_e32 v[130:131], v[136:137], v[132:133]
	buffer_load_dword v133, off, s[0:3], 0 offset:500
	buffer_load_dword v132, off, s[0:3], 0 offset:496
	s_waitcnt vmcnt(0)
	v_fmac_f64_e32 v[130:131], v[132:133], v[134:135]
	v_add_f64 v[128:129], v[128:129], -v[130:131]
	buffer_store_dword v129, off, s[0:3], 0 offset:196
	buffer_store_dword v128, off, s[0:3], 0 offset:192
	s_and_saveexec_b64 s[4:5], vcc
	s_cbranch_execz .LBB62_339
; %bb.338:
	buffer_load_dword v128, off, s[0:3], 0 offset:184
	buffer_load_dword v129, off, s[0:3], 0 offset:188
	v_mov_b32_e32 v130, 0
	buffer_store_dword v130, off, s[0:3], 0 offset:184
	buffer_store_dword v130, off, s[0:3], 0 offset:188
	s_waitcnt vmcnt(2)
	ds_write_b64 v1, v[128:129]
.LBB62_339:
	s_or_b64 exec, exec, s[4:5]
	s_waitcnt lgkmcnt(0)
	; wave barrier
	s_waitcnt lgkmcnt(0)
	buffer_load_dword v128, off, s[0:3], 0 offset:184
	buffer_load_dword v129, off, s[0:3], 0 offset:188
	;; [unrolled: 1-line block ×16, first 2 shown]
	v_mov_b32_e32 v132, 0
	ds_read_b128 v[134:137], v132 offset:704
	ds_read_b128 v[138:141], v132 offset:720
	;; [unrolled: 1-line block ×4, first 2 shown]
	v_cmp_lt_u32_e32 vcc, 22, v0
	s_waitcnt vmcnt(12) lgkmcnt(3)
	v_fma_f64 v[130:131], v[130:131], v[134:135], 0
	buffer_load_dword v135, off, s[0:3], 0 offset:252
	buffer_load_dword v134, off, s[0:3], 0 offset:248
	s_waitcnt vmcnt(12)
	v_fmac_f64_e32 v[130:131], v[150:151], v[136:137]
	s_waitcnt vmcnt(10) lgkmcnt(2)
	v_fmac_f64_e32 v[130:131], v[152:153], v[138:139]
	buffer_load_dword v139, off, s[0:3], 0 offset:260
	buffer_load_dword v138, off, s[0:3], 0 offset:256
	s_waitcnt vmcnt(10)
	v_fmac_f64_e32 v[130:131], v[154:155], v[140:141]
	s_waitcnt vmcnt(8) lgkmcnt(1)
	v_fmac_f64_e32 v[130:131], v[156:157], v[142:143]
	s_waitcnt vmcnt(6)
	v_fmac_f64_e32 v[130:131], v[158:159], v[144:145]
	s_waitcnt vmcnt(4) lgkmcnt(0)
	v_fmac_f64_e32 v[130:131], v[160:161], v[146:147]
	s_waitcnt vmcnt(2)
	v_fmac_f64_e32 v[130:131], v[134:135], v[148:149]
	ds_read_b128 v[134:137], v132 offset:768
	s_waitcnt vmcnt(0) lgkmcnt(0)
	v_fmac_f64_e32 v[130:131], v[138:139], v[134:135]
	buffer_load_dword v135, off, s[0:3], 0 offset:268
	buffer_load_dword v134, off, s[0:3], 0 offset:264
	buffer_load_dword v139, off, s[0:3], 0 offset:276
	buffer_load_dword v138, off, s[0:3], 0 offset:272
	s_waitcnt vmcnt(2)
	v_fmac_f64_e32 v[130:131], v[134:135], v[136:137]
	ds_read_b128 v[134:137], v132 offset:784
	s_waitcnt vmcnt(0) lgkmcnt(0)
	v_fmac_f64_e32 v[130:131], v[138:139], v[134:135]
	buffer_load_dword v135, off, s[0:3], 0 offset:284
	buffer_load_dword v134, off, s[0:3], 0 offset:280
	buffer_load_dword v139, off, s[0:3], 0 offset:292
	buffer_load_dword v138, off, s[0:3], 0 offset:288
	;; [unrolled: 9-line block ×14, first 2 shown]
	s_waitcnt vmcnt(2)
	v_fmac_f64_e32 v[130:131], v[134:135], v[136:137]
	ds_read_b128 v[134:137], v132 offset:992
	s_waitcnt vmcnt(0) lgkmcnt(0)
	v_fmac_f64_e32 v[130:131], v[138:139], v[134:135]
	buffer_load_dword v135, off, s[0:3], 0 offset:492
	buffer_load_dword v134, off, s[0:3], 0 offset:488
	s_waitcnt vmcnt(0)
	v_fmac_f64_e32 v[130:131], v[134:135], v[136:137]
	buffer_load_dword v135, off, s[0:3], 0 offset:500
	buffer_load_dword v134, off, s[0:3], 0 offset:496
	ds_read_b64 v[136:137], v132 offset:1008
	s_waitcnt vmcnt(0) lgkmcnt(0)
	v_fmac_f64_e32 v[130:131], v[134:135], v[136:137]
	v_add_f64 v[128:129], v[128:129], -v[130:131]
	buffer_store_dword v129, off, s[0:3], 0 offset:188
	buffer_store_dword v128, off, s[0:3], 0 offset:184
	s_and_saveexec_b64 s[4:5], vcc
	s_cbranch_execz .LBB62_341
; %bb.340:
	buffer_load_dword v128, off, s[0:3], 0 offset:176
	buffer_load_dword v129, off, s[0:3], 0 offset:180
	s_waitcnt vmcnt(0)
	ds_write_b64 v1, v[128:129]
	buffer_store_dword v132, off, s[0:3], 0 offset:176
	buffer_store_dword v132, off, s[0:3], 0 offset:180
.LBB62_341:
	s_or_b64 exec, exec, s[4:5]
	s_waitcnt lgkmcnt(0)
	; wave barrier
	s_waitcnt lgkmcnt(0)
	buffer_load_dword v128, off, s[0:3], 0 offset:176
	buffer_load_dword v129, off, s[0:3], 0 offset:180
	;; [unrolled: 1-line block ×16, first 2 shown]
	ds_read2_b64 v[134:137], v132 offset0:87 offset1:88
	v_cmp_lt_u32_e32 vcc, 21, v0
	s_waitcnt vmcnt(12) lgkmcnt(0)
	v_fma_f64 v[130:131], v[130:131], v[134:135], 0
	s_waitcnt vmcnt(10)
	v_fmac_f64_e32 v[130:131], v[138:139], v[136:137]
	ds_read2_b64 v[134:137], v132 offset0:89 offset1:90
	s_waitcnt vmcnt(8) lgkmcnt(0)
	v_fmac_f64_e32 v[130:131], v[140:141], v[134:135]
	s_waitcnt vmcnt(6)
	v_fmac_f64_e32 v[130:131], v[142:143], v[136:137]
	ds_read2_b64 v[134:137], v132 offset0:91 offset1:92
	s_waitcnt vmcnt(4) lgkmcnt(0)
	v_fmac_f64_e32 v[130:131], v[144:145], v[134:135]
	;; [unrolled: 5-line block ×3, first 2 shown]
	buffer_load_dword v135, off, s[0:3], 0 offset:244
	buffer_load_dword v134, off, s[0:3], 0 offset:240
	buffer_load_dword v139, off, s[0:3], 0 offset:252
	buffer_load_dword v138, off, s[0:3], 0 offset:248
	s_waitcnt vmcnt(2)
	v_fmac_f64_e32 v[130:131], v[134:135], v[136:137]
	ds_read2_b64 v[134:137], v132 offset0:95 offset1:96
	s_waitcnt vmcnt(0) lgkmcnt(0)
	v_fmac_f64_e32 v[130:131], v[138:139], v[134:135]
	buffer_load_dword v135, off, s[0:3], 0 offset:260
	buffer_load_dword v134, off, s[0:3], 0 offset:256
	buffer_load_dword v139, off, s[0:3], 0 offset:268
	buffer_load_dword v138, off, s[0:3], 0 offset:264
	s_waitcnt vmcnt(2)
	v_fmac_f64_e32 v[130:131], v[134:135], v[136:137]
	ds_read2_b64 v[134:137], v132 offset0:97 offset1:98
	s_waitcnt vmcnt(0) lgkmcnt(0)
	v_fmac_f64_e32 v[130:131], v[138:139], v[134:135]
	;; [unrolled: 9-line block ×15, first 2 shown]
	buffer_load_dword v135, off, s[0:3], 0 offset:484
	buffer_load_dword v134, off, s[0:3], 0 offset:480
	s_waitcnt vmcnt(0)
	v_fmac_f64_e32 v[130:131], v[134:135], v[136:137]
	buffer_load_dword v137, off, s[0:3], 0 offset:492
	buffer_load_dword v136, off, s[0:3], 0 offset:488
	ds_read2_b64 v[132:135], v132 offset0:125 offset1:126
	s_waitcnt vmcnt(0) lgkmcnt(0)
	v_fmac_f64_e32 v[130:131], v[136:137], v[132:133]
	buffer_load_dword v133, off, s[0:3], 0 offset:500
	buffer_load_dword v132, off, s[0:3], 0 offset:496
	s_waitcnt vmcnt(0)
	v_fmac_f64_e32 v[130:131], v[132:133], v[134:135]
	v_add_f64 v[128:129], v[128:129], -v[130:131]
	buffer_store_dword v129, off, s[0:3], 0 offset:180
	buffer_store_dword v128, off, s[0:3], 0 offset:176
	s_and_saveexec_b64 s[4:5], vcc
	s_cbranch_execz .LBB62_343
; %bb.342:
	buffer_load_dword v128, off, s[0:3], 0 offset:168
	buffer_load_dword v129, off, s[0:3], 0 offset:172
	v_mov_b32_e32 v130, 0
	buffer_store_dword v130, off, s[0:3], 0 offset:168
	buffer_store_dword v130, off, s[0:3], 0 offset:172
	s_waitcnt vmcnt(2)
	ds_write_b64 v1, v[128:129]
.LBB62_343:
	s_or_b64 exec, exec, s[4:5]
	s_waitcnt lgkmcnt(0)
	; wave barrier
	s_waitcnt lgkmcnt(0)
	buffer_load_dword v128, off, s[0:3], 0 offset:168
	buffer_load_dword v129, off, s[0:3], 0 offset:172
	buffer_load_dword v130, off, s[0:3], 0 offset:176
	buffer_load_dword v131, off, s[0:3], 0 offset:180
	buffer_load_dword v150, off, s[0:3], 0 offset:184
	buffer_load_dword v151, off, s[0:3], 0 offset:188
	buffer_load_dword v152, off, s[0:3], 0 offset:192
	buffer_load_dword v153, off, s[0:3], 0 offset:196
	buffer_load_dword v154, off, s[0:3], 0 offset:200
	buffer_load_dword v155, off, s[0:3], 0 offset:204
	buffer_load_dword v156, off, s[0:3], 0 offset:208
	buffer_load_dword v157, off, s[0:3], 0 offset:212
	buffer_load_dword v158, off, s[0:3], 0 offset:216
	buffer_load_dword v159, off, s[0:3], 0 offset:220
	buffer_load_dword v160, off, s[0:3], 0 offset:224
	buffer_load_dword v161, off, s[0:3], 0 offset:228
	v_mov_b32_e32 v132, 0
	ds_read_b128 v[134:137], v132 offset:688
	ds_read_b128 v[138:141], v132 offset:704
	ds_read_b128 v[142:145], v132 offset:720
	ds_read_b128 v[146:149], v132 offset:736
	v_cmp_lt_u32_e32 vcc, 20, v0
	s_waitcnt vmcnt(12) lgkmcnt(3)
	v_fma_f64 v[130:131], v[130:131], v[134:135], 0
	buffer_load_dword v135, off, s[0:3], 0 offset:236
	buffer_load_dword v134, off, s[0:3], 0 offset:232
	s_waitcnt vmcnt(12)
	v_fmac_f64_e32 v[130:131], v[150:151], v[136:137]
	s_waitcnt vmcnt(10) lgkmcnt(2)
	v_fmac_f64_e32 v[130:131], v[152:153], v[138:139]
	buffer_load_dword v139, off, s[0:3], 0 offset:244
	buffer_load_dword v138, off, s[0:3], 0 offset:240
	s_waitcnt vmcnt(10)
	v_fmac_f64_e32 v[130:131], v[154:155], v[140:141]
	s_waitcnt vmcnt(8) lgkmcnt(1)
	v_fmac_f64_e32 v[130:131], v[156:157], v[142:143]
	s_waitcnt vmcnt(6)
	v_fmac_f64_e32 v[130:131], v[158:159], v[144:145]
	s_waitcnt vmcnt(4) lgkmcnt(0)
	v_fmac_f64_e32 v[130:131], v[160:161], v[146:147]
	s_waitcnt vmcnt(2)
	v_fmac_f64_e32 v[130:131], v[134:135], v[148:149]
	ds_read_b128 v[134:137], v132 offset:752
	s_waitcnt vmcnt(0) lgkmcnt(0)
	v_fmac_f64_e32 v[130:131], v[138:139], v[134:135]
	buffer_load_dword v135, off, s[0:3], 0 offset:252
	buffer_load_dword v134, off, s[0:3], 0 offset:248
	buffer_load_dword v139, off, s[0:3], 0 offset:260
	buffer_load_dword v138, off, s[0:3], 0 offset:256
	s_waitcnt vmcnt(2)
	v_fmac_f64_e32 v[130:131], v[134:135], v[136:137]
	ds_read_b128 v[134:137], v132 offset:768
	s_waitcnt vmcnt(0) lgkmcnt(0)
	v_fmac_f64_e32 v[130:131], v[138:139], v[134:135]
	buffer_load_dword v135, off, s[0:3], 0 offset:268
	buffer_load_dword v134, off, s[0:3], 0 offset:264
	buffer_load_dword v139, off, s[0:3], 0 offset:276
	buffer_load_dword v138, off, s[0:3], 0 offset:272
	;; [unrolled: 9-line block ×15, first 2 shown]
	s_waitcnt vmcnt(2)
	v_fmac_f64_e32 v[130:131], v[134:135], v[136:137]
	ds_read_b128 v[134:137], v132 offset:992
	s_waitcnt vmcnt(0) lgkmcnt(0)
	v_fmac_f64_e32 v[130:131], v[138:139], v[134:135]
	buffer_load_dword v135, off, s[0:3], 0 offset:492
	buffer_load_dword v134, off, s[0:3], 0 offset:488
	s_waitcnt vmcnt(0)
	v_fmac_f64_e32 v[130:131], v[134:135], v[136:137]
	buffer_load_dword v135, off, s[0:3], 0 offset:500
	buffer_load_dword v134, off, s[0:3], 0 offset:496
	ds_read_b64 v[136:137], v132 offset:1008
	s_waitcnt vmcnt(0) lgkmcnt(0)
	v_fmac_f64_e32 v[130:131], v[134:135], v[136:137]
	v_add_f64 v[128:129], v[128:129], -v[130:131]
	buffer_store_dword v129, off, s[0:3], 0 offset:172
	buffer_store_dword v128, off, s[0:3], 0 offset:168
	s_and_saveexec_b64 s[4:5], vcc
	s_cbranch_execz .LBB62_345
; %bb.344:
	buffer_load_dword v128, off, s[0:3], 0 offset:160
	buffer_load_dword v129, off, s[0:3], 0 offset:164
	s_waitcnt vmcnt(0)
	ds_write_b64 v1, v[128:129]
	buffer_store_dword v132, off, s[0:3], 0 offset:160
	buffer_store_dword v132, off, s[0:3], 0 offset:164
.LBB62_345:
	s_or_b64 exec, exec, s[4:5]
	s_waitcnt lgkmcnt(0)
	; wave barrier
	s_waitcnt lgkmcnt(0)
	buffer_load_dword v128, off, s[0:3], 0 offset:160
	buffer_load_dword v129, off, s[0:3], 0 offset:164
	;; [unrolled: 1-line block ×16, first 2 shown]
	ds_read2_b64 v[134:137], v132 offset0:85 offset1:86
	v_cmp_lt_u32_e32 vcc, 19, v0
	s_waitcnt vmcnt(12) lgkmcnt(0)
	v_fma_f64 v[130:131], v[130:131], v[134:135], 0
	s_waitcnt vmcnt(10)
	v_fmac_f64_e32 v[130:131], v[138:139], v[136:137]
	ds_read2_b64 v[134:137], v132 offset0:87 offset1:88
	s_waitcnt vmcnt(8) lgkmcnt(0)
	v_fmac_f64_e32 v[130:131], v[140:141], v[134:135]
	s_waitcnt vmcnt(6)
	v_fmac_f64_e32 v[130:131], v[142:143], v[136:137]
	ds_read2_b64 v[134:137], v132 offset0:89 offset1:90
	s_waitcnt vmcnt(4) lgkmcnt(0)
	v_fmac_f64_e32 v[130:131], v[144:145], v[134:135]
	;; [unrolled: 5-line block ×3, first 2 shown]
	buffer_load_dword v135, off, s[0:3], 0 offset:228
	buffer_load_dword v134, off, s[0:3], 0 offset:224
	buffer_load_dword v139, off, s[0:3], 0 offset:236
	buffer_load_dword v138, off, s[0:3], 0 offset:232
	s_waitcnt vmcnt(2)
	v_fmac_f64_e32 v[130:131], v[134:135], v[136:137]
	ds_read2_b64 v[134:137], v132 offset0:93 offset1:94
	s_waitcnt vmcnt(0) lgkmcnt(0)
	v_fmac_f64_e32 v[130:131], v[138:139], v[134:135]
	buffer_load_dword v135, off, s[0:3], 0 offset:244
	buffer_load_dword v134, off, s[0:3], 0 offset:240
	buffer_load_dword v139, off, s[0:3], 0 offset:252
	buffer_load_dword v138, off, s[0:3], 0 offset:248
	s_waitcnt vmcnt(2)
	v_fmac_f64_e32 v[130:131], v[134:135], v[136:137]
	ds_read2_b64 v[134:137], v132 offset0:95 offset1:96
	s_waitcnt vmcnt(0) lgkmcnt(0)
	v_fmac_f64_e32 v[130:131], v[138:139], v[134:135]
	;; [unrolled: 9-line block ×16, first 2 shown]
	buffer_load_dword v135, off, s[0:3], 0 offset:484
	buffer_load_dword v134, off, s[0:3], 0 offset:480
	s_waitcnt vmcnt(0)
	v_fmac_f64_e32 v[130:131], v[134:135], v[136:137]
	buffer_load_dword v137, off, s[0:3], 0 offset:492
	buffer_load_dword v136, off, s[0:3], 0 offset:488
	ds_read2_b64 v[132:135], v132 offset0:125 offset1:126
	s_waitcnt vmcnt(0) lgkmcnt(0)
	v_fmac_f64_e32 v[130:131], v[136:137], v[132:133]
	buffer_load_dword v133, off, s[0:3], 0 offset:500
	buffer_load_dword v132, off, s[0:3], 0 offset:496
	s_waitcnt vmcnt(0)
	v_fmac_f64_e32 v[130:131], v[132:133], v[134:135]
	v_add_f64 v[128:129], v[128:129], -v[130:131]
	buffer_store_dword v129, off, s[0:3], 0 offset:164
	buffer_store_dword v128, off, s[0:3], 0 offset:160
	s_and_saveexec_b64 s[4:5], vcc
	s_cbranch_execz .LBB62_347
; %bb.346:
	buffer_load_dword v128, off, s[0:3], 0 offset:152
	buffer_load_dword v129, off, s[0:3], 0 offset:156
	v_mov_b32_e32 v130, 0
	buffer_store_dword v130, off, s[0:3], 0 offset:152
	buffer_store_dword v130, off, s[0:3], 0 offset:156
	s_waitcnt vmcnt(2)
	ds_write_b64 v1, v[128:129]
.LBB62_347:
	s_or_b64 exec, exec, s[4:5]
	s_waitcnt lgkmcnt(0)
	; wave barrier
	s_waitcnt lgkmcnt(0)
	buffer_load_dword v128, off, s[0:3], 0 offset:152
	buffer_load_dword v129, off, s[0:3], 0 offset:156
	;; [unrolled: 1-line block ×16, first 2 shown]
	v_mov_b32_e32 v132, 0
	ds_read_b128 v[134:137], v132 offset:672
	ds_read_b128 v[138:141], v132 offset:688
	ds_read_b128 v[142:145], v132 offset:704
	ds_read_b128 v[146:149], v132 offset:720
	v_cmp_lt_u32_e32 vcc, 18, v0
	s_waitcnt vmcnt(12) lgkmcnt(3)
	v_fma_f64 v[130:131], v[130:131], v[134:135], 0
	buffer_load_dword v135, off, s[0:3], 0 offset:220
	buffer_load_dword v134, off, s[0:3], 0 offset:216
	s_waitcnt vmcnt(12)
	v_fmac_f64_e32 v[130:131], v[150:151], v[136:137]
	s_waitcnt vmcnt(10) lgkmcnt(2)
	v_fmac_f64_e32 v[130:131], v[152:153], v[138:139]
	buffer_load_dword v139, off, s[0:3], 0 offset:228
	buffer_load_dword v138, off, s[0:3], 0 offset:224
	s_waitcnt vmcnt(10)
	v_fmac_f64_e32 v[130:131], v[154:155], v[140:141]
	s_waitcnt vmcnt(8) lgkmcnt(1)
	v_fmac_f64_e32 v[130:131], v[156:157], v[142:143]
	s_waitcnt vmcnt(6)
	v_fmac_f64_e32 v[130:131], v[158:159], v[144:145]
	s_waitcnt vmcnt(4) lgkmcnt(0)
	v_fmac_f64_e32 v[130:131], v[160:161], v[146:147]
	s_waitcnt vmcnt(2)
	v_fmac_f64_e32 v[130:131], v[134:135], v[148:149]
	ds_read_b128 v[134:137], v132 offset:736
	s_waitcnt vmcnt(0) lgkmcnt(0)
	v_fmac_f64_e32 v[130:131], v[138:139], v[134:135]
	buffer_load_dword v135, off, s[0:3], 0 offset:236
	buffer_load_dword v134, off, s[0:3], 0 offset:232
	buffer_load_dword v139, off, s[0:3], 0 offset:244
	buffer_load_dword v138, off, s[0:3], 0 offset:240
	s_waitcnt vmcnt(2)
	v_fmac_f64_e32 v[130:131], v[134:135], v[136:137]
	ds_read_b128 v[134:137], v132 offset:752
	s_waitcnt vmcnt(0) lgkmcnt(0)
	v_fmac_f64_e32 v[130:131], v[138:139], v[134:135]
	buffer_load_dword v135, off, s[0:3], 0 offset:252
	buffer_load_dword v134, off, s[0:3], 0 offset:248
	buffer_load_dword v139, off, s[0:3], 0 offset:260
	buffer_load_dword v138, off, s[0:3], 0 offset:256
	;; [unrolled: 9-line block ×16, first 2 shown]
	s_waitcnt vmcnt(2)
	v_fmac_f64_e32 v[130:131], v[134:135], v[136:137]
	ds_read_b128 v[134:137], v132 offset:992
	s_waitcnt vmcnt(0) lgkmcnt(0)
	v_fmac_f64_e32 v[130:131], v[138:139], v[134:135]
	buffer_load_dword v135, off, s[0:3], 0 offset:492
	buffer_load_dword v134, off, s[0:3], 0 offset:488
	s_waitcnt vmcnt(0)
	v_fmac_f64_e32 v[130:131], v[134:135], v[136:137]
	buffer_load_dword v135, off, s[0:3], 0 offset:500
	buffer_load_dword v134, off, s[0:3], 0 offset:496
	ds_read_b64 v[136:137], v132 offset:1008
	s_waitcnt vmcnt(0) lgkmcnt(0)
	v_fmac_f64_e32 v[130:131], v[134:135], v[136:137]
	v_add_f64 v[128:129], v[128:129], -v[130:131]
	buffer_store_dword v129, off, s[0:3], 0 offset:156
	buffer_store_dword v128, off, s[0:3], 0 offset:152
	s_and_saveexec_b64 s[4:5], vcc
	s_cbranch_execz .LBB62_349
; %bb.348:
	buffer_load_dword v128, off, s[0:3], 0 offset:144
	buffer_load_dword v129, off, s[0:3], 0 offset:148
	s_waitcnt vmcnt(0)
	ds_write_b64 v1, v[128:129]
	buffer_store_dword v132, off, s[0:3], 0 offset:144
	buffer_store_dword v132, off, s[0:3], 0 offset:148
.LBB62_349:
	s_or_b64 exec, exec, s[4:5]
	s_waitcnt lgkmcnt(0)
	; wave barrier
	s_waitcnt lgkmcnt(0)
	buffer_load_dword v128, off, s[0:3], 0 offset:144
	buffer_load_dword v129, off, s[0:3], 0 offset:148
	;; [unrolled: 1-line block ×16, first 2 shown]
	ds_read2_b64 v[134:137], v132 offset0:83 offset1:84
	v_cmp_lt_u32_e32 vcc, 17, v0
	s_waitcnt vmcnt(12) lgkmcnt(0)
	v_fma_f64 v[130:131], v[130:131], v[134:135], 0
	s_waitcnt vmcnt(10)
	v_fmac_f64_e32 v[130:131], v[138:139], v[136:137]
	ds_read2_b64 v[134:137], v132 offset0:85 offset1:86
	s_waitcnt vmcnt(8) lgkmcnt(0)
	v_fmac_f64_e32 v[130:131], v[140:141], v[134:135]
	s_waitcnt vmcnt(6)
	v_fmac_f64_e32 v[130:131], v[142:143], v[136:137]
	ds_read2_b64 v[134:137], v132 offset0:87 offset1:88
	s_waitcnt vmcnt(4) lgkmcnt(0)
	v_fmac_f64_e32 v[130:131], v[144:145], v[134:135]
	;; [unrolled: 5-line block ×3, first 2 shown]
	buffer_load_dword v135, off, s[0:3], 0 offset:212
	buffer_load_dword v134, off, s[0:3], 0 offset:208
	buffer_load_dword v139, off, s[0:3], 0 offset:220
	buffer_load_dword v138, off, s[0:3], 0 offset:216
	s_waitcnt vmcnt(2)
	v_fmac_f64_e32 v[130:131], v[134:135], v[136:137]
	ds_read2_b64 v[134:137], v132 offset0:91 offset1:92
	s_waitcnt vmcnt(0) lgkmcnt(0)
	v_fmac_f64_e32 v[130:131], v[138:139], v[134:135]
	buffer_load_dword v135, off, s[0:3], 0 offset:228
	buffer_load_dword v134, off, s[0:3], 0 offset:224
	buffer_load_dword v139, off, s[0:3], 0 offset:236
	buffer_load_dword v138, off, s[0:3], 0 offset:232
	s_waitcnt vmcnt(2)
	v_fmac_f64_e32 v[130:131], v[134:135], v[136:137]
	ds_read2_b64 v[134:137], v132 offset0:93 offset1:94
	s_waitcnt vmcnt(0) lgkmcnt(0)
	v_fmac_f64_e32 v[130:131], v[138:139], v[134:135]
	;; [unrolled: 9-line block ×17, first 2 shown]
	buffer_load_dword v135, off, s[0:3], 0 offset:484
	buffer_load_dword v134, off, s[0:3], 0 offset:480
	s_waitcnt vmcnt(0)
	v_fmac_f64_e32 v[130:131], v[134:135], v[136:137]
	buffer_load_dword v137, off, s[0:3], 0 offset:492
	buffer_load_dword v136, off, s[0:3], 0 offset:488
	ds_read2_b64 v[132:135], v132 offset0:125 offset1:126
	s_waitcnt vmcnt(0) lgkmcnt(0)
	v_fmac_f64_e32 v[130:131], v[136:137], v[132:133]
	buffer_load_dword v133, off, s[0:3], 0 offset:500
	buffer_load_dword v132, off, s[0:3], 0 offset:496
	s_waitcnt vmcnt(0)
	v_fmac_f64_e32 v[130:131], v[132:133], v[134:135]
	v_add_f64 v[128:129], v[128:129], -v[130:131]
	buffer_store_dword v129, off, s[0:3], 0 offset:148
	buffer_store_dword v128, off, s[0:3], 0 offset:144
	s_and_saveexec_b64 s[4:5], vcc
	s_cbranch_execz .LBB62_351
; %bb.350:
	buffer_load_dword v128, off, s[0:3], 0 offset:136
	buffer_load_dword v129, off, s[0:3], 0 offset:140
	v_mov_b32_e32 v130, 0
	buffer_store_dword v130, off, s[0:3], 0 offset:136
	buffer_store_dword v130, off, s[0:3], 0 offset:140
	s_waitcnt vmcnt(2)
	ds_write_b64 v1, v[128:129]
.LBB62_351:
	s_or_b64 exec, exec, s[4:5]
	s_waitcnt lgkmcnt(0)
	; wave barrier
	s_waitcnt lgkmcnt(0)
	buffer_load_dword v128, off, s[0:3], 0 offset:136
	buffer_load_dword v129, off, s[0:3], 0 offset:140
	;; [unrolled: 1-line block ×16, first 2 shown]
	v_mov_b32_e32 v132, 0
	ds_read_b128 v[134:137], v132 offset:656
	ds_read_b128 v[138:141], v132 offset:672
	;; [unrolled: 1-line block ×4, first 2 shown]
	v_cmp_lt_u32_e32 vcc, 16, v0
	s_waitcnt vmcnt(12) lgkmcnt(3)
	v_fma_f64 v[130:131], v[130:131], v[134:135], 0
	buffer_load_dword v135, off, s[0:3], 0 offset:204
	buffer_load_dword v134, off, s[0:3], 0 offset:200
	s_waitcnt vmcnt(12)
	v_fmac_f64_e32 v[130:131], v[150:151], v[136:137]
	s_waitcnt vmcnt(10) lgkmcnt(2)
	v_fmac_f64_e32 v[130:131], v[152:153], v[138:139]
	buffer_load_dword v139, off, s[0:3], 0 offset:212
	buffer_load_dword v138, off, s[0:3], 0 offset:208
	s_waitcnt vmcnt(10)
	v_fmac_f64_e32 v[130:131], v[154:155], v[140:141]
	s_waitcnt vmcnt(8) lgkmcnt(1)
	v_fmac_f64_e32 v[130:131], v[156:157], v[142:143]
	s_waitcnt vmcnt(6)
	v_fmac_f64_e32 v[130:131], v[158:159], v[144:145]
	s_waitcnt vmcnt(4) lgkmcnt(0)
	v_fmac_f64_e32 v[130:131], v[160:161], v[146:147]
	s_waitcnt vmcnt(2)
	v_fmac_f64_e32 v[130:131], v[134:135], v[148:149]
	ds_read_b128 v[134:137], v132 offset:720
	s_waitcnt vmcnt(0) lgkmcnt(0)
	v_fmac_f64_e32 v[130:131], v[138:139], v[134:135]
	buffer_load_dword v135, off, s[0:3], 0 offset:220
	buffer_load_dword v134, off, s[0:3], 0 offset:216
	buffer_load_dword v139, off, s[0:3], 0 offset:228
	buffer_load_dword v138, off, s[0:3], 0 offset:224
	s_waitcnt vmcnt(2)
	v_fmac_f64_e32 v[130:131], v[134:135], v[136:137]
	ds_read_b128 v[134:137], v132 offset:736
	s_waitcnt vmcnt(0) lgkmcnt(0)
	v_fmac_f64_e32 v[130:131], v[138:139], v[134:135]
	buffer_load_dword v135, off, s[0:3], 0 offset:236
	buffer_load_dword v134, off, s[0:3], 0 offset:232
	buffer_load_dword v139, off, s[0:3], 0 offset:244
	buffer_load_dword v138, off, s[0:3], 0 offset:240
	;; [unrolled: 9-line block ×17, first 2 shown]
	s_waitcnt vmcnt(2)
	v_fmac_f64_e32 v[130:131], v[134:135], v[136:137]
	ds_read_b128 v[134:137], v132 offset:992
	s_waitcnt vmcnt(0) lgkmcnt(0)
	v_fmac_f64_e32 v[130:131], v[138:139], v[134:135]
	buffer_load_dword v135, off, s[0:3], 0 offset:492
	buffer_load_dword v134, off, s[0:3], 0 offset:488
	s_waitcnt vmcnt(0)
	v_fmac_f64_e32 v[130:131], v[134:135], v[136:137]
	buffer_load_dword v135, off, s[0:3], 0 offset:500
	buffer_load_dword v134, off, s[0:3], 0 offset:496
	ds_read_b64 v[136:137], v132 offset:1008
	s_waitcnt vmcnt(0) lgkmcnt(0)
	v_fmac_f64_e32 v[130:131], v[134:135], v[136:137]
	v_add_f64 v[128:129], v[128:129], -v[130:131]
	buffer_store_dword v129, off, s[0:3], 0 offset:140
	buffer_store_dword v128, off, s[0:3], 0 offset:136
	s_and_saveexec_b64 s[4:5], vcc
	s_cbranch_execz .LBB62_353
; %bb.352:
	buffer_load_dword v128, off, s[0:3], 0 offset:128
	buffer_load_dword v129, off, s[0:3], 0 offset:132
	s_waitcnt vmcnt(0)
	ds_write_b64 v1, v[128:129]
	buffer_store_dword v132, off, s[0:3], 0 offset:128
	buffer_store_dword v132, off, s[0:3], 0 offset:132
.LBB62_353:
	s_or_b64 exec, exec, s[4:5]
	s_waitcnt lgkmcnt(0)
	; wave barrier
	s_waitcnt lgkmcnt(0)
	buffer_load_dword v128, off, s[0:3], 0 offset:128
	buffer_load_dword v129, off, s[0:3], 0 offset:132
	;; [unrolled: 1-line block ×16, first 2 shown]
	ds_read2_b64 v[134:137], v132 offset0:81 offset1:82
	v_cmp_lt_u32_e32 vcc, 15, v0
	s_waitcnt vmcnt(12) lgkmcnt(0)
	v_fma_f64 v[130:131], v[130:131], v[134:135], 0
	s_waitcnt vmcnt(10)
	v_fmac_f64_e32 v[130:131], v[138:139], v[136:137]
	ds_read2_b64 v[134:137], v132 offset0:83 offset1:84
	s_waitcnt vmcnt(8) lgkmcnt(0)
	v_fmac_f64_e32 v[130:131], v[140:141], v[134:135]
	s_waitcnt vmcnt(6)
	v_fmac_f64_e32 v[130:131], v[142:143], v[136:137]
	ds_read2_b64 v[134:137], v132 offset0:85 offset1:86
	s_waitcnt vmcnt(4) lgkmcnt(0)
	v_fmac_f64_e32 v[130:131], v[144:145], v[134:135]
	;; [unrolled: 5-line block ×3, first 2 shown]
	buffer_load_dword v135, off, s[0:3], 0 offset:196
	buffer_load_dword v134, off, s[0:3], 0 offset:192
	buffer_load_dword v139, off, s[0:3], 0 offset:204
	buffer_load_dword v138, off, s[0:3], 0 offset:200
	s_waitcnt vmcnt(2)
	v_fmac_f64_e32 v[130:131], v[134:135], v[136:137]
	ds_read2_b64 v[134:137], v132 offset0:89 offset1:90
	s_waitcnt vmcnt(0) lgkmcnt(0)
	v_fmac_f64_e32 v[130:131], v[138:139], v[134:135]
	buffer_load_dword v135, off, s[0:3], 0 offset:212
	buffer_load_dword v134, off, s[0:3], 0 offset:208
	buffer_load_dword v139, off, s[0:3], 0 offset:220
	buffer_load_dword v138, off, s[0:3], 0 offset:216
	s_waitcnt vmcnt(2)
	v_fmac_f64_e32 v[130:131], v[134:135], v[136:137]
	ds_read2_b64 v[134:137], v132 offset0:91 offset1:92
	s_waitcnt vmcnt(0) lgkmcnt(0)
	v_fmac_f64_e32 v[130:131], v[138:139], v[134:135]
	;; [unrolled: 9-line block ×18, first 2 shown]
	buffer_load_dword v135, off, s[0:3], 0 offset:484
	buffer_load_dword v134, off, s[0:3], 0 offset:480
	s_waitcnt vmcnt(0)
	v_fmac_f64_e32 v[130:131], v[134:135], v[136:137]
	buffer_load_dword v137, off, s[0:3], 0 offset:492
	buffer_load_dword v136, off, s[0:3], 0 offset:488
	ds_read2_b64 v[132:135], v132 offset0:125 offset1:126
	s_waitcnt vmcnt(0) lgkmcnt(0)
	v_fmac_f64_e32 v[130:131], v[136:137], v[132:133]
	buffer_load_dword v133, off, s[0:3], 0 offset:500
	buffer_load_dword v132, off, s[0:3], 0 offset:496
	s_waitcnt vmcnt(0)
	v_fmac_f64_e32 v[130:131], v[132:133], v[134:135]
	v_add_f64 v[128:129], v[128:129], -v[130:131]
	buffer_store_dword v129, off, s[0:3], 0 offset:132
	buffer_store_dword v128, off, s[0:3], 0 offset:128
	s_and_saveexec_b64 s[4:5], vcc
	s_cbranch_execz .LBB62_355
; %bb.354:
	buffer_load_dword v128, off, s[0:3], 0 offset:120
	buffer_load_dword v129, off, s[0:3], 0 offset:124
	v_mov_b32_e32 v130, 0
	buffer_store_dword v130, off, s[0:3], 0 offset:120
	buffer_store_dword v130, off, s[0:3], 0 offset:124
	s_waitcnt vmcnt(2)
	ds_write_b64 v1, v[128:129]
.LBB62_355:
	s_or_b64 exec, exec, s[4:5]
	s_waitcnt lgkmcnt(0)
	; wave barrier
	s_waitcnt lgkmcnt(0)
	buffer_load_dword v128, off, s[0:3], 0 offset:120
	buffer_load_dword v129, off, s[0:3], 0 offset:124
	;; [unrolled: 1-line block ×16, first 2 shown]
	v_mov_b32_e32 v132, 0
	ds_read_b128 v[134:137], v132 offset:640
	ds_read_b128 v[138:141], v132 offset:656
	;; [unrolled: 1-line block ×4, first 2 shown]
	v_cmp_lt_u32_e32 vcc, 14, v0
	s_waitcnt vmcnt(12) lgkmcnt(3)
	v_fma_f64 v[130:131], v[130:131], v[134:135], 0
	buffer_load_dword v135, off, s[0:3], 0 offset:188
	buffer_load_dword v134, off, s[0:3], 0 offset:184
	s_waitcnt vmcnt(12)
	v_fmac_f64_e32 v[130:131], v[150:151], v[136:137]
	s_waitcnt vmcnt(10) lgkmcnt(2)
	v_fmac_f64_e32 v[130:131], v[152:153], v[138:139]
	buffer_load_dword v139, off, s[0:3], 0 offset:196
	buffer_load_dword v138, off, s[0:3], 0 offset:192
	s_waitcnt vmcnt(10)
	v_fmac_f64_e32 v[130:131], v[154:155], v[140:141]
	s_waitcnt vmcnt(8) lgkmcnt(1)
	v_fmac_f64_e32 v[130:131], v[156:157], v[142:143]
	s_waitcnt vmcnt(6)
	v_fmac_f64_e32 v[130:131], v[158:159], v[144:145]
	s_waitcnt vmcnt(4) lgkmcnt(0)
	v_fmac_f64_e32 v[130:131], v[160:161], v[146:147]
	s_waitcnt vmcnt(2)
	v_fmac_f64_e32 v[130:131], v[134:135], v[148:149]
	ds_read_b128 v[134:137], v132 offset:704
	s_waitcnt vmcnt(0) lgkmcnt(0)
	v_fmac_f64_e32 v[130:131], v[138:139], v[134:135]
	buffer_load_dword v135, off, s[0:3], 0 offset:204
	buffer_load_dword v134, off, s[0:3], 0 offset:200
	buffer_load_dword v139, off, s[0:3], 0 offset:212
	buffer_load_dword v138, off, s[0:3], 0 offset:208
	s_waitcnt vmcnt(2)
	v_fmac_f64_e32 v[130:131], v[134:135], v[136:137]
	ds_read_b128 v[134:137], v132 offset:720
	s_waitcnt vmcnt(0) lgkmcnt(0)
	v_fmac_f64_e32 v[130:131], v[138:139], v[134:135]
	buffer_load_dword v135, off, s[0:3], 0 offset:220
	buffer_load_dword v134, off, s[0:3], 0 offset:216
	buffer_load_dword v139, off, s[0:3], 0 offset:228
	buffer_load_dword v138, off, s[0:3], 0 offset:224
	;; [unrolled: 9-line block ×18, first 2 shown]
	s_waitcnt vmcnt(2)
	v_fmac_f64_e32 v[130:131], v[134:135], v[136:137]
	ds_read_b128 v[134:137], v132 offset:992
	s_waitcnt vmcnt(0) lgkmcnt(0)
	v_fmac_f64_e32 v[130:131], v[138:139], v[134:135]
	buffer_load_dword v135, off, s[0:3], 0 offset:492
	buffer_load_dword v134, off, s[0:3], 0 offset:488
	s_waitcnt vmcnt(0)
	v_fmac_f64_e32 v[130:131], v[134:135], v[136:137]
	buffer_load_dword v135, off, s[0:3], 0 offset:500
	buffer_load_dword v134, off, s[0:3], 0 offset:496
	ds_read_b64 v[136:137], v132 offset:1008
	s_waitcnt vmcnt(0) lgkmcnt(0)
	v_fmac_f64_e32 v[130:131], v[134:135], v[136:137]
	v_add_f64 v[128:129], v[128:129], -v[130:131]
	buffer_store_dword v129, off, s[0:3], 0 offset:124
	buffer_store_dword v128, off, s[0:3], 0 offset:120
	s_and_saveexec_b64 s[4:5], vcc
	s_cbranch_execz .LBB62_357
; %bb.356:
	buffer_load_dword v128, off, s[0:3], 0 offset:112
	buffer_load_dword v129, off, s[0:3], 0 offset:116
	s_waitcnt vmcnt(0)
	ds_write_b64 v1, v[128:129]
	buffer_store_dword v132, off, s[0:3], 0 offset:112
	buffer_store_dword v132, off, s[0:3], 0 offset:116
.LBB62_357:
	s_or_b64 exec, exec, s[4:5]
	s_waitcnt lgkmcnt(0)
	; wave barrier
	s_waitcnt lgkmcnt(0)
	buffer_load_dword v128, off, s[0:3], 0 offset:112
	buffer_load_dword v129, off, s[0:3], 0 offset:116
	;; [unrolled: 1-line block ×16, first 2 shown]
	ds_read2_b64 v[134:137], v132 offset0:79 offset1:80
	v_cmp_lt_u32_e32 vcc, 13, v0
	s_waitcnt vmcnt(12) lgkmcnt(0)
	v_fma_f64 v[130:131], v[130:131], v[134:135], 0
	s_waitcnt vmcnt(10)
	v_fmac_f64_e32 v[130:131], v[138:139], v[136:137]
	ds_read2_b64 v[134:137], v132 offset0:81 offset1:82
	s_waitcnt vmcnt(8) lgkmcnt(0)
	v_fmac_f64_e32 v[130:131], v[140:141], v[134:135]
	s_waitcnt vmcnt(6)
	v_fmac_f64_e32 v[130:131], v[142:143], v[136:137]
	ds_read2_b64 v[134:137], v132 offset0:83 offset1:84
	s_waitcnt vmcnt(4) lgkmcnt(0)
	v_fmac_f64_e32 v[130:131], v[144:145], v[134:135]
	;; [unrolled: 5-line block ×3, first 2 shown]
	buffer_load_dword v135, off, s[0:3], 0 offset:180
	buffer_load_dword v134, off, s[0:3], 0 offset:176
	buffer_load_dword v139, off, s[0:3], 0 offset:188
	buffer_load_dword v138, off, s[0:3], 0 offset:184
	s_waitcnt vmcnt(2)
	v_fmac_f64_e32 v[130:131], v[134:135], v[136:137]
	ds_read2_b64 v[134:137], v132 offset0:87 offset1:88
	s_waitcnt vmcnt(0) lgkmcnt(0)
	v_fmac_f64_e32 v[130:131], v[138:139], v[134:135]
	buffer_load_dword v135, off, s[0:3], 0 offset:196
	buffer_load_dword v134, off, s[0:3], 0 offset:192
	buffer_load_dword v139, off, s[0:3], 0 offset:204
	buffer_load_dword v138, off, s[0:3], 0 offset:200
	s_waitcnt vmcnt(2)
	v_fmac_f64_e32 v[130:131], v[134:135], v[136:137]
	ds_read2_b64 v[134:137], v132 offset0:89 offset1:90
	s_waitcnt vmcnt(0) lgkmcnt(0)
	v_fmac_f64_e32 v[130:131], v[138:139], v[134:135]
	;; [unrolled: 9-line block ×19, first 2 shown]
	buffer_load_dword v135, off, s[0:3], 0 offset:484
	buffer_load_dword v134, off, s[0:3], 0 offset:480
	s_waitcnt vmcnt(0)
	v_fmac_f64_e32 v[130:131], v[134:135], v[136:137]
	buffer_load_dword v137, off, s[0:3], 0 offset:492
	buffer_load_dword v136, off, s[0:3], 0 offset:488
	ds_read2_b64 v[132:135], v132 offset0:125 offset1:126
	s_waitcnt vmcnt(0) lgkmcnt(0)
	v_fmac_f64_e32 v[130:131], v[136:137], v[132:133]
	buffer_load_dword v133, off, s[0:3], 0 offset:500
	buffer_load_dword v132, off, s[0:3], 0 offset:496
	s_waitcnt vmcnt(0)
	v_fmac_f64_e32 v[130:131], v[132:133], v[134:135]
	v_add_f64 v[128:129], v[128:129], -v[130:131]
	buffer_store_dword v129, off, s[0:3], 0 offset:116
	buffer_store_dword v128, off, s[0:3], 0 offset:112
	s_and_saveexec_b64 s[4:5], vcc
	s_cbranch_execz .LBB62_359
; %bb.358:
	buffer_load_dword v128, off, s[0:3], 0 offset:104
	buffer_load_dword v129, off, s[0:3], 0 offset:108
	v_mov_b32_e32 v130, 0
	buffer_store_dword v130, off, s[0:3], 0 offset:104
	buffer_store_dword v130, off, s[0:3], 0 offset:108
	s_waitcnt vmcnt(2)
	ds_write_b64 v1, v[128:129]
.LBB62_359:
	s_or_b64 exec, exec, s[4:5]
	s_waitcnt lgkmcnt(0)
	; wave barrier
	s_waitcnt lgkmcnt(0)
	buffer_load_dword v128, off, s[0:3], 0 offset:104
	buffer_load_dword v129, off, s[0:3], 0 offset:108
	;; [unrolled: 1-line block ×16, first 2 shown]
	v_mov_b32_e32 v132, 0
	ds_read_b128 v[134:137], v132 offset:624
	v_cmp_lt_u32_e32 vcc, 12, v0
	s_waitcnt vmcnt(12) lgkmcnt(0)
	v_fma_f64 v[130:131], v[130:131], v[134:135], 0
	s_waitcnt vmcnt(10)
	v_fmac_f64_e32 v[130:131], v[138:139], v[136:137]
	ds_read_b128 v[134:137], v132 offset:640
	s_waitcnt vmcnt(8) lgkmcnt(0)
	v_fmac_f64_e32 v[130:131], v[140:141], v[134:135]
	s_waitcnt vmcnt(6)
	v_fmac_f64_e32 v[130:131], v[142:143], v[136:137]
	ds_read_b128 v[134:137], v132 offset:656
	s_waitcnt vmcnt(4) lgkmcnt(0)
	v_fmac_f64_e32 v[130:131], v[144:145], v[134:135]
	;; [unrolled: 5-line block ×3, first 2 shown]
	buffer_load_dword v135, off, s[0:3], 0 offset:172
	buffer_load_dword v134, off, s[0:3], 0 offset:168
	buffer_load_dword v139, off, s[0:3], 0 offset:180
	buffer_load_dword v138, off, s[0:3], 0 offset:176
	s_waitcnt vmcnt(2)
	v_fmac_f64_e32 v[130:131], v[134:135], v[136:137]
	ds_read_b128 v[134:137], v132 offset:688
	s_waitcnt vmcnt(0) lgkmcnt(0)
	v_fmac_f64_e32 v[130:131], v[138:139], v[134:135]
	buffer_load_dword v135, off, s[0:3], 0 offset:188
	buffer_load_dword v134, off, s[0:3], 0 offset:184
	buffer_load_dword v139, off, s[0:3], 0 offset:196
	buffer_load_dword v138, off, s[0:3], 0 offset:192
	s_waitcnt vmcnt(2)
	v_fmac_f64_e32 v[130:131], v[134:135], v[136:137]
	ds_read_b128 v[134:137], v132 offset:704
	s_waitcnt vmcnt(0) lgkmcnt(0)
	v_fmac_f64_e32 v[130:131], v[138:139], v[134:135]
	;; [unrolled: 9-line block ×20, first 2 shown]
	buffer_load_dword v135, off, s[0:3], 0 offset:492
	buffer_load_dword v134, off, s[0:3], 0 offset:488
	s_waitcnt vmcnt(0)
	v_fmac_f64_e32 v[130:131], v[134:135], v[136:137]
	buffer_load_dword v135, off, s[0:3], 0 offset:500
	buffer_load_dword v134, off, s[0:3], 0 offset:496
	ds_read_b64 v[136:137], v132 offset:1008
	s_waitcnt vmcnt(0) lgkmcnt(0)
	v_fmac_f64_e32 v[130:131], v[134:135], v[136:137]
	v_add_f64 v[128:129], v[128:129], -v[130:131]
	buffer_store_dword v129, off, s[0:3], 0 offset:108
	buffer_store_dword v128, off, s[0:3], 0 offset:104
	s_and_saveexec_b64 s[4:5], vcc
	s_cbranch_execz .LBB62_361
; %bb.360:
	buffer_load_dword v128, off, s[0:3], 0 offset:96
	buffer_load_dword v129, off, s[0:3], 0 offset:100
	s_waitcnt vmcnt(0)
	ds_write_b64 v1, v[128:129]
	buffer_store_dword v132, off, s[0:3], 0 offset:96
	buffer_store_dword v132, off, s[0:3], 0 offset:100
.LBB62_361:
	s_or_b64 exec, exec, s[4:5]
	s_waitcnt lgkmcnt(0)
	; wave barrier
	s_waitcnt lgkmcnt(0)
	buffer_load_dword v128, off, s[0:3], 0 offset:96
	buffer_load_dword v129, off, s[0:3], 0 offset:100
	;; [unrolled: 1-line block ×16, first 2 shown]
	ds_read2_b64 v[134:137], v132 offset0:77 offset1:78
	v_cmp_lt_u32_e32 vcc, 11, v0
	s_waitcnt vmcnt(12) lgkmcnt(0)
	v_fma_f64 v[130:131], v[130:131], v[134:135], 0
	s_waitcnt vmcnt(10)
	v_fmac_f64_e32 v[130:131], v[138:139], v[136:137]
	ds_read2_b64 v[134:137], v132 offset0:79 offset1:80
	s_waitcnt vmcnt(8) lgkmcnt(0)
	v_fmac_f64_e32 v[130:131], v[140:141], v[134:135]
	s_waitcnt vmcnt(6)
	v_fmac_f64_e32 v[130:131], v[142:143], v[136:137]
	ds_read2_b64 v[134:137], v132 offset0:81 offset1:82
	s_waitcnt vmcnt(4) lgkmcnt(0)
	v_fmac_f64_e32 v[130:131], v[144:145], v[134:135]
	;; [unrolled: 5-line block ×3, first 2 shown]
	buffer_load_dword v135, off, s[0:3], 0 offset:164
	buffer_load_dword v134, off, s[0:3], 0 offset:160
	buffer_load_dword v139, off, s[0:3], 0 offset:172
	buffer_load_dword v138, off, s[0:3], 0 offset:168
	s_waitcnt vmcnt(2)
	v_fmac_f64_e32 v[130:131], v[134:135], v[136:137]
	ds_read2_b64 v[134:137], v132 offset0:85 offset1:86
	s_waitcnt vmcnt(0) lgkmcnt(0)
	v_fmac_f64_e32 v[130:131], v[138:139], v[134:135]
	buffer_load_dword v135, off, s[0:3], 0 offset:180
	buffer_load_dword v134, off, s[0:3], 0 offset:176
	buffer_load_dword v139, off, s[0:3], 0 offset:188
	buffer_load_dword v138, off, s[0:3], 0 offset:184
	s_waitcnt vmcnt(2)
	v_fmac_f64_e32 v[130:131], v[134:135], v[136:137]
	ds_read2_b64 v[134:137], v132 offset0:87 offset1:88
	s_waitcnt vmcnt(0) lgkmcnt(0)
	v_fmac_f64_e32 v[130:131], v[138:139], v[134:135]
	;; [unrolled: 9-line block ×20, first 2 shown]
	buffer_load_dword v135, off, s[0:3], 0 offset:484
	buffer_load_dword v134, off, s[0:3], 0 offset:480
	s_waitcnt vmcnt(0)
	v_fmac_f64_e32 v[130:131], v[134:135], v[136:137]
	buffer_load_dword v137, off, s[0:3], 0 offset:492
	buffer_load_dword v136, off, s[0:3], 0 offset:488
	ds_read2_b64 v[132:135], v132 offset0:125 offset1:126
	s_waitcnt vmcnt(0) lgkmcnt(0)
	v_fmac_f64_e32 v[130:131], v[136:137], v[132:133]
	buffer_load_dword v133, off, s[0:3], 0 offset:500
	buffer_load_dword v132, off, s[0:3], 0 offset:496
	s_waitcnt vmcnt(0)
	v_fmac_f64_e32 v[130:131], v[132:133], v[134:135]
	v_add_f64 v[128:129], v[128:129], -v[130:131]
	buffer_store_dword v129, off, s[0:3], 0 offset:100
	buffer_store_dword v128, off, s[0:3], 0 offset:96
	s_and_saveexec_b64 s[4:5], vcc
	s_cbranch_execz .LBB62_363
; %bb.362:
	buffer_load_dword v128, off, s[0:3], 0 offset:88
	buffer_load_dword v129, off, s[0:3], 0 offset:92
	v_mov_b32_e32 v130, 0
	buffer_store_dword v130, off, s[0:3], 0 offset:88
	buffer_store_dword v130, off, s[0:3], 0 offset:92
	s_waitcnt vmcnt(2)
	ds_write_b64 v1, v[128:129]
.LBB62_363:
	s_or_b64 exec, exec, s[4:5]
	s_waitcnt lgkmcnt(0)
	; wave barrier
	s_waitcnt lgkmcnt(0)
	buffer_load_dword v128, off, s[0:3], 0 offset:88
	buffer_load_dword v129, off, s[0:3], 0 offset:92
	;; [unrolled: 1-line block ×16, first 2 shown]
	v_mov_b32_e32 v132, 0
	ds_read_b128 v[134:137], v132 offset:608
	v_cmp_lt_u32_e32 vcc, 10, v0
	s_waitcnt vmcnt(12) lgkmcnt(0)
	v_fma_f64 v[130:131], v[130:131], v[134:135], 0
	s_waitcnt vmcnt(10)
	v_fmac_f64_e32 v[130:131], v[138:139], v[136:137]
	ds_read_b128 v[134:137], v132 offset:624
	s_waitcnt vmcnt(8) lgkmcnt(0)
	v_fmac_f64_e32 v[130:131], v[140:141], v[134:135]
	s_waitcnt vmcnt(6)
	v_fmac_f64_e32 v[130:131], v[142:143], v[136:137]
	ds_read_b128 v[134:137], v132 offset:640
	s_waitcnt vmcnt(4) lgkmcnt(0)
	v_fmac_f64_e32 v[130:131], v[144:145], v[134:135]
	;; [unrolled: 5-line block ×3, first 2 shown]
	buffer_load_dword v135, off, s[0:3], 0 offset:156
	buffer_load_dword v134, off, s[0:3], 0 offset:152
	buffer_load_dword v139, off, s[0:3], 0 offset:164
	buffer_load_dword v138, off, s[0:3], 0 offset:160
	s_waitcnt vmcnt(2)
	v_fmac_f64_e32 v[130:131], v[134:135], v[136:137]
	ds_read_b128 v[134:137], v132 offset:672
	s_waitcnt vmcnt(0) lgkmcnt(0)
	v_fmac_f64_e32 v[130:131], v[138:139], v[134:135]
	buffer_load_dword v135, off, s[0:3], 0 offset:172
	buffer_load_dword v134, off, s[0:3], 0 offset:168
	buffer_load_dword v139, off, s[0:3], 0 offset:180
	buffer_load_dword v138, off, s[0:3], 0 offset:176
	s_waitcnt vmcnt(2)
	v_fmac_f64_e32 v[130:131], v[134:135], v[136:137]
	ds_read_b128 v[134:137], v132 offset:688
	s_waitcnt vmcnt(0) lgkmcnt(0)
	v_fmac_f64_e32 v[130:131], v[138:139], v[134:135]
	buffer_load_dword v135, off, s[0:3], 0 offset:188
	buffer_load_dword v134, off, s[0:3], 0 offset:184
	buffer_load_dword v139, off, s[0:3], 0 offset:196
	buffer_load_dword v138, off, s[0:3], 0 offset:192
	s_waitcnt vmcnt(2)
	v_fmac_f64_e32 v[130:131], v[134:135], v[136:137]
	ds_read_b128 v[134:137], v132 offset:704
	s_waitcnt vmcnt(0) lgkmcnt(0)
	v_fmac_f64_e32 v[130:131], v[138:139], v[134:135]
	buffer_load_dword v135, off, s[0:3], 0 offset:204
	buffer_load_dword v134, off, s[0:3], 0 offset:200
	buffer_load_dword v139, off, s[0:3], 0 offset:212
	buffer_load_dword v138, off, s[0:3], 0 offset:208
	s_waitcnt vmcnt(2)
	v_fmac_f64_e32 v[130:131], v[134:135], v[136:137]
	ds_read_b128 v[134:137], v132 offset:720
	s_waitcnt vmcnt(0) lgkmcnt(0)
	v_fmac_f64_e32 v[130:131], v[138:139], v[134:135]
	buffer_load_dword v135, off, s[0:3], 0 offset:220
	buffer_load_dword v134, off, s[0:3], 0 offset:216
	buffer_load_dword v139, off, s[0:3], 0 offset:228
	buffer_load_dword v138, off, s[0:3], 0 offset:224
	s_waitcnt vmcnt(2)
	v_fmac_f64_e32 v[130:131], v[134:135], v[136:137]
	ds_read_b128 v[134:137], v132 offset:736
	s_waitcnt vmcnt(0) lgkmcnt(0)
	v_fmac_f64_e32 v[130:131], v[138:139], v[134:135]
	buffer_load_dword v135, off, s[0:3], 0 offset:236
	buffer_load_dword v134, off, s[0:3], 0 offset:232
	buffer_load_dword v139, off, s[0:3], 0 offset:244
	buffer_load_dword v138, off, s[0:3], 0 offset:240
	s_waitcnt vmcnt(2)
	v_fmac_f64_e32 v[130:131], v[134:135], v[136:137]
	ds_read_b128 v[134:137], v132 offset:752
	s_waitcnt vmcnt(0) lgkmcnt(0)
	v_fmac_f64_e32 v[130:131], v[138:139], v[134:135]
	buffer_load_dword v135, off, s[0:3], 0 offset:252
	buffer_load_dword v134, off, s[0:3], 0 offset:248
	buffer_load_dword v139, off, s[0:3], 0 offset:260
	buffer_load_dword v138, off, s[0:3], 0 offset:256
	s_waitcnt vmcnt(2)
	v_fmac_f64_e32 v[130:131], v[134:135], v[136:137]
	ds_read_b128 v[134:137], v132 offset:768
	s_waitcnt vmcnt(0) lgkmcnt(0)
	v_fmac_f64_e32 v[130:131], v[138:139], v[134:135]
	buffer_load_dword v135, off, s[0:3], 0 offset:268
	buffer_load_dword v134, off, s[0:3], 0 offset:264
	buffer_load_dword v139, off, s[0:3], 0 offset:276
	buffer_load_dword v138, off, s[0:3], 0 offset:272
	s_waitcnt vmcnt(2)
	v_fmac_f64_e32 v[130:131], v[134:135], v[136:137]
	ds_read_b128 v[134:137], v132 offset:784
	s_waitcnt vmcnt(0) lgkmcnt(0)
	v_fmac_f64_e32 v[130:131], v[138:139], v[134:135]
	buffer_load_dword v135, off, s[0:3], 0 offset:284
	buffer_load_dword v134, off, s[0:3], 0 offset:280
	buffer_load_dword v139, off, s[0:3], 0 offset:292
	buffer_load_dword v138, off, s[0:3], 0 offset:288
	s_waitcnt vmcnt(2)
	v_fmac_f64_e32 v[130:131], v[134:135], v[136:137]
	ds_read_b128 v[134:137], v132 offset:800
	s_waitcnt vmcnt(0) lgkmcnt(0)
	v_fmac_f64_e32 v[130:131], v[138:139], v[134:135]
	buffer_load_dword v135, off, s[0:3], 0 offset:300
	buffer_load_dword v134, off, s[0:3], 0 offset:296
	buffer_load_dword v139, off, s[0:3], 0 offset:308
	buffer_load_dword v138, off, s[0:3], 0 offset:304
	s_waitcnt vmcnt(2)
	v_fmac_f64_e32 v[130:131], v[134:135], v[136:137]
	ds_read_b128 v[134:137], v132 offset:816
	s_waitcnt vmcnt(0) lgkmcnt(0)
	v_fmac_f64_e32 v[130:131], v[138:139], v[134:135]
	buffer_load_dword v135, off, s[0:3], 0 offset:316
	buffer_load_dword v134, off, s[0:3], 0 offset:312
	buffer_load_dword v139, off, s[0:3], 0 offset:324
	buffer_load_dword v138, off, s[0:3], 0 offset:320
	s_waitcnt vmcnt(2)
	v_fmac_f64_e32 v[130:131], v[134:135], v[136:137]
	ds_read_b128 v[134:137], v132 offset:832
	s_waitcnt vmcnt(0) lgkmcnt(0)
	v_fmac_f64_e32 v[130:131], v[138:139], v[134:135]
	buffer_load_dword v135, off, s[0:3], 0 offset:332
	buffer_load_dword v134, off, s[0:3], 0 offset:328
	buffer_load_dword v139, off, s[0:3], 0 offset:340
	buffer_load_dword v138, off, s[0:3], 0 offset:336
	s_waitcnt vmcnt(2)
	v_fmac_f64_e32 v[130:131], v[134:135], v[136:137]
	ds_read_b128 v[134:137], v132 offset:848
	s_waitcnt vmcnt(0) lgkmcnt(0)
	v_fmac_f64_e32 v[130:131], v[138:139], v[134:135]
	buffer_load_dword v135, off, s[0:3], 0 offset:348
	buffer_load_dword v134, off, s[0:3], 0 offset:344
	buffer_load_dword v139, off, s[0:3], 0 offset:356
	buffer_load_dword v138, off, s[0:3], 0 offset:352
	s_waitcnt vmcnt(2)
	v_fmac_f64_e32 v[130:131], v[134:135], v[136:137]
	ds_read_b128 v[134:137], v132 offset:864
	s_waitcnt vmcnt(0) lgkmcnt(0)
	v_fmac_f64_e32 v[130:131], v[138:139], v[134:135]
	buffer_load_dword v135, off, s[0:3], 0 offset:364
	buffer_load_dword v134, off, s[0:3], 0 offset:360
	buffer_load_dword v139, off, s[0:3], 0 offset:372
	buffer_load_dword v138, off, s[0:3], 0 offset:368
	s_waitcnt vmcnt(2)
	v_fmac_f64_e32 v[130:131], v[134:135], v[136:137]
	ds_read_b128 v[134:137], v132 offset:880
	s_waitcnt vmcnt(0) lgkmcnt(0)
	v_fmac_f64_e32 v[130:131], v[138:139], v[134:135]
	buffer_load_dword v135, off, s[0:3], 0 offset:380
	buffer_load_dword v134, off, s[0:3], 0 offset:376
	buffer_load_dword v139, off, s[0:3], 0 offset:388
	buffer_load_dword v138, off, s[0:3], 0 offset:384
	s_waitcnt vmcnt(2)
	v_fmac_f64_e32 v[130:131], v[134:135], v[136:137]
	ds_read_b128 v[134:137], v132 offset:896
	s_waitcnt vmcnt(0) lgkmcnt(0)
	v_fmac_f64_e32 v[130:131], v[138:139], v[134:135]
	buffer_load_dword v135, off, s[0:3], 0 offset:396
	buffer_load_dword v134, off, s[0:3], 0 offset:392
	buffer_load_dword v139, off, s[0:3], 0 offset:404
	buffer_load_dword v138, off, s[0:3], 0 offset:400
	s_waitcnt vmcnt(2)
	v_fmac_f64_e32 v[130:131], v[134:135], v[136:137]
	ds_read_b128 v[134:137], v132 offset:912
	s_waitcnt vmcnt(0) lgkmcnt(0)
	v_fmac_f64_e32 v[130:131], v[138:139], v[134:135]
	buffer_load_dword v135, off, s[0:3], 0 offset:412
	buffer_load_dword v134, off, s[0:3], 0 offset:408
	buffer_load_dword v139, off, s[0:3], 0 offset:420
	buffer_load_dword v138, off, s[0:3], 0 offset:416
	s_waitcnt vmcnt(2)
	v_fmac_f64_e32 v[130:131], v[134:135], v[136:137]
	ds_read_b128 v[134:137], v132 offset:928
	s_waitcnt vmcnt(0) lgkmcnt(0)
	v_fmac_f64_e32 v[130:131], v[138:139], v[134:135]
	buffer_load_dword v135, off, s[0:3], 0 offset:428
	buffer_load_dword v134, off, s[0:3], 0 offset:424
	buffer_load_dword v139, off, s[0:3], 0 offset:436
	buffer_load_dword v138, off, s[0:3], 0 offset:432
	s_waitcnt vmcnt(2)
	v_fmac_f64_e32 v[130:131], v[134:135], v[136:137]
	ds_read_b128 v[134:137], v132 offset:944
	s_waitcnt vmcnt(0) lgkmcnt(0)
	v_fmac_f64_e32 v[130:131], v[138:139], v[134:135]
	buffer_load_dword v135, off, s[0:3], 0 offset:444
	buffer_load_dword v134, off, s[0:3], 0 offset:440
	buffer_load_dword v139, off, s[0:3], 0 offset:452
	buffer_load_dword v138, off, s[0:3], 0 offset:448
	s_waitcnt vmcnt(2)
	v_fmac_f64_e32 v[130:131], v[134:135], v[136:137]
	ds_read_b128 v[134:137], v132 offset:960
	s_waitcnt vmcnt(0) lgkmcnt(0)
	v_fmac_f64_e32 v[130:131], v[138:139], v[134:135]
	buffer_load_dword v135, off, s[0:3], 0 offset:460
	buffer_load_dword v134, off, s[0:3], 0 offset:456
	buffer_load_dword v139, off, s[0:3], 0 offset:468
	buffer_load_dword v138, off, s[0:3], 0 offset:464
	s_waitcnt vmcnt(2)
	v_fmac_f64_e32 v[130:131], v[134:135], v[136:137]
	ds_read_b128 v[134:137], v132 offset:976
	s_waitcnt vmcnt(0) lgkmcnt(0)
	v_fmac_f64_e32 v[130:131], v[138:139], v[134:135]
	buffer_load_dword v135, off, s[0:3], 0 offset:476
	buffer_load_dword v134, off, s[0:3], 0 offset:472
	buffer_load_dword v139, off, s[0:3], 0 offset:484
	buffer_load_dword v138, off, s[0:3], 0 offset:480
	s_waitcnt vmcnt(2)
	v_fmac_f64_e32 v[130:131], v[134:135], v[136:137]
	ds_read_b128 v[134:137], v132 offset:992
	s_waitcnt vmcnt(0) lgkmcnt(0)
	v_fmac_f64_e32 v[130:131], v[138:139], v[134:135]
	buffer_load_dword v135, off, s[0:3], 0 offset:492
	buffer_load_dword v134, off, s[0:3], 0 offset:488
	s_waitcnt vmcnt(0)
	v_fmac_f64_e32 v[130:131], v[134:135], v[136:137]
	buffer_load_dword v135, off, s[0:3], 0 offset:500
	buffer_load_dword v134, off, s[0:3], 0 offset:496
	ds_read_b64 v[136:137], v132 offset:1008
	s_waitcnt vmcnt(0) lgkmcnt(0)
	v_fmac_f64_e32 v[130:131], v[134:135], v[136:137]
	v_add_f64 v[128:129], v[128:129], -v[130:131]
	buffer_store_dword v129, off, s[0:3], 0 offset:92
	buffer_store_dword v128, off, s[0:3], 0 offset:88
	s_and_saveexec_b64 s[4:5], vcc
	s_cbranch_execz .LBB62_365
; %bb.364:
	buffer_load_dword v128, off, s[0:3], 0 offset:80
	buffer_load_dword v129, off, s[0:3], 0 offset:84
	s_waitcnt vmcnt(0)
	ds_write_b64 v1, v[128:129]
	buffer_store_dword v132, off, s[0:3], 0 offset:80
	buffer_store_dword v132, off, s[0:3], 0 offset:84
.LBB62_365:
	s_or_b64 exec, exec, s[4:5]
	s_waitcnt lgkmcnt(0)
	; wave barrier
	s_waitcnt lgkmcnt(0)
	buffer_load_dword v128, off, s[0:3], 0 offset:80
	buffer_load_dword v129, off, s[0:3], 0 offset:84
	;; [unrolled: 1-line block ×16, first 2 shown]
	ds_read2_b64 v[134:137], v132 offset0:75 offset1:76
	v_cmp_lt_u32_e32 vcc, 9, v0
	s_waitcnt vmcnt(12) lgkmcnt(0)
	v_fma_f64 v[130:131], v[130:131], v[134:135], 0
	s_waitcnt vmcnt(10)
	v_fmac_f64_e32 v[130:131], v[138:139], v[136:137]
	ds_read2_b64 v[134:137], v132 offset0:77 offset1:78
	s_waitcnt vmcnt(8) lgkmcnt(0)
	v_fmac_f64_e32 v[130:131], v[140:141], v[134:135]
	s_waitcnt vmcnt(6)
	v_fmac_f64_e32 v[130:131], v[142:143], v[136:137]
	ds_read2_b64 v[134:137], v132 offset0:79 offset1:80
	s_waitcnt vmcnt(4) lgkmcnt(0)
	v_fmac_f64_e32 v[130:131], v[144:145], v[134:135]
	;; [unrolled: 5-line block ×3, first 2 shown]
	buffer_load_dword v135, off, s[0:3], 0 offset:148
	buffer_load_dword v134, off, s[0:3], 0 offset:144
	buffer_load_dword v139, off, s[0:3], 0 offset:156
	buffer_load_dword v138, off, s[0:3], 0 offset:152
	s_waitcnt vmcnt(2)
	v_fmac_f64_e32 v[130:131], v[134:135], v[136:137]
	ds_read2_b64 v[134:137], v132 offset0:83 offset1:84
	s_waitcnt vmcnt(0) lgkmcnt(0)
	v_fmac_f64_e32 v[130:131], v[138:139], v[134:135]
	buffer_load_dword v135, off, s[0:3], 0 offset:164
	buffer_load_dword v134, off, s[0:3], 0 offset:160
	buffer_load_dword v139, off, s[0:3], 0 offset:172
	buffer_load_dword v138, off, s[0:3], 0 offset:168
	s_waitcnt vmcnt(2)
	v_fmac_f64_e32 v[130:131], v[134:135], v[136:137]
	ds_read2_b64 v[134:137], v132 offset0:85 offset1:86
	s_waitcnt vmcnt(0) lgkmcnt(0)
	v_fmac_f64_e32 v[130:131], v[138:139], v[134:135]
	;; [unrolled: 9-line block ×21, first 2 shown]
	buffer_load_dword v135, off, s[0:3], 0 offset:484
	buffer_load_dword v134, off, s[0:3], 0 offset:480
	s_waitcnt vmcnt(0)
	v_fmac_f64_e32 v[130:131], v[134:135], v[136:137]
	buffer_load_dword v137, off, s[0:3], 0 offset:492
	buffer_load_dword v136, off, s[0:3], 0 offset:488
	ds_read2_b64 v[132:135], v132 offset0:125 offset1:126
	s_waitcnt vmcnt(0) lgkmcnt(0)
	v_fmac_f64_e32 v[130:131], v[136:137], v[132:133]
	buffer_load_dword v133, off, s[0:3], 0 offset:500
	buffer_load_dword v132, off, s[0:3], 0 offset:496
	s_waitcnt vmcnt(0)
	v_fmac_f64_e32 v[130:131], v[132:133], v[134:135]
	v_add_f64 v[128:129], v[128:129], -v[130:131]
	buffer_store_dword v129, off, s[0:3], 0 offset:84
	buffer_store_dword v128, off, s[0:3], 0 offset:80
	s_and_saveexec_b64 s[4:5], vcc
	s_cbranch_execz .LBB62_367
; %bb.366:
	buffer_load_dword v128, off, s[0:3], 0 offset:72
	buffer_load_dword v129, off, s[0:3], 0 offset:76
	v_mov_b32_e32 v130, 0
	buffer_store_dword v130, off, s[0:3], 0 offset:72
	buffer_store_dword v130, off, s[0:3], 0 offset:76
	s_waitcnt vmcnt(2)
	ds_write_b64 v1, v[128:129]
.LBB62_367:
	s_or_b64 exec, exec, s[4:5]
	s_waitcnt lgkmcnt(0)
	; wave barrier
	s_waitcnt lgkmcnt(0)
	buffer_load_dword v128, off, s[0:3], 0 offset:72
	buffer_load_dword v129, off, s[0:3], 0 offset:76
	;; [unrolled: 1-line block ×16, first 2 shown]
	v_mov_b32_e32 v132, 0
	ds_read_b128 v[134:137], v132 offset:592
	v_cmp_lt_u32_e32 vcc, 8, v0
	s_waitcnt vmcnt(12) lgkmcnt(0)
	v_fma_f64 v[130:131], v[130:131], v[134:135], 0
	s_waitcnt vmcnt(10)
	v_fmac_f64_e32 v[130:131], v[138:139], v[136:137]
	ds_read_b128 v[134:137], v132 offset:608
	s_waitcnt vmcnt(8) lgkmcnt(0)
	v_fmac_f64_e32 v[130:131], v[140:141], v[134:135]
	s_waitcnt vmcnt(6)
	v_fmac_f64_e32 v[130:131], v[142:143], v[136:137]
	ds_read_b128 v[134:137], v132 offset:624
	s_waitcnt vmcnt(4) lgkmcnt(0)
	v_fmac_f64_e32 v[130:131], v[144:145], v[134:135]
	;; [unrolled: 5-line block ×3, first 2 shown]
	buffer_load_dword v135, off, s[0:3], 0 offset:140
	buffer_load_dword v134, off, s[0:3], 0 offset:136
	buffer_load_dword v139, off, s[0:3], 0 offset:148
	buffer_load_dword v138, off, s[0:3], 0 offset:144
	s_waitcnt vmcnt(2)
	v_fmac_f64_e32 v[130:131], v[134:135], v[136:137]
	ds_read_b128 v[134:137], v132 offset:656
	s_waitcnt vmcnt(0) lgkmcnt(0)
	v_fmac_f64_e32 v[130:131], v[138:139], v[134:135]
	buffer_load_dword v135, off, s[0:3], 0 offset:156
	buffer_load_dword v134, off, s[0:3], 0 offset:152
	buffer_load_dword v139, off, s[0:3], 0 offset:164
	buffer_load_dword v138, off, s[0:3], 0 offset:160
	s_waitcnt vmcnt(2)
	v_fmac_f64_e32 v[130:131], v[134:135], v[136:137]
	ds_read_b128 v[134:137], v132 offset:672
	s_waitcnt vmcnt(0) lgkmcnt(0)
	v_fmac_f64_e32 v[130:131], v[138:139], v[134:135]
	;; [unrolled: 9-line block ×22, first 2 shown]
	buffer_load_dword v135, off, s[0:3], 0 offset:492
	buffer_load_dword v134, off, s[0:3], 0 offset:488
	s_waitcnt vmcnt(0)
	v_fmac_f64_e32 v[130:131], v[134:135], v[136:137]
	buffer_load_dword v135, off, s[0:3], 0 offset:500
	buffer_load_dword v134, off, s[0:3], 0 offset:496
	ds_read_b64 v[136:137], v132 offset:1008
	s_waitcnt vmcnt(0) lgkmcnt(0)
	v_fmac_f64_e32 v[130:131], v[134:135], v[136:137]
	v_add_f64 v[128:129], v[128:129], -v[130:131]
	buffer_store_dword v129, off, s[0:3], 0 offset:76
	buffer_store_dword v128, off, s[0:3], 0 offset:72
	s_and_saveexec_b64 s[4:5], vcc
	s_cbranch_execz .LBB62_369
; %bb.368:
	buffer_load_dword v128, off, s[0:3], 0 offset:64
	buffer_load_dword v129, off, s[0:3], 0 offset:68
	s_waitcnt vmcnt(0)
	ds_write_b64 v1, v[128:129]
	buffer_store_dword v132, off, s[0:3], 0 offset:64
	buffer_store_dword v132, off, s[0:3], 0 offset:68
.LBB62_369:
	s_or_b64 exec, exec, s[4:5]
	s_waitcnt lgkmcnt(0)
	; wave barrier
	s_waitcnt lgkmcnt(0)
	buffer_load_dword v128, off, s[0:3], 0 offset:64
	buffer_load_dword v129, off, s[0:3], 0 offset:68
	;; [unrolled: 1-line block ×16, first 2 shown]
	ds_read2_b64 v[134:137], v132 offset0:73 offset1:74
	v_cmp_lt_u32_e32 vcc, 7, v0
	s_waitcnt vmcnt(12) lgkmcnt(0)
	v_fma_f64 v[130:131], v[130:131], v[134:135], 0
	s_waitcnt vmcnt(10)
	v_fmac_f64_e32 v[130:131], v[138:139], v[136:137]
	ds_read2_b64 v[134:137], v132 offset0:75 offset1:76
	s_waitcnt vmcnt(8) lgkmcnt(0)
	v_fmac_f64_e32 v[130:131], v[140:141], v[134:135]
	s_waitcnt vmcnt(6)
	v_fmac_f64_e32 v[130:131], v[142:143], v[136:137]
	ds_read2_b64 v[134:137], v132 offset0:77 offset1:78
	s_waitcnt vmcnt(4) lgkmcnt(0)
	v_fmac_f64_e32 v[130:131], v[144:145], v[134:135]
	s_waitcnt vmcnt(2)
	v_fmac_f64_e32 v[130:131], v[146:147], v[136:137]
	ds_read2_b64 v[134:137], v132 offset0:79 offset1:80
	s_waitcnt vmcnt(0) lgkmcnt(0)
	v_fmac_f64_e32 v[130:131], v[148:149], v[134:135]
	buffer_load_dword v135, off, s[0:3], 0 offset:132
	buffer_load_dword v134, off, s[0:3], 0 offset:128
	buffer_load_dword v139, off, s[0:3], 0 offset:140
	buffer_load_dword v138, off, s[0:3], 0 offset:136
	s_waitcnt vmcnt(2)
	v_fmac_f64_e32 v[130:131], v[134:135], v[136:137]
	ds_read2_b64 v[134:137], v132 offset0:81 offset1:82
	s_waitcnt vmcnt(0) lgkmcnt(0)
	v_fmac_f64_e32 v[130:131], v[138:139], v[134:135]
	buffer_load_dword v135, off, s[0:3], 0 offset:148
	buffer_load_dword v134, off, s[0:3], 0 offset:144
	buffer_load_dword v139, off, s[0:3], 0 offset:156
	buffer_load_dword v138, off, s[0:3], 0 offset:152
	s_waitcnt vmcnt(2)
	v_fmac_f64_e32 v[130:131], v[134:135], v[136:137]
	ds_read2_b64 v[134:137], v132 offset0:83 offset1:84
	s_waitcnt vmcnt(0) lgkmcnt(0)
	v_fmac_f64_e32 v[130:131], v[138:139], v[134:135]
	;; [unrolled: 9-line block ×22, first 2 shown]
	buffer_load_dword v135, off, s[0:3], 0 offset:484
	buffer_load_dword v134, off, s[0:3], 0 offset:480
	s_waitcnt vmcnt(0)
	v_fmac_f64_e32 v[130:131], v[134:135], v[136:137]
	buffer_load_dword v137, off, s[0:3], 0 offset:492
	buffer_load_dword v136, off, s[0:3], 0 offset:488
	ds_read2_b64 v[132:135], v132 offset0:125 offset1:126
	s_waitcnt vmcnt(0) lgkmcnt(0)
	v_fmac_f64_e32 v[130:131], v[136:137], v[132:133]
	buffer_load_dword v133, off, s[0:3], 0 offset:500
	buffer_load_dword v132, off, s[0:3], 0 offset:496
	s_waitcnt vmcnt(0)
	v_fmac_f64_e32 v[130:131], v[132:133], v[134:135]
	v_add_f64 v[128:129], v[128:129], -v[130:131]
	buffer_store_dword v129, off, s[0:3], 0 offset:68
	buffer_store_dword v128, off, s[0:3], 0 offset:64
	s_and_saveexec_b64 s[4:5], vcc
	s_cbranch_execz .LBB62_371
; %bb.370:
	buffer_load_dword v128, off, s[0:3], 0 offset:56
	buffer_load_dword v129, off, s[0:3], 0 offset:60
	v_mov_b32_e32 v130, 0
	buffer_store_dword v130, off, s[0:3], 0 offset:56
	buffer_store_dword v130, off, s[0:3], 0 offset:60
	s_waitcnt vmcnt(2)
	ds_write_b64 v1, v[128:129]
.LBB62_371:
	s_or_b64 exec, exec, s[4:5]
	s_waitcnt lgkmcnt(0)
	; wave barrier
	s_waitcnt lgkmcnt(0)
	buffer_load_dword v128, off, s[0:3], 0 offset:56
	buffer_load_dword v129, off, s[0:3], 0 offset:60
	;; [unrolled: 1-line block ×16, first 2 shown]
	v_mov_b32_e32 v132, 0
	ds_read_b128 v[134:137], v132 offset:576
	v_cmp_lt_u32_e32 vcc, 6, v0
	s_waitcnt vmcnt(12) lgkmcnt(0)
	v_fma_f64 v[130:131], v[130:131], v[134:135], 0
	s_waitcnt vmcnt(10)
	v_fmac_f64_e32 v[130:131], v[138:139], v[136:137]
	ds_read_b128 v[134:137], v132 offset:592
	s_waitcnt vmcnt(8) lgkmcnt(0)
	v_fmac_f64_e32 v[130:131], v[140:141], v[134:135]
	s_waitcnt vmcnt(6)
	v_fmac_f64_e32 v[130:131], v[142:143], v[136:137]
	ds_read_b128 v[134:137], v132 offset:608
	s_waitcnt vmcnt(4) lgkmcnt(0)
	v_fmac_f64_e32 v[130:131], v[144:145], v[134:135]
	;; [unrolled: 5-line block ×3, first 2 shown]
	buffer_load_dword v135, off, s[0:3], 0 offset:124
	buffer_load_dword v134, off, s[0:3], 0 offset:120
	buffer_load_dword v139, off, s[0:3], 0 offset:132
	buffer_load_dword v138, off, s[0:3], 0 offset:128
	s_waitcnt vmcnt(2)
	v_fmac_f64_e32 v[130:131], v[134:135], v[136:137]
	ds_read_b128 v[134:137], v132 offset:640
	s_waitcnt vmcnt(0) lgkmcnt(0)
	v_fmac_f64_e32 v[130:131], v[138:139], v[134:135]
	buffer_load_dword v135, off, s[0:3], 0 offset:140
	buffer_load_dword v134, off, s[0:3], 0 offset:136
	buffer_load_dword v139, off, s[0:3], 0 offset:148
	buffer_load_dword v138, off, s[0:3], 0 offset:144
	s_waitcnt vmcnt(2)
	v_fmac_f64_e32 v[130:131], v[134:135], v[136:137]
	ds_read_b128 v[134:137], v132 offset:656
	s_waitcnt vmcnt(0) lgkmcnt(0)
	v_fmac_f64_e32 v[130:131], v[138:139], v[134:135]
	;; [unrolled: 9-line block ×23, first 2 shown]
	buffer_load_dword v135, off, s[0:3], 0 offset:492
	buffer_load_dword v134, off, s[0:3], 0 offset:488
	s_waitcnt vmcnt(0)
	v_fmac_f64_e32 v[130:131], v[134:135], v[136:137]
	buffer_load_dword v135, off, s[0:3], 0 offset:500
	buffer_load_dword v134, off, s[0:3], 0 offset:496
	ds_read_b64 v[136:137], v132 offset:1008
	s_waitcnt vmcnt(0) lgkmcnt(0)
	v_fmac_f64_e32 v[130:131], v[134:135], v[136:137]
	v_add_f64 v[128:129], v[128:129], -v[130:131]
	buffer_store_dword v129, off, s[0:3], 0 offset:60
	buffer_store_dword v128, off, s[0:3], 0 offset:56
	s_and_saveexec_b64 s[4:5], vcc
	s_cbranch_execz .LBB62_373
; %bb.372:
	buffer_load_dword v128, off, s[0:3], 0 offset:48
	buffer_load_dword v129, off, s[0:3], 0 offset:52
	s_waitcnt vmcnt(0)
	ds_write_b64 v1, v[128:129]
	buffer_store_dword v132, off, s[0:3], 0 offset:48
	buffer_store_dword v132, off, s[0:3], 0 offset:52
.LBB62_373:
	s_or_b64 exec, exec, s[4:5]
	s_waitcnt lgkmcnt(0)
	; wave barrier
	s_waitcnt lgkmcnt(0)
	buffer_load_dword v128, off, s[0:3], 0 offset:48
	buffer_load_dword v129, off, s[0:3], 0 offset:52
	;; [unrolled: 1-line block ×16, first 2 shown]
	ds_read2_b64 v[134:137], v132 offset0:71 offset1:72
	v_cmp_lt_u32_e32 vcc, 5, v0
	s_waitcnt vmcnt(12) lgkmcnt(0)
	v_fma_f64 v[130:131], v[130:131], v[134:135], 0
	s_waitcnt vmcnt(10)
	v_fmac_f64_e32 v[130:131], v[138:139], v[136:137]
	ds_read2_b64 v[134:137], v132 offset0:73 offset1:74
	s_waitcnt vmcnt(8) lgkmcnt(0)
	v_fmac_f64_e32 v[130:131], v[140:141], v[134:135]
	s_waitcnt vmcnt(6)
	v_fmac_f64_e32 v[130:131], v[142:143], v[136:137]
	ds_read2_b64 v[134:137], v132 offset0:75 offset1:76
	s_waitcnt vmcnt(4) lgkmcnt(0)
	v_fmac_f64_e32 v[130:131], v[144:145], v[134:135]
	;; [unrolled: 5-line block ×3, first 2 shown]
	buffer_load_dword v135, off, s[0:3], 0 offset:116
	buffer_load_dword v134, off, s[0:3], 0 offset:112
	buffer_load_dword v139, off, s[0:3], 0 offset:124
	buffer_load_dword v138, off, s[0:3], 0 offset:120
	s_waitcnt vmcnt(2)
	v_fmac_f64_e32 v[130:131], v[134:135], v[136:137]
	ds_read2_b64 v[134:137], v132 offset0:79 offset1:80
	s_waitcnt vmcnt(0) lgkmcnt(0)
	v_fmac_f64_e32 v[130:131], v[138:139], v[134:135]
	buffer_load_dword v135, off, s[0:3], 0 offset:132
	buffer_load_dword v134, off, s[0:3], 0 offset:128
	buffer_load_dword v139, off, s[0:3], 0 offset:140
	buffer_load_dword v138, off, s[0:3], 0 offset:136
	s_waitcnt vmcnt(2)
	v_fmac_f64_e32 v[130:131], v[134:135], v[136:137]
	ds_read2_b64 v[134:137], v132 offset0:81 offset1:82
	s_waitcnt vmcnt(0) lgkmcnt(0)
	v_fmac_f64_e32 v[130:131], v[138:139], v[134:135]
	;; [unrolled: 9-line block ×23, first 2 shown]
	buffer_load_dword v135, off, s[0:3], 0 offset:484
	buffer_load_dword v134, off, s[0:3], 0 offset:480
	s_waitcnt vmcnt(0)
	v_fmac_f64_e32 v[130:131], v[134:135], v[136:137]
	buffer_load_dword v137, off, s[0:3], 0 offset:492
	buffer_load_dword v136, off, s[0:3], 0 offset:488
	ds_read2_b64 v[132:135], v132 offset0:125 offset1:126
	s_waitcnt vmcnt(0) lgkmcnt(0)
	v_fmac_f64_e32 v[130:131], v[136:137], v[132:133]
	buffer_load_dword v133, off, s[0:3], 0 offset:500
	buffer_load_dword v132, off, s[0:3], 0 offset:496
	s_waitcnt vmcnt(0)
	v_fmac_f64_e32 v[130:131], v[132:133], v[134:135]
	v_add_f64 v[128:129], v[128:129], -v[130:131]
	buffer_store_dword v129, off, s[0:3], 0 offset:52
	buffer_store_dword v128, off, s[0:3], 0 offset:48
	s_and_saveexec_b64 s[4:5], vcc
	s_cbranch_execz .LBB62_375
; %bb.374:
	buffer_load_dword v128, off, s[0:3], 0 offset:40
	buffer_load_dword v129, off, s[0:3], 0 offset:44
	v_mov_b32_e32 v130, 0
	buffer_store_dword v130, off, s[0:3], 0 offset:40
	buffer_store_dword v130, off, s[0:3], 0 offset:44
	s_waitcnt vmcnt(2)
	ds_write_b64 v1, v[128:129]
.LBB62_375:
	s_or_b64 exec, exec, s[4:5]
	s_waitcnt lgkmcnt(0)
	; wave barrier
	s_waitcnt lgkmcnt(0)
	buffer_load_dword v128, off, s[0:3], 0 offset:40
	buffer_load_dword v129, off, s[0:3], 0 offset:44
	;; [unrolled: 1-line block ×16, first 2 shown]
	v_mov_b32_e32 v132, 0
	ds_read_b128 v[134:137], v132 offset:560
	v_cmp_lt_u32_e32 vcc, 4, v0
	s_waitcnt vmcnt(12) lgkmcnt(0)
	v_fma_f64 v[130:131], v[130:131], v[134:135], 0
	s_waitcnt vmcnt(10)
	v_fmac_f64_e32 v[130:131], v[138:139], v[136:137]
	ds_read_b128 v[134:137], v132 offset:576
	s_waitcnt vmcnt(8) lgkmcnt(0)
	v_fmac_f64_e32 v[130:131], v[140:141], v[134:135]
	s_waitcnt vmcnt(6)
	v_fmac_f64_e32 v[130:131], v[142:143], v[136:137]
	ds_read_b128 v[134:137], v132 offset:592
	s_waitcnt vmcnt(4) lgkmcnt(0)
	v_fmac_f64_e32 v[130:131], v[144:145], v[134:135]
	;; [unrolled: 5-line block ×3, first 2 shown]
	buffer_load_dword v135, off, s[0:3], 0 offset:108
	buffer_load_dword v134, off, s[0:3], 0 offset:104
	buffer_load_dword v139, off, s[0:3], 0 offset:116
	buffer_load_dword v138, off, s[0:3], 0 offset:112
	s_waitcnt vmcnt(2)
	v_fmac_f64_e32 v[130:131], v[134:135], v[136:137]
	ds_read_b128 v[134:137], v132 offset:624
	s_waitcnt vmcnt(0) lgkmcnt(0)
	v_fmac_f64_e32 v[130:131], v[138:139], v[134:135]
	buffer_load_dword v135, off, s[0:3], 0 offset:124
	buffer_load_dword v134, off, s[0:3], 0 offset:120
	buffer_load_dword v139, off, s[0:3], 0 offset:132
	buffer_load_dword v138, off, s[0:3], 0 offset:128
	s_waitcnt vmcnt(2)
	v_fmac_f64_e32 v[130:131], v[134:135], v[136:137]
	ds_read_b128 v[134:137], v132 offset:640
	s_waitcnt vmcnt(0) lgkmcnt(0)
	v_fmac_f64_e32 v[130:131], v[138:139], v[134:135]
	;; [unrolled: 9-line block ×24, first 2 shown]
	buffer_load_dword v135, off, s[0:3], 0 offset:492
	buffer_load_dword v134, off, s[0:3], 0 offset:488
	s_waitcnt vmcnt(0)
	v_fmac_f64_e32 v[130:131], v[134:135], v[136:137]
	buffer_load_dword v135, off, s[0:3], 0 offset:500
	buffer_load_dword v134, off, s[0:3], 0 offset:496
	ds_read_b64 v[136:137], v132 offset:1008
	s_waitcnt vmcnt(0) lgkmcnt(0)
	v_fmac_f64_e32 v[130:131], v[134:135], v[136:137]
	v_add_f64 v[128:129], v[128:129], -v[130:131]
	buffer_store_dword v129, off, s[0:3], 0 offset:44
	buffer_store_dword v128, off, s[0:3], 0 offset:40
	s_and_saveexec_b64 s[4:5], vcc
	s_cbranch_execz .LBB62_377
; %bb.376:
	buffer_load_dword v128, off, s[0:3], 0 offset:32
	buffer_load_dword v129, off, s[0:3], 0 offset:36
	s_waitcnt vmcnt(0)
	ds_write_b64 v1, v[128:129]
	buffer_store_dword v132, off, s[0:3], 0 offset:32
	buffer_store_dword v132, off, s[0:3], 0 offset:36
.LBB62_377:
	s_or_b64 exec, exec, s[4:5]
	s_waitcnt lgkmcnt(0)
	; wave barrier
	s_waitcnt lgkmcnt(0)
	buffer_load_dword v128, off, s[0:3], 0 offset:32
	buffer_load_dword v129, off, s[0:3], 0 offset:36
	;; [unrolled: 1-line block ×16, first 2 shown]
	ds_read2_b64 v[134:137], v132 offset0:69 offset1:70
	v_cmp_lt_u32_e32 vcc, 3, v0
	s_waitcnt vmcnt(12) lgkmcnt(0)
	v_fma_f64 v[130:131], v[130:131], v[134:135], 0
	s_waitcnt vmcnt(10)
	v_fmac_f64_e32 v[130:131], v[138:139], v[136:137]
	ds_read2_b64 v[134:137], v132 offset0:71 offset1:72
	s_waitcnt vmcnt(8) lgkmcnt(0)
	v_fmac_f64_e32 v[130:131], v[140:141], v[134:135]
	s_waitcnt vmcnt(6)
	v_fmac_f64_e32 v[130:131], v[142:143], v[136:137]
	ds_read2_b64 v[134:137], v132 offset0:73 offset1:74
	s_waitcnt vmcnt(4) lgkmcnt(0)
	v_fmac_f64_e32 v[130:131], v[144:145], v[134:135]
	;; [unrolled: 5-line block ×3, first 2 shown]
	buffer_load_dword v135, off, s[0:3], 0 offset:100
	buffer_load_dword v134, off, s[0:3], 0 offset:96
	buffer_load_dword v139, off, s[0:3], 0 offset:108
	buffer_load_dword v138, off, s[0:3], 0 offset:104
	s_waitcnt vmcnt(2)
	v_fmac_f64_e32 v[130:131], v[134:135], v[136:137]
	ds_read2_b64 v[134:137], v132 offset0:77 offset1:78
	s_waitcnt vmcnt(0) lgkmcnt(0)
	v_fmac_f64_e32 v[130:131], v[138:139], v[134:135]
	buffer_load_dword v135, off, s[0:3], 0 offset:116
	buffer_load_dword v134, off, s[0:3], 0 offset:112
	buffer_load_dword v139, off, s[0:3], 0 offset:124
	buffer_load_dword v138, off, s[0:3], 0 offset:120
	s_waitcnt vmcnt(2)
	v_fmac_f64_e32 v[130:131], v[134:135], v[136:137]
	ds_read2_b64 v[134:137], v132 offset0:79 offset1:80
	s_waitcnt vmcnt(0) lgkmcnt(0)
	v_fmac_f64_e32 v[130:131], v[138:139], v[134:135]
	;; [unrolled: 9-line block ×24, first 2 shown]
	buffer_load_dword v135, off, s[0:3], 0 offset:484
	buffer_load_dword v134, off, s[0:3], 0 offset:480
	s_waitcnt vmcnt(0)
	v_fmac_f64_e32 v[130:131], v[134:135], v[136:137]
	buffer_load_dword v137, off, s[0:3], 0 offset:492
	buffer_load_dword v136, off, s[0:3], 0 offset:488
	ds_read2_b64 v[132:135], v132 offset0:125 offset1:126
	s_waitcnt vmcnt(0) lgkmcnt(0)
	v_fmac_f64_e32 v[130:131], v[136:137], v[132:133]
	buffer_load_dword v133, off, s[0:3], 0 offset:500
	buffer_load_dword v132, off, s[0:3], 0 offset:496
	s_waitcnt vmcnt(0)
	v_fmac_f64_e32 v[130:131], v[132:133], v[134:135]
	v_add_f64 v[128:129], v[128:129], -v[130:131]
	buffer_store_dword v129, off, s[0:3], 0 offset:36
	buffer_store_dword v128, off, s[0:3], 0 offset:32
	s_and_saveexec_b64 s[4:5], vcc
	s_cbranch_execz .LBB62_379
; %bb.378:
	buffer_load_dword v128, off, s[0:3], 0 offset:24
	buffer_load_dword v129, off, s[0:3], 0 offset:28
	v_mov_b32_e32 v130, 0
	buffer_store_dword v130, off, s[0:3], 0 offset:24
	buffer_store_dword v130, off, s[0:3], 0 offset:28
	s_waitcnt vmcnt(2)
	ds_write_b64 v1, v[128:129]
.LBB62_379:
	s_or_b64 exec, exec, s[4:5]
	s_waitcnt lgkmcnt(0)
	; wave barrier
	s_waitcnt lgkmcnt(0)
	buffer_load_dword v128, off, s[0:3], 0 offset:24
	buffer_load_dword v129, off, s[0:3], 0 offset:28
	;; [unrolled: 1-line block ×16, first 2 shown]
	v_mov_b32_e32 v132, 0
	ds_read_b128 v[134:137], v132 offset:544
	v_cmp_lt_u32_e32 vcc, 2, v0
	s_waitcnt vmcnt(12) lgkmcnt(0)
	v_fma_f64 v[130:131], v[130:131], v[134:135], 0
	s_waitcnt vmcnt(10)
	v_fmac_f64_e32 v[130:131], v[138:139], v[136:137]
	ds_read_b128 v[134:137], v132 offset:560
	s_waitcnt vmcnt(8) lgkmcnt(0)
	v_fmac_f64_e32 v[130:131], v[140:141], v[134:135]
	s_waitcnt vmcnt(6)
	v_fmac_f64_e32 v[130:131], v[142:143], v[136:137]
	ds_read_b128 v[134:137], v132 offset:576
	s_waitcnt vmcnt(4) lgkmcnt(0)
	v_fmac_f64_e32 v[130:131], v[144:145], v[134:135]
	;; [unrolled: 5-line block ×3, first 2 shown]
	buffer_load_dword v135, off, s[0:3], 0 offset:92
	buffer_load_dword v134, off, s[0:3], 0 offset:88
	buffer_load_dword v139, off, s[0:3], 0 offset:100
	buffer_load_dword v138, off, s[0:3], 0 offset:96
	s_waitcnt vmcnt(2)
	v_fmac_f64_e32 v[130:131], v[134:135], v[136:137]
	ds_read_b128 v[134:137], v132 offset:608
	s_waitcnt vmcnt(0) lgkmcnt(0)
	v_fmac_f64_e32 v[130:131], v[138:139], v[134:135]
	buffer_load_dword v135, off, s[0:3], 0 offset:108
	buffer_load_dword v134, off, s[0:3], 0 offset:104
	buffer_load_dword v139, off, s[0:3], 0 offset:116
	buffer_load_dword v138, off, s[0:3], 0 offset:112
	s_waitcnt vmcnt(2)
	v_fmac_f64_e32 v[130:131], v[134:135], v[136:137]
	ds_read_b128 v[134:137], v132 offset:624
	s_waitcnt vmcnt(0) lgkmcnt(0)
	v_fmac_f64_e32 v[130:131], v[138:139], v[134:135]
	;; [unrolled: 9-line block ×25, first 2 shown]
	buffer_load_dword v135, off, s[0:3], 0 offset:492
	buffer_load_dword v134, off, s[0:3], 0 offset:488
	s_waitcnt vmcnt(0)
	v_fmac_f64_e32 v[130:131], v[134:135], v[136:137]
	buffer_load_dword v135, off, s[0:3], 0 offset:500
	buffer_load_dword v134, off, s[0:3], 0 offset:496
	ds_read_b64 v[136:137], v132 offset:1008
	s_waitcnt vmcnt(0) lgkmcnt(0)
	v_fmac_f64_e32 v[130:131], v[134:135], v[136:137]
	v_add_f64 v[128:129], v[128:129], -v[130:131]
	buffer_store_dword v129, off, s[0:3], 0 offset:28
	buffer_store_dword v128, off, s[0:3], 0 offset:24
	s_and_saveexec_b64 s[4:5], vcc
	s_cbranch_execz .LBB62_381
; %bb.380:
	buffer_load_dword v128, off, s[0:3], 0 offset:16
	buffer_load_dword v129, off, s[0:3], 0 offset:20
	s_waitcnt vmcnt(0)
	ds_write_b64 v1, v[128:129]
	buffer_store_dword v132, off, s[0:3], 0 offset:16
	buffer_store_dword v132, off, s[0:3], 0 offset:20
.LBB62_381:
	s_or_b64 exec, exec, s[4:5]
	s_waitcnt lgkmcnt(0)
	; wave barrier
	s_waitcnt lgkmcnt(0)
	buffer_load_dword v128, off, s[0:3], 0 offset:16
	buffer_load_dword v129, off, s[0:3], 0 offset:20
	;; [unrolled: 1-line block ×16, first 2 shown]
	ds_read2_b64 v[134:137], v132 offset0:67 offset1:68
	v_cmp_lt_u32_e32 vcc, 1, v0
	s_waitcnt vmcnt(12) lgkmcnt(0)
	v_fma_f64 v[130:131], v[130:131], v[134:135], 0
	s_waitcnt vmcnt(10)
	v_fmac_f64_e32 v[130:131], v[138:139], v[136:137]
	ds_read2_b64 v[134:137], v132 offset0:69 offset1:70
	s_waitcnt vmcnt(8) lgkmcnt(0)
	v_fmac_f64_e32 v[130:131], v[140:141], v[134:135]
	s_waitcnt vmcnt(6)
	v_fmac_f64_e32 v[130:131], v[142:143], v[136:137]
	ds_read2_b64 v[134:137], v132 offset0:71 offset1:72
	s_waitcnt vmcnt(4) lgkmcnt(0)
	v_fmac_f64_e32 v[130:131], v[144:145], v[134:135]
	s_waitcnt vmcnt(2)
	v_fmac_f64_e32 v[130:131], v[146:147], v[136:137]
	ds_read2_b64 v[134:137], v132 offset0:73 offset1:74
	s_waitcnt vmcnt(0) lgkmcnt(0)
	v_fmac_f64_e32 v[130:131], v[148:149], v[134:135]
	buffer_load_dword v135, off, s[0:3], 0 offset:84
	buffer_load_dword v134, off, s[0:3], 0 offset:80
	buffer_load_dword v139, off, s[0:3], 0 offset:92
	buffer_load_dword v138, off, s[0:3], 0 offset:88
	s_waitcnt vmcnt(2)
	v_fmac_f64_e32 v[130:131], v[134:135], v[136:137]
	ds_read2_b64 v[134:137], v132 offset0:75 offset1:76
	s_waitcnt vmcnt(0) lgkmcnt(0)
	v_fmac_f64_e32 v[130:131], v[138:139], v[134:135]
	buffer_load_dword v135, off, s[0:3], 0 offset:100
	buffer_load_dword v134, off, s[0:3], 0 offset:96
	buffer_load_dword v139, off, s[0:3], 0 offset:108
	buffer_load_dword v138, off, s[0:3], 0 offset:104
	s_waitcnt vmcnt(2)
	v_fmac_f64_e32 v[130:131], v[134:135], v[136:137]
	ds_read2_b64 v[134:137], v132 offset0:77 offset1:78
	s_waitcnt vmcnt(0) lgkmcnt(0)
	v_fmac_f64_e32 v[130:131], v[138:139], v[134:135]
	buffer_load_dword v135, off, s[0:3], 0 offset:116
	buffer_load_dword v134, off, s[0:3], 0 offset:112
	buffer_load_dword v139, off, s[0:3], 0 offset:124
	buffer_load_dword v138, off, s[0:3], 0 offset:120
	s_waitcnt vmcnt(2)
	v_fmac_f64_e32 v[130:131], v[134:135], v[136:137]
	ds_read2_b64 v[134:137], v132 offset0:79 offset1:80
	s_waitcnt vmcnt(0) lgkmcnt(0)
	v_fmac_f64_e32 v[130:131], v[138:139], v[134:135]
	buffer_load_dword v135, off, s[0:3], 0 offset:132
	buffer_load_dword v134, off, s[0:3], 0 offset:128
	buffer_load_dword v139, off, s[0:3], 0 offset:140
	buffer_load_dword v138, off, s[0:3], 0 offset:136
	s_waitcnt vmcnt(2)
	v_fmac_f64_e32 v[130:131], v[134:135], v[136:137]
	ds_read2_b64 v[134:137], v132 offset0:81 offset1:82
	s_waitcnt vmcnt(0) lgkmcnt(0)
	v_fmac_f64_e32 v[130:131], v[138:139], v[134:135]
	buffer_load_dword v135, off, s[0:3], 0 offset:148
	buffer_load_dword v134, off, s[0:3], 0 offset:144
	buffer_load_dword v139, off, s[0:3], 0 offset:156
	buffer_load_dword v138, off, s[0:3], 0 offset:152
	s_waitcnt vmcnt(2)
	v_fmac_f64_e32 v[130:131], v[134:135], v[136:137]
	ds_read2_b64 v[134:137], v132 offset0:83 offset1:84
	s_waitcnt vmcnt(0) lgkmcnt(0)
	v_fmac_f64_e32 v[130:131], v[138:139], v[134:135]
	buffer_load_dword v135, off, s[0:3], 0 offset:164
	buffer_load_dword v134, off, s[0:3], 0 offset:160
	buffer_load_dword v139, off, s[0:3], 0 offset:172
	buffer_load_dword v138, off, s[0:3], 0 offset:168
	s_waitcnt vmcnt(2)
	v_fmac_f64_e32 v[130:131], v[134:135], v[136:137]
	ds_read2_b64 v[134:137], v132 offset0:85 offset1:86
	s_waitcnt vmcnt(0) lgkmcnt(0)
	v_fmac_f64_e32 v[130:131], v[138:139], v[134:135]
	buffer_load_dword v135, off, s[0:3], 0 offset:180
	buffer_load_dword v134, off, s[0:3], 0 offset:176
	buffer_load_dword v139, off, s[0:3], 0 offset:188
	buffer_load_dword v138, off, s[0:3], 0 offset:184
	s_waitcnt vmcnt(2)
	v_fmac_f64_e32 v[130:131], v[134:135], v[136:137]
	ds_read2_b64 v[134:137], v132 offset0:87 offset1:88
	s_waitcnt vmcnt(0) lgkmcnt(0)
	v_fmac_f64_e32 v[130:131], v[138:139], v[134:135]
	buffer_load_dword v135, off, s[0:3], 0 offset:196
	buffer_load_dword v134, off, s[0:3], 0 offset:192
	buffer_load_dword v139, off, s[0:3], 0 offset:204
	buffer_load_dword v138, off, s[0:3], 0 offset:200
	s_waitcnt vmcnt(2)
	v_fmac_f64_e32 v[130:131], v[134:135], v[136:137]
	ds_read2_b64 v[134:137], v132 offset0:89 offset1:90
	s_waitcnt vmcnt(0) lgkmcnt(0)
	v_fmac_f64_e32 v[130:131], v[138:139], v[134:135]
	buffer_load_dword v135, off, s[0:3], 0 offset:212
	buffer_load_dword v134, off, s[0:3], 0 offset:208
	buffer_load_dword v139, off, s[0:3], 0 offset:220
	buffer_load_dword v138, off, s[0:3], 0 offset:216
	s_waitcnt vmcnt(2)
	v_fmac_f64_e32 v[130:131], v[134:135], v[136:137]
	ds_read2_b64 v[134:137], v132 offset0:91 offset1:92
	s_waitcnt vmcnt(0) lgkmcnt(0)
	v_fmac_f64_e32 v[130:131], v[138:139], v[134:135]
	buffer_load_dword v135, off, s[0:3], 0 offset:228
	buffer_load_dword v134, off, s[0:3], 0 offset:224
	buffer_load_dword v139, off, s[0:3], 0 offset:236
	buffer_load_dword v138, off, s[0:3], 0 offset:232
	s_waitcnt vmcnt(2)
	v_fmac_f64_e32 v[130:131], v[134:135], v[136:137]
	ds_read2_b64 v[134:137], v132 offset0:93 offset1:94
	s_waitcnt vmcnt(0) lgkmcnt(0)
	v_fmac_f64_e32 v[130:131], v[138:139], v[134:135]
	buffer_load_dword v135, off, s[0:3], 0 offset:244
	buffer_load_dword v134, off, s[0:3], 0 offset:240
	buffer_load_dword v139, off, s[0:3], 0 offset:252
	buffer_load_dword v138, off, s[0:3], 0 offset:248
	s_waitcnt vmcnt(2)
	v_fmac_f64_e32 v[130:131], v[134:135], v[136:137]
	ds_read2_b64 v[134:137], v132 offset0:95 offset1:96
	s_waitcnt vmcnt(0) lgkmcnt(0)
	v_fmac_f64_e32 v[130:131], v[138:139], v[134:135]
	buffer_load_dword v135, off, s[0:3], 0 offset:260
	buffer_load_dword v134, off, s[0:3], 0 offset:256
	buffer_load_dword v139, off, s[0:3], 0 offset:268
	buffer_load_dword v138, off, s[0:3], 0 offset:264
	s_waitcnt vmcnt(2)
	v_fmac_f64_e32 v[130:131], v[134:135], v[136:137]
	ds_read2_b64 v[134:137], v132 offset0:97 offset1:98
	s_waitcnt vmcnt(0) lgkmcnt(0)
	v_fmac_f64_e32 v[130:131], v[138:139], v[134:135]
	buffer_load_dword v135, off, s[0:3], 0 offset:276
	buffer_load_dword v134, off, s[0:3], 0 offset:272
	buffer_load_dword v139, off, s[0:3], 0 offset:284
	buffer_load_dword v138, off, s[0:3], 0 offset:280
	s_waitcnt vmcnt(2)
	v_fmac_f64_e32 v[130:131], v[134:135], v[136:137]
	ds_read2_b64 v[134:137], v132 offset0:99 offset1:100
	s_waitcnt vmcnt(0) lgkmcnt(0)
	v_fmac_f64_e32 v[130:131], v[138:139], v[134:135]
	buffer_load_dword v135, off, s[0:3], 0 offset:292
	buffer_load_dword v134, off, s[0:3], 0 offset:288
	buffer_load_dword v139, off, s[0:3], 0 offset:300
	buffer_load_dword v138, off, s[0:3], 0 offset:296
	s_waitcnt vmcnt(2)
	v_fmac_f64_e32 v[130:131], v[134:135], v[136:137]
	ds_read2_b64 v[134:137], v132 offset0:101 offset1:102
	s_waitcnt vmcnt(0) lgkmcnt(0)
	v_fmac_f64_e32 v[130:131], v[138:139], v[134:135]
	buffer_load_dword v135, off, s[0:3], 0 offset:308
	buffer_load_dword v134, off, s[0:3], 0 offset:304
	buffer_load_dword v139, off, s[0:3], 0 offset:316
	buffer_load_dword v138, off, s[0:3], 0 offset:312
	s_waitcnt vmcnt(2)
	v_fmac_f64_e32 v[130:131], v[134:135], v[136:137]
	ds_read2_b64 v[134:137], v132 offset0:103 offset1:104
	s_waitcnt vmcnt(0) lgkmcnt(0)
	v_fmac_f64_e32 v[130:131], v[138:139], v[134:135]
	buffer_load_dword v135, off, s[0:3], 0 offset:324
	buffer_load_dword v134, off, s[0:3], 0 offset:320
	buffer_load_dword v139, off, s[0:3], 0 offset:332
	buffer_load_dword v138, off, s[0:3], 0 offset:328
	s_waitcnt vmcnt(2)
	v_fmac_f64_e32 v[130:131], v[134:135], v[136:137]
	ds_read2_b64 v[134:137], v132 offset0:105 offset1:106
	s_waitcnt vmcnt(0) lgkmcnt(0)
	v_fmac_f64_e32 v[130:131], v[138:139], v[134:135]
	buffer_load_dword v135, off, s[0:3], 0 offset:340
	buffer_load_dword v134, off, s[0:3], 0 offset:336
	buffer_load_dword v139, off, s[0:3], 0 offset:348
	buffer_load_dword v138, off, s[0:3], 0 offset:344
	s_waitcnt vmcnt(2)
	v_fmac_f64_e32 v[130:131], v[134:135], v[136:137]
	ds_read2_b64 v[134:137], v132 offset0:107 offset1:108
	s_waitcnt vmcnt(0) lgkmcnt(0)
	v_fmac_f64_e32 v[130:131], v[138:139], v[134:135]
	buffer_load_dword v135, off, s[0:3], 0 offset:356
	buffer_load_dword v134, off, s[0:3], 0 offset:352
	buffer_load_dword v139, off, s[0:3], 0 offset:364
	buffer_load_dword v138, off, s[0:3], 0 offset:360
	s_waitcnt vmcnt(2)
	v_fmac_f64_e32 v[130:131], v[134:135], v[136:137]
	ds_read2_b64 v[134:137], v132 offset0:109 offset1:110
	s_waitcnt vmcnt(0) lgkmcnt(0)
	v_fmac_f64_e32 v[130:131], v[138:139], v[134:135]
	buffer_load_dword v135, off, s[0:3], 0 offset:372
	buffer_load_dword v134, off, s[0:3], 0 offset:368
	buffer_load_dword v139, off, s[0:3], 0 offset:380
	buffer_load_dword v138, off, s[0:3], 0 offset:376
	s_waitcnt vmcnt(2)
	v_fmac_f64_e32 v[130:131], v[134:135], v[136:137]
	ds_read2_b64 v[134:137], v132 offset0:111 offset1:112
	s_waitcnt vmcnt(0) lgkmcnt(0)
	v_fmac_f64_e32 v[130:131], v[138:139], v[134:135]
	buffer_load_dword v135, off, s[0:3], 0 offset:388
	buffer_load_dword v134, off, s[0:3], 0 offset:384
	buffer_load_dword v139, off, s[0:3], 0 offset:396
	buffer_load_dword v138, off, s[0:3], 0 offset:392
	s_waitcnt vmcnt(2)
	v_fmac_f64_e32 v[130:131], v[134:135], v[136:137]
	ds_read2_b64 v[134:137], v132 offset0:113 offset1:114
	s_waitcnt vmcnt(0) lgkmcnt(0)
	v_fmac_f64_e32 v[130:131], v[138:139], v[134:135]
	buffer_load_dword v135, off, s[0:3], 0 offset:404
	buffer_load_dword v134, off, s[0:3], 0 offset:400
	buffer_load_dword v139, off, s[0:3], 0 offset:412
	buffer_load_dword v138, off, s[0:3], 0 offset:408
	s_waitcnt vmcnt(2)
	v_fmac_f64_e32 v[130:131], v[134:135], v[136:137]
	ds_read2_b64 v[134:137], v132 offset0:115 offset1:116
	s_waitcnt vmcnt(0) lgkmcnt(0)
	v_fmac_f64_e32 v[130:131], v[138:139], v[134:135]
	buffer_load_dword v135, off, s[0:3], 0 offset:420
	buffer_load_dword v134, off, s[0:3], 0 offset:416
	buffer_load_dword v139, off, s[0:3], 0 offset:428
	buffer_load_dword v138, off, s[0:3], 0 offset:424
	s_waitcnt vmcnt(2)
	v_fmac_f64_e32 v[130:131], v[134:135], v[136:137]
	ds_read2_b64 v[134:137], v132 offset0:117 offset1:118
	s_waitcnt vmcnt(0) lgkmcnt(0)
	v_fmac_f64_e32 v[130:131], v[138:139], v[134:135]
	buffer_load_dword v135, off, s[0:3], 0 offset:436
	buffer_load_dword v134, off, s[0:3], 0 offset:432
	buffer_load_dword v139, off, s[0:3], 0 offset:444
	buffer_load_dword v138, off, s[0:3], 0 offset:440
	s_waitcnt vmcnt(2)
	v_fmac_f64_e32 v[130:131], v[134:135], v[136:137]
	ds_read2_b64 v[134:137], v132 offset0:119 offset1:120
	s_waitcnt vmcnt(0) lgkmcnt(0)
	v_fmac_f64_e32 v[130:131], v[138:139], v[134:135]
	buffer_load_dword v135, off, s[0:3], 0 offset:452
	buffer_load_dword v134, off, s[0:3], 0 offset:448
	buffer_load_dword v139, off, s[0:3], 0 offset:460
	buffer_load_dword v138, off, s[0:3], 0 offset:456
	s_waitcnt vmcnt(2)
	v_fmac_f64_e32 v[130:131], v[134:135], v[136:137]
	ds_read2_b64 v[134:137], v132 offset0:121 offset1:122
	s_waitcnt vmcnt(0) lgkmcnt(0)
	v_fmac_f64_e32 v[130:131], v[138:139], v[134:135]
	buffer_load_dword v135, off, s[0:3], 0 offset:468
	buffer_load_dword v134, off, s[0:3], 0 offset:464
	buffer_load_dword v139, off, s[0:3], 0 offset:476
	buffer_load_dword v138, off, s[0:3], 0 offset:472
	s_waitcnt vmcnt(2)
	v_fmac_f64_e32 v[130:131], v[134:135], v[136:137]
	ds_read2_b64 v[134:137], v132 offset0:123 offset1:124
	s_waitcnt vmcnt(0) lgkmcnt(0)
	v_fmac_f64_e32 v[130:131], v[138:139], v[134:135]
	buffer_load_dword v135, off, s[0:3], 0 offset:484
	buffer_load_dword v134, off, s[0:3], 0 offset:480
	s_waitcnt vmcnt(0)
	v_fmac_f64_e32 v[130:131], v[134:135], v[136:137]
	buffer_load_dword v137, off, s[0:3], 0 offset:492
	buffer_load_dword v136, off, s[0:3], 0 offset:488
	ds_read2_b64 v[132:135], v132 offset0:125 offset1:126
	s_waitcnt vmcnt(0) lgkmcnt(0)
	v_fmac_f64_e32 v[130:131], v[136:137], v[132:133]
	buffer_load_dword v133, off, s[0:3], 0 offset:500
	buffer_load_dword v132, off, s[0:3], 0 offset:496
	s_waitcnt vmcnt(0)
	v_fmac_f64_e32 v[130:131], v[132:133], v[134:135]
	v_add_f64 v[128:129], v[128:129], -v[130:131]
	buffer_store_dword v129, off, s[0:3], 0 offset:20
	buffer_store_dword v128, off, s[0:3], 0 offset:16
	s_and_saveexec_b64 s[4:5], vcc
	s_cbranch_execz .LBB62_383
; %bb.382:
	buffer_load_dword v128, off, s[0:3], 0 offset:8
	buffer_load_dword v129, off, s[0:3], 0 offset:12
	v_mov_b32_e32 v130, 0
	buffer_store_dword v130, off, s[0:3], 0 offset:8
	buffer_store_dword v130, off, s[0:3], 0 offset:12
	s_waitcnt vmcnt(2)
	ds_write_b64 v1, v[128:129]
.LBB62_383:
	s_or_b64 exec, exec, s[4:5]
	s_waitcnt lgkmcnt(0)
	; wave barrier
	s_waitcnt lgkmcnt(0)
	buffer_load_dword v128, off, s[0:3], 0 offset:8
	buffer_load_dword v129, off, s[0:3], 0 offset:12
	;; [unrolled: 1-line block ×16, first 2 shown]
	v_mov_b32_e32 v132, 0
	ds_read_b128 v[134:137], v132 offset:528
	v_cmp_ne_u32_e32 vcc, 0, v0
	s_waitcnt vmcnt(12) lgkmcnt(0)
	v_fma_f64 v[130:131], v[130:131], v[134:135], 0
	s_waitcnt vmcnt(10)
	v_fmac_f64_e32 v[130:131], v[138:139], v[136:137]
	ds_read_b128 v[134:137], v132 offset:544
	s_waitcnt vmcnt(8) lgkmcnt(0)
	v_fmac_f64_e32 v[130:131], v[140:141], v[134:135]
	s_waitcnt vmcnt(6)
	v_fmac_f64_e32 v[130:131], v[142:143], v[136:137]
	ds_read_b128 v[134:137], v132 offset:560
	s_waitcnt vmcnt(4) lgkmcnt(0)
	v_fmac_f64_e32 v[130:131], v[144:145], v[134:135]
	;; [unrolled: 5-line block ×3, first 2 shown]
	buffer_load_dword v135, off, s[0:3], 0 offset:76
	buffer_load_dword v134, off, s[0:3], 0 offset:72
	buffer_load_dword v139, off, s[0:3], 0 offset:84
	buffer_load_dword v138, off, s[0:3], 0 offset:80
	s_waitcnt vmcnt(2)
	v_fmac_f64_e32 v[130:131], v[134:135], v[136:137]
	ds_read_b128 v[134:137], v132 offset:592
	s_waitcnt vmcnt(0) lgkmcnt(0)
	v_fmac_f64_e32 v[130:131], v[138:139], v[134:135]
	buffer_load_dword v135, off, s[0:3], 0 offset:92
	buffer_load_dword v134, off, s[0:3], 0 offset:88
	buffer_load_dword v139, off, s[0:3], 0 offset:100
	buffer_load_dword v138, off, s[0:3], 0 offset:96
	s_waitcnt vmcnt(2)
	v_fmac_f64_e32 v[130:131], v[134:135], v[136:137]
	ds_read_b128 v[134:137], v132 offset:608
	s_waitcnt vmcnt(0) lgkmcnt(0)
	v_fmac_f64_e32 v[130:131], v[138:139], v[134:135]
	;; [unrolled: 9-line block ×26, first 2 shown]
	buffer_load_dword v135, off, s[0:3], 0 offset:492
	buffer_load_dword v134, off, s[0:3], 0 offset:488
	s_waitcnt vmcnt(0)
	v_fmac_f64_e32 v[130:131], v[134:135], v[136:137]
	buffer_load_dword v135, off, s[0:3], 0 offset:500
	buffer_load_dword v134, off, s[0:3], 0 offset:496
	ds_read_b64 v[136:137], v132 offset:1008
	s_waitcnt vmcnt(0) lgkmcnt(0)
	v_fmac_f64_e32 v[130:131], v[134:135], v[136:137]
	v_add_f64 v[128:129], v[128:129], -v[130:131]
	buffer_store_dword v129, off, s[0:3], 0 offset:12
	buffer_store_dword v128, off, s[0:3], 0 offset:8
	s_and_saveexec_b64 s[4:5], vcc
	s_cbranch_execz .LBB62_385
; %bb.384:
	buffer_load_dword v128, off, s[0:3], 0
	buffer_load_dword v129, off, s[0:3], 0 offset:4
	s_waitcnt vmcnt(0)
	ds_write_b64 v1, v[128:129]
	buffer_store_dword v132, off, s[0:3], 0
	buffer_store_dword v132, off, s[0:3], 0 offset:4
.LBB62_385:
	s_or_b64 exec, exec, s[4:5]
	s_waitcnt lgkmcnt(0)
	; wave barrier
	s_waitcnt lgkmcnt(0)
	buffer_load_dword v0, off, s[0:3], 0
	buffer_load_dword v1, off, s[0:3], 0 offset:4
	buffer_load_dword v134, off, s[0:3], 0 offset:8
	buffer_load_dword v135, off, s[0:3], 0 offset:12
	buffer_load_dword v136, off, s[0:3], 0 offset:16
	buffer_load_dword v137, off, s[0:3], 0 offset:20
	buffer_load_dword v138, off, s[0:3], 0 offset:24
	buffer_load_dword v139, off, s[0:3], 0 offset:28
	buffer_load_dword v140, off, s[0:3], 0 offset:32
	buffer_load_dword v141, off, s[0:3], 0 offset:36
	buffer_load_dword v142, off, s[0:3], 0 offset:40
	buffer_load_dword v143, off, s[0:3], 0 offset:44
	buffer_load_dword v144, off, s[0:3], 0 offset:48
	buffer_load_dword v145, off, s[0:3], 0 offset:52
	buffer_load_dword v146, off, s[0:3], 0 offset:56
	buffer_load_dword v147, off, s[0:3], 0 offset:60
	ds_read2_b64 v[128:131], v132 offset0:65 offset1:66
	s_and_b64 vcc, exec, s[20:21]
	s_waitcnt vmcnt(12) lgkmcnt(0)
	v_fma_f64 v[128:129], v[134:135], v[128:129], 0
	s_waitcnt vmcnt(10)
	v_fmac_f64_e32 v[128:129], v[136:137], v[130:131]
	ds_read2_b64 v[134:137], v132 offset0:67 offset1:68
	s_waitcnt vmcnt(8) lgkmcnt(0)
	v_fmac_f64_e32 v[128:129], v[138:139], v[134:135]
	s_waitcnt vmcnt(6)
	v_fmac_f64_e32 v[128:129], v[140:141], v[136:137]
	ds_read2_b64 v[134:137], v132 offset0:69 offset1:70
	s_waitcnt vmcnt(4) lgkmcnt(0)
	v_fmac_f64_e32 v[128:129], v[142:143], v[134:135]
	s_waitcnt vmcnt(2)
	v_fmac_f64_e32 v[128:129], v[144:145], v[136:137]
	ds_read2_b64 v[134:137], v132 offset0:71 offset1:72
	buffer_load_dword v131, off, s[0:3], 0 offset:68
	buffer_load_dword v130, off, s[0:3], 0 offset:64
	s_waitcnt vmcnt(2) lgkmcnt(0)
	v_fmac_f64_e32 v[128:129], v[146:147], v[134:135]
	s_waitcnt vmcnt(0)
	v_fmac_f64_e32 v[128:129], v[130:131], v[136:137]
	buffer_load_dword v131, off, s[0:3], 0 offset:76
	buffer_load_dword v130, off, s[0:3], 0 offset:72
	ds_read2_b64 v[134:137], v132 offset0:73 offset1:74
	s_waitcnt vmcnt(0) lgkmcnt(0)
	v_fmac_f64_e32 v[128:129], v[130:131], v[134:135]
	buffer_load_dword v131, off, s[0:3], 0 offset:84
	buffer_load_dword v130, off, s[0:3], 0 offset:80
	s_waitcnt vmcnt(0)
	v_fmac_f64_e32 v[128:129], v[130:131], v[136:137]
	buffer_load_dword v131, off, s[0:3], 0 offset:92
	buffer_load_dword v130, off, s[0:3], 0 offset:88
	ds_read2_b64 v[134:137], v132 offset0:75 offset1:76
	s_waitcnt vmcnt(0) lgkmcnt(0)
	v_fmac_f64_e32 v[128:129], v[130:131], v[134:135]
	buffer_load_dword v131, off, s[0:3], 0 offset:100
	buffer_load_dword v130, off, s[0:3], 0 offset:96
	;; [unrolled: 9-line block ×27, first 2 shown]
	s_waitcnt vmcnt(0)
	v_fmac_f64_e32 v[128:129], v[132:133], v[134:135]
	v_add_f64 v[0:1], v[0:1], -v[128:129]
	buffer_store_dword v1, off, s[0:3], 0 offset:4
	buffer_store_dword v0, off, s[0:3], 0
	s_cbranch_vccz .LBB62_511
; %bb.386:
	v_pk_mov_b32 v[0:1], s[10:11], s[10:11] op_sel:[0,1]
	flat_load_dword v0, v[0:1] offset:244
	s_waitcnt vmcnt(0) lgkmcnt(0)
	v_add_u32_e32 v0, -1, v0
	v_cmp_ne_u32_e32 vcc, 61, v0
	s_and_saveexec_b64 s[4:5], vcc
	s_cbranch_execz .LBB62_388
; %bb.387:
	v_mov_b32_e32 v1, 0
	v_lshl_add_u32 v0, v0, 3, v1
	buffer_load_dword v1, v0, s[0:3], 0 offen
	buffer_load_dword v128, v0, s[0:3], 0 offen offset:4
	s_waitcnt vmcnt(1)
	buffer_store_dword v1, off, s[0:3], 0 offset:488
	s_waitcnt vmcnt(1)
	buffer_store_dword v128, off, s[0:3], 0 offset:492
	buffer_store_dword v130, v0, s[0:3], 0 offen
	buffer_store_dword v131, v0, s[0:3], 0 offen offset:4
.LBB62_388:
	s_or_b64 exec, exec, s[4:5]
	v_pk_mov_b32 v[0:1], s[10:11], s[10:11] op_sel:[0,1]
	flat_load_dword v0, v[0:1] offset:240
	s_waitcnt vmcnt(0) lgkmcnt(0)
	v_add_u32_e32 v0, -1, v0
	v_cmp_ne_u32_e32 vcc, 60, v0
	s_and_saveexec_b64 s[4:5], vcc
	s_cbranch_execz .LBB62_390
; %bb.389:
	v_mov_b32_e32 v1, 0
	v_lshl_add_u32 v0, v0, 3, v1
	buffer_load_dword v1, v0, s[0:3], 0 offen
	buffer_load_dword v128, v0, s[0:3], 0 offen offset:4
	buffer_load_dword v129, off, s[0:3], 0 offset:484
	buffer_load_dword v130, off, s[0:3], 0 offset:480
	s_waitcnt vmcnt(3)
	buffer_store_dword v1, off, s[0:3], 0 offset:480
	s_waitcnt vmcnt(3)
	buffer_store_dword v128, off, s[0:3], 0 offset:484
	s_waitcnt vmcnt(3)
	buffer_store_dword v129, v0, s[0:3], 0 offen offset:4
	s_waitcnt vmcnt(3)
	buffer_store_dword v130, v0, s[0:3], 0 offen
.LBB62_390:
	s_or_b64 exec, exec, s[4:5]
	v_pk_mov_b32 v[0:1], s[10:11], s[10:11] op_sel:[0,1]
	flat_load_dword v0, v[0:1] offset:236
	s_waitcnt vmcnt(0) lgkmcnt(0)
	v_add_u32_e32 v0, -1, v0
	v_cmp_ne_u32_e32 vcc, 59, v0
	s_and_saveexec_b64 s[4:5], vcc
	s_cbranch_execz .LBB62_392
; %bb.391:
	v_mov_b32_e32 v1, 0
	v_lshl_add_u32 v0, v0, 3, v1
	buffer_load_dword v1, v0, s[0:3], 0 offen
	buffer_load_dword v128, v0, s[0:3], 0 offen offset:4
	buffer_load_dword v129, off, s[0:3], 0 offset:472
	buffer_load_dword v130, off, s[0:3], 0 offset:476
	s_waitcnt vmcnt(3)
	buffer_store_dword v1, off, s[0:3], 0 offset:472
	s_waitcnt vmcnt(3)
	buffer_store_dword v128, off, s[0:3], 0 offset:476
	s_waitcnt vmcnt(3)
	buffer_store_dword v129, v0, s[0:3], 0 offen
	s_waitcnt vmcnt(3)
	buffer_store_dword v130, v0, s[0:3], 0 offen offset:4
.LBB62_392:
	s_or_b64 exec, exec, s[4:5]
	v_pk_mov_b32 v[0:1], s[10:11], s[10:11] op_sel:[0,1]
	flat_load_dword v0, v[0:1] offset:232
	s_waitcnt vmcnt(0) lgkmcnt(0)
	v_add_u32_e32 v0, -1, v0
	v_cmp_ne_u32_e32 vcc, 58, v0
	s_and_saveexec_b64 s[4:5], vcc
	s_cbranch_execz .LBB62_394
; %bb.393:
	v_mov_b32_e32 v1, 0
	v_lshl_add_u32 v0, v0, 3, v1
	buffer_load_dword v1, v0, s[0:3], 0 offen
	buffer_load_dword v128, v0, s[0:3], 0 offen offset:4
	buffer_load_dword v129, off, s[0:3], 0 offset:468
	buffer_load_dword v130, off, s[0:3], 0 offset:464
	s_waitcnt vmcnt(3)
	buffer_store_dword v1, off, s[0:3], 0 offset:464
	s_waitcnt vmcnt(3)
	buffer_store_dword v128, off, s[0:3], 0 offset:468
	s_waitcnt vmcnt(3)
	buffer_store_dword v129, v0, s[0:3], 0 offen offset:4
	s_waitcnt vmcnt(3)
	buffer_store_dword v130, v0, s[0:3], 0 offen
.LBB62_394:
	s_or_b64 exec, exec, s[4:5]
	v_pk_mov_b32 v[0:1], s[10:11], s[10:11] op_sel:[0,1]
	flat_load_dword v0, v[0:1] offset:228
	s_waitcnt vmcnt(0) lgkmcnt(0)
	v_add_u32_e32 v0, -1, v0
	v_cmp_ne_u32_e32 vcc, 57, v0
	s_and_saveexec_b64 s[4:5], vcc
	s_cbranch_execz .LBB62_396
; %bb.395:
	v_mov_b32_e32 v1, 0
	v_lshl_add_u32 v0, v0, 3, v1
	buffer_load_dword v1, v0, s[0:3], 0 offen
	buffer_load_dword v128, v0, s[0:3], 0 offen offset:4
	buffer_load_dword v129, off, s[0:3], 0 offset:456
	buffer_load_dword v130, off, s[0:3], 0 offset:460
	s_waitcnt vmcnt(3)
	buffer_store_dword v1, off, s[0:3], 0 offset:456
	s_waitcnt vmcnt(3)
	buffer_store_dword v128, off, s[0:3], 0 offset:460
	s_waitcnt vmcnt(3)
	buffer_store_dword v129, v0, s[0:3], 0 offen
	s_waitcnt vmcnt(3)
	buffer_store_dword v130, v0, s[0:3], 0 offen offset:4
.LBB62_396:
	;; [unrolled: 48-line block ×30, first 2 shown]
	s_or_b64 exec, exec, s[4:5]
	v_pk_mov_b32 v[0:1], s[10:11], s[10:11] op_sel:[0,1]
	flat_load_dword v128, v[0:1]
	s_nop 0
	buffer_load_dword v0, off, s[0:3], 0
	buffer_load_dword v1, off, s[0:3], 0 offset:4
	s_waitcnt vmcnt(0) lgkmcnt(0)
	v_add_u32_e32 v128, -1, v128
	v_cmp_ne_u32_e32 vcc, 0, v128
	s_and_saveexec_b64 s[4:5], vcc
	s_cbranch_execz .LBB62_510
; %bb.509:
	v_mov_b32_e32 v129, 0
	v_lshl_add_u32 v128, v128, 3, v129
	buffer_load_dword v129, v128, s[0:3], 0 offen offset:4
	buffer_load_dword v130, v128, s[0:3], 0 offen
	s_waitcnt vmcnt(1)
	buffer_store_dword v129, off, s[0:3], 0 offset:4
	s_waitcnt vmcnt(1)
	buffer_store_dword v130, off, s[0:3], 0
	buffer_store_dword v1, v128, s[0:3], 0 offen offset:4
	buffer_store_dword v0, v128, s[0:3], 0 offen
	buffer_load_dword v0, off, s[0:3], 0
	s_nop 0
	buffer_load_dword v1, off, s[0:3], 0 offset:4
.LBB62_510:
	s_or_b64 exec, exec, s[4:5]
.LBB62_511:
	s_waitcnt vmcnt(0)
	global_store_dwordx2 v[126:127], v[0:1], off
	buffer_load_dword v0, off, s[0:3], 0 offset:8
	s_nop 0
	buffer_load_dword v1, off, s[0:3], 0 offset:12
	buffer_load_dword v126, off, s[0:3], 0 offset:16
	;; [unrolled: 1-line block ×15, first 2 shown]
	s_waitcnt vmcnt(14)
	global_store_dwordx2 v[124:125], v[0:1], off
	s_waitcnt vmcnt(13)
	global_store_dwordx2 v[2:3], v[126:127], off
	;; [unrolled: 2-line block ×8, first 2 shown]
	buffer_load_dword v0, off, s[0:3], 0 offset:72
	buffer_load_dword v1, off, s[0:3], 0 offset:76
	s_waitcnt vmcnt(0)
	global_store_dwordx2 v[14:15], v[0:1], off
	buffer_load_dword v0, off, s[0:3], 0 offset:80
	s_nop 0
	buffer_load_dword v1, off, s[0:3], 0 offset:84
	s_waitcnt vmcnt(0)
	global_store_dwordx2 v[16:17], v[0:1], off
	buffer_load_dword v0, off, s[0:3], 0 offset:88
	s_nop 0
	;; [unrolled: 5-line block ×53, first 2 shown]
	buffer_load_dword v1, off, s[0:3], 0 offset:500
	s_waitcnt vmcnt(0)
	global_store_dwordx2 v[108:109], v[0:1], off
	s_endpgm
	.section	.rodata,"a",@progbits
	.p2align	6, 0x0
	.amdhsa_kernel _ZN9rocsolver6v33100L18getri_kernel_smallILi63EdPdEEvT1_iilPiilS4_bb
		.amdhsa_group_segment_fixed_size 1016
		.amdhsa_private_segment_fixed_size 512
		.amdhsa_kernarg_size 60
		.amdhsa_user_sgpr_count 8
		.amdhsa_user_sgpr_private_segment_buffer 1
		.amdhsa_user_sgpr_dispatch_ptr 0
		.amdhsa_user_sgpr_queue_ptr 0
		.amdhsa_user_sgpr_kernarg_segment_ptr 1
		.amdhsa_user_sgpr_dispatch_id 0
		.amdhsa_user_sgpr_flat_scratch_init 1
		.amdhsa_user_sgpr_kernarg_preload_length 0
		.amdhsa_user_sgpr_kernarg_preload_offset 0
		.amdhsa_user_sgpr_private_segment_size 0
		.amdhsa_uses_dynamic_stack 0
		.amdhsa_system_sgpr_private_segment_wavefront_offset 1
		.amdhsa_system_sgpr_workgroup_id_x 1
		.amdhsa_system_sgpr_workgroup_id_y 0
		.amdhsa_system_sgpr_workgroup_id_z 0
		.amdhsa_system_sgpr_workgroup_info 0
		.amdhsa_system_vgpr_workitem_id 0
		.amdhsa_next_free_vgpr 164
		.amdhsa_next_free_sgpr 23
		.amdhsa_accum_offset 164
		.amdhsa_reserve_vcc 1
		.amdhsa_reserve_flat_scratch 1
		.amdhsa_float_round_mode_32 0
		.amdhsa_float_round_mode_16_64 0
		.amdhsa_float_denorm_mode_32 3
		.amdhsa_float_denorm_mode_16_64 3
		.amdhsa_dx10_clamp 1
		.amdhsa_ieee_mode 1
		.amdhsa_fp16_overflow 0
		.amdhsa_tg_split 0
		.amdhsa_exception_fp_ieee_invalid_op 0
		.amdhsa_exception_fp_denorm_src 0
		.amdhsa_exception_fp_ieee_div_zero 0
		.amdhsa_exception_fp_ieee_overflow 0
		.amdhsa_exception_fp_ieee_underflow 0
		.amdhsa_exception_fp_ieee_inexact 0
		.amdhsa_exception_int_div_zero 0
	.end_amdhsa_kernel
	.section	.text._ZN9rocsolver6v33100L18getri_kernel_smallILi63EdPdEEvT1_iilPiilS4_bb,"axG",@progbits,_ZN9rocsolver6v33100L18getri_kernel_smallILi63EdPdEEvT1_iilPiilS4_bb,comdat
.Lfunc_end62:
	.size	_ZN9rocsolver6v33100L18getri_kernel_smallILi63EdPdEEvT1_iilPiilS4_bb, .Lfunc_end62-_ZN9rocsolver6v33100L18getri_kernel_smallILi63EdPdEEvT1_iilPiilS4_bb
                                        ; -- End function
	.section	.AMDGPU.csdata,"",@progbits
; Kernel info:
; codeLenInByte = 87728
; NumSgprs: 29
; NumVgprs: 164
; NumAgprs: 0
; TotalNumVgprs: 164
; ScratchSize: 512
; MemoryBound: 1
; FloatMode: 240
; IeeeMode: 1
; LDSByteSize: 1016 bytes/workgroup (compile time only)
; SGPRBlocks: 3
; VGPRBlocks: 20
; NumSGPRsForWavesPerEU: 29
; NumVGPRsForWavesPerEU: 164
; AccumOffset: 164
; Occupancy: 3
; WaveLimiterHint : 1
; COMPUTE_PGM_RSRC2:SCRATCH_EN: 1
; COMPUTE_PGM_RSRC2:USER_SGPR: 8
; COMPUTE_PGM_RSRC2:TRAP_HANDLER: 0
; COMPUTE_PGM_RSRC2:TGID_X_EN: 1
; COMPUTE_PGM_RSRC2:TGID_Y_EN: 0
; COMPUTE_PGM_RSRC2:TGID_Z_EN: 0
; COMPUTE_PGM_RSRC2:TIDIG_COMP_CNT: 0
; COMPUTE_PGM_RSRC3_GFX90A:ACCUM_OFFSET: 40
; COMPUTE_PGM_RSRC3_GFX90A:TG_SPLIT: 0
	.section	.text._ZN9rocsolver6v33100L18getri_kernel_smallILi64EdPdEEvT1_iilPiilS4_bb,"axG",@progbits,_ZN9rocsolver6v33100L18getri_kernel_smallILi64EdPdEEvT1_iilPiilS4_bb,comdat
	.globl	_ZN9rocsolver6v33100L18getri_kernel_smallILi64EdPdEEvT1_iilPiilS4_bb ; -- Begin function _ZN9rocsolver6v33100L18getri_kernel_smallILi64EdPdEEvT1_iilPiilS4_bb
	.p2align	8
	.type	_ZN9rocsolver6v33100L18getri_kernel_smallILi64EdPdEEvT1_iilPiilS4_bb,@function
_ZN9rocsolver6v33100L18getri_kernel_smallILi64EdPdEEvT1_iilPiilS4_bb: ; @_ZN9rocsolver6v33100L18getri_kernel_smallILi64EdPdEEvT1_iilPiilS4_bb
; %bb.0:
	s_add_u32 flat_scratch_lo, s6, s9
	s_addc_u32 flat_scratch_hi, s7, 0
	s_add_u32 s0, s0, s9
	s_addc_u32 s1, s1, 0
	v_cmp_gt_u32_e32 vcc, 64, v0
	s_and_saveexec_b64 s[6:7], vcc
	s_cbranch_execz .LBB63_264
; %bb.1:
	s_load_dword s22, s[4:5], 0x38
	s_load_dwordx4 s[16:19], s[4:5], 0x10
	s_load_dwordx4 s[12:15], s[4:5], 0x28
                                        ; implicit-def: $sgpr10_sgpr11
	s_waitcnt lgkmcnt(0)
	s_bitcmp1_b32 s22, 8
	s_cselect_b64 s[20:21], -1, 0
	s_ashr_i32 s9, s8, 31
	s_bfe_u32 s6, s22, 0x10008
	s_cmp_eq_u32 s6, 0
	s_cbranch_scc1 .LBB63_3
; %bb.2:
	s_load_dword s6, s[4:5], 0x20
	s_mul_i32 s7, s8, s13
	s_mul_hi_u32 s10, s8, s12
	s_mul_i32 s11, s9, s12
	s_add_i32 s10, s10, s7
	s_add_i32 s11, s10, s11
	s_mul_i32 s10, s8, s12
	s_waitcnt lgkmcnt(0)
	s_ashr_i32 s7, s6, 31
	s_lshl_b64 s[10:11], s[10:11], 2
	s_add_u32 s10, s18, s10
	s_addc_u32 s11, s19, s11
	s_lshl_b64 s[6:7], s[6:7], 2
	s_add_u32 s10, s10, s6
	s_addc_u32 s11, s11, s7
.LBB63_3:
	s_load_dwordx4 s[4:7], s[4:5], 0x0
	s_mul_i32 s12, s8, s17
	s_mul_hi_u32 s13, s8, s16
	s_add_i32 s17, s13, s12
	s_waitcnt lgkmcnt(0)
	s_ashr_i32 s13, s6, 31
	s_mov_b32 s12, s6
	s_mul_i32 s6, s9, s16
	s_add_i32 s17, s17, s6
	s_mul_i32 s16, s8, s16
	s_lshl_b64 s[16:17], s[16:17], 3
	s_add_u32 s6, s4, s16
	s_addc_u32 s16, s5, s17
	s_lshl_b64 s[4:5], s[12:13], 3
	s_add_u32 s4, s6, s4
	s_addc_u32 s5, s16, s5
	s_add_i32 s6, s7, s7
	v_add_u32_e32 v4, s6, v0
	v_ashrrev_i32_e32 v5, 31, v4
	v_lshlrev_b64 v[2:3], 3, v[4:5]
	v_add_u32_e32 v6, s7, v4
	v_mov_b32_e32 v1, s5
	v_add_co_u32_e32 v2, vcc, s4, v2
	v_ashrrev_i32_e32 v7, 31, v6
	v_addc_co_u32_e32 v3, vcc, v1, v3, vcc
	v_lshlrev_b64 v[4:5], 3, v[6:7]
	v_add_u32_e32 v8, s7, v6
	v_add_co_u32_e32 v4, vcc, s4, v4
	v_ashrrev_i32_e32 v9, 31, v8
	v_addc_co_u32_e32 v5, vcc, v1, v5, vcc
	v_lshlrev_b64 v[6:7], 3, v[8:9]
	v_add_u32_e32 v10, s7, v8
	;; [unrolled: 5-line block ×5, first 2 shown]
	v_add_co_u32_e32 v12, vcc, s4, v12
	v_ashrrev_i32_e32 v15, 31, v14
	v_addc_co_u32_e32 v13, vcc, v1, v13, vcc
	v_lshlrev_b64 v[16:17], 3, v[14:15]
	v_add_co_u32_e32 v18, vcc, s4, v16
	v_add_u32_e32 v16, s7, v14
	v_addc_co_u32_e32 v19, vcc, v1, v17, vcc
	v_ashrrev_i32_e32 v17, 31, v16
	v_lshlrev_b64 v[14:15], 3, v[16:17]
	v_add_u32_e32 v20, s7, v16
	v_add_co_u32_e32 v14, vcc, s4, v14
	v_ashrrev_i32_e32 v21, 31, v20
	v_addc_co_u32_e32 v15, vcc, v1, v15, vcc
	v_lshlrev_b64 v[16:17], 3, v[20:21]
	v_add_u32_e32 v22, s7, v20
	v_add_co_u32_e32 v16, vcc, s4, v16
	v_ashrrev_i32_e32 v23, 31, v22
	v_addc_co_u32_e32 v17, vcc, v1, v17, vcc
	;; [unrolled: 5-line block ×46, first 2 shown]
	v_lshlrev_b64 v[108:109], 3, v[110:111]
	v_add_co_u32_e32 v108, vcc, s4, v108
	v_addc_co_u32_e32 v109, vcc, v1, v109, vcc
	v_lshlrev_b32_e32 v1, 3, v0
	v_mov_b32_e32 v111, s5
	v_add_co_u32_e32 v128, vcc, s4, v1
	s_ashr_i32 s13, s7, 31
	s_mov_b32 s12, s7
	v_addc_co_u32_e32 v129, vcc, 0, v111, vcc
	s_lshl_b64 s[12:13], s[12:13], 3
	global_load_dwordx2 v[132:133], v1, s[4:5]
	global_load_dwordx2 v[136:137], v[2:3], off
	global_load_dwordx2 v[138:139], v[4:5], off
	global_load_dwordx2 v[140:141], v[6:7], off
	v_mov_b32_e32 v111, s13
	v_add_co_u32_e32 v126, vcc, s12, v128
	v_addc_co_u32_e32 v127, vcc, v129, v111, vcc
	global_load_dwordx2 v[134:135], v[126:127], off
	global_load_dwordx2 v[142:143], v[8:9], off
	;; [unrolled: 1-line block ×11, first 2 shown]
	v_add_u32_e32 v110, s7, v110
	v_ashrrev_i32_e32 v111, 31, v110
	v_lshlrev_b64 v[112:113], 3, v[110:111]
	v_add_u32_e32 v110, s7, v110
	v_mov_b32_e32 v114, s5
	v_add_co_u32_e32 v112, vcc, s4, v112
	v_ashrrev_i32_e32 v111, 31, v110
	v_addc_co_u32_e32 v113, vcc, v114, v113, vcc
	v_lshlrev_b64 v[114:115], 3, v[110:111]
	v_add_u32_e32 v110, s7, v110
	v_mov_b32_e32 v116, s5
	v_add_co_u32_e32 v114, vcc, s4, v114
	v_ashrrev_i32_e32 v111, 31, v110
	v_addc_co_u32_e32 v115, vcc, v116, v115, vcc
	;; [unrolled: 6-line block ×7, first 2 shown]
	v_lshlrev_b64 v[110:111], 3, v[110:111]
	v_add_co_u32_e32 v110, vcc, s4, v110
	v_addc_co_u32_e32 v111, vcc, v130, v111, vcc
	global_load_dwordx2 v[130:131], v[110:111], off
	s_waitcnt vmcnt(15)
	buffer_store_dword v133, off, s[0:3], 0 offset:4
	buffer_store_dword v132, off, s[0:3], 0
	s_waitcnt vmcnt(13)
	buffer_store_dword v135, off, s[0:3], 0 offset:12
	buffer_store_dword v134, off, s[0:3], 0 offset:8
	global_load_dwordx2 v[132:133], v[28:29], off
	s_nop 0
	global_load_dwordx2 v[134:135], v[30:31], off
	global_load_dwordx2 v[162:163], v[34:35], off
	s_bitcmp0_b32 s22, 0
	buffer_store_dword v137, off, s[0:3], 0 offset:20
	buffer_store_dword v136, off, s[0:3], 0 offset:16
	global_load_dwordx2 v[136:137], v[32:33], off
	s_mov_b64 s[6:7], -1
	buffer_store_dword v139, off, s[0:3], 0 offset:28
	buffer_store_dword v138, off, s[0:3], 0 offset:24
	global_load_dwordx2 v[138:139], v[36:37], off
	s_nop 0
	buffer_store_dword v141, off, s[0:3], 0 offset:36
	buffer_store_dword v140, off, s[0:3], 0 offset:32
	global_load_dwordx2 v[140:141], v[38:39], off
	s_waitcnt vmcnt(26)
	buffer_store_dword v143, off, s[0:3], 0 offset:44
	buffer_store_dword v142, off, s[0:3], 0 offset:40
	global_load_dwordx2 v[142:143], v[40:41], off
	s_waitcnt vmcnt(28)
	;; [unrolled: 4-line block ×4, first 2 shown]
	buffer_store_dword v149, off, s[0:3], 0 offset:68
	buffer_store_dword v148, off, s[0:3], 0 offset:64
	global_load_dwordx2 v[148:149], v[46:47], off
	s_nop 0
	buffer_store_dword v150, off, s[0:3], 0 offset:72
	buffer_store_dword v151, off, s[0:3], 0 offset:76
	global_load_dwordx2 v[150:151], v[48:49], off
	s_waitcnt vmcnt(36)
	buffer_store_dword v152, off, s[0:3], 0 offset:80
	buffer_store_dword v153, off, s[0:3], 0 offset:84
	global_load_dwordx2 v[152:153], v[50:51], off
	s_waitcnt vmcnt(38)
	;; [unrolled: 4-line block ×6, first 2 shown]
	buffer_store_dword v132, off, s[0:3], 0 offset:120
	buffer_store_dword v133, off, s[0:3], 0 offset:124
	s_waitcnt vmcnt(42)
	buffer_store_dword v134, off, s[0:3], 0 offset:128
	buffer_store_dword v135, off, s[0:3], 0 offset:132
	s_waitcnt vmcnt(40)
	buffer_store_dword v136, off, s[0:3], 0 offset:136
	buffer_store_dword v137, off, s[0:3], 0 offset:140
	;; [unrolled: 1-line block ×4, first 2 shown]
	s_waitcnt vmcnt(41)
	buffer_store_dword v139, off, s[0:3], 0 offset:156
	buffer_store_dword v138, off, s[0:3], 0 offset:152
	global_load_dwordx2 v[132:133], v[60:61], off
	global_load_dwordx2 v[134:135], v[62:63], off
	;; [unrolled: 1-line block ×3, first 2 shown]
	s_nop 0
	global_load_dwordx2 v[138:139], v[66:67], off
	global_load_dwordx2 v[162:163], v[74:75], off
	s_waitcnt vmcnt(45)
	buffer_store_dword v141, off, s[0:3], 0 offset:164
	buffer_store_dword v140, off, s[0:3], 0 offset:160
	global_load_dwordx2 v[140:141], v[68:69], off
	s_waitcnt vmcnt(45)
	buffer_store_dword v142, off, s[0:3], 0 offset:168
	buffer_store_dword v143, off, s[0:3], 0 offset:172
	;; [unrolled: 4-line block ×12, first 2 shown]
	s_waitcnt vmcnt(38)
	buffer_store_dword v135, off, s[0:3], 0 offset:260
	buffer_store_dword v134, off, s[0:3], 0 offset:256
	s_waitcnt vmcnt(39)
	buffer_store_dword v136, off, s[0:3], 0 offset:264
	buffer_store_dword v137, off, s[0:3], 0 offset:268
	;; [unrolled: 3-line block ×6, first 2 shown]
	buffer_store_dword v163, off, s[0:3], 0 offset:308
	buffer_store_dword v162, off, s[0:3], 0 offset:304
	s_waitcnt vmcnt(37)
	buffer_store_dword v146, off, s[0:3], 0 offset:312
	global_load_dwordx2 v[132:133], v[92:93], off
	global_load_dwordx2 v[134:135], v[94:95], off
	;; [unrolled: 1-line block ×8, first 2 shown]
	s_nop 0
	buffer_store_dword v147, off, s[0:3], 0 offset:316
	global_load_dwordx2 v[146:147], v[106:107], off
	s_waitcnt vmcnt(45)
	buffer_store_dword v148, off, s[0:3], 0 offset:320
	buffer_store_dword v149, off, s[0:3], 0 offset:324
	global_load_dwordx2 v[148:149], v[108:109], off
	s_waitcnt vmcnt(45)
	buffer_store_dword v150, off, s[0:3], 0 offset:328
	;; [unrolled: 4-line block ×8, first 2 shown]
	buffer_store_dword v133, off, s[0:3], 0 offset:380
	s_waitcnt vmcnt(31)
	buffer_store_dword v134, off, s[0:3], 0 offset:384
	buffer_store_dword v135, off, s[0:3], 0 offset:388
	s_waitcnt vmcnt(32)
	buffer_store_dword v137, off, s[0:3], 0 offset:396
	;; [unrolled: 3-line block ×13, first 2 shown]
	buffer_store_dword v159, off, s[0:3], 0 offset:484
	buffer_store_dword v163, off, s[0:3], 0 offset:492
	;; [unrolled: 1-line block ×3, first 2 shown]
	s_waitcnt vmcnt(30)
	buffer_store_dword v161, off, s[0:3], 0 offset:500
	buffer_store_dword v160, off, s[0:3], 0 offset:496
	;; [unrolled: 1-line block ×4, first 2 shown]
	s_cbranch_scc1 .LBB63_262
; %bb.4:
	v_cmp_eq_u32_e64 s[4:5], 0, v0
	s_and_saveexec_b64 s[6:7], s[4:5]
	s_cbranch_execz .LBB63_6
; %bb.5:
	v_mov_b32_e32 v130, 0
	ds_write_b32 v130, v130 offset:1024
.LBB63_6:
	s_or_b64 exec, exec, s[6:7]
	v_mov_b32_e32 v130, 0
	v_lshl_add_u32 v130, v0, 3, v130
	s_waitcnt lgkmcnt(0)
	; wave barrier
	s_waitcnt lgkmcnt(0)
	buffer_load_dword v132, v130, s[0:3], 0 offen
	buffer_load_dword v133, v130, s[0:3], 0 offen offset:4
	s_waitcnt vmcnt(0)
	v_cmp_eq_f64_e32 vcc, 0, v[132:133]
	s_and_saveexec_b64 s[12:13], vcc
	s_cbranch_execz .LBB63_10
; %bb.7:
	v_mov_b32_e32 v131, 0
	ds_read_b32 v133, v131 offset:1024
	v_add_u32_e32 v132, 1, v0
	s_waitcnt lgkmcnt(0)
	v_readfirstlane_b32 s6, v133
	s_cmp_eq_u32 s6, 0
	s_cselect_b64 s[16:17], -1, 0
	v_cmp_gt_i32_e32 vcc, s6, v132
	s_or_b64 s[16:17], s[16:17], vcc
	s_and_b64 exec, exec, s[16:17]
	s_cbranch_execz .LBB63_10
; %bb.8:
	s_mov_b64 s[16:17], 0
	v_mov_b32_e32 v133, s6
.LBB63_9:                               ; =>This Inner Loop Header: Depth=1
	ds_cmpst_rtn_b32 v133, v131, v133, v132 offset:1024
	s_waitcnt lgkmcnt(0)
	v_cmp_ne_u32_e32 vcc, 0, v133
	v_cmp_le_i32_e64 s[6:7], v133, v132
	s_and_b64 s[6:7], vcc, s[6:7]
	s_and_b64 s[6:7], exec, s[6:7]
	s_or_b64 s[16:17], s[6:7], s[16:17]
	s_andn2_b64 exec, exec, s[16:17]
	s_cbranch_execnz .LBB63_9
.LBB63_10:
	s_or_b64 exec, exec, s[12:13]
	v_mov_b32_e32 v132, 0
	s_waitcnt lgkmcnt(0)
	; wave barrier
	ds_read_b32 v131, v132 offset:1024
	s_and_saveexec_b64 s[6:7], s[4:5]
	s_cbranch_execz .LBB63_12
; %bb.11:
	s_lshl_b64 s[12:13], s[8:9], 2
	s_add_u32 s12, s14, s12
	s_addc_u32 s13, s15, s13
	s_waitcnt lgkmcnt(0)
	global_store_dword v132, v131, s[12:13]
.LBB63_12:
	s_or_b64 exec, exec, s[6:7]
	s_waitcnt lgkmcnt(0)
	v_cmp_ne_u32_e32 vcc, 0, v131
	s_mov_b64 s[6:7], 0
	s_cbranch_vccnz .LBB63_262
; %bb.13:
	buffer_load_dword v132, v130, s[0:3], 0 offen
	buffer_load_dword v133, v130, s[0:3], 0 offen offset:4
	s_waitcnt vmcnt(0)
	v_div_scale_f64 v[134:135], s[6:7], v[132:133], v[132:133], 1.0
	v_rcp_f64_e32 v[136:137], v[134:135]
	v_div_scale_f64 v[138:139], vcc, 1.0, v[132:133], 1.0
	v_fma_f64 v[140:141], -v[134:135], v[136:137], 1.0
	v_fmac_f64_e32 v[136:137], v[136:137], v[140:141]
	v_fma_f64 v[140:141], -v[134:135], v[136:137], 1.0
	v_fmac_f64_e32 v[136:137], v[136:137], v[140:141]
	v_mul_f64 v[140:141], v[138:139], v[136:137]
	v_fma_f64 v[134:135], -v[134:135], v[140:141], v[138:139]
	v_div_fmas_f64 v[134:135], v[134:135], v[136:137], v[140:141]
	v_div_fixup_f64 v[134:135], v[134:135], v[132:133], 1.0
	buffer_store_dword v135, v130, s[0:3], 0 offen offset:4
	buffer_store_dword v134, v130, s[0:3], 0 offen
	buffer_load_dword v137, off, s[0:3], 0 offset:12
	buffer_load_dword v136, off, s[0:3], 0 offset:8
	v_or_b32_e32 v132, 0x200, v1
	v_xor_b32_e32 v135, 0x80000000, v135
	s_waitcnt vmcnt(0)
	ds_write2st64_b64 v1, v[134:135], v[136:137] offset1:1
	s_waitcnt lgkmcnt(0)
	; wave barrier
	s_waitcnt lgkmcnt(0)
	s_and_saveexec_b64 s[6:7], s[4:5]
	s_cbranch_execz .LBB63_15
; %bb.14:
	buffer_load_dword v134, v130, s[0:3], 0 offen
	buffer_load_dword v135, v130, s[0:3], 0 offen offset:4
	v_mov_b32_e32 v131, 0
	ds_read_b64 v[136:137], v132
	ds_read_b64 v[138:139], v131 offset:8
	s_waitcnt vmcnt(0) lgkmcnt(1)
	v_fma_f64 v[134:135], v[134:135], v[136:137], 0
	s_waitcnt lgkmcnt(0)
	v_mul_f64 v[134:135], v[134:135], v[138:139]
	buffer_store_dword v134, off, s[0:3], 0 offset:8
	buffer_store_dword v135, off, s[0:3], 0 offset:12
.LBB63_15:
	s_or_b64 exec, exec, s[6:7]
	s_waitcnt lgkmcnt(0)
	; wave barrier
	buffer_load_dword v134, off, s[0:3], 0 offset:16
	buffer_load_dword v135, off, s[0:3], 0 offset:20
	v_cmp_gt_u32_e32 vcc, 2, v0
	s_waitcnt vmcnt(0)
	ds_write_b64 v132, v[134:135]
	s_waitcnt lgkmcnt(0)
	; wave barrier
	s_waitcnt lgkmcnt(0)
	s_and_saveexec_b64 s[6:7], vcc
	s_cbranch_execz .LBB63_17
; %bb.16:
	buffer_load_dword v131, v130, s[0:3], 0 offen offset:4
	buffer_load_dword v138, off, s[0:3], 0 offset:8
	s_nop 0
	buffer_load_dword v130, v130, s[0:3], 0 offen
	s_nop 0
	buffer_load_dword v139, off, s[0:3], 0 offset:12
	ds_read_b64 v[140:141], v132
	v_mov_b32_e32 v133, 0
	ds_read2_b64 v[134:137], v133 offset0:2 offset1:65
	s_waitcnt vmcnt(1) lgkmcnt(1)
	v_fma_f64 v[130:131], v[130:131], v[140:141], 0
	s_waitcnt vmcnt(0) lgkmcnt(0)
	v_fma_f64 v[136:137], v[138:139], v[136:137], v[130:131]
	v_cndmask_b32_e64 v131, v131, v137, s[4:5]
	v_cndmask_b32_e64 v130, v130, v136, s[4:5]
	v_mul_f64 v[130:131], v[130:131], v[134:135]
	buffer_store_dword v131, off, s[0:3], 0 offset:20
	buffer_store_dword v130, off, s[0:3], 0 offset:16
.LBB63_17:
	s_or_b64 exec, exec, s[6:7]
	s_waitcnt lgkmcnt(0)
	; wave barrier
	buffer_load_dword v130, off, s[0:3], 0 offset:24
	buffer_load_dword v131, off, s[0:3], 0 offset:28
	v_cmp_gt_u32_e32 vcc, 3, v0
	v_add_u32_e32 v133, -1, v0
	s_waitcnt vmcnt(0)
	ds_write_b64 v132, v[130:131]
	s_waitcnt lgkmcnt(0)
	; wave barrier
	s_waitcnt lgkmcnt(0)
	s_and_saveexec_b64 s[4:5], vcc
	s_cbranch_execz .LBB63_21
; %bb.18:
	v_add_u32_e32 v134, -1, v0
	v_or_b32_e32 v135, 0x200, v1
	v_add_u32_e32 v136, 0, v1
	s_mov_b64 s[6:7], 0
	v_pk_mov_b32 v[130:131], 0, 0
.LBB63_19:                              ; =>This Inner Loop Header: Depth=1
	buffer_load_dword v138, v136, s[0:3], 0 offen
	buffer_load_dword v139, v136, s[0:3], 0 offen offset:4
	ds_read_b64 v[140:141], v135
	v_add_u32_e32 v134, 1, v134
	v_cmp_lt_u32_e32 vcc, 1, v134
	v_add_u32_e32 v135, 8, v135
	v_add_u32_e32 v136, 8, v136
	s_or_b64 s[6:7], vcc, s[6:7]
	s_waitcnt vmcnt(0) lgkmcnt(0)
	v_fmac_f64_e32 v[130:131], v[138:139], v[140:141]
	s_andn2_b64 exec, exec, s[6:7]
	s_cbranch_execnz .LBB63_19
; %bb.20:
	s_or_b64 exec, exec, s[6:7]
	v_mov_b32_e32 v134, 0
	ds_read_b64 v[134:135], v134 offset:24
	s_waitcnt lgkmcnt(0)
	v_mul_f64 v[130:131], v[130:131], v[134:135]
	buffer_store_dword v131, off, s[0:3], 0 offset:28
	buffer_store_dword v130, off, s[0:3], 0 offset:24
.LBB63_21:
	s_or_b64 exec, exec, s[4:5]
	s_waitcnt lgkmcnt(0)
	; wave barrier
	buffer_load_dword v130, off, s[0:3], 0 offset:32
	buffer_load_dword v131, off, s[0:3], 0 offset:36
	v_cmp_gt_u32_e32 vcc, 4, v0
	s_waitcnt vmcnt(0)
	ds_write_b64 v132, v[130:131]
	s_waitcnt lgkmcnt(0)
	; wave barrier
	s_waitcnt lgkmcnt(0)
	s_and_saveexec_b64 s[4:5], vcc
	s_cbranch_execz .LBB63_25
; %bb.22:
	v_add_u32_e32 v134, -1, v0
	v_or_b32_e32 v135, 0x200, v1
	v_add_u32_e32 v136, 0, v1
	s_mov_b64 s[6:7], 0
	v_pk_mov_b32 v[130:131], 0, 0
.LBB63_23:                              ; =>This Inner Loop Header: Depth=1
	buffer_load_dword v138, v136, s[0:3], 0 offen
	buffer_load_dword v139, v136, s[0:3], 0 offen offset:4
	ds_read_b64 v[140:141], v135
	v_add_u32_e32 v134, 1, v134
	v_cmp_lt_u32_e32 vcc, 2, v134
	v_add_u32_e32 v135, 8, v135
	v_add_u32_e32 v136, 8, v136
	s_or_b64 s[6:7], vcc, s[6:7]
	s_waitcnt vmcnt(0) lgkmcnt(0)
	v_fmac_f64_e32 v[130:131], v[138:139], v[140:141]
	s_andn2_b64 exec, exec, s[6:7]
	s_cbranch_execnz .LBB63_23
; %bb.24:
	s_or_b64 exec, exec, s[6:7]
	v_mov_b32_e32 v134, 0
	ds_read_b64 v[134:135], v134 offset:32
	s_waitcnt lgkmcnt(0)
	v_mul_f64 v[130:131], v[130:131], v[134:135]
	buffer_store_dword v131, off, s[0:3], 0 offset:36
	buffer_store_dword v130, off, s[0:3], 0 offset:32
.LBB63_25:
	s_or_b64 exec, exec, s[4:5]
	s_waitcnt lgkmcnt(0)
	; wave barrier
	buffer_load_dword v130, off, s[0:3], 0 offset:40
	buffer_load_dword v131, off, s[0:3], 0 offset:44
	v_cmp_gt_u32_e32 vcc, 5, v0
	;; [unrolled: 41-line block ×21, first 2 shown]
	s_waitcnt vmcnt(0)
	ds_write_b64 v132, v[130:131]
	s_waitcnt lgkmcnt(0)
	; wave barrier
	s_waitcnt lgkmcnt(0)
	s_and_saveexec_b64 s[4:5], vcc
	s_cbranch_execz .LBB63_105
; %bb.102:
	v_add_u32_e32 v134, -1, v0
	v_or_b32_e32 v135, 0x200, v1
	v_add_u32_e32 v136, 0, v1
	s_mov_b64 s[6:7], 0
	v_pk_mov_b32 v[130:131], 0, 0
.LBB63_103:                             ; =>This Inner Loop Header: Depth=1
	buffer_load_dword v138, v136, s[0:3], 0 offen
	buffer_load_dword v139, v136, s[0:3], 0 offen offset:4
	ds_read_b64 v[140:141], v135
	v_add_u32_e32 v134, 1, v134
	v_cmp_lt_u32_e32 vcc, 22, v134
	v_add_u32_e32 v135, 8, v135
	v_add_u32_e32 v136, 8, v136
	s_or_b64 s[6:7], vcc, s[6:7]
	s_waitcnt vmcnt(0) lgkmcnt(0)
	v_fmac_f64_e32 v[130:131], v[138:139], v[140:141]
	s_andn2_b64 exec, exec, s[6:7]
	s_cbranch_execnz .LBB63_103
; %bb.104:
	s_or_b64 exec, exec, s[6:7]
	v_mov_b32_e32 v134, 0
	ds_read_b64 v[134:135], v134 offset:192
	s_waitcnt lgkmcnt(0)
	v_mul_f64 v[130:131], v[130:131], v[134:135]
	buffer_store_dword v131, off, s[0:3], 0 offset:196
	buffer_store_dword v130, off, s[0:3], 0 offset:192
.LBB63_105:
	s_or_b64 exec, exec, s[4:5]
	s_waitcnt lgkmcnt(0)
	; wave barrier
	buffer_load_dword v130, off, s[0:3], 0 offset:200
	buffer_load_dword v131, off, s[0:3], 0 offset:204
	v_cmp_gt_u32_e32 vcc, 25, v0
	s_waitcnt vmcnt(0)
	ds_write_b64 v132, v[130:131]
	s_waitcnt lgkmcnt(0)
	; wave barrier
	s_waitcnt lgkmcnt(0)
	s_and_saveexec_b64 s[4:5], vcc
	s_cbranch_execz .LBB63_109
; %bb.106:
	v_add_u32_e32 v134, -1, v0
	v_or_b32_e32 v135, 0x200, v1
	v_add_u32_e32 v136, 0, v1
	s_mov_b64 s[6:7], 0
	v_pk_mov_b32 v[130:131], 0, 0
.LBB63_107:                             ; =>This Inner Loop Header: Depth=1
	buffer_load_dword v138, v136, s[0:3], 0 offen
	buffer_load_dword v139, v136, s[0:3], 0 offen offset:4
	ds_read_b64 v[140:141], v135
	v_add_u32_e32 v134, 1, v134
	v_cmp_lt_u32_e32 vcc, 23, v134
	v_add_u32_e32 v135, 8, v135
	v_add_u32_e32 v136, 8, v136
	s_or_b64 s[6:7], vcc, s[6:7]
	s_waitcnt vmcnt(0) lgkmcnt(0)
	v_fmac_f64_e32 v[130:131], v[138:139], v[140:141]
	s_andn2_b64 exec, exec, s[6:7]
	s_cbranch_execnz .LBB63_107
; %bb.108:
	s_or_b64 exec, exec, s[6:7]
	v_mov_b32_e32 v134, 0
	ds_read_b64 v[134:135], v134 offset:200
	s_waitcnt lgkmcnt(0)
	v_mul_f64 v[130:131], v[130:131], v[134:135]
	buffer_store_dword v131, off, s[0:3], 0 offset:204
	buffer_store_dword v130, off, s[0:3], 0 offset:200
.LBB63_109:
	s_or_b64 exec, exec, s[4:5]
	s_waitcnt lgkmcnt(0)
	; wave barrier
	buffer_load_dword v130, off, s[0:3], 0 offset:208
	buffer_load_dword v131, off, s[0:3], 0 offset:212
	v_cmp_gt_u32_e32 vcc, 26, v0
	;; [unrolled: 41-line block ×38, first 2 shown]
	s_waitcnt vmcnt(0)
	ds_write_b64 v132, v[130:131]
	s_waitcnt lgkmcnt(0)
	; wave barrier
	s_waitcnt lgkmcnt(0)
	s_and_saveexec_b64 s[4:5], vcc
	s_cbranch_execz .LBB63_257
; %bb.254:
	v_add_u32_e32 v134, -1, v0
	v_or_b32_e32 v135, 0x200, v1
	v_add_u32_e32 v136, 0, v1
	s_mov_b64 s[6:7], 0
	v_pk_mov_b32 v[130:131], 0, 0
.LBB63_255:                             ; =>This Inner Loop Header: Depth=1
	buffer_load_dword v138, v136, s[0:3], 0 offen
	buffer_load_dword v139, v136, s[0:3], 0 offen offset:4
	ds_read_b64 v[140:141], v135
	v_add_u32_e32 v134, 1, v134
	v_cmp_lt_u32_e32 vcc, 60, v134
	v_add_u32_e32 v135, 8, v135
	v_add_u32_e32 v136, 8, v136
	s_or_b64 s[6:7], vcc, s[6:7]
	s_waitcnt vmcnt(0) lgkmcnt(0)
	v_fmac_f64_e32 v[130:131], v[138:139], v[140:141]
	s_andn2_b64 exec, exec, s[6:7]
	s_cbranch_execnz .LBB63_255
; %bb.256:
	s_or_b64 exec, exec, s[6:7]
	v_mov_b32_e32 v134, 0
	ds_read_b64 v[134:135], v134 offset:496
	s_waitcnt lgkmcnt(0)
	v_mul_f64 v[130:131], v[130:131], v[134:135]
	buffer_store_dword v131, off, s[0:3], 0 offset:500
	buffer_store_dword v130, off, s[0:3], 0 offset:496
.LBB63_257:
	s_or_b64 exec, exec, s[4:5]
	s_waitcnt lgkmcnt(0)
	; wave barrier
	buffer_load_dword v130, off, s[0:3], 0 offset:504
	buffer_load_dword v131, off, s[0:3], 0 offset:508
	v_cmp_ne_u32_e32 vcc, 63, v0
	s_waitcnt vmcnt(0)
	ds_write_b64 v132, v[130:131]
	s_waitcnt lgkmcnt(0)
	; wave barrier
	s_waitcnt lgkmcnt(0)
	s_and_saveexec_b64 s[4:5], vcc
	s_cbranch_execz .LBB63_261
; %bb.258:
	v_or_b32_e32 v132, 0x200, v1
	v_add_u32_e32 v1, 0, v1
	s_mov_b64 s[6:7], 0
	v_pk_mov_b32 v[130:131], 0, 0
.LBB63_259:                             ; =>This Inner Loop Header: Depth=1
	buffer_load_dword v134, v1, s[0:3], 0 offen
	buffer_load_dword v135, v1, s[0:3], 0 offen offset:4
	ds_read_b64 v[136:137], v132
	v_add_u32_e32 v133, 1, v133
	v_cmp_lt_u32_e32 vcc, 61, v133
	v_add_u32_e32 v132, 8, v132
	v_add_u32_e32 v1, 8, v1
	s_or_b64 s[6:7], vcc, s[6:7]
	s_waitcnt vmcnt(0) lgkmcnt(0)
	v_fmac_f64_e32 v[130:131], v[134:135], v[136:137]
	s_andn2_b64 exec, exec, s[6:7]
	s_cbranch_execnz .LBB63_259
; %bb.260:
	s_or_b64 exec, exec, s[6:7]
	v_mov_b32_e32 v1, 0
	ds_read_b64 v[132:133], v1 offset:504
	s_waitcnt lgkmcnt(0)
	v_mul_f64 v[130:131], v[130:131], v[132:133]
	buffer_store_dword v131, off, s[0:3], 0 offset:508
	buffer_store_dword v130, off, s[0:3], 0 offset:504
.LBB63_261:
	s_or_b64 exec, exec, s[4:5]
	s_mov_b64 s[6:7], -1
	s_waitcnt lgkmcnt(0)
	; wave barrier
.LBB63_262:
	s_and_b64 vcc, exec, s[6:7]
	s_cbranch_vccz .LBB63_264
; %bb.263:
	s_lshl_b64 s[4:5], s[8:9], 2
	s_add_u32 s4, s14, s4
	s_addc_u32 s5, s15, s5
	v_mov_b32_e32 v1, 0
	global_load_dword v1, v1, s[4:5]
	s_waitcnt vmcnt(0)
	v_cmp_ne_u32_e32 vcc, 0, v1
	s_cbranch_vccz .LBB63_265
.LBB63_264:
	s_endpgm
.LBB63_265:
	v_mov_b32_e32 v1, 0x200
	v_lshl_or_b32 v1, v0, 3, v1
	v_cmp_eq_u32_e32 vcc, 63, v0
	s_and_saveexec_b64 s[4:5], vcc
	s_cbranch_execz .LBB63_267
; %bb.266:
	buffer_load_dword v130, off, s[0:3], 0 offset:496
	buffer_load_dword v131, off, s[0:3], 0 offset:500
	v_mov_b32_e32 v132, 0
	buffer_store_dword v132, off, s[0:3], 0 offset:496
	buffer_store_dword v132, off, s[0:3], 0 offset:500
	s_waitcnt vmcnt(2)
	ds_write_b64 v1, v[130:131]
.LBB63_267:
	s_or_b64 exec, exec, s[4:5]
	s_waitcnt lgkmcnt(0)
	; wave barrier
	s_waitcnt lgkmcnt(0)
	buffer_load_dword v132, off, s[0:3], 0 offset:504
	buffer_load_dword v133, off, s[0:3], 0 offset:508
	;; [unrolled: 1-line block ×4, first 2 shown]
	v_mov_b32_e32 v130, 0
	ds_read_b64 v[136:137], v130 offset:1016
	v_cmp_lt_u32_e32 vcc, 61, v0
	s_waitcnt vmcnt(2) lgkmcnt(0)
	v_fma_f64 v[132:133], v[132:133], v[136:137], 0
	s_waitcnt vmcnt(0)
	v_add_f64 v[132:133], v[134:135], -v[132:133]
	buffer_store_dword v132, off, s[0:3], 0 offset:496
	buffer_store_dword v133, off, s[0:3], 0 offset:500
	s_and_saveexec_b64 s[4:5], vcc
	s_cbranch_execz .LBB63_269
; %bb.268:
	buffer_load_dword v132, off, s[0:3], 0 offset:488
	buffer_load_dword v133, off, s[0:3], 0 offset:492
	s_waitcnt vmcnt(0)
	ds_write_b64 v1, v[132:133]
	buffer_store_dword v130, off, s[0:3], 0 offset:488
	buffer_store_dword v130, off, s[0:3], 0 offset:492
.LBB63_269:
	s_or_b64 exec, exec, s[4:5]
	s_waitcnt lgkmcnt(0)
	; wave barrier
	s_waitcnt lgkmcnt(0)
	buffer_load_dword v134, off, s[0:3], 0 offset:496
	buffer_load_dword v135, off, s[0:3], 0 offset:500
	;; [unrolled: 1-line block ×6, first 2 shown]
	ds_read_b128 v[130:133], v130 offset:1008
	v_cmp_lt_u32_e32 vcc, 60, v0
	s_waitcnt vmcnt(4) lgkmcnt(0)
	v_fma_f64 v[130:131], v[134:135], v[130:131], 0
	s_waitcnt vmcnt(2)
	v_fmac_f64_e32 v[130:131], v[136:137], v[132:133]
	s_waitcnt vmcnt(0)
	v_add_f64 v[130:131], v[138:139], -v[130:131]
	buffer_store_dword v130, off, s[0:3], 0 offset:488
	buffer_store_dword v131, off, s[0:3], 0 offset:492
	s_and_saveexec_b64 s[4:5], vcc
	s_cbranch_execz .LBB63_271
; %bb.270:
	buffer_load_dword v130, off, s[0:3], 0 offset:480
	buffer_load_dword v131, off, s[0:3], 0 offset:484
	v_mov_b32_e32 v132, 0
	buffer_store_dword v132, off, s[0:3], 0 offset:480
	buffer_store_dword v132, off, s[0:3], 0 offset:484
	s_waitcnt vmcnt(2)
	ds_write_b64 v1, v[130:131]
.LBB63_271:
	s_or_b64 exec, exec, s[4:5]
	s_waitcnt lgkmcnt(0)
	; wave barrier
	s_waitcnt lgkmcnt(0)
	buffer_load_dword v136, off, s[0:3], 0 offset:488
	buffer_load_dword v137, off, s[0:3], 0 offset:492
	buffer_load_dword v138, off, s[0:3], 0 offset:496
	buffer_load_dword v139, off, s[0:3], 0 offset:500
	buffer_load_dword v140, off, s[0:3], 0 offset:504
	buffer_load_dword v141, off, s[0:3], 0 offset:508
	buffer_load_dword v142, off, s[0:3], 0 offset:480
	buffer_load_dword v143, off, s[0:3], 0 offset:484
	v_mov_b32_e32 v130, 0
	ds_read2_b64 v[132:135], v130 offset0:125 offset1:126
	ds_read_b64 v[144:145], v130 offset:1016
	v_cmp_lt_u32_e32 vcc, 59, v0
	s_waitcnt vmcnt(6) lgkmcnt(1)
	v_fma_f64 v[132:133], v[136:137], v[132:133], 0
	s_waitcnt vmcnt(4)
	v_fmac_f64_e32 v[132:133], v[138:139], v[134:135]
	s_waitcnt vmcnt(2) lgkmcnt(0)
	v_fmac_f64_e32 v[132:133], v[140:141], v[144:145]
	s_waitcnt vmcnt(0)
	v_add_f64 v[132:133], v[142:143], -v[132:133]
	buffer_store_dword v132, off, s[0:3], 0 offset:480
	buffer_store_dword v133, off, s[0:3], 0 offset:484
	s_and_saveexec_b64 s[4:5], vcc
	s_cbranch_execz .LBB63_273
; %bb.272:
	buffer_load_dword v132, off, s[0:3], 0 offset:472
	buffer_load_dword v133, off, s[0:3], 0 offset:476
	s_waitcnt vmcnt(0)
	ds_write_b64 v1, v[132:133]
	buffer_store_dword v130, off, s[0:3], 0 offset:472
	buffer_store_dword v130, off, s[0:3], 0 offset:476
.LBB63_273:
	s_or_b64 exec, exec, s[4:5]
	s_waitcnt lgkmcnt(0)
	; wave barrier
	s_waitcnt lgkmcnt(0)
	buffer_load_dword v140, off, s[0:3], 0 offset:480
	buffer_load_dword v141, off, s[0:3], 0 offset:484
	;; [unrolled: 1-line block ×10, first 2 shown]
	ds_read_b128 v[132:135], v130 offset:992
	ds_read_b128 v[136:139], v130 offset:1008
	v_cmp_lt_u32_e32 vcc, 58, v0
	s_waitcnt vmcnt(8) lgkmcnt(1)
	v_fma_f64 v[130:131], v[140:141], v[132:133], 0
	s_waitcnt vmcnt(6)
	v_fmac_f64_e32 v[130:131], v[142:143], v[134:135]
	s_waitcnt vmcnt(4) lgkmcnt(0)
	v_fmac_f64_e32 v[130:131], v[144:145], v[136:137]
	s_waitcnt vmcnt(2)
	v_fmac_f64_e32 v[130:131], v[146:147], v[138:139]
	s_waitcnt vmcnt(0)
	v_add_f64 v[130:131], v[148:149], -v[130:131]
	buffer_store_dword v130, off, s[0:3], 0 offset:472
	buffer_store_dword v131, off, s[0:3], 0 offset:476
	s_and_saveexec_b64 s[4:5], vcc
	s_cbranch_execz .LBB63_275
; %bb.274:
	buffer_load_dword v130, off, s[0:3], 0 offset:464
	buffer_load_dword v131, off, s[0:3], 0 offset:468
	v_mov_b32_e32 v132, 0
	buffer_store_dword v132, off, s[0:3], 0 offset:464
	buffer_store_dword v132, off, s[0:3], 0 offset:468
	s_waitcnt vmcnt(2)
	ds_write_b64 v1, v[130:131]
.LBB63_275:
	s_or_b64 exec, exec, s[4:5]
	s_waitcnt lgkmcnt(0)
	; wave barrier
	s_waitcnt lgkmcnt(0)
	buffer_load_dword v140, off, s[0:3], 0 offset:472
	buffer_load_dword v141, off, s[0:3], 0 offset:476
	;; [unrolled: 1-line block ×12, first 2 shown]
	v_mov_b32_e32 v130, 0
	ds_read2_b64 v[132:135], v130 offset0:123 offset1:124
	ds_read2_b64 v[136:139], v130 offset0:125 offset1:126
	ds_read_b64 v[152:153], v130 offset:1016
	v_cmp_lt_u32_e32 vcc, 57, v0
	s_waitcnt vmcnt(10) lgkmcnt(2)
	v_fma_f64 v[132:133], v[140:141], v[132:133], 0
	s_waitcnt vmcnt(8)
	v_fmac_f64_e32 v[132:133], v[142:143], v[134:135]
	s_waitcnt vmcnt(6) lgkmcnt(1)
	v_fmac_f64_e32 v[132:133], v[144:145], v[136:137]
	s_waitcnt vmcnt(4)
	v_fmac_f64_e32 v[132:133], v[146:147], v[138:139]
	s_waitcnt vmcnt(2) lgkmcnt(0)
	v_fmac_f64_e32 v[132:133], v[148:149], v[152:153]
	s_waitcnt vmcnt(0)
	v_add_f64 v[132:133], v[150:151], -v[132:133]
	buffer_store_dword v132, off, s[0:3], 0 offset:464
	buffer_store_dword v133, off, s[0:3], 0 offset:468
	s_and_saveexec_b64 s[4:5], vcc
	s_cbranch_execz .LBB63_277
; %bb.276:
	buffer_load_dword v132, off, s[0:3], 0 offset:456
	buffer_load_dword v133, off, s[0:3], 0 offset:460
	s_waitcnt vmcnt(0)
	ds_write_b64 v1, v[132:133]
	buffer_store_dword v130, off, s[0:3], 0 offset:456
	buffer_store_dword v130, off, s[0:3], 0 offset:460
.LBB63_277:
	s_or_b64 exec, exec, s[4:5]
	s_waitcnt lgkmcnt(0)
	; wave barrier
	s_waitcnt lgkmcnt(0)
	buffer_load_dword v144, off, s[0:3], 0 offset:464
	buffer_load_dword v145, off, s[0:3], 0 offset:468
	;; [unrolled: 1-line block ×14, first 2 shown]
	ds_read_b128 v[132:135], v130 offset:976
	ds_read_b128 v[136:139], v130 offset:992
	;; [unrolled: 1-line block ×3, first 2 shown]
	v_cmp_lt_u32_e32 vcc, 56, v0
	s_waitcnt vmcnt(12) lgkmcnt(2)
	v_fma_f64 v[130:131], v[144:145], v[132:133], 0
	s_waitcnt vmcnt(10)
	v_fmac_f64_e32 v[130:131], v[146:147], v[134:135]
	s_waitcnt vmcnt(8) lgkmcnt(1)
	v_fmac_f64_e32 v[130:131], v[148:149], v[136:137]
	s_waitcnt vmcnt(6)
	v_fmac_f64_e32 v[130:131], v[150:151], v[138:139]
	s_waitcnt vmcnt(4) lgkmcnt(0)
	v_fmac_f64_e32 v[130:131], v[152:153], v[140:141]
	s_waitcnt vmcnt(2)
	v_fmac_f64_e32 v[130:131], v[154:155], v[142:143]
	s_waitcnt vmcnt(0)
	v_add_f64 v[130:131], v[156:157], -v[130:131]
	buffer_store_dword v130, off, s[0:3], 0 offset:456
	buffer_store_dword v131, off, s[0:3], 0 offset:460
	s_and_saveexec_b64 s[4:5], vcc
	s_cbranch_execz .LBB63_279
; %bb.278:
	buffer_load_dword v130, off, s[0:3], 0 offset:448
	buffer_load_dword v131, off, s[0:3], 0 offset:452
	v_mov_b32_e32 v132, 0
	buffer_store_dword v132, off, s[0:3], 0 offset:448
	buffer_store_dword v132, off, s[0:3], 0 offset:452
	s_waitcnt vmcnt(2)
	ds_write_b64 v1, v[130:131]
.LBB63_279:
	s_or_b64 exec, exec, s[4:5]
	s_waitcnt lgkmcnt(0)
	; wave barrier
	s_waitcnt lgkmcnt(0)
	buffer_load_dword v144, off, s[0:3], 0 offset:456
	buffer_load_dword v145, off, s[0:3], 0 offset:460
	;; [unrolled: 1-line block ×16, first 2 shown]
	v_mov_b32_e32 v130, 0
	ds_read2_b64 v[132:135], v130 offset0:121 offset1:122
	ds_read2_b64 v[136:139], v130 offset0:123 offset1:124
	ds_read2_b64 v[140:143], v130 offset0:125 offset1:126
	ds_read_b64 v[160:161], v130 offset:1016
	v_cmp_lt_u32_e32 vcc, 55, v0
	s_waitcnt vmcnt(14) lgkmcnt(3)
	v_fma_f64 v[132:133], v[144:145], v[132:133], 0
	s_waitcnt vmcnt(12)
	v_fmac_f64_e32 v[132:133], v[146:147], v[134:135]
	s_waitcnt vmcnt(10) lgkmcnt(2)
	v_fmac_f64_e32 v[132:133], v[148:149], v[136:137]
	s_waitcnt vmcnt(8)
	v_fmac_f64_e32 v[132:133], v[150:151], v[138:139]
	s_waitcnt vmcnt(6) lgkmcnt(1)
	v_fmac_f64_e32 v[132:133], v[152:153], v[140:141]
	s_waitcnt vmcnt(4)
	v_fmac_f64_e32 v[132:133], v[154:155], v[142:143]
	s_waitcnt vmcnt(2) lgkmcnt(0)
	v_fmac_f64_e32 v[132:133], v[156:157], v[160:161]
	s_waitcnt vmcnt(0)
	v_add_f64 v[132:133], v[158:159], -v[132:133]
	buffer_store_dword v132, off, s[0:3], 0 offset:448
	buffer_store_dword v133, off, s[0:3], 0 offset:452
	s_and_saveexec_b64 s[4:5], vcc
	s_cbranch_execz .LBB63_281
; %bb.280:
	buffer_load_dword v132, off, s[0:3], 0 offset:440
	buffer_load_dword v133, off, s[0:3], 0 offset:444
	s_waitcnt vmcnt(0)
	ds_write_b64 v1, v[132:133]
	buffer_store_dword v130, off, s[0:3], 0 offset:440
	buffer_store_dword v130, off, s[0:3], 0 offset:444
.LBB63_281:
	s_or_b64 exec, exec, s[4:5]
	s_waitcnt lgkmcnt(0)
	; wave barrier
	s_waitcnt lgkmcnt(0)
	buffer_load_dword v148, off, s[0:3], 0 offset:448
	buffer_load_dword v149, off, s[0:3], 0 offset:452
	;; [unrolled: 1-line block ×18, first 2 shown]
	ds_read_b128 v[132:135], v130 offset:960
	ds_read_b128 v[136:139], v130 offset:976
	;; [unrolled: 1-line block ×4, first 2 shown]
	v_cmp_lt_u32_e32 vcc, 54, v0
	s_waitcnt vmcnt(16) lgkmcnt(3)
	v_fma_f64 v[130:131], v[148:149], v[132:133], 0
	s_waitcnt vmcnt(14)
	v_fmac_f64_e32 v[130:131], v[150:151], v[134:135]
	s_waitcnt vmcnt(12) lgkmcnt(2)
	v_fmac_f64_e32 v[130:131], v[152:153], v[136:137]
	s_waitcnt vmcnt(10)
	v_fmac_f64_e32 v[130:131], v[154:155], v[138:139]
	s_waitcnt vmcnt(8) lgkmcnt(1)
	v_fmac_f64_e32 v[130:131], v[156:157], v[140:141]
	;; [unrolled: 4-line block ×3, first 2 shown]
	s_waitcnt vmcnt(2)
	v_fmac_f64_e32 v[130:131], v[162:163], v[146:147]
	s_waitcnt vmcnt(0)
	v_add_f64 v[130:131], v[164:165], -v[130:131]
	buffer_store_dword v130, off, s[0:3], 0 offset:440
	buffer_store_dword v131, off, s[0:3], 0 offset:444
	s_and_saveexec_b64 s[4:5], vcc
	s_cbranch_execz .LBB63_283
; %bb.282:
	buffer_load_dword v130, off, s[0:3], 0 offset:432
	buffer_load_dword v131, off, s[0:3], 0 offset:436
	v_mov_b32_e32 v132, 0
	buffer_store_dword v132, off, s[0:3], 0 offset:432
	buffer_store_dword v132, off, s[0:3], 0 offset:436
	s_waitcnt vmcnt(2)
	ds_write_b64 v1, v[130:131]
.LBB63_283:
	s_or_b64 exec, exec, s[4:5]
	s_waitcnt lgkmcnt(0)
	; wave barrier
	s_waitcnt lgkmcnt(0)
	buffer_load_dword v136, off, s[0:3], 0 offset:432
	buffer_load_dword v137, off, s[0:3], 0 offset:436
	buffer_load_dword v138, off, s[0:3], 0 offset:440
	buffer_load_dword v139, off, s[0:3], 0 offset:444
	buffer_load_dword v140, off, s[0:3], 0 offset:448
	buffer_load_dword v141, off, s[0:3], 0 offset:452
	buffer_load_dword v142, off, s[0:3], 0 offset:456
	buffer_load_dword v143, off, s[0:3], 0 offset:460
	buffer_load_dword v144, off, s[0:3], 0 offset:464
	buffer_load_dword v145, off, s[0:3], 0 offset:468
	buffer_load_dword v146, off, s[0:3], 0 offset:472
	buffer_load_dword v147, off, s[0:3], 0 offset:476
	buffer_load_dword v148, off, s[0:3], 0 offset:480
	buffer_load_dword v149, off, s[0:3], 0 offset:484
	buffer_load_dword v150, off, s[0:3], 0 offset:488
	buffer_load_dword v151, off, s[0:3], 0 offset:492
	v_mov_b32_e32 v130, 0
	ds_read2_b64 v[132:135], v130 offset0:119 offset1:120
	v_cmp_lt_u32_e32 vcc, 53, v0
	s_waitcnt vmcnt(12) lgkmcnt(0)
	v_fma_f64 v[138:139], v[138:139], v[132:133], 0
	s_waitcnt vmcnt(10)
	v_fmac_f64_e32 v[138:139], v[140:141], v[134:135]
	ds_read2_b64 v[132:135], v130 offset0:121 offset1:122
	s_waitcnt vmcnt(8) lgkmcnt(0)
	v_fmac_f64_e32 v[138:139], v[142:143], v[132:133]
	s_waitcnt vmcnt(6)
	v_fmac_f64_e32 v[138:139], v[144:145], v[134:135]
	ds_read2_b64 v[132:135], v130 offset0:123 offset1:124
	s_waitcnt vmcnt(4) lgkmcnt(0)
	v_fmac_f64_e32 v[138:139], v[146:147], v[132:133]
	;; [unrolled: 5-line block ×3, first 2 shown]
	buffer_load_dword v133, off, s[0:3], 0 offset:500
	buffer_load_dword v132, off, s[0:3], 0 offset:496
	s_waitcnt vmcnt(0)
	v_fmac_f64_e32 v[138:139], v[132:133], v[134:135]
	buffer_load_dword v133, off, s[0:3], 0 offset:508
	buffer_load_dword v132, off, s[0:3], 0 offset:504
	ds_read_b64 v[134:135], v130 offset:1016
	s_waitcnt vmcnt(0) lgkmcnt(0)
	v_fmac_f64_e32 v[138:139], v[132:133], v[134:135]
	v_add_f64 v[132:133], v[136:137], -v[138:139]
	buffer_store_dword v132, off, s[0:3], 0 offset:432
	buffer_store_dword v133, off, s[0:3], 0 offset:436
	s_and_saveexec_b64 s[4:5], vcc
	s_cbranch_execz .LBB63_285
; %bb.284:
	buffer_load_dword v132, off, s[0:3], 0 offset:424
	buffer_load_dword v133, off, s[0:3], 0 offset:428
	s_waitcnt vmcnt(0)
	ds_write_b64 v1, v[132:133]
	buffer_store_dword v130, off, s[0:3], 0 offset:424
	buffer_store_dword v130, off, s[0:3], 0 offset:428
.LBB63_285:
	s_or_b64 exec, exec, s[4:5]
	s_waitcnt lgkmcnt(0)
	; wave barrier
	s_waitcnt lgkmcnt(0)
	buffer_load_dword v148, off, s[0:3], 0 offset:424
	buffer_load_dword v149, off, s[0:3], 0 offset:428
	;; [unrolled: 1-line block ×16, first 2 shown]
	ds_read_b128 v[132:135], v130 offset:944
	ds_read_b128 v[136:139], v130 offset:960
	ds_read_b128 v[140:143], v130 offset:976
	ds_read_b128 v[144:147], v130 offset:992
	v_cmp_lt_u32_e32 vcc, 52, v0
	s_waitcnt vmcnt(12) lgkmcnt(3)
	v_fma_f64 v[150:151], v[150:151], v[132:133], 0
	buffer_load_dword v133, off, s[0:3], 0 offset:492
	buffer_load_dword v132, off, s[0:3], 0 offset:488
	s_waitcnt vmcnt(12)
	v_fmac_f64_e32 v[150:151], v[152:153], v[134:135]
	buffer_load_dword v135, off, s[0:3], 0 offset:500
	buffer_load_dword v134, off, s[0:3], 0 offset:496
	s_waitcnt vmcnt(12) lgkmcnt(2)
	v_fmac_f64_e32 v[150:151], v[154:155], v[136:137]
	s_waitcnt vmcnt(10)
	v_fmac_f64_e32 v[150:151], v[156:157], v[138:139]
	s_waitcnt vmcnt(8) lgkmcnt(1)
	v_fmac_f64_e32 v[150:151], v[158:159], v[140:141]
	s_waitcnt vmcnt(6)
	v_fmac_f64_e32 v[150:151], v[160:161], v[142:143]
	;; [unrolled: 4-line block ×3, first 2 shown]
	ds_read_b128 v[130:133], v130 offset:1008
	s_waitcnt vmcnt(0) lgkmcnt(0)
	v_fmac_f64_e32 v[150:151], v[134:135], v[130:131]
	buffer_load_dword v131, off, s[0:3], 0 offset:508
	buffer_load_dword v130, off, s[0:3], 0 offset:504
	s_waitcnt vmcnt(0)
	v_fmac_f64_e32 v[150:151], v[130:131], v[132:133]
	v_add_f64 v[130:131], v[148:149], -v[150:151]
	buffer_store_dword v130, off, s[0:3], 0 offset:424
	buffer_store_dword v131, off, s[0:3], 0 offset:428
	s_and_saveexec_b64 s[4:5], vcc
	s_cbranch_execz .LBB63_287
; %bb.286:
	buffer_load_dword v130, off, s[0:3], 0 offset:416
	buffer_load_dword v131, off, s[0:3], 0 offset:420
	v_mov_b32_e32 v132, 0
	buffer_store_dword v132, off, s[0:3], 0 offset:416
	buffer_store_dword v132, off, s[0:3], 0 offset:420
	s_waitcnt vmcnt(2)
	ds_write_b64 v1, v[130:131]
.LBB63_287:
	s_or_b64 exec, exec, s[4:5]
	s_waitcnt lgkmcnt(0)
	; wave barrier
	s_waitcnt lgkmcnt(0)
	buffer_load_dword v136, off, s[0:3], 0 offset:416
	buffer_load_dword v137, off, s[0:3], 0 offset:420
	;; [unrolled: 1-line block ×16, first 2 shown]
	v_mov_b32_e32 v130, 0
	ds_read2_b64 v[132:135], v130 offset0:117 offset1:118
	v_cmp_lt_u32_e32 vcc, 51, v0
	s_waitcnt vmcnt(12) lgkmcnt(0)
	v_fma_f64 v[138:139], v[138:139], v[132:133], 0
	s_waitcnt vmcnt(10)
	v_fmac_f64_e32 v[138:139], v[140:141], v[134:135]
	ds_read2_b64 v[132:135], v130 offset0:119 offset1:120
	s_waitcnt vmcnt(8) lgkmcnt(0)
	v_fmac_f64_e32 v[138:139], v[142:143], v[132:133]
	s_waitcnt vmcnt(6)
	v_fmac_f64_e32 v[138:139], v[144:145], v[134:135]
	ds_read2_b64 v[132:135], v130 offset0:121 offset1:122
	s_waitcnt vmcnt(4) lgkmcnt(0)
	v_fmac_f64_e32 v[138:139], v[146:147], v[132:133]
	s_waitcnt vmcnt(2)
	v_fmac_f64_e32 v[138:139], v[148:149], v[134:135]
	ds_read2_b64 v[132:135], v130 offset0:123 offset1:124
	s_waitcnt vmcnt(0) lgkmcnt(0)
	v_fmac_f64_e32 v[138:139], v[150:151], v[132:133]
	buffer_load_dword v133, off, s[0:3], 0 offset:484
	buffer_load_dword v132, off, s[0:3], 0 offset:480
	;; [unrolled: 1-line block ×4, first 2 shown]
	s_waitcnt vmcnt(2)
	v_fmac_f64_e32 v[138:139], v[132:133], v[134:135]
	ds_read2_b64 v[132:135], v130 offset0:125 offset1:126
	s_waitcnt vmcnt(0) lgkmcnt(0)
	v_fmac_f64_e32 v[138:139], v[140:141], v[132:133]
	buffer_load_dword v133, off, s[0:3], 0 offset:500
	buffer_load_dword v132, off, s[0:3], 0 offset:496
	s_waitcnt vmcnt(0)
	v_fmac_f64_e32 v[138:139], v[132:133], v[134:135]
	buffer_load_dword v133, off, s[0:3], 0 offset:508
	buffer_load_dword v132, off, s[0:3], 0 offset:504
	ds_read_b64 v[134:135], v130 offset:1016
	s_waitcnt vmcnt(0) lgkmcnt(0)
	v_fmac_f64_e32 v[138:139], v[132:133], v[134:135]
	v_add_f64 v[132:133], v[136:137], -v[138:139]
	buffer_store_dword v133, off, s[0:3], 0 offset:420
	buffer_store_dword v132, off, s[0:3], 0 offset:416
	s_and_saveexec_b64 s[4:5], vcc
	s_cbranch_execz .LBB63_289
; %bb.288:
	buffer_load_dword v132, off, s[0:3], 0 offset:408
	buffer_load_dword v133, off, s[0:3], 0 offset:412
	s_waitcnt vmcnt(0)
	ds_write_b64 v1, v[132:133]
	buffer_store_dword v130, off, s[0:3], 0 offset:408
	buffer_store_dword v130, off, s[0:3], 0 offset:412
.LBB63_289:
	s_or_b64 exec, exec, s[4:5]
	s_waitcnt lgkmcnt(0)
	; wave barrier
	s_waitcnt lgkmcnt(0)
	buffer_load_dword v148, off, s[0:3], 0 offset:408
	buffer_load_dword v149, off, s[0:3], 0 offset:412
	;; [unrolled: 1-line block ×16, first 2 shown]
	ds_read_b128 v[132:135], v130 offset:928
	ds_read_b128 v[136:139], v130 offset:944
	;; [unrolled: 1-line block ×4, first 2 shown]
	v_cmp_lt_u32_e32 vcc, 50, v0
	s_waitcnt vmcnt(12) lgkmcnt(3)
	v_fma_f64 v[150:151], v[150:151], v[132:133], 0
	buffer_load_dword v133, off, s[0:3], 0 offset:476
	buffer_load_dword v132, off, s[0:3], 0 offset:472
	s_waitcnt vmcnt(12)
	v_fmac_f64_e32 v[150:151], v[152:153], v[134:135]
	s_waitcnt vmcnt(10) lgkmcnt(2)
	v_fmac_f64_e32 v[150:151], v[154:155], v[136:137]
	buffer_load_dword v137, off, s[0:3], 0 offset:484
	buffer_load_dword v136, off, s[0:3], 0 offset:480
	s_waitcnt vmcnt(10)
	v_fmac_f64_e32 v[150:151], v[156:157], v[138:139]
	s_waitcnt vmcnt(8) lgkmcnt(1)
	v_fmac_f64_e32 v[150:151], v[158:159], v[140:141]
	s_waitcnt vmcnt(6)
	v_fmac_f64_e32 v[150:151], v[160:161], v[142:143]
	s_waitcnt vmcnt(4) lgkmcnt(0)
	v_fmac_f64_e32 v[150:151], v[162:163], v[144:145]
	s_waitcnt vmcnt(2)
	v_fmac_f64_e32 v[150:151], v[132:133], v[146:147]
	ds_read_b128 v[132:135], v130 offset:992
	s_waitcnt vmcnt(0) lgkmcnt(0)
	v_fmac_f64_e32 v[150:151], v[136:137], v[132:133]
	buffer_load_dword v133, off, s[0:3], 0 offset:492
	buffer_load_dword v132, off, s[0:3], 0 offset:488
	s_waitcnt vmcnt(0)
	v_fmac_f64_e32 v[150:151], v[132:133], v[134:135]
	buffer_load_dword v135, off, s[0:3], 0 offset:500
	buffer_load_dword v134, off, s[0:3], 0 offset:496
	ds_read_b128 v[130:133], v130 offset:1008
	s_waitcnt vmcnt(0) lgkmcnt(0)
	v_fmac_f64_e32 v[150:151], v[134:135], v[130:131]
	buffer_load_dword v131, off, s[0:3], 0 offset:508
	buffer_load_dword v130, off, s[0:3], 0 offset:504
	s_waitcnt vmcnt(0)
	v_fmac_f64_e32 v[150:151], v[130:131], v[132:133]
	v_add_f64 v[130:131], v[148:149], -v[150:151]
	buffer_store_dword v131, off, s[0:3], 0 offset:412
	buffer_store_dword v130, off, s[0:3], 0 offset:408
	s_and_saveexec_b64 s[4:5], vcc
	s_cbranch_execz .LBB63_291
; %bb.290:
	buffer_load_dword v130, off, s[0:3], 0 offset:400
	buffer_load_dword v131, off, s[0:3], 0 offset:404
	v_mov_b32_e32 v132, 0
	buffer_store_dword v132, off, s[0:3], 0 offset:400
	buffer_store_dword v132, off, s[0:3], 0 offset:404
	s_waitcnt vmcnt(2)
	ds_write_b64 v1, v[130:131]
.LBB63_291:
	s_or_b64 exec, exec, s[4:5]
	s_waitcnt lgkmcnt(0)
	; wave barrier
	s_waitcnt lgkmcnt(0)
	buffer_load_dword v136, off, s[0:3], 0 offset:400
	buffer_load_dword v137, off, s[0:3], 0 offset:404
	;; [unrolled: 1-line block ×16, first 2 shown]
	v_mov_b32_e32 v130, 0
	ds_read2_b64 v[132:135], v130 offset0:115 offset1:116
	v_cmp_lt_u32_e32 vcc, 49, v0
	s_waitcnt vmcnt(12) lgkmcnt(0)
	v_fma_f64 v[138:139], v[138:139], v[132:133], 0
	s_waitcnt vmcnt(10)
	v_fmac_f64_e32 v[138:139], v[140:141], v[134:135]
	ds_read2_b64 v[132:135], v130 offset0:117 offset1:118
	s_waitcnt vmcnt(8) lgkmcnt(0)
	v_fmac_f64_e32 v[138:139], v[142:143], v[132:133]
	s_waitcnt vmcnt(6)
	v_fmac_f64_e32 v[138:139], v[144:145], v[134:135]
	ds_read2_b64 v[132:135], v130 offset0:119 offset1:120
	s_waitcnt vmcnt(4) lgkmcnt(0)
	v_fmac_f64_e32 v[138:139], v[146:147], v[132:133]
	;; [unrolled: 5-line block ×3, first 2 shown]
	buffer_load_dword v133, off, s[0:3], 0 offset:468
	buffer_load_dword v132, off, s[0:3], 0 offset:464
	;; [unrolled: 1-line block ×4, first 2 shown]
	s_waitcnt vmcnt(2)
	v_fmac_f64_e32 v[138:139], v[132:133], v[134:135]
	ds_read2_b64 v[132:135], v130 offset0:123 offset1:124
	s_waitcnt vmcnt(0) lgkmcnt(0)
	v_fmac_f64_e32 v[138:139], v[140:141], v[132:133]
	buffer_load_dword v133, off, s[0:3], 0 offset:484
	buffer_load_dword v132, off, s[0:3], 0 offset:480
	;; [unrolled: 1-line block ×4, first 2 shown]
	s_waitcnt vmcnt(2)
	v_fmac_f64_e32 v[138:139], v[132:133], v[134:135]
	ds_read2_b64 v[132:135], v130 offset0:125 offset1:126
	s_waitcnt vmcnt(0) lgkmcnt(0)
	v_fmac_f64_e32 v[138:139], v[140:141], v[132:133]
	buffer_load_dword v133, off, s[0:3], 0 offset:500
	buffer_load_dword v132, off, s[0:3], 0 offset:496
	s_waitcnt vmcnt(0)
	v_fmac_f64_e32 v[138:139], v[132:133], v[134:135]
	buffer_load_dword v133, off, s[0:3], 0 offset:508
	buffer_load_dword v132, off, s[0:3], 0 offset:504
	ds_read_b64 v[134:135], v130 offset:1016
	s_waitcnt vmcnt(0) lgkmcnt(0)
	v_fmac_f64_e32 v[138:139], v[132:133], v[134:135]
	v_add_f64 v[132:133], v[136:137], -v[138:139]
	buffer_store_dword v133, off, s[0:3], 0 offset:404
	buffer_store_dword v132, off, s[0:3], 0 offset:400
	s_and_saveexec_b64 s[4:5], vcc
	s_cbranch_execz .LBB63_293
; %bb.292:
	buffer_load_dword v132, off, s[0:3], 0 offset:392
	buffer_load_dword v133, off, s[0:3], 0 offset:396
	s_waitcnt vmcnt(0)
	ds_write_b64 v1, v[132:133]
	buffer_store_dword v130, off, s[0:3], 0 offset:392
	buffer_store_dword v130, off, s[0:3], 0 offset:396
.LBB63_293:
	s_or_b64 exec, exec, s[4:5]
	s_waitcnt lgkmcnt(0)
	; wave barrier
	s_waitcnt lgkmcnt(0)
	buffer_load_dword v148, off, s[0:3], 0 offset:392
	buffer_load_dword v149, off, s[0:3], 0 offset:396
	;; [unrolled: 1-line block ×16, first 2 shown]
	ds_read_b128 v[132:135], v130 offset:912
	ds_read_b128 v[136:139], v130 offset:928
	;; [unrolled: 1-line block ×4, first 2 shown]
	v_cmp_lt_u32_e32 vcc, 48, v0
	s_waitcnt vmcnt(12) lgkmcnt(3)
	v_fma_f64 v[150:151], v[150:151], v[132:133], 0
	buffer_load_dword v133, off, s[0:3], 0 offset:460
	buffer_load_dword v132, off, s[0:3], 0 offset:456
	s_waitcnt vmcnt(12)
	v_fmac_f64_e32 v[150:151], v[152:153], v[134:135]
	s_waitcnt vmcnt(10) lgkmcnt(2)
	v_fmac_f64_e32 v[150:151], v[154:155], v[136:137]
	buffer_load_dword v137, off, s[0:3], 0 offset:468
	buffer_load_dword v136, off, s[0:3], 0 offset:464
	s_waitcnt vmcnt(10)
	v_fmac_f64_e32 v[150:151], v[156:157], v[138:139]
	s_waitcnt vmcnt(8) lgkmcnt(1)
	v_fmac_f64_e32 v[150:151], v[158:159], v[140:141]
	s_waitcnt vmcnt(6)
	v_fmac_f64_e32 v[150:151], v[160:161], v[142:143]
	s_waitcnt vmcnt(4) lgkmcnt(0)
	v_fmac_f64_e32 v[150:151], v[162:163], v[144:145]
	s_waitcnt vmcnt(2)
	v_fmac_f64_e32 v[150:151], v[132:133], v[146:147]
	ds_read_b128 v[132:135], v130 offset:976
	s_waitcnt vmcnt(0) lgkmcnt(0)
	v_fmac_f64_e32 v[150:151], v[136:137], v[132:133]
	buffer_load_dword v133, off, s[0:3], 0 offset:476
	buffer_load_dword v132, off, s[0:3], 0 offset:472
	;; [unrolled: 1-line block ×4, first 2 shown]
	s_waitcnt vmcnt(2)
	v_fmac_f64_e32 v[150:151], v[132:133], v[134:135]
	ds_read_b128 v[132:135], v130 offset:992
	s_waitcnt vmcnt(0) lgkmcnt(0)
	v_fmac_f64_e32 v[150:151], v[136:137], v[132:133]
	buffer_load_dword v133, off, s[0:3], 0 offset:492
	buffer_load_dword v132, off, s[0:3], 0 offset:488
	s_waitcnt vmcnt(0)
	v_fmac_f64_e32 v[150:151], v[132:133], v[134:135]
	buffer_load_dword v135, off, s[0:3], 0 offset:500
	buffer_load_dword v134, off, s[0:3], 0 offset:496
	ds_read_b128 v[130:133], v130 offset:1008
	s_waitcnt vmcnt(0) lgkmcnt(0)
	v_fmac_f64_e32 v[150:151], v[134:135], v[130:131]
	buffer_load_dword v131, off, s[0:3], 0 offset:508
	buffer_load_dword v130, off, s[0:3], 0 offset:504
	s_waitcnt vmcnt(0)
	v_fmac_f64_e32 v[150:151], v[130:131], v[132:133]
	v_add_f64 v[130:131], v[148:149], -v[150:151]
	buffer_store_dword v131, off, s[0:3], 0 offset:396
	buffer_store_dword v130, off, s[0:3], 0 offset:392
	s_and_saveexec_b64 s[4:5], vcc
	s_cbranch_execz .LBB63_295
; %bb.294:
	buffer_load_dword v130, off, s[0:3], 0 offset:384
	buffer_load_dword v131, off, s[0:3], 0 offset:388
	v_mov_b32_e32 v132, 0
	buffer_store_dword v132, off, s[0:3], 0 offset:384
	buffer_store_dword v132, off, s[0:3], 0 offset:388
	s_waitcnt vmcnt(2)
	ds_write_b64 v1, v[130:131]
.LBB63_295:
	s_or_b64 exec, exec, s[4:5]
	s_waitcnt lgkmcnt(0)
	; wave barrier
	s_waitcnt lgkmcnt(0)
	buffer_load_dword v136, off, s[0:3], 0 offset:384
	buffer_load_dword v137, off, s[0:3], 0 offset:388
	;; [unrolled: 1-line block ×16, first 2 shown]
	v_mov_b32_e32 v130, 0
	ds_read2_b64 v[132:135], v130 offset0:113 offset1:114
	v_cmp_lt_u32_e32 vcc, 47, v0
	s_waitcnt vmcnt(12) lgkmcnt(0)
	v_fma_f64 v[138:139], v[138:139], v[132:133], 0
	s_waitcnt vmcnt(10)
	v_fmac_f64_e32 v[138:139], v[140:141], v[134:135]
	ds_read2_b64 v[132:135], v130 offset0:115 offset1:116
	s_waitcnt vmcnt(8) lgkmcnt(0)
	v_fmac_f64_e32 v[138:139], v[142:143], v[132:133]
	s_waitcnt vmcnt(6)
	v_fmac_f64_e32 v[138:139], v[144:145], v[134:135]
	ds_read2_b64 v[132:135], v130 offset0:117 offset1:118
	s_waitcnt vmcnt(4) lgkmcnt(0)
	v_fmac_f64_e32 v[138:139], v[146:147], v[132:133]
	;; [unrolled: 5-line block ×3, first 2 shown]
	buffer_load_dword v133, off, s[0:3], 0 offset:452
	buffer_load_dword v132, off, s[0:3], 0 offset:448
	buffer_load_dword v141, off, s[0:3], 0 offset:460
	buffer_load_dword v140, off, s[0:3], 0 offset:456
	s_waitcnt vmcnt(2)
	v_fmac_f64_e32 v[138:139], v[132:133], v[134:135]
	ds_read2_b64 v[132:135], v130 offset0:121 offset1:122
	s_waitcnt vmcnt(0) lgkmcnt(0)
	v_fmac_f64_e32 v[138:139], v[140:141], v[132:133]
	buffer_load_dword v133, off, s[0:3], 0 offset:468
	buffer_load_dword v132, off, s[0:3], 0 offset:464
	buffer_load_dword v141, off, s[0:3], 0 offset:476
	buffer_load_dword v140, off, s[0:3], 0 offset:472
	s_waitcnt vmcnt(2)
	v_fmac_f64_e32 v[138:139], v[132:133], v[134:135]
	ds_read2_b64 v[132:135], v130 offset0:123 offset1:124
	s_waitcnt vmcnt(0) lgkmcnt(0)
	v_fmac_f64_e32 v[138:139], v[140:141], v[132:133]
	;; [unrolled: 9-line block ×3, first 2 shown]
	buffer_load_dword v133, off, s[0:3], 0 offset:500
	buffer_load_dword v132, off, s[0:3], 0 offset:496
	s_waitcnt vmcnt(0)
	v_fmac_f64_e32 v[138:139], v[132:133], v[134:135]
	buffer_load_dword v133, off, s[0:3], 0 offset:508
	buffer_load_dword v132, off, s[0:3], 0 offset:504
	ds_read_b64 v[134:135], v130 offset:1016
	s_waitcnt vmcnt(0) lgkmcnt(0)
	v_fmac_f64_e32 v[138:139], v[132:133], v[134:135]
	v_add_f64 v[132:133], v[136:137], -v[138:139]
	buffer_store_dword v133, off, s[0:3], 0 offset:388
	buffer_store_dword v132, off, s[0:3], 0 offset:384
	s_and_saveexec_b64 s[4:5], vcc
	s_cbranch_execz .LBB63_297
; %bb.296:
	buffer_load_dword v132, off, s[0:3], 0 offset:376
	buffer_load_dword v133, off, s[0:3], 0 offset:380
	s_waitcnt vmcnt(0)
	ds_write_b64 v1, v[132:133]
	buffer_store_dword v130, off, s[0:3], 0 offset:376
	buffer_store_dword v130, off, s[0:3], 0 offset:380
.LBB63_297:
	s_or_b64 exec, exec, s[4:5]
	s_waitcnt lgkmcnt(0)
	; wave barrier
	s_waitcnt lgkmcnt(0)
	buffer_load_dword v148, off, s[0:3], 0 offset:376
	buffer_load_dword v149, off, s[0:3], 0 offset:380
	;; [unrolled: 1-line block ×16, first 2 shown]
	ds_read_b128 v[132:135], v130 offset:896
	ds_read_b128 v[136:139], v130 offset:912
	;; [unrolled: 1-line block ×4, first 2 shown]
	v_cmp_lt_u32_e32 vcc, 46, v0
	s_waitcnt vmcnt(12) lgkmcnt(3)
	v_fma_f64 v[150:151], v[150:151], v[132:133], 0
	buffer_load_dword v133, off, s[0:3], 0 offset:444
	buffer_load_dword v132, off, s[0:3], 0 offset:440
	s_waitcnt vmcnt(12)
	v_fmac_f64_e32 v[150:151], v[152:153], v[134:135]
	s_waitcnt vmcnt(10) lgkmcnt(2)
	v_fmac_f64_e32 v[150:151], v[154:155], v[136:137]
	buffer_load_dword v137, off, s[0:3], 0 offset:452
	buffer_load_dword v136, off, s[0:3], 0 offset:448
	s_waitcnt vmcnt(10)
	v_fmac_f64_e32 v[150:151], v[156:157], v[138:139]
	s_waitcnt vmcnt(8) lgkmcnt(1)
	v_fmac_f64_e32 v[150:151], v[158:159], v[140:141]
	s_waitcnt vmcnt(6)
	v_fmac_f64_e32 v[150:151], v[160:161], v[142:143]
	s_waitcnt vmcnt(4) lgkmcnt(0)
	v_fmac_f64_e32 v[150:151], v[162:163], v[144:145]
	s_waitcnt vmcnt(2)
	v_fmac_f64_e32 v[150:151], v[132:133], v[146:147]
	ds_read_b128 v[132:135], v130 offset:960
	s_waitcnt vmcnt(0) lgkmcnt(0)
	v_fmac_f64_e32 v[150:151], v[136:137], v[132:133]
	buffer_load_dword v133, off, s[0:3], 0 offset:460
	buffer_load_dword v132, off, s[0:3], 0 offset:456
	;; [unrolled: 1-line block ×4, first 2 shown]
	s_waitcnt vmcnt(2)
	v_fmac_f64_e32 v[150:151], v[132:133], v[134:135]
	ds_read_b128 v[132:135], v130 offset:976
	s_waitcnt vmcnt(0) lgkmcnt(0)
	v_fmac_f64_e32 v[150:151], v[136:137], v[132:133]
	buffer_load_dword v133, off, s[0:3], 0 offset:476
	buffer_load_dword v132, off, s[0:3], 0 offset:472
	;; [unrolled: 1-line block ×4, first 2 shown]
	s_waitcnt vmcnt(2)
	v_fmac_f64_e32 v[150:151], v[132:133], v[134:135]
	ds_read_b128 v[132:135], v130 offset:992
	s_waitcnt vmcnt(0) lgkmcnt(0)
	v_fmac_f64_e32 v[150:151], v[136:137], v[132:133]
	buffer_load_dword v133, off, s[0:3], 0 offset:492
	buffer_load_dword v132, off, s[0:3], 0 offset:488
	s_waitcnt vmcnt(0)
	v_fmac_f64_e32 v[150:151], v[132:133], v[134:135]
	buffer_load_dword v135, off, s[0:3], 0 offset:500
	buffer_load_dword v134, off, s[0:3], 0 offset:496
	ds_read_b128 v[130:133], v130 offset:1008
	s_waitcnt vmcnt(0) lgkmcnt(0)
	v_fmac_f64_e32 v[150:151], v[134:135], v[130:131]
	buffer_load_dword v131, off, s[0:3], 0 offset:508
	buffer_load_dword v130, off, s[0:3], 0 offset:504
	s_waitcnt vmcnt(0)
	v_fmac_f64_e32 v[150:151], v[130:131], v[132:133]
	v_add_f64 v[130:131], v[148:149], -v[150:151]
	buffer_store_dword v131, off, s[0:3], 0 offset:380
	buffer_store_dword v130, off, s[0:3], 0 offset:376
	s_and_saveexec_b64 s[4:5], vcc
	s_cbranch_execz .LBB63_299
; %bb.298:
	buffer_load_dword v130, off, s[0:3], 0 offset:368
	buffer_load_dword v131, off, s[0:3], 0 offset:372
	v_mov_b32_e32 v132, 0
	buffer_store_dword v132, off, s[0:3], 0 offset:368
	buffer_store_dword v132, off, s[0:3], 0 offset:372
	s_waitcnt vmcnt(2)
	ds_write_b64 v1, v[130:131]
.LBB63_299:
	s_or_b64 exec, exec, s[4:5]
	s_waitcnt lgkmcnt(0)
	; wave barrier
	s_waitcnt lgkmcnt(0)
	buffer_load_dword v130, off, s[0:3], 0 offset:368
	buffer_load_dword v131, off, s[0:3], 0 offset:372
	;; [unrolled: 1-line block ×16, first 2 shown]
	v_mov_b32_e32 v134, 0
	ds_read2_b64 v[136:139], v134 offset0:111 offset1:112
	v_cmp_lt_u32_e32 vcc, 45, v0
	s_waitcnt vmcnt(12) lgkmcnt(0)
	v_fma_f64 v[132:133], v[132:133], v[136:137], 0
	s_waitcnt vmcnt(10)
	v_fmac_f64_e32 v[132:133], v[140:141], v[138:139]
	ds_read2_b64 v[136:139], v134 offset0:113 offset1:114
	s_waitcnt vmcnt(8) lgkmcnt(0)
	v_fmac_f64_e32 v[132:133], v[142:143], v[136:137]
	s_waitcnt vmcnt(6)
	v_fmac_f64_e32 v[132:133], v[144:145], v[138:139]
	ds_read2_b64 v[136:139], v134 offset0:115 offset1:116
	s_waitcnt vmcnt(4) lgkmcnt(0)
	v_fmac_f64_e32 v[132:133], v[146:147], v[136:137]
	;; [unrolled: 5-line block ×3, first 2 shown]
	buffer_load_dword v137, off, s[0:3], 0 offset:436
	buffer_load_dword v136, off, s[0:3], 0 offset:432
	buffer_load_dword v141, off, s[0:3], 0 offset:444
	buffer_load_dword v140, off, s[0:3], 0 offset:440
	s_waitcnt vmcnt(2)
	v_fmac_f64_e32 v[132:133], v[136:137], v[138:139]
	ds_read2_b64 v[136:139], v134 offset0:119 offset1:120
	s_waitcnt vmcnt(0) lgkmcnt(0)
	v_fmac_f64_e32 v[132:133], v[140:141], v[136:137]
	buffer_load_dword v137, off, s[0:3], 0 offset:452
	buffer_load_dword v136, off, s[0:3], 0 offset:448
	buffer_load_dword v141, off, s[0:3], 0 offset:460
	buffer_load_dword v140, off, s[0:3], 0 offset:456
	s_waitcnt vmcnt(2)
	v_fmac_f64_e32 v[132:133], v[136:137], v[138:139]
	ds_read2_b64 v[136:139], v134 offset0:121 offset1:122
	s_waitcnt vmcnt(0) lgkmcnt(0)
	v_fmac_f64_e32 v[132:133], v[140:141], v[136:137]
	;; [unrolled: 9-line block ×4, first 2 shown]
	buffer_load_dword v137, off, s[0:3], 0 offset:500
	buffer_load_dword v136, off, s[0:3], 0 offset:496
	s_waitcnt vmcnt(0)
	v_fmac_f64_e32 v[132:133], v[136:137], v[138:139]
	buffer_load_dword v137, off, s[0:3], 0 offset:508
	buffer_load_dword v136, off, s[0:3], 0 offset:504
	ds_read_b64 v[138:139], v134 offset:1016
	s_waitcnt vmcnt(0) lgkmcnt(0)
	v_fmac_f64_e32 v[132:133], v[136:137], v[138:139]
	v_add_f64 v[130:131], v[130:131], -v[132:133]
	buffer_store_dword v131, off, s[0:3], 0 offset:372
	buffer_store_dword v130, off, s[0:3], 0 offset:368
	s_and_saveexec_b64 s[4:5], vcc
	s_cbranch_execz .LBB63_301
; %bb.300:
	buffer_load_dword v130, off, s[0:3], 0 offset:360
	buffer_load_dword v131, off, s[0:3], 0 offset:364
	s_waitcnt vmcnt(0)
	ds_write_b64 v1, v[130:131]
	buffer_store_dword v134, off, s[0:3], 0 offset:360
	buffer_store_dword v134, off, s[0:3], 0 offset:364
.LBB63_301:
	s_or_b64 exec, exec, s[4:5]
	s_waitcnt lgkmcnt(0)
	; wave barrier
	s_waitcnt lgkmcnt(0)
	buffer_load_dword v130, off, s[0:3], 0 offset:360
	buffer_load_dword v131, off, s[0:3], 0 offset:364
	;; [unrolled: 1-line block ×16, first 2 shown]
	ds_read_b128 v[136:139], v134 offset:880
	ds_read_b128 v[140:143], v134 offset:896
	;; [unrolled: 1-line block ×4, first 2 shown]
	v_cmp_lt_u32_e32 vcc, 44, v0
	s_waitcnt vmcnt(12) lgkmcnt(3)
	v_fma_f64 v[132:133], v[132:133], v[136:137], 0
	buffer_load_dword v137, off, s[0:3], 0 offset:428
	buffer_load_dword v136, off, s[0:3], 0 offset:424
	s_waitcnt vmcnt(12)
	v_fmac_f64_e32 v[132:133], v[152:153], v[138:139]
	s_waitcnt vmcnt(10) lgkmcnt(2)
	v_fmac_f64_e32 v[132:133], v[154:155], v[140:141]
	buffer_load_dword v141, off, s[0:3], 0 offset:436
	buffer_load_dword v140, off, s[0:3], 0 offset:432
	s_waitcnt vmcnt(10)
	v_fmac_f64_e32 v[132:133], v[156:157], v[142:143]
	s_waitcnt vmcnt(8) lgkmcnt(1)
	v_fmac_f64_e32 v[132:133], v[158:159], v[144:145]
	s_waitcnt vmcnt(6)
	v_fmac_f64_e32 v[132:133], v[160:161], v[146:147]
	s_waitcnt vmcnt(4) lgkmcnt(0)
	v_fmac_f64_e32 v[132:133], v[162:163], v[148:149]
	s_waitcnt vmcnt(2)
	v_fmac_f64_e32 v[132:133], v[136:137], v[150:151]
	ds_read_b128 v[136:139], v134 offset:944
	s_waitcnt vmcnt(0) lgkmcnt(0)
	v_fmac_f64_e32 v[132:133], v[140:141], v[136:137]
	buffer_load_dword v137, off, s[0:3], 0 offset:444
	buffer_load_dword v136, off, s[0:3], 0 offset:440
	buffer_load_dword v141, off, s[0:3], 0 offset:452
	buffer_load_dword v140, off, s[0:3], 0 offset:448
	s_waitcnt vmcnt(2)
	v_fmac_f64_e32 v[132:133], v[136:137], v[138:139]
	ds_read_b128 v[136:139], v134 offset:960
	s_waitcnt vmcnt(0) lgkmcnt(0)
	v_fmac_f64_e32 v[132:133], v[140:141], v[136:137]
	buffer_load_dword v137, off, s[0:3], 0 offset:460
	buffer_load_dword v136, off, s[0:3], 0 offset:456
	buffer_load_dword v141, off, s[0:3], 0 offset:468
	buffer_load_dword v140, off, s[0:3], 0 offset:464
	;; [unrolled: 9-line block ×3, first 2 shown]
	s_waitcnt vmcnt(2)
	v_fmac_f64_e32 v[132:133], v[136:137], v[138:139]
	ds_read_b128 v[136:139], v134 offset:992
	s_waitcnt vmcnt(0) lgkmcnt(0)
	v_fmac_f64_e32 v[132:133], v[140:141], v[136:137]
	buffer_load_dword v137, off, s[0:3], 0 offset:492
	buffer_load_dword v136, off, s[0:3], 0 offset:488
	s_waitcnt vmcnt(0)
	v_fmac_f64_e32 v[132:133], v[136:137], v[138:139]
	buffer_load_dword v139, off, s[0:3], 0 offset:500
	buffer_load_dword v138, off, s[0:3], 0 offset:496
	ds_read_b128 v[134:137], v134 offset:1008
	s_waitcnt vmcnt(0) lgkmcnt(0)
	v_fmac_f64_e32 v[132:133], v[138:139], v[134:135]
	buffer_load_dword v135, off, s[0:3], 0 offset:508
	buffer_load_dword v134, off, s[0:3], 0 offset:504
	s_waitcnt vmcnt(0)
	v_fmac_f64_e32 v[132:133], v[134:135], v[136:137]
	v_add_f64 v[130:131], v[130:131], -v[132:133]
	buffer_store_dword v131, off, s[0:3], 0 offset:364
	buffer_store_dword v130, off, s[0:3], 0 offset:360
	s_and_saveexec_b64 s[4:5], vcc
	s_cbranch_execz .LBB63_303
; %bb.302:
	buffer_load_dword v130, off, s[0:3], 0 offset:352
	buffer_load_dword v131, off, s[0:3], 0 offset:356
	v_mov_b32_e32 v132, 0
	buffer_store_dword v132, off, s[0:3], 0 offset:352
	buffer_store_dword v132, off, s[0:3], 0 offset:356
	s_waitcnt vmcnt(2)
	ds_write_b64 v1, v[130:131]
.LBB63_303:
	s_or_b64 exec, exec, s[4:5]
	s_waitcnt lgkmcnt(0)
	; wave barrier
	s_waitcnt lgkmcnt(0)
	buffer_load_dword v130, off, s[0:3], 0 offset:352
	buffer_load_dword v131, off, s[0:3], 0 offset:356
	;; [unrolled: 1-line block ×16, first 2 shown]
	v_mov_b32_e32 v134, 0
	ds_read2_b64 v[136:139], v134 offset0:109 offset1:110
	v_cmp_lt_u32_e32 vcc, 43, v0
	s_waitcnt vmcnt(12) lgkmcnt(0)
	v_fma_f64 v[132:133], v[132:133], v[136:137], 0
	s_waitcnt vmcnt(10)
	v_fmac_f64_e32 v[132:133], v[140:141], v[138:139]
	ds_read2_b64 v[136:139], v134 offset0:111 offset1:112
	s_waitcnt vmcnt(8) lgkmcnt(0)
	v_fmac_f64_e32 v[132:133], v[142:143], v[136:137]
	s_waitcnt vmcnt(6)
	v_fmac_f64_e32 v[132:133], v[144:145], v[138:139]
	ds_read2_b64 v[136:139], v134 offset0:113 offset1:114
	s_waitcnt vmcnt(4) lgkmcnt(0)
	v_fmac_f64_e32 v[132:133], v[146:147], v[136:137]
	;; [unrolled: 5-line block ×3, first 2 shown]
	buffer_load_dword v137, off, s[0:3], 0 offset:420
	buffer_load_dword v136, off, s[0:3], 0 offset:416
	buffer_load_dword v141, off, s[0:3], 0 offset:428
	buffer_load_dword v140, off, s[0:3], 0 offset:424
	s_waitcnt vmcnt(2)
	v_fmac_f64_e32 v[132:133], v[136:137], v[138:139]
	ds_read2_b64 v[136:139], v134 offset0:117 offset1:118
	s_waitcnt vmcnt(0) lgkmcnt(0)
	v_fmac_f64_e32 v[132:133], v[140:141], v[136:137]
	buffer_load_dword v137, off, s[0:3], 0 offset:436
	buffer_load_dword v136, off, s[0:3], 0 offset:432
	buffer_load_dword v141, off, s[0:3], 0 offset:444
	buffer_load_dword v140, off, s[0:3], 0 offset:440
	s_waitcnt vmcnt(2)
	v_fmac_f64_e32 v[132:133], v[136:137], v[138:139]
	ds_read2_b64 v[136:139], v134 offset0:119 offset1:120
	s_waitcnt vmcnt(0) lgkmcnt(0)
	v_fmac_f64_e32 v[132:133], v[140:141], v[136:137]
	;; [unrolled: 9-line block ×5, first 2 shown]
	buffer_load_dword v137, off, s[0:3], 0 offset:500
	buffer_load_dword v136, off, s[0:3], 0 offset:496
	s_waitcnt vmcnt(0)
	v_fmac_f64_e32 v[132:133], v[136:137], v[138:139]
	buffer_load_dword v137, off, s[0:3], 0 offset:508
	buffer_load_dword v136, off, s[0:3], 0 offset:504
	ds_read_b64 v[138:139], v134 offset:1016
	s_waitcnt vmcnt(0) lgkmcnt(0)
	v_fmac_f64_e32 v[132:133], v[136:137], v[138:139]
	v_add_f64 v[130:131], v[130:131], -v[132:133]
	buffer_store_dword v131, off, s[0:3], 0 offset:356
	buffer_store_dword v130, off, s[0:3], 0 offset:352
	s_and_saveexec_b64 s[4:5], vcc
	s_cbranch_execz .LBB63_305
; %bb.304:
	buffer_load_dword v130, off, s[0:3], 0 offset:344
	buffer_load_dword v131, off, s[0:3], 0 offset:348
	s_waitcnt vmcnt(0)
	ds_write_b64 v1, v[130:131]
	buffer_store_dword v134, off, s[0:3], 0 offset:344
	buffer_store_dword v134, off, s[0:3], 0 offset:348
.LBB63_305:
	s_or_b64 exec, exec, s[4:5]
	s_waitcnt lgkmcnt(0)
	; wave barrier
	s_waitcnt lgkmcnt(0)
	buffer_load_dword v130, off, s[0:3], 0 offset:344
	buffer_load_dword v131, off, s[0:3], 0 offset:348
	buffer_load_dword v132, off, s[0:3], 0 offset:352
	buffer_load_dword v133, off, s[0:3], 0 offset:356
	buffer_load_dword v152, off, s[0:3], 0 offset:360
	buffer_load_dword v153, off, s[0:3], 0 offset:364
	buffer_load_dword v154, off, s[0:3], 0 offset:368
	buffer_load_dword v155, off, s[0:3], 0 offset:372
	buffer_load_dword v156, off, s[0:3], 0 offset:376
	buffer_load_dword v157, off, s[0:3], 0 offset:380
	buffer_load_dword v158, off, s[0:3], 0 offset:384
	buffer_load_dword v159, off, s[0:3], 0 offset:388
	buffer_load_dword v160, off, s[0:3], 0 offset:392
	buffer_load_dword v161, off, s[0:3], 0 offset:396
	buffer_load_dword v162, off, s[0:3], 0 offset:400
	buffer_load_dword v163, off, s[0:3], 0 offset:404
	ds_read_b128 v[136:139], v134 offset:864
	ds_read_b128 v[140:143], v134 offset:880
	;; [unrolled: 1-line block ×4, first 2 shown]
	v_cmp_lt_u32_e32 vcc, 42, v0
	s_waitcnt vmcnt(12) lgkmcnt(3)
	v_fma_f64 v[132:133], v[132:133], v[136:137], 0
	buffer_load_dword v137, off, s[0:3], 0 offset:412
	buffer_load_dword v136, off, s[0:3], 0 offset:408
	s_waitcnt vmcnt(12)
	v_fmac_f64_e32 v[132:133], v[152:153], v[138:139]
	s_waitcnt vmcnt(10) lgkmcnt(2)
	v_fmac_f64_e32 v[132:133], v[154:155], v[140:141]
	buffer_load_dword v141, off, s[0:3], 0 offset:420
	buffer_load_dword v140, off, s[0:3], 0 offset:416
	s_waitcnt vmcnt(10)
	v_fmac_f64_e32 v[132:133], v[156:157], v[142:143]
	s_waitcnt vmcnt(8) lgkmcnt(1)
	v_fmac_f64_e32 v[132:133], v[158:159], v[144:145]
	s_waitcnt vmcnt(6)
	v_fmac_f64_e32 v[132:133], v[160:161], v[146:147]
	s_waitcnt vmcnt(4) lgkmcnt(0)
	v_fmac_f64_e32 v[132:133], v[162:163], v[148:149]
	s_waitcnt vmcnt(2)
	v_fmac_f64_e32 v[132:133], v[136:137], v[150:151]
	ds_read_b128 v[136:139], v134 offset:928
	s_waitcnt vmcnt(0) lgkmcnt(0)
	v_fmac_f64_e32 v[132:133], v[140:141], v[136:137]
	buffer_load_dword v137, off, s[0:3], 0 offset:428
	buffer_load_dword v136, off, s[0:3], 0 offset:424
	buffer_load_dword v141, off, s[0:3], 0 offset:436
	buffer_load_dword v140, off, s[0:3], 0 offset:432
	s_waitcnt vmcnt(2)
	v_fmac_f64_e32 v[132:133], v[136:137], v[138:139]
	ds_read_b128 v[136:139], v134 offset:944
	s_waitcnt vmcnt(0) lgkmcnt(0)
	v_fmac_f64_e32 v[132:133], v[140:141], v[136:137]
	buffer_load_dword v137, off, s[0:3], 0 offset:444
	buffer_load_dword v136, off, s[0:3], 0 offset:440
	buffer_load_dword v141, off, s[0:3], 0 offset:452
	buffer_load_dword v140, off, s[0:3], 0 offset:448
	;; [unrolled: 9-line block ×4, first 2 shown]
	s_waitcnt vmcnt(2)
	v_fmac_f64_e32 v[132:133], v[136:137], v[138:139]
	ds_read_b128 v[136:139], v134 offset:992
	s_waitcnt vmcnt(0) lgkmcnt(0)
	v_fmac_f64_e32 v[132:133], v[140:141], v[136:137]
	buffer_load_dword v137, off, s[0:3], 0 offset:492
	buffer_load_dword v136, off, s[0:3], 0 offset:488
	s_waitcnt vmcnt(0)
	v_fmac_f64_e32 v[132:133], v[136:137], v[138:139]
	buffer_load_dword v139, off, s[0:3], 0 offset:500
	buffer_load_dword v138, off, s[0:3], 0 offset:496
	ds_read_b128 v[134:137], v134 offset:1008
	s_waitcnt vmcnt(0) lgkmcnt(0)
	v_fmac_f64_e32 v[132:133], v[138:139], v[134:135]
	buffer_load_dword v135, off, s[0:3], 0 offset:508
	buffer_load_dword v134, off, s[0:3], 0 offset:504
	s_waitcnt vmcnt(0)
	v_fmac_f64_e32 v[132:133], v[134:135], v[136:137]
	v_add_f64 v[130:131], v[130:131], -v[132:133]
	buffer_store_dword v131, off, s[0:3], 0 offset:348
	buffer_store_dword v130, off, s[0:3], 0 offset:344
	s_and_saveexec_b64 s[4:5], vcc
	s_cbranch_execz .LBB63_307
; %bb.306:
	buffer_load_dword v130, off, s[0:3], 0 offset:336
	buffer_load_dword v131, off, s[0:3], 0 offset:340
	v_mov_b32_e32 v132, 0
	buffer_store_dword v132, off, s[0:3], 0 offset:336
	buffer_store_dword v132, off, s[0:3], 0 offset:340
	s_waitcnt vmcnt(2)
	ds_write_b64 v1, v[130:131]
.LBB63_307:
	s_or_b64 exec, exec, s[4:5]
	s_waitcnt lgkmcnt(0)
	; wave barrier
	s_waitcnt lgkmcnt(0)
	buffer_load_dword v130, off, s[0:3], 0 offset:336
	buffer_load_dword v131, off, s[0:3], 0 offset:340
	buffer_load_dword v132, off, s[0:3], 0 offset:344
	buffer_load_dword v133, off, s[0:3], 0 offset:348
	buffer_load_dword v140, off, s[0:3], 0 offset:352
	buffer_load_dword v141, off, s[0:3], 0 offset:356
	buffer_load_dword v142, off, s[0:3], 0 offset:360
	buffer_load_dword v143, off, s[0:3], 0 offset:364
	buffer_load_dword v144, off, s[0:3], 0 offset:368
	buffer_load_dword v145, off, s[0:3], 0 offset:372
	buffer_load_dword v146, off, s[0:3], 0 offset:376
	buffer_load_dword v147, off, s[0:3], 0 offset:380
	buffer_load_dword v148, off, s[0:3], 0 offset:384
	buffer_load_dword v149, off, s[0:3], 0 offset:388
	buffer_load_dword v150, off, s[0:3], 0 offset:392
	buffer_load_dword v151, off, s[0:3], 0 offset:396
	v_mov_b32_e32 v134, 0
	ds_read2_b64 v[136:139], v134 offset0:107 offset1:108
	v_cmp_lt_u32_e32 vcc, 41, v0
	s_waitcnt vmcnt(12) lgkmcnt(0)
	v_fma_f64 v[132:133], v[132:133], v[136:137], 0
	s_waitcnt vmcnt(10)
	v_fmac_f64_e32 v[132:133], v[140:141], v[138:139]
	ds_read2_b64 v[136:139], v134 offset0:109 offset1:110
	s_waitcnt vmcnt(8) lgkmcnt(0)
	v_fmac_f64_e32 v[132:133], v[142:143], v[136:137]
	s_waitcnt vmcnt(6)
	v_fmac_f64_e32 v[132:133], v[144:145], v[138:139]
	ds_read2_b64 v[136:139], v134 offset0:111 offset1:112
	s_waitcnt vmcnt(4) lgkmcnt(0)
	v_fmac_f64_e32 v[132:133], v[146:147], v[136:137]
	;; [unrolled: 5-line block ×3, first 2 shown]
	buffer_load_dword v137, off, s[0:3], 0 offset:404
	buffer_load_dword v136, off, s[0:3], 0 offset:400
	buffer_load_dword v141, off, s[0:3], 0 offset:412
	buffer_load_dword v140, off, s[0:3], 0 offset:408
	s_waitcnt vmcnt(2)
	v_fmac_f64_e32 v[132:133], v[136:137], v[138:139]
	ds_read2_b64 v[136:139], v134 offset0:115 offset1:116
	s_waitcnt vmcnt(0) lgkmcnt(0)
	v_fmac_f64_e32 v[132:133], v[140:141], v[136:137]
	buffer_load_dword v137, off, s[0:3], 0 offset:420
	buffer_load_dword v136, off, s[0:3], 0 offset:416
	buffer_load_dword v141, off, s[0:3], 0 offset:428
	buffer_load_dword v140, off, s[0:3], 0 offset:424
	s_waitcnt vmcnt(2)
	v_fmac_f64_e32 v[132:133], v[136:137], v[138:139]
	ds_read2_b64 v[136:139], v134 offset0:117 offset1:118
	s_waitcnt vmcnt(0) lgkmcnt(0)
	v_fmac_f64_e32 v[132:133], v[140:141], v[136:137]
	;; [unrolled: 9-line block ×6, first 2 shown]
	buffer_load_dword v137, off, s[0:3], 0 offset:500
	buffer_load_dword v136, off, s[0:3], 0 offset:496
	s_waitcnt vmcnt(0)
	v_fmac_f64_e32 v[132:133], v[136:137], v[138:139]
	buffer_load_dword v137, off, s[0:3], 0 offset:508
	buffer_load_dword v136, off, s[0:3], 0 offset:504
	ds_read_b64 v[138:139], v134 offset:1016
	s_waitcnt vmcnt(0) lgkmcnt(0)
	v_fmac_f64_e32 v[132:133], v[136:137], v[138:139]
	v_add_f64 v[130:131], v[130:131], -v[132:133]
	buffer_store_dword v131, off, s[0:3], 0 offset:340
	buffer_store_dword v130, off, s[0:3], 0 offset:336
	s_and_saveexec_b64 s[4:5], vcc
	s_cbranch_execz .LBB63_309
; %bb.308:
	buffer_load_dword v130, off, s[0:3], 0 offset:328
	buffer_load_dword v131, off, s[0:3], 0 offset:332
	s_waitcnt vmcnt(0)
	ds_write_b64 v1, v[130:131]
	buffer_store_dword v134, off, s[0:3], 0 offset:328
	buffer_store_dword v134, off, s[0:3], 0 offset:332
.LBB63_309:
	s_or_b64 exec, exec, s[4:5]
	s_waitcnt lgkmcnt(0)
	; wave barrier
	s_waitcnt lgkmcnt(0)
	buffer_load_dword v130, off, s[0:3], 0 offset:328
	buffer_load_dword v131, off, s[0:3], 0 offset:332
	;; [unrolled: 1-line block ×16, first 2 shown]
	ds_read_b128 v[136:139], v134 offset:848
	ds_read_b128 v[140:143], v134 offset:864
	ds_read_b128 v[144:147], v134 offset:880
	ds_read_b128 v[148:151], v134 offset:896
	v_cmp_lt_u32_e32 vcc, 40, v0
	s_waitcnt vmcnt(12) lgkmcnt(3)
	v_fma_f64 v[132:133], v[132:133], v[136:137], 0
	buffer_load_dword v137, off, s[0:3], 0 offset:396
	buffer_load_dword v136, off, s[0:3], 0 offset:392
	s_waitcnt vmcnt(12)
	v_fmac_f64_e32 v[132:133], v[152:153], v[138:139]
	s_waitcnt vmcnt(10) lgkmcnt(2)
	v_fmac_f64_e32 v[132:133], v[154:155], v[140:141]
	buffer_load_dword v141, off, s[0:3], 0 offset:404
	buffer_load_dword v140, off, s[0:3], 0 offset:400
	s_waitcnt vmcnt(10)
	v_fmac_f64_e32 v[132:133], v[156:157], v[142:143]
	s_waitcnt vmcnt(8) lgkmcnt(1)
	v_fmac_f64_e32 v[132:133], v[158:159], v[144:145]
	s_waitcnt vmcnt(6)
	v_fmac_f64_e32 v[132:133], v[160:161], v[146:147]
	s_waitcnt vmcnt(4) lgkmcnt(0)
	v_fmac_f64_e32 v[132:133], v[162:163], v[148:149]
	s_waitcnt vmcnt(2)
	v_fmac_f64_e32 v[132:133], v[136:137], v[150:151]
	ds_read_b128 v[136:139], v134 offset:912
	s_waitcnt vmcnt(0) lgkmcnt(0)
	v_fmac_f64_e32 v[132:133], v[140:141], v[136:137]
	buffer_load_dword v137, off, s[0:3], 0 offset:412
	buffer_load_dword v136, off, s[0:3], 0 offset:408
	buffer_load_dword v141, off, s[0:3], 0 offset:420
	buffer_load_dword v140, off, s[0:3], 0 offset:416
	s_waitcnt vmcnt(2)
	v_fmac_f64_e32 v[132:133], v[136:137], v[138:139]
	ds_read_b128 v[136:139], v134 offset:928
	s_waitcnt vmcnt(0) lgkmcnt(0)
	v_fmac_f64_e32 v[132:133], v[140:141], v[136:137]
	buffer_load_dword v137, off, s[0:3], 0 offset:428
	buffer_load_dword v136, off, s[0:3], 0 offset:424
	buffer_load_dword v141, off, s[0:3], 0 offset:436
	buffer_load_dword v140, off, s[0:3], 0 offset:432
	;; [unrolled: 9-line block ×5, first 2 shown]
	s_waitcnt vmcnt(2)
	v_fmac_f64_e32 v[132:133], v[136:137], v[138:139]
	ds_read_b128 v[136:139], v134 offset:992
	s_waitcnt vmcnt(0) lgkmcnt(0)
	v_fmac_f64_e32 v[132:133], v[140:141], v[136:137]
	buffer_load_dword v137, off, s[0:3], 0 offset:492
	buffer_load_dword v136, off, s[0:3], 0 offset:488
	s_waitcnt vmcnt(0)
	v_fmac_f64_e32 v[132:133], v[136:137], v[138:139]
	buffer_load_dword v139, off, s[0:3], 0 offset:500
	buffer_load_dword v138, off, s[0:3], 0 offset:496
	ds_read_b128 v[134:137], v134 offset:1008
	s_waitcnt vmcnt(0) lgkmcnt(0)
	v_fmac_f64_e32 v[132:133], v[138:139], v[134:135]
	buffer_load_dword v135, off, s[0:3], 0 offset:508
	buffer_load_dword v134, off, s[0:3], 0 offset:504
	s_waitcnt vmcnt(0)
	v_fmac_f64_e32 v[132:133], v[134:135], v[136:137]
	v_add_f64 v[130:131], v[130:131], -v[132:133]
	buffer_store_dword v131, off, s[0:3], 0 offset:332
	buffer_store_dword v130, off, s[0:3], 0 offset:328
	s_and_saveexec_b64 s[4:5], vcc
	s_cbranch_execz .LBB63_311
; %bb.310:
	buffer_load_dword v130, off, s[0:3], 0 offset:320
	buffer_load_dword v131, off, s[0:3], 0 offset:324
	v_mov_b32_e32 v132, 0
	buffer_store_dword v132, off, s[0:3], 0 offset:320
	buffer_store_dword v132, off, s[0:3], 0 offset:324
	s_waitcnt vmcnt(2)
	ds_write_b64 v1, v[130:131]
.LBB63_311:
	s_or_b64 exec, exec, s[4:5]
	s_waitcnt lgkmcnt(0)
	; wave barrier
	s_waitcnt lgkmcnt(0)
	buffer_load_dword v130, off, s[0:3], 0 offset:320
	buffer_load_dword v131, off, s[0:3], 0 offset:324
	;; [unrolled: 1-line block ×16, first 2 shown]
	v_mov_b32_e32 v134, 0
	ds_read2_b64 v[136:139], v134 offset0:105 offset1:106
	v_cmp_lt_u32_e32 vcc, 39, v0
	s_waitcnt vmcnt(12) lgkmcnt(0)
	v_fma_f64 v[132:133], v[132:133], v[136:137], 0
	s_waitcnt vmcnt(10)
	v_fmac_f64_e32 v[132:133], v[140:141], v[138:139]
	ds_read2_b64 v[136:139], v134 offset0:107 offset1:108
	s_waitcnt vmcnt(8) lgkmcnt(0)
	v_fmac_f64_e32 v[132:133], v[142:143], v[136:137]
	s_waitcnt vmcnt(6)
	v_fmac_f64_e32 v[132:133], v[144:145], v[138:139]
	ds_read2_b64 v[136:139], v134 offset0:109 offset1:110
	s_waitcnt vmcnt(4) lgkmcnt(0)
	v_fmac_f64_e32 v[132:133], v[146:147], v[136:137]
	;; [unrolled: 5-line block ×3, first 2 shown]
	buffer_load_dword v137, off, s[0:3], 0 offset:388
	buffer_load_dword v136, off, s[0:3], 0 offset:384
	buffer_load_dword v141, off, s[0:3], 0 offset:396
	buffer_load_dword v140, off, s[0:3], 0 offset:392
	s_waitcnt vmcnt(2)
	v_fmac_f64_e32 v[132:133], v[136:137], v[138:139]
	ds_read2_b64 v[136:139], v134 offset0:113 offset1:114
	s_waitcnt vmcnt(0) lgkmcnt(0)
	v_fmac_f64_e32 v[132:133], v[140:141], v[136:137]
	buffer_load_dword v137, off, s[0:3], 0 offset:404
	buffer_load_dword v136, off, s[0:3], 0 offset:400
	buffer_load_dword v141, off, s[0:3], 0 offset:412
	buffer_load_dword v140, off, s[0:3], 0 offset:408
	s_waitcnt vmcnt(2)
	v_fmac_f64_e32 v[132:133], v[136:137], v[138:139]
	ds_read2_b64 v[136:139], v134 offset0:115 offset1:116
	s_waitcnt vmcnt(0) lgkmcnt(0)
	v_fmac_f64_e32 v[132:133], v[140:141], v[136:137]
	;; [unrolled: 9-line block ×7, first 2 shown]
	buffer_load_dword v137, off, s[0:3], 0 offset:500
	buffer_load_dword v136, off, s[0:3], 0 offset:496
	s_waitcnt vmcnt(0)
	v_fmac_f64_e32 v[132:133], v[136:137], v[138:139]
	buffer_load_dword v137, off, s[0:3], 0 offset:508
	buffer_load_dword v136, off, s[0:3], 0 offset:504
	ds_read_b64 v[138:139], v134 offset:1016
	s_waitcnt vmcnt(0) lgkmcnt(0)
	v_fmac_f64_e32 v[132:133], v[136:137], v[138:139]
	v_add_f64 v[130:131], v[130:131], -v[132:133]
	buffer_store_dword v131, off, s[0:3], 0 offset:324
	buffer_store_dword v130, off, s[0:3], 0 offset:320
	s_and_saveexec_b64 s[4:5], vcc
	s_cbranch_execz .LBB63_313
; %bb.312:
	buffer_load_dword v130, off, s[0:3], 0 offset:312
	buffer_load_dword v131, off, s[0:3], 0 offset:316
	s_waitcnt vmcnt(0)
	ds_write_b64 v1, v[130:131]
	buffer_store_dword v134, off, s[0:3], 0 offset:312
	buffer_store_dword v134, off, s[0:3], 0 offset:316
.LBB63_313:
	s_or_b64 exec, exec, s[4:5]
	s_waitcnt lgkmcnt(0)
	; wave barrier
	s_waitcnt lgkmcnt(0)
	buffer_load_dword v130, off, s[0:3], 0 offset:312
	buffer_load_dword v131, off, s[0:3], 0 offset:316
	;; [unrolled: 1-line block ×16, first 2 shown]
	ds_read_b128 v[136:139], v134 offset:832
	ds_read_b128 v[140:143], v134 offset:848
	ds_read_b128 v[144:147], v134 offset:864
	ds_read_b128 v[148:151], v134 offset:880
	v_cmp_lt_u32_e32 vcc, 38, v0
	s_waitcnt vmcnt(12) lgkmcnt(3)
	v_fma_f64 v[132:133], v[132:133], v[136:137], 0
	buffer_load_dword v137, off, s[0:3], 0 offset:380
	buffer_load_dword v136, off, s[0:3], 0 offset:376
	s_waitcnt vmcnt(12)
	v_fmac_f64_e32 v[132:133], v[152:153], v[138:139]
	s_waitcnt vmcnt(10) lgkmcnt(2)
	v_fmac_f64_e32 v[132:133], v[154:155], v[140:141]
	buffer_load_dword v141, off, s[0:3], 0 offset:388
	buffer_load_dword v140, off, s[0:3], 0 offset:384
	s_waitcnt vmcnt(10)
	v_fmac_f64_e32 v[132:133], v[156:157], v[142:143]
	s_waitcnt vmcnt(8) lgkmcnt(1)
	v_fmac_f64_e32 v[132:133], v[158:159], v[144:145]
	s_waitcnt vmcnt(6)
	v_fmac_f64_e32 v[132:133], v[160:161], v[146:147]
	s_waitcnt vmcnt(4) lgkmcnt(0)
	v_fmac_f64_e32 v[132:133], v[162:163], v[148:149]
	s_waitcnt vmcnt(2)
	v_fmac_f64_e32 v[132:133], v[136:137], v[150:151]
	ds_read_b128 v[136:139], v134 offset:896
	s_waitcnt vmcnt(0) lgkmcnt(0)
	v_fmac_f64_e32 v[132:133], v[140:141], v[136:137]
	buffer_load_dword v137, off, s[0:3], 0 offset:396
	buffer_load_dword v136, off, s[0:3], 0 offset:392
	buffer_load_dword v141, off, s[0:3], 0 offset:404
	buffer_load_dword v140, off, s[0:3], 0 offset:400
	s_waitcnt vmcnt(2)
	v_fmac_f64_e32 v[132:133], v[136:137], v[138:139]
	ds_read_b128 v[136:139], v134 offset:912
	s_waitcnt vmcnt(0) lgkmcnt(0)
	v_fmac_f64_e32 v[132:133], v[140:141], v[136:137]
	buffer_load_dword v137, off, s[0:3], 0 offset:412
	buffer_load_dword v136, off, s[0:3], 0 offset:408
	buffer_load_dword v141, off, s[0:3], 0 offset:420
	buffer_load_dword v140, off, s[0:3], 0 offset:416
	;; [unrolled: 9-line block ×6, first 2 shown]
	s_waitcnt vmcnt(2)
	v_fmac_f64_e32 v[132:133], v[136:137], v[138:139]
	ds_read_b128 v[136:139], v134 offset:992
	s_waitcnt vmcnt(0) lgkmcnt(0)
	v_fmac_f64_e32 v[132:133], v[140:141], v[136:137]
	buffer_load_dword v137, off, s[0:3], 0 offset:492
	buffer_load_dword v136, off, s[0:3], 0 offset:488
	s_waitcnt vmcnt(0)
	v_fmac_f64_e32 v[132:133], v[136:137], v[138:139]
	buffer_load_dword v139, off, s[0:3], 0 offset:500
	buffer_load_dword v138, off, s[0:3], 0 offset:496
	ds_read_b128 v[134:137], v134 offset:1008
	s_waitcnt vmcnt(0) lgkmcnt(0)
	v_fmac_f64_e32 v[132:133], v[138:139], v[134:135]
	buffer_load_dword v135, off, s[0:3], 0 offset:508
	buffer_load_dword v134, off, s[0:3], 0 offset:504
	s_waitcnt vmcnt(0)
	v_fmac_f64_e32 v[132:133], v[134:135], v[136:137]
	v_add_f64 v[130:131], v[130:131], -v[132:133]
	buffer_store_dword v131, off, s[0:3], 0 offset:316
	buffer_store_dword v130, off, s[0:3], 0 offset:312
	s_and_saveexec_b64 s[4:5], vcc
	s_cbranch_execz .LBB63_315
; %bb.314:
	buffer_load_dword v130, off, s[0:3], 0 offset:304
	buffer_load_dword v131, off, s[0:3], 0 offset:308
	v_mov_b32_e32 v132, 0
	buffer_store_dword v132, off, s[0:3], 0 offset:304
	buffer_store_dword v132, off, s[0:3], 0 offset:308
	s_waitcnt vmcnt(2)
	ds_write_b64 v1, v[130:131]
.LBB63_315:
	s_or_b64 exec, exec, s[4:5]
	s_waitcnt lgkmcnt(0)
	; wave barrier
	s_waitcnt lgkmcnt(0)
	buffer_load_dword v130, off, s[0:3], 0 offset:304
	buffer_load_dword v131, off, s[0:3], 0 offset:308
	;; [unrolled: 1-line block ×16, first 2 shown]
	v_mov_b32_e32 v134, 0
	ds_read2_b64 v[136:139], v134 offset0:103 offset1:104
	v_cmp_lt_u32_e32 vcc, 37, v0
	s_waitcnt vmcnt(12) lgkmcnt(0)
	v_fma_f64 v[132:133], v[132:133], v[136:137], 0
	s_waitcnt vmcnt(10)
	v_fmac_f64_e32 v[132:133], v[140:141], v[138:139]
	ds_read2_b64 v[136:139], v134 offset0:105 offset1:106
	s_waitcnt vmcnt(8) lgkmcnt(0)
	v_fmac_f64_e32 v[132:133], v[142:143], v[136:137]
	s_waitcnt vmcnt(6)
	v_fmac_f64_e32 v[132:133], v[144:145], v[138:139]
	ds_read2_b64 v[136:139], v134 offset0:107 offset1:108
	s_waitcnt vmcnt(4) lgkmcnt(0)
	v_fmac_f64_e32 v[132:133], v[146:147], v[136:137]
	;; [unrolled: 5-line block ×3, first 2 shown]
	buffer_load_dword v137, off, s[0:3], 0 offset:372
	buffer_load_dword v136, off, s[0:3], 0 offset:368
	buffer_load_dword v141, off, s[0:3], 0 offset:380
	buffer_load_dword v140, off, s[0:3], 0 offset:376
	s_waitcnt vmcnt(2)
	v_fmac_f64_e32 v[132:133], v[136:137], v[138:139]
	ds_read2_b64 v[136:139], v134 offset0:111 offset1:112
	s_waitcnt vmcnt(0) lgkmcnt(0)
	v_fmac_f64_e32 v[132:133], v[140:141], v[136:137]
	buffer_load_dword v137, off, s[0:3], 0 offset:388
	buffer_load_dword v136, off, s[0:3], 0 offset:384
	buffer_load_dword v141, off, s[0:3], 0 offset:396
	buffer_load_dword v140, off, s[0:3], 0 offset:392
	s_waitcnt vmcnt(2)
	v_fmac_f64_e32 v[132:133], v[136:137], v[138:139]
	ds_read2_b64 v[136:139], v134 offset0:113 offset1:114
	s_waitcnt vmcnt(0) lgkmcnt(0)
	v_fmac_f64_e32 v[132:133], v[140:141], v[136:137]
	;; [unrolled: 9-line block ×8, first 2 shown]
	buffer_load_dword v137, off, s[0:3], 0 offset:500
	buffer_load_dword v136, off, s[0:3], 0 offset:496
	s_waitcnt vmcnt(0)
	v_fmac_f64_e32 v[132:133], v[136:137], v[138:139]
	buffer_load_dword v137, off, s[0:3], 0 offset:508
	buffer_load_dword v136, off, s[0:3], 0 offset:504
	ds_read_b64 v[138:139], v134 offset:1016
	s_waitcnt vmcnt(0) lgkmcnt(0)
	v_fmac_f64_e32 v[132:133], v[136:137], v[138:139]
	v_add_f64 v[130:131], v[130:131], -v[132:133]
	buffer_store_dword v131, off, s[0:3], 0 offset:308
	buffer_store_dword v130, off, s[0:3], 0 offset:304
	s_and_saveexec_b64 s[4:5], vcc
	s_cbranch_execz .LBB63_317
; %bb.316:
	buffer_load_dword v130, off, s[0:3], 0 offset:296
	buffer_load_dword v131, off, s[0:3], 0 offset:300
	s_waitcnt vmcnt(0)
	ds_write_b64 v1, v[130:131]
	buffer_store_dword v134, off, s[0:3], 0 offset:296
	buffer_store_dword v134, off, s[0:3], 0 offset:300
.LBB63_317:
	s_or_b64 exec, exec, s[4:5]
	s_waitcnt lgkmcnt(0)
	; wave barrier
	s_waitcnt lgkmcnt(0)
	buffer_load_dword v130, off, s[0:3], 0 offset:296
	buffer_load_dword v131, off, s[0:3], 0 offset:300
	;; [unrolled: 1-line block ×16, first 2 shown]
	ds_read_b128 v[136:139], v134 offset:816
	ds_read_b128 v[140:143], v134 offset:832
	;; [unrolled: 1-line block ×4, first 2 shown]
	v_cmp_lt_u32_e32 vcc, 36, v0
	s_waitcnt vmcnt(12) lgkmcnt(3)
	v_fma_f64 v[132:133], v[132:133], v[136:137], 0
	buffer_load_dword v137, off, s[0:3], 0 offset:364
	buffer_load_dword v136, off, s[0:3], 0 offset:360
	s_waitcnt vmcnt(12)
	v_fmac_f64_e32 v[132:133], v[152:153], v[138:139]
	s_waitcnt vmcnt(10) lgkmcnt(2)
	v_fmac_f64_e32 v[132:133], v[154:155], v[140:141]
	buffer_load_dword v141, off, s[0:3], 0 offset:372
	buffer_load_dword v140, off, s[0:3], 0 offset:368
	s_waitcnt vmcnt(10)
	v_fmac_f64_e32 v[132:133], v[156:157], v[142:143]
	s_waitcnt vmcnt(8) lgkmcnt(1)
	v_fmac_f64_e32 v[132:133], v[158:159], v[144:145]
	s_waitcnt vmcnt(6)
	v_fmac_f64_e32 v[132:133], v[160:161], v[146:147]
	s_waitcnt vmcnt(4) lgkmcnt(0)
	v_fmac_f64_e32 v[132:133], v[162:163], v[148:149]
	s_waitcnt vmcnt(2)
	v_fmac_f64_e32 v[132:133], v[136:137], v[150:151]
	ds_read_b128 v[136:139], v134 offset:880
	s_waitcnt vmcnt(0) lgkmcnt(0)
	v_fmac_f64_e32 v[132:133], v[140:141], v[136:137]
	buffer_load_dword v137, off, s[0:3], 0 offset:380
	buffer_load_dword v136, off, s[0:3], 0 offset:376
	buffer_load_dword v141, off, s[0:3], 0 offset:388
	buffer_load_dword v140, off, s[0:3], 0 offset:384
	s_waitcnt vmcnt(2)
	v_fmac_f64_e32 v[132:133], v[136:137], v[138:139]
	ds_read_b128 v[136:139], v134 offset:896
	s_waitcnt vmcnt(0) lgkmcnt(0)
	v_fmac_f64_e32 v[132:133], v[140:141], v[136:137]
	buffer_load_dword v137, off, s[0:3], 0 offset:396
	buffer_load_dword v136, off, s[0:3], 0 offset:392
	buffer_load_dword v141, off, s[0:3], 0 offset:404
	buffer_load_dword v140, off, s[0:3], 0 offset:400
	;; [unrolled: 9-line block ×7, first 2 shown]
	s_waitcnt vmcnt(2)
	v_fmac_f64_e32 v[132:133], v[136:137], v[138:139]
	ds_read_b128 v[136:139], v134 offset:992
	s_waitcnt vmcnt(0) lgkmcnt(0)
	v_fmac_f64_e32 v[132:133], v[140:141], v[136:137]
	buffer_load_dword v137, off, s[0:3], 0 offset:492
	buffer_load_dword v136, off, s[0:3], 0 offset:488
	s_waitcnt vmcnt(0)
	v_fmac_f64_e32 v[132:133], v[136:137], v[138:139]
	buffer_load_dword v139, off, s[0:3], 0 offset:500
	buffer_load_dword v138, off, s[0:3], 0 offset:496
	ds_read_b128 v[134:137], v134 offset:1008
	s_waitcnt vmcnt(0) lgkmcnt(0)
	v_fmac_f64_e32 v[132:133], v[138:139], v[134:135]
	buffer_load_dword v135, off, s[0:3], 0 offset:508
	buffer_load_dword v134, off, s[0:3], 0 offset:504
	s_waitcnt vmcnt(0)
	v_fmac_f64_e32 v[132:133], v[134:135], v[136:137]
	v_add_f64 v[130:131], v[130:131], -v[132:133]
	buffer_store_dword v131, off, s[0:3], 0 offset:300
	buffer_store_dword v130, off, s[0:3], 0 offset:296
	s_and_saveexec_b64 s[4:5], vcc
	s_cbranch_execz .LBB63_319
; %bb.318:
	buffer_load_dword v130, off, s[0:3], 0 offset:288
	buffer_load_dword v131, off, s[0:3], 0 offset:292
	v_mov_b32_e32 v132, 0
	buffer_store_dword v132, off, s[0:3], 0 offset:288
	buffer_store_dword v132, off, s[0:3], 0 offset:292
	s_waitcnt vmcnt(2)
	ds_write_b64 v1, v[130:131]
.LBB63_319:
	s_or_b64 exec, exec, s[4:5]
	s_waitcnt lgkmcnt(0)
	; wave barrier
	s_waitcnt lgkmcnt(0)
	buffer_load_dword v130, off, s[0:3], 0 offset:288
	buffer_load_dword v131, off, s[0:3], 0 offset:292
	;; [unrolled: 1-line block ×16, first 2 shown]
	v_mov_b32_e32 v134, 0
	ds_read2_b64 v[136:139], v134 offset0:101 offset1:102
	v_cmp_lt_u32_e32 vcc, 35, v0
	s_waitcnt vmcnt(12) lgkmcnt(0)
	v_fma_f64 v[132:133], v[132:133], v[136:137], 0
	s_waitcnt vmcnt(10)
	v_fmac_f64_e32 v[132:133], v[140:141], v[138:139]
	ds_read2_b64 v[136:139], v134 offset0:103 offset1:104
	s_waitcnt vmcnt(8) lgkmcnt(0)
	v_fmac_f64_e32 v[132:133], v[142:143], v[136:137]
	s_waitcnt vmcnt(6)
	v_fmac_f64_e32 v[132:133], v[144:145], v[138:139]
	ds_read2_b64 v[136:139], v134 offset0:105 offset1:106
	s_waitcnt vmcnt(4) lgkmcnt(0)
	v_fmac_f64_e32 v[132:133], v[146:147], v[136:137]
	;; [unrolled: 5-line block ×3, first 2 shown]
	buffer_load_dword v137, off, s[0:3], 0 offset:356
	buffer_load_dword v136, off, s[0:3], 0 offset:352
	buffer_load_dword v141, off, s[0:3], 0 offset:364
	buffer_load_dword v140, off, s[0:3], 0 offset:360
	s_waitcnt vmcnt(2)
	v_fmac_f64_e32 v[132:133], v[136:137], v[138:139]
	ds_read2_b64 v[136:139], v134 offset0:109 offset1:110
	s_waitcnt vmcnt(0) lgkmcnt(0)
	v_fmac_f64_e32 v[132:133], v[140:141], v[136:137]
	buffer_load_dword v137, off, s[0:3], 0 offset:372
	buffer_load_dword v136, off, s[0:3], 0 offset:368
	buffer_load_dword v141, off, s[0:3], 0 offset:380
	buffer_load_dword v140, off, s[0:3], 0 offset:376
	s_waitcnt vmcnt(2)
	v_fmac_f64_e32 v[132:133], v[136:137], v[138:139]
	ds_read2_b64 v[136:139], v134 offset0:111 offset1:112
	s_waitcnt vmcnt(0) lgkmcnt(0)
	v_fmac_f64_e32 v[132:133], v[140:141], v[136:137]
	;; [unrolled: 9-line block ×9, first 2 shown]
	buffer_load_dword v137, off, s[0:3], 0 offset:500
	buffer_load_dword v136, off, s[0:3], 0 offset:496
	s_waitcnt vmcnt(0)
	v_fmac_f64_e32 v[132:133], v[136:137], v[138:139]
	buffer_load_dword v137, off, s[0:3], 0 offset:508
	buffer_load_dword v136, off, s[0:3], 0 offset:504
	ds_read_b64 v[138:139], v134 offset:1016
	s_waitcnt vmcnt(0) lgkmcnt(0)
	v_fmac_f64_e32 v[132:133], v[136:137], v[138:139]
	v_add_f64 v[130:131], v[130:131], -v[132:133]
	buffer_store_dword v131, off, s[0:3], 0 offset:292
	buffer_store_dword v130, off, s[0:3], 0 offset:288
	s_and_saveexec_b64 s[4:5], vcc
	s_cbranch_execz .LBB63_321
; %bb.320:
	buffer_load_dword v130, off, s[0:3], 0 offset:280
	buffer_load_dword v131, off, s[0:3], 0 offset:284
	s_waitcnt vmcnt(0)
	ds_write_b64 v1, v[130:131]
	buffer_store_dword v134, off, s[0:3], 0 offset:280
	buffer_store_dword v134, off, s[0:3], 0 offset:284
.LBB63_321:
	s_or_b64 exec, exec, s[4:5]
	s_waitcnt lgkmcnt(0)
	; wave barrier
	s_waitcnt lgkmcnt(0)
	buffer_load_dword v130, off, s[0:3], 0 offset:280
	buffer_load_dword v131, off, s[0:3], 0 offset:284
	;; [unrolled: 1-line block ×16, first 2 shown]
	ds_read_b128 v[136:139], v134 offset:800
	ds_read_b128 v[140:143], v134 offset:816
	;; [unrolled: 1-line block ×4, first 2 shown]
	v_cmp_lt_u32_e32 vcc, 34, v0
	s_waitcnt vmcnt(12) lgkmcnt(3)
	v_fma_f64 v[132:133], v[132:133], v[136:137], 0
	buffer_load_dword v137, off, s[0:3], 0 offset:348
	buffer_load_dword v136, off, s[0:3], 0 offset:344
	s_waitcnt vmcnt(12)
	v_fmac_f64_e32 v[132:133], v[152:153], v[138:139]
	s_waitcnt vmcnt(10) lgkmcnt(2)
	v_fmac_f64_e32 v[132:133], v[154:155], v[140:141]
	buffer_load_dword v141, off, s[0:3], 0 offset:356
	buffer_load_dword v140, off, s[0:3], 0 offset:352
	s_waitcnt vmcnt(10)
	v_fmac_f64_e32 v[132:133], v[156:157], v[142:143]
	s_waitcnt vmcnt(8) lgkmcnt(1)
	v_fmac_f64_e32 v[132:133], v[158:159], v[144:145]
	s_waitcnt vmcnt(6)
	v_fmac_f64_e32 v[132:133], v[160:161], v[146:147]
	s_waitcnt vmcnt(4) lgkmcnt(0)
	v_fmac_f64_e32 v[132:133], v[162:163], v[148:149]
	s_waitcnt vmcnt(2)
	v_fmac_f64_e32 v[132:133], v[136:137], v[150:151]
	ds_read_b128 v[136:139], v134 offset:864
	s_waitcnt vmcnt(0) lgkmcnt(0)
	v_fmac_f64_e32 v[132:133], v[140:141], v[136:137]
	buffer_load_dword v137, off, s[0:3], 0 offset:364
	buffer_load_dword v136, off, s[0:3], 0 offset:360
	buffer_load_dword v141, off, s[0:3], 0 offset:372
	buffer_load_dword v140, off, s[0:3], 0 offset:368
	s_waitcnt vmcnt(2)
	v_fmac_f64_e32 v[132:133], v[136:137], v[138:139]
	ds_read_b128 v[136:139], v134 offset:880
	s_waitcnt vmcnt(0) lgkmcnt(0)
	v_fmac_f64_e32 v[132:133], v[140:141], v[136:137]
	buffer_load_dword v137, off, s[0:3], 0 offset:380
	buffer_load_dword v136, off, s[0:3], 0 offset:376
	buffer_load_dword v141, off, s[0:3], 0 offset:388
	buffer_load_dword v140, off, s[0:3], 0 offset:384
	s_waitcnt vmcnt(2)
	v_fmac_f64_e32 v[132:133], v[136:137], v[138:139]
	ds_read_b128 v[136:139], v134 offset:896
	s_waitcnt vmcnt(0) lgkmcnt(0)
	v_fmac_f64_e32 v[132:133], v[140:141], v[136:137]
	buffer_load_dword v137, off, s[0:3], 0 offset:396
	buffer_load_dword v136, off, s[0:3], 0 offset:392
	buffer_load_dword v141, off, s[0:3], 0 offset:404
	buffer_load_dword v140, off, s[0:3], 0 offset:400
	s_waitcnt vmcnt(2)
	v_fmac_f64_e32 v[132:133], v[136:137], v[138:139]
	ds_read_b128 v[136:139], v134 offset:912
	s_waitcnt vmcnt(0) lgkmcnt(0)
	v_fmac_f64_e32 v[132:133], v[140:141], v[136:137]
	buffer_load_dword v137, off, s[0:3], 0 offset:412
	buffer_load_dword v136, off, s[0:3], 0 offset:408
	buffer_load_dword v141, off, s[0:3], 0 offset:420
	buffer_load_dword v140, off, s[0:3], 0 offset:416
	s_waitcnt vmcnt(2)
	v_fmac_f64_e32 v[132:133], v[136:137], v[138:139]
	ds_read_b128 v[136:139], v134 offset:928
	s_waitcnt vmcnt(0) lgkmcnt(0)
	v_fmac_f64_e32 v[132:133], v[140:141], v[136:137]
	buffer_load_dword v137, off, s[0:3], 0 offset:428
	buffer_load_dword v136, off, s[0:3], 0 offset:424
	buffer_load_dword v141, off, s[0:3], 0 offset:436
	buffer_load_dword v140, off, s[0:3], 0 offset:432
	s_waitcnt vmcnt(2)
	v_fmac_f64_e32 v[132:133], v[136:137], v[138:139]
	ds_read_b128 v[136:139], v134 offset:944
	s_waitcnt vmcnt(0) lgkmcnt(0)
	v_fmac_f64_e32 v[132:133], v[140:141], v[136:137]
	buffer_load_dword v137, off, s[0:3], 0 offset:444
	buffer_load_dword v136, off, s[0:3], 0 offset:440
	buffer_load_dword v141, off, s[0:3], 0 offset:452
	buffer_load_dword v140, off, s[0:3], 0 offset:448
	s_waitcnt vmcnt(2)
	v_fmac_f64_e32 v[132:133], v[136:137], v[138:139]
	ds_read_b128 v[136:139], v134 offset:960
	s_waitcnt vmcnt(0) lgkmcnt(0)
	v_fmac_f64_e32 v[132:133], v[140:141], v[136:137]
	buffer_load_dword v137, off, s[0:3], 0 offset:460
	buffer_load_dword v136, off, s[0:3], 0 offset:456
	buffer_load_dword v141, off, s[0:3], 0 offset:468
	buffer_load_dword v140, off, s[0:3], 0 offset:464
	s_waitcnt vmcnt(2)
	v_fmac_f64_e32 v[132:133], v[136:137], v[138:139]
	ds_read_b128 v[136:139], v134 offset:976
	s_waitcnt vmcnt(0) lgkmcnt(0)
	v_fmac_f64_e32 v[132:133], v[140:141], v[136:137]
	buffer_load_dword v137, off, s[0:3], 0 offset:476
	buffer_load_dword v136, off, s[0:3], 0 offset:472
	buffer_load_dword v141, off, s[0:3], 0 offset:484
	buffer_load_dword v140, off, s[0:3], 0 offset:480
	s_waitcnt vmcnt(2)
	v_fmac_f64_e32 v[132:133], v[136:137], v[138:139]
	ds_read_b128 v[136:139], v134 offset:992
	s_waitcnt vmcnt(0) lgkmcnt(0)
	v_fmac_f64_e32 v[132:133], v[140:141], v[136:137]
	buffer_load_dword v137, off, s[0:3], 0 offset:492
	buffer_load_dword v136, off, s[0:3], 0 offset:488
	s_waitcnt vmcnt(0)
	v_fmac_f64_e32 v[132:133], v[136:137], v[138:139]
	buffer_load_dword v139, off, s[0:3], 0 offset:500
	buffer_load_dword v138, off, s[0:3], 0 offset:496
	ds_read_b128 v[134:137], v134 offset:1008
	s_waitcnt vmcnt(0) lgkmcnt(0)
	v_fmac_f64_e32 v[132:133], v[138:139], v[134:135]
	buffer_load_dword v135, off, s[0:3], 0 offset:508
	buffer_load_dword v134, off, s[0:3], 0 offset:504
	s_waitcnt vmcnt(0)
	v_fmac_f64_e32 v[132:133], v[134:135], v[136:137]
	v_add_f64 v[130:131], v[130:131], -v[132:133]
	buffer_store_dword v131, off, s[0:3], 0 offset:284
	buffer_store_dword v130, off, s[0:3], 0 offset:280
	s_and_saveexec_b64 s[4:5], vcc
	s_cbranch_execz .LBB63_323
; %bb.322:
	buffer_load_dword v130, off, s[0:3], 0 offset:272
	buffer_load_dword v131, off, s[0:3], 0 offset:276
	v_mov_b32_e32 v132, 0
	buffer_store_dword v132, off, s[0:3], 0 offset:272
	buffer_store_dword v132, off, s[0:3], 0 offset:276
	s_waitcnt vmcnt(2)
	ds_write_b64 v1, v[130:131]
.LBB63_323:
	s_or_b64 exec, exec, s[4:5]
	s_waitcnt lgkmcnt(0)
	; wave barrier
	s_waitcnt lgkmcnt(0)
	buffer_load_dword v130, off, s[0:3], 0 offset:272
	buffer_load_dword v131, off, s[0:3], 0 offset:276
	;; [unrolled: 1-line block ×16, first 2 shown]
	v_mov_b32_e32 v134, 0
	ds_read2_b64 v[136:139], v134 offset0:99 offset1:100
	v_cmp_lt_u32_e32 vcc, 33, v0
	s_waitcnt vmcnt(12) lgkmcnt(0)
	v_fma_f64 v[132:133], v[132:133], v[136:137], 0
	s_waitcnt vmcnt(10)
	v_fmac_f64_e32 v[132:133], v[140:141], v[138:139]
	ds_read2_b64 v[136:139], v134 offset0:101 offset1:102
	s_waitcnt vmcnt(8) lgkmcnt(0)
	v_fmac_f64_e32 v[132:133], v[142:143], v[136:137]
	s_waitcnt vmcnt(6)
	v_fmac_f64_e32 v[132:133], v[144:145], v[138:139]
	ds_read2_b64 v[136:139], v134 offset0:103 offset1:104
	s_waitcnt vmcnt(4) lgkmcnt(0)
	v_fmac_f64_e32 v[132:133], v[146:147], v[136:137]
	s_waitcnt vmcnt(2)
	v_fmac_f64_e32 v[132:133], v[148:149], v[138:139]
	ds_read2_b64 v[136:139], v134 offset0:105 offset1:106
	s_waitcnt vmcnt(0) lgkmcnt(0)
	v_fmac_f64_e32 v[132:133], v[150:151], v[136:137]
	buffer_load_dword v137, off, s[0:3], 0 offset:340
	buffer_load_dword v136, off, s[0:3], 0 offset:336
	buffer_load_dword v141, off, s[0:3], 0 offset:348
	buffer_load_dword v140, off, s[0:3], 0 offset:344
	s_waitcnt vmcnt(2)
	v_fmac_f64_e32 v[132:133], v[136:137], v[138:139]
	ds_read2_b64 v[136:139], v134 offset0:107 offset1:108
	s_waitcnt vmcnt(0) lgkmcnt(0)
	v_fmac_f64_e32 v[132:133], v[140:141], v[136:137]
	buffer_load_dword v137, off, s[0:3], 0 offset:356
	buffer_load_dword v136, off, s[0:3], 0 offset:352
	buffer_load_dword v141, off, s[0:3], 0 offset:364
	buffer_load_dword v140, off, s[0:3], 0 offset:360
	s_waitcnt vmcnt(2)
	v_fmac_f64_e32 v[132:133], v[136:137], v[138:139]
	ds_read2_b64 v[136:139], v134 offset0:109 offset1:110
	s_waitcnt vmcnt(0) lgkmcnt(0)
	v_fmac_f64_e32 v[132:133], v[140:141], v[136:137]
	;; [unrolled: 9-line block ×10, first 2 shown]
	buffer_load_dword v137, off, s[0:3], 0 offset:500
	buffer_load_dword v136, off, s[0:3], 0 offset:496
	s_waitcnt vmcnt(0)
	v_fmac_f64_e32 v[132:133], v[136:137], v[138:139]
	buffer_load_dword v137, off, s[0:3], 0 offset:508
	buffer_load_dword v136, off, s[0:3], 0 offset:504
	ds_read_b64 v[138:139], v134 offset:1016
	s_waitcnt vmcnt(0) lgkmcnt(0)
	v_fmac_f64_e32 v[132:133], v[136:137], v[138:139]
	v_add_f64 v[130:131], v[130:131], -v[132:133]
	buffer_store_dword v131, off, s[0:3], 0 offset:276
	buffer_store_dword v130, off, s[0:3], 0 offset:272
	s_and_saveexec_b64 s[4:5], vcc
	s_cbranch_execz .LBB63_325
; %bb.324:
	buffer_load_dword v130, off, s[0:3], 0 offset:264
	buffer_load_dword v131, off, s[0:3], 0 offset:268
	s_waitcnt vmcnt(0)
	ds_write_b64 v1, v[130:131]
	buffer_store_dword v134, off, s[0:3], 0 offset:264
	buffer_store_dword v134, off, s[0:3], 0 offset:268
.LBB63_325:
	s_or_b64 exec, exec, s[4:5]
	s_waitcnt lgkmcnt(0)
	; wave barrier
	s_waitcnt lgkmcnt(0)
	buffer_load_dword v130, off, s[0:3], 0 offset:264
	buffer_load_dword v131, off, s[0:3], 0 offset:268
	;; [unrolled: 1-line block ×16, first 2 shown]
	ds_read_b128 v[136:139], v134 offset:784
	ds_read_b128 v[140:143], v134 offset:800
	;; [unrolled: 1-line block ×4, first 2 shown]
	v_cmp_lt_u32_e32 vcc, 32, v0
	s_waitcnt vmcnt(12) lgkmcnt(3)
	v_fma_f64 v[132:133], v[132:133], v[136:137], 0
	buffer_load_dword v137, off, s[0:3], 0 offset:332
	buffer_load_dword v136, off, s[0:3], 0 offset:328
	s_waitcnt vmcnt(12)
	v_fmac_f64_e32 v[132:133], v[152:153], v[138:139]
	s_waitcnt vmcnt(10) lgkmcnt(2)
	v_fmac_f64_e32 v[132:133], v[154:155], v[140:141]
	buffer_load_dword v141, off, s[0:3], 0 offset:340
	buffer_load_dword v140, off, s[0:3], 0 offset:336
	s_waitcnt vmcnt(10)
	v_fmac_f64_e32 v[132:133], v[156:157], v[142:143]
	s_waitcnt vmcnt(8) lgkmcnt(1)
	v_fmac_f64_e32 v[132:133], v[158:159], v[144:145]
	s_waitcnt vmcnt(6)
	v_fmac_f64_e32 v[132:133], v[160:161], v[146:147]
	s_waitcnt vmcnt(4) lgkmcnt(0)
	v_fmac_f64_e32 v[132:133], v[162:163], v[148:149]
	s_waitcnt vmcnt(2)
	v_fmac_f64_e32 v[132:133], v[136:137], v[150:151]
	ds_read_b128 v[136:139], v134 offset:848
	s_waitcnt vmcnt(0) lgkmcnt(0)
	v_fmac_f64_e32 v[132:133], v[140:141], v[136:137]
	buffer_load_dword v137, off, s[0:3], 0 offset:348
	buffer_load_dword v136, off, s[0:3], 0 offset:344
	buffer_load_dword v141, off, s[0:3], 0 offset:356
	buffer_load_dword v140, off, s[0:3], 0 offset:352
	s_waitcnt vmcnt(2)
	v_fmac_f64_e32 v[132:133], v[136:137], v[138:139]
	ds_read_b128 v[136:139], v134 offset:864
	s_waitcnt vmcnt(0) lgkmcnt(0)
	v_fmac_f64_e32 v[132:133], v[140:141], v[136:137]
	buffer_load_dword v137, off, s[0:3], 0 offset:364
	buffer_load_dword v136, off, s[0:3], 0 offset:360
	buffer_load_dword v141, off, s[0:3], 0 offset:372
	buffer_load_dword v140, off, s[0:3], 0 offset:368
	;; [unrolled: 9-line block ×9, first 2 shown]
	s_waitcnt vmcnt(2)
	v_fmac_f64_e32 v[132:133], v[136:137], v[138:139]
	ds_read_b128 v[136:139], v134 offset:992
	s_waitcnt vmcnt(0) lgkmcnt(0)
	v_fmac_f64_e32 v[132:133], v[140:141], v[136:137]
	buffer_load_dword v137, off, s[0:3], 0 offset:492
	buffer_load_dword v136, off, s[0:3], 0 offset:488
	s_waitcnt vmcnt(0)
	v_fmac_f64_e32 v[132:133], v[136:137], v[138:139]
	buffer_load_dword v139, off, s[0:3], 0 offset:500
	buffer_load_dword v138, off, s[0:3], 0 offset:496
	ds_read_b128 v[134:137], v134 offset:1008
	s_waitcnt vmcnt(0) lgkmcnt(0)
	v_fmac_f64_e32 v[132:133], v[138:139], v[134:135]
	buffer_load_dword v135, off, s[0:3], 0 offset:508
	buffer_load_dword v134, off, s[0:3], 0 offset:504
	s_waitcnt vmcnt(0)
	v_fmac_f64_e32 v[132:133], v[134:135], v[136:137]
	v_add_f64 v[130:131], v[130:131], -v[132:133]
	buffer_store_dword v131, off, s[0:3], 0 offset:268
	buffer_store_dword v130, off, s[0:3], 0 offset:264
	s_and_saveexec_b64 s[4:5], vcc
	s_cbranch_execz .LBB63_327
; %bb.326:
	buffer_load_dword v130, off, s[0:3], 0 offset:256
	buffer_load_dword v131, off, s[0:3], 0 offset:260
	v_mov_b32_e32 v132, 0
	buffer_store_dword v132, off, s[0:3], 0 offset:256
	buffer_store_dword v132, off, s[0:3], 0 offset:260
	s_waitcnt vmcnt(2)
	ds_write_b64 v1, v[130:131]
.LBB63_327:
	s_or_b64 exec, exec, s[4:5]
	s_waitcnt lgkmcnt(0)
	; wave barrier
	s_waitcnt lgkmcnt(0)
	buffer_load_dword v130, off, s[0:3], 0 offset:256
	buffer_load_dword v131, off, s[0:3], 0 offset:260
	;; [unrolled: 1-line block ×16, first 2 shown]
	v_mov_b32_e32 v134, 0
	ds_read2_b64 v[136:139], v134 offset0:97 offset1:98
	v_cmp_lt_u32_e32 vcc, 31, v0
	s_waitcnt vmcnt(12) lgkmcnt(0)
	v_fma_f64 v[132:133], v[132:133], v[136:137], 0
	s_waitcnt vmcnt(10)
	v_fmac_f64_e32 v[132:133], v[140:141], v[138:139]
	ds_read2_b64 v[136:139], v134 offset0:99 offset1:100
	s_waitcnt vmcnt(8) lgkmcnt(0)
	v_fmac_f64_e32 v[132:133], v[142:143], v[136:137]
	s_waitcnt vmcnt(6)
	v_fmac_f64_e32 v[132:133], v[144:145], v[138:139]
	ds_read2_b64 v[136:139], v134 offset0:101 offset1:102
	s_waitcnt vmcnt(4) lgkmcnt(0)
	v_fmac_f64_e32 v[132:133], v[146:147], v[136:137]
	;; [unrolled: 5-line block ×3, first 2 shown]
	buffer_load_dword v137, off, s[0:3], 0 offset:324
	buffer_load_dword v136, off, s[0:3], 0 offset:320
	buffer_load_dword v141, off, s[0:3], 0 offset:332
	buffer_load_dword v140, off, s[0:3], 0 offset:328
	s_waitcnt vmcnt(2)
	v_fmac_f64_e32 v[132:133], v[136:137], v[138:139]
	ds_read2_b64 v[136:139], v134 offset0:105 offset1:106
	s_waitcnt vmcnt(0) lgkmcnt(0)
	v_fmac_f64_e32 v[132:133], v[140:141], v[136:137]
	buffer_load_dword v137, off, s[0:3], 0 offset:340
	buffer_load_dword v136, off, s[0:3], 0 offset:336
	buffer_load_dword v141, off, s[0:3], 0 offset:348
	buffer_load_dword v140, off, s[0:3], 0 offset:344
	s_waitcnt vmcnt(2)
	v_fmac_f64_e32 v[132:133], v[136:137], v[138:139]
	ds_read2_b64 v[136:139], v134 offset0:107 offset1:108
	s_waitcnt vmcnt(0) lgkmcnt(0)
	v_fmac_f64_e32 v[132:133], v[140:141], v[136:137]
	;; [unrolled: 9-line block ×11, first 2 shown]
	buffer_load_dword v137, off, s[0:3], 0 offset:500
	buffer_load_dword v136, off, s[0:3], 0 offset:496
	s_waitcnt vmcnt(0)
	v_fmac_f64_e32 v[132:133], v[136:137], v[138:139]
	buffer_load_dword v137, off, s[0:3], 0 offset:508
	buffer_load_dword v136, off, s[0:3], 0 offset:504
	ds_read_b64 v[138:139], v134 offset:1016
	s_waitcnt vmcnt(0) lgkmcnt(0)
	v_fmac_f64_e32 v[132:133], v[136:137], v[138:139]
	v_add_f64 v[130:131], v[130:131], -v[132:133]
	buffer_store_dword v131, off, s[0:3], 0 offset:260
	buffer_store_dword v130, off, s[0:3], 0 offset:256
	s_and_saveexec_b64 s[4:5], vcc
	s_cbranch_execz .LBB63_329
; %bb.328:
	buffer_load_dword v130, off, s[0:3], 0 offset:248
	buffer_load_dword v131, off, s[0:3], 0 offset:252
	s_waitcnt vmcnt(0)
	ds_write_b64 v1, v[130:131]
	buffer_store_dword v134, off, s[0:3], 0 offset:248
	buffer_store_dword v134, off, s[0:3], 0 offset:252
.LBB63_329:
	s_or_b64 exec, exec, s[4:5]
	s_waitcnt lgkmcnt(0)
	; wave barrier
	s_waitcnt lgkmcnt(0)
	buffer_load_dword v130, off, s[0:3], 0 offset:248
	buffer_load_dword v131, off, s[0:3], 0 offset:252
	;; [unrolled: 1-line block ×16, first 2 shown]
	ds_read_b128 v[136:139], v134 offset:768
	ds_read_b128 v[140:143], v134 offset:784
	;; [unrolled: 1-line block ×4, first 2 shown]
	v_cmp_lt_u32_e32 vcc, 30, v0
	s_waitcnt vmcnt(12) lgkmcnt(3)
	v_fma_f64 v[132:133], v[132:133], v[136:137], 0
	buffer_load_dword v137, off, s[0:3], 0 offset:316
	buffer_load_dword v136, off, s[0:3], 0 offset:312
	s_waitcnt vmcnt(12)
	v_fmac_f64_e32 v[132:133], v[152:153], v[138:139]
	s_waitcnt vmcnt(10) lgkmcnt(2)
	v_fmac_f64_e32 v[132:133], v[154:155], v[140:141]
	buffer_load_dword v141, off, s[0:3], 0 offset:324
	buffer_load_dword v140, off, s[0:3], 0 offset:320
	s_waitcnt vmcnt(10)
	v_fmac_f64_e32 v[132:133], v[156:157], v[142:143]
	s_waitcnt vmcnt(8) lgkmcnt(1)
	v_fmac_f64_e32 v[132:133], v[158:159], v[144:145]
	s_waitcnt vmcnt(6)
	v_fmac_f64_e32 v[132:133], v[160:161], v[146:147]
	s_waitcnt vmcnt(4) lgkmcnt(0)
	v_fmac_f64_e32 v[132:133], v[162:163], v[148:149]
	s_waitcnt vmcnt(2)
	v_fmac_f64_e32 v[132:133], v[136:137], v[150:151]
	ds_read_b128 v[136:139], v134 offset:832
	s_waitcnt vmcnt(0) lgkmcnt(0)
	v_fmac_f64_e32 v[132:133], v[140:141], v[136:137]
	buffer_load_dword v137, off, s[0:3], 0 offset:332
	buffer_load_dword v136, off, s[0:3], 0 offset:328
	buffer_load_dword v141, off, s[0:3], 0 offset:340
	buffer_load_dword v140, off, s[0:3], 0 offset:336
	s_waitcnt vmcnt(2)
	v_fmac_f64_e32 v[132:133], v[136:137], v[138:139]
	ds_read_b128 v[136:139], v134 offset:848
	s_waitcnt vmcnt(0) lgkmcnt(0)
	v_fmac_f64_e32 v[132:133], v[140:141], v[136:137]
	buffer_load_dword v137, off, s[0:3], 0 offset:348
	buffer_load_dword v136, off, s[0:3], 0 offset:344
	buffer_load_dword v141, off, s[0:3], 0 offset:356
	buffer_load_dword v140, off, s[0:3], 0 offset:352
	;; [unrolled: 9-line block ×10, first 2 shown]
	s_waitcnt vmcnt(2)
	v_fmac_f64_e32 v[132:133], v[136:137], v[138:139]
	ds_read_b128 v[136:139], v134 offset:992
	s_waitcnt vmcnt(0) lgkmcnt(0)
	v_fmac_f64_e32 v[132:133], v[140:141], v[136:137]
	buffer_load_dword v137, off, s[0:3], 0 offset:492
	buffer_load_dword v136, off, s[0:3], 0 offset:488
	s_waitcnt vmcnt(0)
	v_fmac_f64_e32 v[132:133], v[136:137], v[138:139]
	buffer_load_dword v139, off, s[0:3], 0 offset:500
	buffer_load_dword v138, off, s[0:3], 0 offset:496
	ds_read_b128 v[134:137], v134 offset:1008
	s_waitcnt vmcnt(0) lgkmcnt(0)
	v_fmac_f64_e32 v[132:133], v[138:139], v[134:135]
	buffer_load_dword v135, off, s[0:3], 0 offset:508
	buffer_load_dword v134, off, s[0:3], 0 offset:504
	s_waitcnt vmcnt(0)
	v_fmac_f64_e32 v[132:133], v[134:135], v[136:137]
	v_add_f64 v[130:131], v[130:131], -v[132:133]
	buffer_store_dword v131, off, s[0:3], 0 offset:252
	buffer_store_dword v130, off, s[0:3], 0 offset:248
	s_and_saveexec_b64 s[4:5], vcc
	s_cbranch_execz .LBB63_331
; %bb.330:
	buffer_load_dword v130, off, s[0:3], 0 offset:240
	buffer_load_dword v131, off, s[0:3], 0 offset:244
	v_mov_b32_e32 v132, 0
	buffer_store_dword v132, off, s[0:3], 0 offset:240
	buffer_store_dword v132, off, s[0:3], 0 offset:244
	s_waitcnt vmcnt(2)
	ds_write_b64 v1, v[130:131]
.LBB63_331:
	s_or_b64 exec, exec, s[4:5]
	s_waitcnt lgkmcnt(0)
	; wave barrier
	s_waitcnt lgkmcnt(0)
	buffer_load_dword v130, off, s[0:3], 0 offset:240
	buffer_load_dword v131, off, s[0:3], 0 offset:244
	;; [unrolled: 1-line block ×16, first 2 shown]
	v_mov_b32_e32 v134, 0
	ds_read2_b64 v[136:139], v134 offset0:95 offset1:96
	v_cmp_lt_u32_e32 vcc, 29, v0
	s_waitcnt vmcnt(12) lgkmcnt(0)
	v_fma_f64 v[132:133], v[132:133], v[136:137], 0
	s_waitcnt vmcnt(10)
	v_fmac_f64_e32 v[132:133], v[140:141], v[138:139]
	ds_read2_b64 v[136:139], v134 offset0:97 offset1:98
	s_waitcnt vmcnt(8) lgkmcnt(0)
	v_fmac_f64_e32 v[132:133], v[142:143], v[136:137]
	s_waitcnt vmcnt(6)
	v_fmac_f64_e32 v[132:133], v[144:145], v[138:139]
	ds_read2_b64 v[136:139], v134 offset0:99 offset1:100
	s_waitcnt vmcnt(4) lgkmcnt(0)
	v_fmac_f64_e32 v[132:133], v[146:147], v[136:137]
	;; [unrolled: 5-line block ×3, first 2 shown]
	buffer_load_dword v137, off, s[0:3], 0 offset:308
	buffer_load_dword v136, off, s[0:3], 0 offset:304
	buffer_load_dword v141, off, s[0:3], 0 offset:316
	buffer_load_dword v140, off, s[0:3], 0 offset:312
	s_waitcnt vmcnt(2)
	v_fmac_f64_e32 v[132:133], v[136:137], v[138:139]
	ds_read2_b64 v[136:139], v134 offset0:103 offset1:104
	s_waitcnt vmcnt(0) lgkmcnt(0)
	v_fmac_f64_e32 v[132:133], v[140:141], v[136:137]
	buffer_load_dword v137, off, s[0:3], 0 offset:324
	buffer_load_dword v136, off, s[0:3], 0 offset:320
	buffer_load_dword v141, off, s[0:3], 0 offset:332
	buffer_load_dword v140, off, s[0:3], 0 offset:328
	s_waitcnt vmcnt(2)
	v_fmac_f64_e32 v[132:133], v[136:137], v[138:139]
	ds_read2_b64 v[136:139], v134 offset0:105 offset1:106
	s_waitcnt vmcnt(0) lgkmcnt(0)
	v_fmac_f64_e32 v[132:133], v[140:141], v[136:137]
	;; [unrolled: 9-line block ×12, first 2 shown]
	buffer_load_dword v137, off, s[0:3], 0 offset:500
	buffer_load_dword v136, off, s[0:3], 0 offset:496
	s_waitcnt vmcnt(0)
	v_fmac_f64_e32 v[132:133], v[136:137], v[138:139]
	buffer_load_dword v137, off, s[0:3], 0 offset:508
	buffer_load_dword v136, off, s[0:3], 0 offset:504
	ds_read_b64 v[138:139], v134 offset:1016
	s_waitcnt vmcnt(0) lgkmcnt(0)
	v_fmac_f64_e32 v[132:133], v[136:137], v[138:139]
	v_add_f64 v[130:131], v[130:131], -v[132:133]
	buffer_store_dword v131, off, s[0:3], 0 offset:244
	buffer_store_dword v130, off, s[0:3], 0 offset:240
	s_and_saveexec_b64 s[4:5], vcc
	s_cbranch_execz .LBB63_333
; %bb.332:
	buffer_load_dword v130, off, s[0:3], 0 offset:232
	buffer_load_dword v131, off, s[0:3], 0 offset:236
	s_waitcnt vmcnt(0)
	ds_write_b64 v1, v[130:131]
	buffer_store_dword v134, off, s[0:3], 0 offset:232
	buffer_store_dword v134, off, s[0:3], 0 offset:236
.LBB63_333:
	s_or_b64 exec, exec, s[4:5]
	s_waitcnt lgkmcnt(0)
	; wave barrier
	s_waitcnt lgkmcnt(0)
	buffer_load_dword v130, off, s[0:3], 0 offset:232
	buffer_load_dword v131, off, s[0:3], 0 offset:236
	;; [unrolled: 1-line block ×16, first 2 shown]
	ds_read_b128 v[136:139], v134 offset:752
	ds_read_b128 v[140:143], v134 offset:768
	;; [unrolled: 1-line block ×4, first 2 shown]
	v_cmp_lt_u32_e32 vcc, 28, v0
	s_waitcnt vmcnt(12) lgkmcnt(3)
	v_fma_f64 v[132:133], v[132:133], v[136:137], 0
	buffer_load_dword v137, off, s[0:3], 0 offset:300
	buffer_load_dword v136, off, s[0:3], 0 offset:296
	s_waitcnt vmcnt(12)
	v_fmac_f64_e32 v[132:133], v[152:153], v[138:139]
	s_waitcnt vmcnt(10) lgkmcnt(2)
	v_fmac_f64_e32 v[132:133], v[154:155], v[140:141]
	buffer_load_dword v141, off, s[0:3], 0 offset:308
	buffer_load_dword v140, off, s[0:3], 0 offset:304
	s_waitcnt vmcnt(10)
	v_fmac_f64_e32 v[132:133], v[156:157], v[142:143]
	s_waitcnt vmcnt(8) lgkmcnt(1)
	v_fmac_f64_e32 v[132:133], v[158:159], v[144:145]
	s_waitcnt vmcnt(6)
	v_fmac_f64_e32 v[132:133], v[160:161], v[146:147]
	s_waitcnt vmcnt(4) lgkmcnt(0)
	v_fmac_f64_e32 v[132:133], v[162:163], v[148:149]
	s_waitcnt vmcnt(2)
	v_fmac_f64_e32 v[132:133], v[136:137], v[150:151]
	ds_read_b128 v[136:139], v134 offset:816
	s_waitcnt vmcnt(0) lgkmcnt(0)
	v_fmac_f64_e32 v[132:133], v[140:141], v[136:137]
	buffer_load_dword v137, off, s[0:3], 0 offset:316
	buffer_load_dword v136, off, s[0:3], 0 offset:312
	buffer_load_dword v141, off, s[0:3], 0 offset:324
	buffer_load_dword v140, off, s[0:3], 0 offset:320
	s_waitcnt vmcnt(2)
	v_fmac_f64_e32 v[132:133], v[136:137], v[138:139]
	ds_read_b128 v[136:139], v134 offset:832
	s_waitcnt vmcnt(0) lgkmcnt(0)
	v_fmac_f64_e32 v[132:133], v[140:141], v[136:137]
	buffer_load_dword v137, off, s[0:3], 0 offset:332
	buffer_load_dword v136, off, s[0:3], 0 offset:328
	buffer_load_dword v141, off, s[0:3], 0 offset:340
	buffer_load_dword v140, off, s[0:3], 0 offset:336
	;; [unrolled: 9-line block ×11, first 2 shown]
	s_waitcnt vmcnt(2)
	v_fmac_f64_e32 v[132:133], v[136:137], v[138:139]
	ds_read_b128 v[136:139], v134 offset:992
	s_waitcnt vmcnt(0) lgkmcnt(0)
	v_fmac_f64_e32 v[132:133], v[140:141], v[136:137]
	buffer_load_dword v137, off, s[0:3], 0 offset:492
	buffer_load_dword v136, off, s[0:3], 0 offset:488
	s_waitcnt vmcnt(0)
	v_fmac_f64_e32 v[132:133], v[136:137], v[138:139]
	buffer_load_dword v139, off, s[0:3], 0 offset:500
	buffer_load_dword v138, off, s[0:3], 0 offset:496
	ds_read_b128 v[134:137], v134 offset:1008
	s_waitcnt vmcnt(0) lgkmcnt(0)
	v_fmac_f64_e32 v[132:133], v[138:139], v[134:135]
	buffer_load_dword v135, off, s[0:3], 0 offset:508
	buffer_load_dword v134, off, s[0:3], 0 offset:504
	s_waitcnt vmcnt(0)
	v_fmac_f64_e32 v[132:133], v[134:135], v[136:137]
	v_add_f64 v[130:131], v[130:131], -v[132:133]
	buffer_store_dword v131, off, s[0:3], 0 offset:236
	buffer_store_dword v130, off, s[0:3], 0 offset:232
	s_and_saveexec_b64 s[4:5], vcc
	s_cbranch_execz .LBB63_335
; %bb.334:
	buffer_load_dword v130, off, s[0:3], 0 offset:224
	buffer_load_dword v131, off, s[0:3], 0 offset:228
	v_mov_b32_e32 v132, 0
	buffer_store_dword v132, off, s[0:3], 0 offset:224
	buffer_store_dword v132, off, s[0:3], 0 offset:228
	s_waitcnt vmcnt(2)
	ds_write_b64 v1, v[130:131]
.LBB63_335:
	s_or_b64 exec, exec, s[4:5]
	s_waitcnt lgkmcnt(0)
	; wave barrier
	s_waitcnt lgkmcnt(0)
	buffer_load_dword v130, off, s[0:3], 0 offset:224
	buffer_load_dword v131, off, s[0:3], 0 offset:228
	buffer_load_dword v132, off, s[0:3], 0 offset:232
	buffer_load_dword v133, off, s[0:3], 0 offset:236
	buffer_load_dword v140, off, s[0:3], 0 offset:240
	buffer_load_dword v141, off, s[0:3], 0 offset:244
	buffer_load_dword v142, off, s[0:3], 0 offset:248
	buffer_load_dword v143, off, s[0:3], 0 offset:252
	buffer_load_dword v144, off, s[0:3], 0 offset:256
	buffer_load_dword v145, off, s[0:3], 0 offset:260
	buffer_load_dword v146, off, s[0:3], 0 offset:264
	buffer_load_dword v147, off, s[0:3], 0 offset:268
	buffer_load_dword v148, off, s[0:3], 0 offset:272
	buffer_load_dword v149, off, s[0:3], 0 offset:276
	buffer_load_dword v150, off, s[0:3], 0 offset:280
	buffer_load_dword v151, off, s[0:3], 0 offset:284
	v_mov_b32_e32 v134, 0
	ds_read2_b64 v[136:139], v134 offset0:93 offset1:94
	v_cmp_lt_u32_e32 vcc, 27, v0
	s_waitcnt vmcnt(12) lgkmcnt(0)
	v_fma_f64 v[132:133], v[132:133], v[136:137], 0
	s_waitcnt vmcnt(10)
	v_fmac_f64_e32 v[132:133], v[140:141], v[138:139]
	ds_read2_b64 v[136:139], v134 offset0:95 offset1:96
	s_waitcnt vmcnt(8) lgkmcnt(0)
	v_fmac_f64_e32 v[132:133], v[142:143], v[136:137]
	s_waitcnt vmcnt(6)
	v_fmac_f64_e32 v[132:133], v[144:145], v[138:139]
	ds_read2_b64 v[136:139], v134 offset0:97 offset1:98
	s_waitcnt vmcnt(4) lgkmcnt(0)
	v_fmac_f64_e32 v[132:133], v[146:147], v[136:137]
	;; [unrolled: 5-line block ×3, first 2 shown]
	buffer_load_dword v137, off, s[0:3], 0 offset:292
	buffer_load_dword v136, off, s[0:3], 0 offset:288
	buffer_load_dword v141, off, s[0:3], 0 offset:300
	buffer_load_dword v140, off, s[0:3], 0 offset:296
	s_waitcnt vmcnt(2)
	v_fmac_f64_e32 v[132:133], v[136:137], v[138:139]
	ds_read2_b64 v[136:139], v134 offset0:101 offset1:102
	s_waitcnt vmcnt(0) lgkmcnt(0)
	v_fmac_f64_e32 v[132:133], v[140:141], v[136:137]
	buffer_load_dword v137, off, s[0:3], 0 offset:308
	buffer_load_dword v136, off, s[0:3], 0 offset:304
	buffer_load_dword v141, off, s[0:3], 0 offset:316
	buffer_load_dword v140, off, s[0:3], 0 offset:312
	s_waitcnt vmcnt(2)
	v_fmac_f64_e32 v[132:133], v[136:137], v[138:139]
	ds_read2_b64 v[136:139], v134 offset0:103 offset1:104
	s_waitcnt vmcnt(0) lgkmcnt(0)
	v_fmac_f64_e32 v[132:133], v[140:141], v[136:137]
	buffer_load_dword v137, off, s[0:3], 0 offset:324
	buffer_load_dword v136, off, s[0:3], 0 offset:320
	buffer_load_dword v141, off, s[0:3], 0 offset:332
	buffer_load_dword v140, off, s[0:3], 0 offset:328
	s_waitcnt vmcnt(2)
	v_fmac_f64_e32 v[132:133], v[136:137], v[138:139]
	ds_read2_b64 v[136:139], v134 offset0:105 offset1:106
	s_waitcnt vmcnt(0) lgkmcnt(0)
	v_fmac_f64_e32 v[132:133], v[140:141], v[136:137]
	buffer_load_dword v137, off, s[0:3], 0 offset:340
	buffer_load_dword v136, off, s[0:3], 0 offset:336
	buffer_load_dword v141, off, s[0:3], 0 offset:348
	buffer_load_dword v140, off, s[0:3], 0 offset:344
	s_waitcnt vmcnt(2)
	v_fmac_f64_e32 v[132:133], v[136:137], v[138:139]
	ds_read2_b64 v[136:139], v134 offset0:107 offset1:108
	s_waitcnt vmcnt(0) lgkmcnt(0)
	v_fmac_f64_e32 v[132:133], v[140:141], v[136:137]
	buffer_load_dword v137, off, s[0:3], 0 offset:356
	buffer_load_dword v136, off, s[0:3], 0 offset:352
	buffer_load_dword v141, off, s[0:3], 0 offset:364
	buffer_load_dword v140, off, s[0:3], 0 offset:360
	s_waitcnt vmcnt(2)
	v_fmac_f64_e32 v[132:133], v[136:137], v[138:139]
	ds_read2_b64 v[136:139], v134 offset0:109 offset1:110
	s_waitcnt vmcnt(0) lgkmcnt(0)
	v_fmac_f64_e32 v[132:133], v[140:141], v[136:137]
	buffer_load_dword v137, off, s[0:3], 0 offset:372
	buffer_load_dword v136, off, s[0:3], 0 offset:368
	buffer_load_dword v141, off, s[0:3], 0 offset:380
	buffer_load_dword v140, off, s[0:3], 0 offset:376
	s_waitcnt vmcnt(2)
	v_fmac_f64_e32 v[132:133], v[136:137], v[138:139]
	ds_read2_b64 v[136:139], v134 offset0:111 offset1:112
	s_waitcnt vmcnt(0) lgkmcnt(0)
	v_fmac_f64_e32 v[132:133], v[140:141], v[136:137]
	buffer_load_dword v137, off, s[0:3], 0 offset:388
	buffer_load_dword v136, off, s[0:3], 0 offset:384
	buffer_load_dword v141, off, s[0:3], 0 offset:396
	buffer_load_dword v140, off, s[0:3], 0 offset:392
	s_waitcnt vmcnt(2)
	v_fmac_f64_e32 v[132:133], v[136:137], v[138:139]
	ds_read2_b64 v[136:139], v134 offset0:113 offset1:114
	s_waitcnt vmcnt(0) lgkmcnt(0)
	v_fmac_f64_e32 v[132:133], v[140:141], v[136:137]
	buffer_load_dword v137, off, s[0:3], 0 offset:404
	buffer_load_dword v136, off, s[0:3], 0 offset:400
	buffer_load_dword v141, off, s[0:3], 0 offset:412
	buffer_load_dword v140, off, s[0:3], 0 offset:408
	s_waitcnt vmcnt(2)
	v_fmac_f64_e32 v[132:133], v[136:137], v[138:139]
	ds_read2_b64 v[136:139], v134 offset0:115 offset1:116
	s_waitcnt vmcnt(0) lgkmcnt(0)
	v_fmac_f64_e32 v[132:133], v[140:141], v[136:137]
	buffer_load_dword v137, off, s[0:3], 0 offset:420
	buffer_load_dword v136, off, s[0:3], 0 offset:416
	buffer_load_dword v141, off, s[0:3], 0 offset:428
	buffer_load_dword v140, off, s[0:3], 0 offset:424
	s_waitcnt vmcnt(2)
	v_fmac_f64_e32 v[132:133], v[136:137], v[138:139]
	ds_read2_b64 v[136:139], v134 offset0:117 offset1:118
	s_waitcnt vmcnt(0) lgkmcnt(0)
	v_fmac_f64_e32 v[132:133], v[140:141], v[136:137]
	buffer_load_dword v137, off, s[0:3], 0 offset:436
	buffer_load_dword v136, off, s[0:3], 0 offset:432
	buffer_load_dword v141, off, s[0:3], 0 offset:444
	buffer_load_dword v140, off, s[0:3], 0 offset:440
	s_waitcnt vmcnt(2)
	v_fmac_f64_e32 v[132:133], v[136:137], v[138:139]
	ds_read2_b64 v[136:139], v134 offset0:119 offset1:120
	s_waitcnt vmcnt(0) lgkmcnt(0)
	v_fmac_f64_e32 v[132:133], v[140:141], v[136:137]
	buffer_load_dword v137, off, s[0:3], 0 offset:452
	buffer_load_dword v136, off, s[0:3], 0 offset:448
	buffer_load_dword v141, off, s[0:3], 0 offset:460
	buffer_load_dword v140, off, s[0:3], 0 offset:456
	s_waitcnt vmcnt(2)
	v_fmac_f64_e32 v[132:133], v[136:137], v[138:139]
	ds_read2_b64 v[136:139], v134 offset0:121 offset1:122
	s_waitcnt vmcnt(0) lgkmcnt(0)
	v_fmac_f64_e32 v[132:133], v[140:141], v[136:137]
	buffer_load_dword v137, off, s[0:3], 0 offset:468
	buffer_load_dword v136, off, s[0:3], 0 offset:464
	buffer_load_dword v141, off, s[0:3], 0 offset:476
	buffer_load_dword v140, off, s[0:3], 0 offset:472
	s_waitcnt vmcnt(2)
	v_fmac_f64_e32 v[132:133], v[136:137], v[138:139]
	ds_read2_b64 v[136:139], v134 offset0:123 offset1:124
	s_waitcnt vmcnt(0) lgkmcnt(0)
	v_fmac_f64_e32 v[132:133], v[140:141], v[136:137]
	buffer_load_dword v137, off, s[0:3], 0 offset:484
	buffer_load_dword v136, off, s[0:3], 0 offset:480
	buffer_load_dword v141, off, s[0:3], 0 offset:492
	buffer_load_dword v140, off, s[0:3], 0 offset:488
	s_waitcnt vmcnt(2)
	v_fmac_f64_e32 v[132:133], v[136:137], v[138:139]
	ds_read2_b64 v[136:139], v134 offset0:125 offset1:126
	s_waitcnt vmcnt(0) lgkmcnt(0)
	v_fmac_f64_e32 v[132:133], v[140:141], v[136:137]
	buffer_load_dword v137, off, s[0:3], 0 offset:500
	buffer_load_dword v136, off, s[0:3], 0 offset:496
	s_waitcnt vmcnt(0)
	v_fmac_f64_e32 v[132:133], v[136:137], v[138:139]
	buffer_load_dword v137, off, s[0:3], 0 offset:508
	buffer_load_dword v136, off, s[0:3], 0 offset:504
	ds_read_b64 v[138:139], v134 offset:1016
	s_waitcnt vmcnt(0) lgkmcnt(0)
	v_fmac_f64_e32 v[132:133], v[136:137], v[138:139]
	v_add_f64 v[130:131], v[130:131], -v[132:133]
	buffer_store_dword v131, off, s[0:3], 0 offset:228
	buffer_store_dword v130, off, s[0:3], 0 offset:224
	s_and_saveexec_b64 s[4:5], vcc
	s_cbranch_execz .LBB63_337
; %bb.336:
	buffer_load_dword v130, off, s[0:3], 0 offset:216
	buffer_load_dword v131, off, s[0:3], 0 offset:220
	s_waitcnt vmcnt(0)
	ds_write_b64 v1, v[130:131]
	buffer_store_dword v134, off, s[0:3], 0 offset:216
	buffer_store_dword v134, off, s[0:3], 0 offset:220
.LBB63_337:
	s_or_b64 exec, exec, s[4:5]
	s_waitcnt lgkmcnt(0)
	; wave barrier
	s_waitcnt lgkmcnt(0)
	buffer_load_dword v130, off, s[0:3], 0 offset:216
	buffer_load_dword v131, off, s[0:3], 0 offset:220
	;; [unrolled: 1-line block ×16, first 2 shown]
	ds_read_b128 v[136:139], v134 offset:736
	ds_read_b128 v[140:143], v134 offset:752
	;; [unrolled: 1-line block ×4, first 2 shown]
	v_cmp_lt_u32_e32 vcc, 26, v0
	s_waitcnt vmcnt(12) lgkmcnt(3)
	v_fma_f64 v[132:133], v[132:133], v[136:137], 0
	buffer_load_dword v137, off, s[0:3], 0 offset:284
	buffer_load_dword v136, off, s[0:3], 0 offset:280
	s_waitcnt vmcnt(12)
	v_fmac_f64_e32 v[132:133], v[152:153], v[138:139]
	s_waitcnt vmcnt(10) lgkmcnt(2)
	v_fmac_f64_e32 v[132:133], v[154:155], v[140:141]
	buffer_load_dword v141, off, s[0:3], 0 offset:292
	buffer_load_dword v140, off, s[0:3], 0 offset:288
	s_waitcnt vmcnt(10)
	v_fmac_f64_e32 v[132:133], v[156:157], v[142:143]
	s_waitcnt vmcnt(8) lgkmcnt(1)
	v_fmac_f64_e32 v[132:133], v[158:159], v[144:145]
	s_waitcnt vmcnt(6)
	v_fmac_f64_e32 v[132:133], v[160:161], v[146:147]
	s_waitcnt vmcnt(4) lgkmcnt(0)
	v_fmac_f64_e32 v[132:133], v[162:163], v[148:149]
	s_waitcnt vmcnt(2)
	v_fmac_f64_e32 v[132:133], v[136:137], v[150:151]
	ds_read_b128 v[136:139], v134 offset:800
	s_waitcnt vmcnt(0) lgkmcnt(0)
	v_fmac_f64_e32 v[132:133], v[140:141], v[136:137]
	buffer_load_dword v137, off, s[0:3], 0 offset:300
	buffer_load_dword v136, off, s[0:3], 0 offset:296
	buffer_load_dword v141, off, s[0:3], 0 offset:308
	buffer_load_dword v140, off, s[0:3], 0 offset:304
	s_waitcnt vmcnt(2)
	v_fmac_f64_e32 v[132:133], v[136:137], v[138:139]
	ds_read_b128 v[136:139], v134 offset:816
	s_waitcnt vmcnt(0) lgkmcnt(0)
	v_fmac_f64_e32 v[132:133], v[140:141], v[136:137]
	buffer_load_dword v137, off, s[0:3], 0 offset:316
	buffer_load_dword v136, off, s[0:3], 0 offset:312
	buffer_load_dword v141, off, s[0:3], 0 offset:324
	buffer_load_dword v140, off, s[0:3], 0 offset:320
	s_waitcnt vmcnt(2)
	v_fmac_f64_e32 v[132:133], v[136:137], v[138:139]
	ds_read_b128 v[136:139], v134 offset:832
	s_waitcnt vmcnt(0) lgkmcnt(0)
	v_fmac_f64_e32 v[132:133], v[140:141], v[136:137]
	buffer_load_dword v137, off, s[0:3], 0 offset:332
	buffer_load_dword v136, off, s[0:3], 0 offset:328
	buffer_load_dword v141, off, s[0:3], 0 offset:340
	buffer_load_dword v140, off, s[0:3], 0 offset:336
	s_waitcnt vmcnt(2)
	v_fmac_f64_e32 v[132:133], v[136:137], v[138:139]
	ds_read_b128 v[136:139], v134 offset:848
	s_waitcnt vmcnt(0) lgkmcnt(0)
	v_fmac_f64_e32 v[132:133], v[140:141], v[136:137]
	buffer_load_dword v137, off, s[0:3], 0 offset:348
	buffer_load_dword v136, off, s[0:3], 0 offset:344
	buffer_load_dword v141, off, s[0:3], 0 offset:356
	buffer_load_dword v140, off, s[0:3], 0 offset:352
	s_waitcnt vmcnt(2)
	v_fmac_f64_e32 v[132:133], v[136:137], v[138:139]
	ds_read_b128 v[136:139], v134 offset:864
	s_waitcnt vmcnt(0) lgkmcnt(0)
	v_fmac_f64_e32 v[132:133], v[140:141], v[136:137]
	buffer_load_dword v137, off, s[0:3], 0 offset:364
	buffer_load_dword v136, off, s[0:3], 0 offset:360
	buffer_load_dword v141, off, s[0:3], 0 offset:372
	buffer_load_dword v140, off, s[0:3], 0 offset:368
	s_waitcnt vmcnt(2)
	v_fmac_f64_e32 v[132:133], v[136:137], v[138:139]
	ds_read_b128 v[136:139], v134 offset:880
	s_waitcnt vmcnt(0) lgkmcnt(0)
	v_fmac_f64_e32 v[132:133], v[140:141], v[136:137]
	buffer_load_dword v137, off, s[0:3], 0 offset:380
	buffer_load_dword v136, off, s[0:3], 0 offset:376
	buffer_load_dword v141, off, s[0:3], 0 offset:388
	buffer_load_dword v140, off, s[0:3], 0 offset:384
	s_waitcnt vmcnt(2)
	v_fmac_f64_e32 v[132:133], v[136:137], v[138:139]
	ds_read_b128 v[136:139], v134 offset:896
	s_waitcnt vmcnt(0) lgkmcnt(0)
	v_fmac_f64_e32 v[132:133], v[140:141], v[136:137]
	buffer_load_dword v137, off, s[0:3], 0 offset:396
	buffer_load_dword v136, off, s[0:3], 0 offset:392
	buffer_load_dword v141, off, s[0:3], 0 offset:404
	buffer_load_dword v140, off, s[0:3], 0 offset:400
	s_waitcnt vmcnt(2)
	v_fmac_f64_e32 v[132:133], v[136:137], v[138:139]
	ds_read_b128 v[136:139], v134 offset:912
	s_waitcnt vmcnt(0) lgkmcnt(0)
	v_fmac_f64_e32 v[132:133], v[140:141], v[136:137]
	buffer_load_dword v137, off, s[0:3], 0 offset:412
	buffer_load_dword v136, off, s[0:3], 0 offset:408
	buffer_load_dword v141, off, s[0:3], 0 offset:420
	buffer_load_dword v140, off, s[0:3], 0 offset:416
	s_waitcnt vmcnt(2)
	v_fmac_f64_e32 v[132:133], v[136:137], v[138:139]
	ds_read_b128 v[136:139], v134 offset:928
	s_waitcnt vmcnt(0) lgkmcnt(0)
	v_fmac_f64_e32 v[132:133], v[140:141], v[136:137]
	buffer_load_dword v137, off, s[0:3], 0 offset:428
	buffer_load_dword v136, off, s[0:3], 0 offset:424
	buffer_load_dword v141, off, s[0:3], 0 offset:436
	buffer_load_dword v140, off, s[0:3], 0 offset:432
	s_waitcnt vmcnt(2)
	v_fmac_f64_e32 v[132:133], v[136:137], v[138:139]
	ds_read_b128 v[136:139], v134 offset:944
	s_waitcnt vmcnt(0) lgkmcnt(0)
	v_fmac_f64_e32 v[132:133], v[140:141], v[136:137]
	buffer_load_dword v137, off, s[0:3], 0 offset:444
	buffer_load_dword v136, off, s[0:3], 0 offset:440
	buffer_load_dword v141, off, s[0:3], 0 offset:452
	buffer_load_dword v140, off, s[0:3], 0 offset:448
	s_waitcnt vmcnt(2)
	v_fmac_f64_e32 v[132:133], v[136:137], v[138:139]
	ds_read_b128 v[136:139], v134 offset:960
	s_waitcnt vmcnt(0) lgkmcnt(0)
	v_fmac_f64_e32 v[132:133], v[140:141], v[136:137]
	buffer_load_dword v137, off, s[0:3], 0 offset:460
	buffer_load_dword v136, off, s[0:3], 0 offset:456
	buffer_load_dword v141, off, s[0:3], 0 offset:468
	buffer_load_dword v140, off, s[0:3], 0 offset:464
	s_waitcnt vmcnt(2)
	v_fmac_f64_e32 v[132:133], v[136:137], v[138:139]
	ds_read_b128 v[136:139], v134 offset:976
	s_waitcnt vmcnt(0) lgkmcnt(0)
	v_fmac_f64_e32 v[132:133], v[140:141], v[136:137]
	buffer_load_dword v137, off, s[0:3], 0 offset:476
	buffer_load_dword v136, off, s[0:3], 0 offset:472
	buffer_load_dword v141, off, s[0:3], 0 offset:484
	buffer_load_dword v140, off, s[0:3], 0 offset:480
	s_waitcnt vmcnt(2)
	v_fmac_f64_e32 v[132:133], v[136:137], v[138:139]
	ds_read_b128 v[136:139], v134 offset:992
	s_waitcnt vmcnt(0) lgkmcnt(0)
	v_fmac_f64_e32 v[132:133], v[140:141], v[136:137]
	buffer_load_dword v137, off, s[0:3], 0 offset:492
	buffer_load_dword v136, off, s[0:3], 0 offset:488
	s_waitcnt vmcnt(0)
	v_fmac_f64_e32 v[132:133], v[136:137], v[138:139]
	buffer_load_dword v139, off, s[0:3], 0 offset:500
	buffer_load_dword v138, off, s[0:3], 0 offset:496
	ds_read_b128 v[134:137], v134 offset:1008
	s_waitcnt vmcnt(0) lgkmcnt(0)
	v_fmac_f64_e32 v[132:133], v[138:139], v[134:135]
	buffer_load_dword v135, off, s[0:3], 0 offset:508
	buffer_load_dword v134, off, s[0:3], 0 offset:504
	s_waitcnt vmcnt(0)
	v_fmac_f64_e32 v[132:133], v[134:135], v[136:137]
	v_add_f64 v[130:131], v[130:131], -v[132:133]
	buffer_store_dword v131, off, s[0:3], 0 offset:220
	buffer_store_dword v130, off, s[0:3], 0 offset:216
	s_and_saveexec_b64 s[4:5], vcc
	s_cbranch_execz .LBB63_339
; %bb.338:
	buffer_load_dword v130, off, s[0:3], 0 offset:208
	buffer_load_dword v131, off, s[0:3], 0 offset:212
	v_mov_b32_e32 v132, 0
	buffer_store_dword v132, off, s[0:3], 0 offset:208
	buffer_store_dword v132, off, s[0:3], 0 offset:212
	s_waitcnt vmcnt(2)
	ds_write_b64 v1, v[130:131]
.LBB63_339:
	s_or_b64 exec, exec, s[4:5]
	s_waitcnt lgkmcnt(0)
	; wave barrier
	s_waitcnt lgkmcnt(0)
	buffer_load_dword v130, off, s[0:3], 0 offset:208
	buffer_load_dword v131, off, s[0:3], 0 offset:212
	;; [unrolled: 1-line block ×16, first 2 shown]
	v_mov_b32_e32 v134, 0
	ds_read2_b64 v[136:139], v134 offset0:91 offset1:92
	v_cmp_lt_u32_e32 vcc, 25, v0
	s_waitcnt vmcnt(12) lgkmcnt(0)
	v_fma_f64 v[132:133], v[132:133], v[136:137], 0
	s_waitcnt vmcnt(10)
	v_fmac_f64_e32 v[132:133], v[140:141], v[138:139]
	ds_read2_b64 v[136:139], v134 offset0:93 offset1:94
	s_waitcnt vmcnt(8) lgkmcnt(0)
	v_fmac_f64_e32 v[132:133], v[142:143], v[136:137]
	s_waitcnt vmcnt(6)
	v_fmac_f64_e32 v[132:133], v[144:145], v[138:139]
	ds_read2_b64 v[136:139], v134 offset0:95 offset1:96
	s_waitcnt vmcnt(4) lgkmcnt(0)
	v_fmac_f64_e32 v[132:133], v[146:147], v[136:137]
	;; [unrolled: 5-line block ×3, first 2 shown]
	buffer_load_dword v137, off, s[0:3], 0 offset:276
	buffer_load_dword v136, off, s[0:3], 0 offset:272
	buffer_load_dword v141, off, s[0:3], 0 offset:284
	buffer_load_dword v140, off, s[0:3], 0 offset:280
	s_waitcnt vmcnt(2)
	v_fmac_f64_e32 v[132:133], v[136:137], v[138:139]
	ds_read2_b64 v[136:139], v134 offset0:99 offset1:100
	s_waitcnt vmcnt(0) lgkmcnt(0)
	v_fmac_f64_e32 v[132:133], v[140:141], v[136:137]
	buffer_load_dword v137, off, s[0:3], 0 offset:292
	buffer_load_dword v136, off, s[0:3], 0 offset:288
	buffer_load_dword v141, off, s[0:3], 0 offset:300
	buffer_load_dword v140, off, s[0:3], 0 offset:296
	s_waitcnt vmcnt(2)
	v_fmac_f64_e32 v[132:133], v[136:137], v[138:139]
	ds_read2_b64 v[136:139], v134 offset0:101 offset1:102
	s_waitcnt vmcnt(0) lgkmcnt(0)
	v_fmac_f64_e32 v[132:133], v[140:141], v[136:137]
	;; [unrolled: 9-line block ×14, first 2 shown]
	buffer_load_dword v137, off, s[0:3], 0 offset:500
	buffer_load_dword v136, off, s[0:3], 0 offset:496
	s_waitcnt vmcnt(0)
	v_fmac_f64_e32 v[132:133], v[136:137], v[138:139]
	buffer_load_dword v137, off, s[0:3], 0 offset:508
	buffer_load_dword v136, off, s[0:3], 0 offset:504
	ds_read_b64 v[138:139], v134 offset:1016
	s_waitcnt vmcnt(0) lgkmcnt(0)
	v_fmac_f64_e32 v[132:133], v[136:137], v[138:139]
	v_add_f64 v[130:131], v[130:131], -v[132:133]
	buffer_store_dword v131, off, s[0:3], 0 offset:212
	buffer_store_dword v130, off, s[0:3], 0 offset:208
	s_and_saveexec_b64 s[4:5], vcc
	s_cbranch_execz .LBB63_341
; %bb.340:
	buffer_load_dword v130, off, s[0:3], 0 offset:200
	buffer_load_dword v131, off, s[0:3], 0 offset:204
	s_waitcnt vmcnt(0)
	ds_write_b64 v1, v[130:131]
	buffer_store_dword v134, off, s[0:3], 0 offset:200
	buffer_store_dword v134, off, s[0:3], 0 offset:204
.LBB63_341:
	s_or_b64 exec, exec, s[4:5]
	s_waitcnt lgkmcnt(0)
	; wave barrier
	s_waitcnt lgkmcnt(0)
	buffer_load_dword v130, off, s[0:3], 0 offset:200
	buffer_load_dword v131, off, s[0:3], 0 offset:204
	;; [unrolled: 1-line block ×16, first 2 shown]
	ds_read_b128 v[136:139], v134 offset:720
	ds_read_b128 v[140:143], v134 offset:736
	;; [unrolled: 1-line block ×4, first 2 shown]
	v_cmp_lt_u32_e32 vcc, 24, v0
	s_waitcnt vmcnt(12) lgkmcnt(3)
	v_fma_f64 v[132:133], v[132:133], v[136:137], 0
	buffer_load_dword v137, off, s[0:3], 0 offset:268
	buffer_load_dword v136, off, s[0:3], 0 offset:264
	s_waitcnt vmcnt(12)
	v_fmac_f64_e32 v[132:133], v[152:153], v[138:139]
	s_waitcnt vmcnt(10) lgkmcnt(2)
	v_fmac_f64_e32 v[132:133], v[154:155], v[140:141]
	buffer_load_dword v141, off, s[0:3], 0 offset:276
	buffer_load_dword v140, off, s[0:3], 0 offset:272
	s_waitcnt vmcnt(10)
	v_fmac_f64_e32 v[132:133], v[156:157], v[142:143]
	s_waitcnt vmcnt(8) lgkmcnt(1)
	v_fmac_f64_e32 v[132:133], v[158:159], v[144:145]
	s_waitcnt vmcnt(6)
	v_fmac_f64_e32 v[132:133], v[160:161], v[146:147]
	s_waitcnt vmcnt(4) lgkmcnt(0)
	v_fmac_f64_e32 v[132:133], v[162:163], v[148:149]
	s_waitcnt vmcnt(2)
	v_fmac_f64_e32 v[132:133], v[136:137], v[150:151]
	ds_read_b128 v[136:139], v134 offset:784
	s_waitcnt vmcnt(0) lgkmcnt(0)
	v_fmac_f64_e32 v[132:133], v[140:141], v[136:137]
	buffer_load_dword v137, off, s[0:3], 0 offset:284
	buffer_load_dword v136, off, s[0:3], 0 offset:280
	buffer_load_dword v141, off, s[0:3], 0 offset:292
	buffer_load_dword v140, off, s[0:3], 0 offset:288
	s_waitcnt vmcnt(2)
	v_fmac_f64_e32 v[132:133], v[136:137], v[138:139]
	ds_read_b128 v[136:139], v134 offset:800
	s_waitcnt vmcnt(0) lgkmcnt(0)
	v_fmac_f64_e32 v[132:133], v[140:141], v[136:137]
	buffer_load_dword v137, off, s[0:3], 0 offset:300
	buffer_load_dword v136, off, s[0:3], 0 offset:296
	buffer_load_dword v141, off, s[0:3], 0 offset:308
	buffer_load_dword v140, off, s[0:3], 0 offset:304
	;; [unrolled: 9-line block ×13, first 2 shown]
	s_waitcnt vmcnt(2)
	v_fmac_f64_e32 v[132:133], v[136:137], v[138:139]
	ds_read_b128 v[136:139], v134 offset:992
	s_waitcnt vmcnt(0) lgkmcnt(0)
	v_fmac_f64_e32 v[132:133], v[140:141], v[136:137]
	buffer_load_dword v137, off, s[0:3], 0 offset:492
	buffer_load_dword v136, off, s[0:3], 0 offset:488
	s_waitcnt vmcnt(0)
	v_fmac_f64_e32 v[132:133], v[136:137], v[138:139]
	buffer_load_dword v139, off, s[0:3], 0 offset:500
	buffer_load_dword v138, off, s[0:3], 0 offset:496
	ds_read_b128 v[134:137], v134 offset:1008
	s_waitcnt vmcnt(0) lgkmcnt(0)
	v_fmac_f64_e32 v[132:133], v[138:139], v[134:135]
	buffer_load_dword v135, off, s[0:3], 0 offset:508
	buffer_load_dword v134, off, s[0:3], 0 offset:504
	s_waitcnt vmcnt(0)
	v_fmac_f64_e32 v[132:133], v[134:135], v[136:137]
	v_add_f64 v[130:131], v[130:131], -v[132:133]
	buffer_store_dword v131, off, s[0:3], 0 offset:204
	buffer_store_dword v130, off, s[0:3], 0 offset:200
	s_and_saveexec_b64 s[4:5], vcc
	s_cbranch_execz .LBB63_343
; %bb.342:
	buffer_load_dword v130, off, s[0:3], 0 offset:192
	buffer_load_dword v131, off, s[0:3], 0 offset:196
	v_mov_b32_e32 v132, 0
	buffer_store_dword v132, off, s[0:3], 0 offset:192
	buffer_store_dword v132, off, s[0:3], 0 offset:196
	s_waitcnt vmcnt(2)
	ds_write_b64 v1, v[130:131]
.LBB63_343:
	s_or_b64 exec, exec, s[4:5]
	s_waitcnt lgkmcnt(0)
	; wave barrier
	s_waitcnt lgkmcnt(0)
	buffer_load_dword v130, off, s[0:3], 0 offset:192
	buffer_load_dword v131, off, s[0:3], 0 offset:196
	;; [unrolled: 1-line block ×16, first 2 shown]
	v_mov_b32_e32 v134, 0
	ds_read2_b64 v[136:139], v134 offset0:89 offset1:90
	v_cmp_lt_u32_e32 vcc, 23, v0
	s_waitcnt vmcnt(12) lgkmcnt(0)
	v_fma_f64 v[132:133], v[132:133], v[136:137], 0
	s_waitcnt vmcnt(10)
	v_fmac_f64_e32 v[132:133], v[140:141], v[138:139]
	ds_read2_b64 v[136:139], v134 offset0:91 offset1:92
	s_waitcnt vmcnt(8) lgkmcnt(0)
	v_fmac_f64_e32 v[132:133], v[142:143], v[136:137]
	s_waitcnt vmcnt(6)
	v_fmac_f64_e32 v[132:133], v[144:145], v[138:139]
	ds_read2_b64 v[136:139], v134 offset0:93 offset1:94
	s_waitcnt vmcnt(4) lgkmcnt(0)
	v_fmac_f64_e32 v[132:133], v[146:147], v[136:137]
	;; [unrolled: 5-line block ×3, first 2 shown]
	buffer_load_dword v137, off, s[0:3], 0 offset:260
	buffer_load_dword v136, off, s[0:3], 0 offset:256
	buffer_load_dword v141, off, s[0:3], 0 offset:268
	buffer_load_dword v140, off, s[0:3], 0 offset:264
	s_waitcnt vmcnt(2)
	v_fmac_f64_e32 v[132:133], v[136:137], v[138:139]
	ds_read2_b64 v[136:139], v134 offset0:97 offset1:98
	s_waitcnt vmcnt(0) lgkmcnt(0)
	v_fmac_f64_e32 v[132:133], v[140:141], v[136:137]
	buffer_load_dword v137, off, s[0:3], 0 offset:276
	buffer_load_dword v136, off, s[0:3], 0 offset:272
	buffer_load_dword v141, off, s[0:3], 0 offset:284
	buffer_load_dword v140, off, s[0:3], 0 offset:280
	s_waitcnt vmcnt(2)
	v_fmac_f64_e32 v[132:133], v[136:137], v[138:139]
	ds_read2_b64 v[136:139], v134 offset0:99 offset1:100
	s_waitcnt vmcnt(0) lgkmcnt(0)
	v_fmac_f64_e32 v[132:133], v[140:141], v[136:137]
	;; [unrolled: 9-line block ×15, first 2 shown]
	buffer_load_dword v137, off, s[0:3], 0 offset:500
	buffer_load_dword v136, off, s[0:3], 0 offset:496
	s_waitcnt vmcnt(0)
	v_fmac_f64_e32 v[132:133], v[136:137], v[138:139]
	buffer_load_dword v137, off, s[0:3], 0 offset:508
	buffer_load_dword v136, off, s[0:3], 0 offset:504
	ds_read_b64 v[138:139], v134 offset:1016
	s_waitcnt vmcnt(0) lgkmcnt(0)
	v_fmac_f64_e32 v[132:133], v[136:137], v[138:139]
	v_add_f64 v[130:131], v[130:131], -v[132:133]
	buffer_store_dword v131, off, s[0:3], 0 offset:196
	buffer_store_dword v130, off, s[0:3], 0 offset:192
	s_and_saveexec_b64 s[4:5], vcc
	s_cbranch_execz .LBB63_345
; %bb.344:
	buffer_load_dword v130, off, s[0:3], 0 offset:184
	buffer_load_dword v131, off, s[0:3], 0 offset:188
	s_waitcnt vmcnt(0)
	ds_write_b64 v1, v[130:131]
	buffer_store_dword v134, off, s[0:3], 0 offset:184
	buffer_store_dword v134, off, s[0:3], 0 offset:188
.LBB63_345:
	s_or_b64 exec, exec, s[4:5]
	s_waitcnt lgkmcnt(0)
	; wave barrier
	s_waitcnt lgkmcnt(0)
	buffer_load_dword v130, off, s[0:3], 0 offset:184
	buffer_load_dword v131, off, s[0:3], 0 offset:188
	;; [unrolled: 1-line block ×16, first 2 shown]
	ds_read_b128 v[136:139], v134 offset:704
	ds_read_b128 v[140:143], v134 offset:720
	;; [unrolled: 1-line block ×4, first 2 shown]
	v_cmp_lt_u32_e32 vcc, 22, v0
	s_waitcnt vmcnt(12) lgkmcnt(3)
	v_fma_f64 v[132:133], v[132:133], v[136:137], 0
	buffer_load_dword v137, off, s[0:3], 0 offset:252
	buffer_load_dword v136, off, s[0:3], 0 offset:248
	s_waitcnt vmcnt(12)
	v_fmac_f64_e32 v[132:133], v[152:153], v[138:139]
	s_waitcnt vmcnt(10) lgkmcnt(2)
	v_fmac_f64_e32 v[132:133], v[154:155], v[140:141]
	buffer_load_dword v141, off, s[0:3], 0 offset:260
	buffer_load_dword v140, off, s[0:3], 0 offset:256
	s_waitcnt vmcnt(10)
	v_fmac_f64_e32 v[132:133], v[156:157], v[142:143]
	s_waitcnt vmcnt(8) lgkmcnt(1)
	v_fmac_f64_e32 v[132:133], v[158:159], v[144:145]
	s_waitcnt vmcnt(6)
	v_fmac_f64_e32 v[132:133], v[160:161], v[146:147]
	s_waitcnt vmcnt(4) lgkmcnt(0)
	v_fmac_f64_e32 v[132:133], v[162:163], v[148:149]
	s_waitcnt vmcnt(2)
	v_fmac_f64_e32 v[132:133], v[136:137], v[150:151]
	ds_read_b128 v[136:139], v134 offset:768
	s_waitcnt vmcnt(0) lgkmcnt(0)
	v_fmac_f64_e32 v[132:133], v[140:141], v[136:137]
	buffer_load_dword v137, off, s[0:3], 0 offset:268
	buffer_load_dword v136, off, s[0:3], 0 offset:264
	buffer_load_dword v141, off, s[0:3], 0 offset:276
	buffer_load_dword v140, off, s[0:3], 0 offset:272
	s_waitcnt vmcnt(2)
	v_fmac_f64_e32 v[132:133], v[136:137], v[138:139]
	ds_read_b128 v[136:139], v134 offset:784
	s_waitcnt vmcnt(0) lgkmcnt(0)
	v_fmac_f64_e32 v[132:133], v[140:141], v[136:137]
	buffer_load_dword v137, off, s[0:3], 0 offset:284
	buffer_load_dword v136, off, s[0:3], 0 offset:280
	buffer_load_dword v141, off, s[0:3], 0 offset:292
	buffer_load_dword v140, off, s[0:3], 0 offset:288
	;; [unrolled: 9-line block ×14, first 2 shown]
	s_waitcnt vmcnt(2)
	v_fmac_f64_e32 v[132:133], v[136:137], v[138:139]
	ds_read_b128 v[136:139], v134 offset:992
	s_waitcnt vmcnt(0) lgkmcnt(0)
	v_fmac_f64_e32 v[132:133], v[140:141], v[136:137]
	buffer_load_dword v137, off, s[0:3], 0 offset:492
	buffer_load_dword v136, off, s[0:3], 0 offset:488
	s_waitcnt vmcnt(0)
	v_fmac_f64_e32 v[132:133], v[136:137], v[138:139]
	buffer_load_dword v139, off, s[0:3], 0 offset:500
	buffer_load_dword v138, off, s[0:3], 0 offset:496
	ds_read_b128 v[134:137], v134 offset:1008
	s_waitcnt vmcnt(0) lgkmcnt(0)
	v_fmac_f64_e32 v[132:133], v[138:139], v[134:135]
	buffer_load_dword v135, off, s[0:3], 0 offset:508
	buffer_load_dword v134, off, s[0:3], 0 offset:504
	s_waitcnt vmcnt(0)
	v_fmac_f64_e32 v[132:133], v[134:135], v[136:137]
	v_add_f64 v[130:131], v[130:131], -v[132:133]
	buffer_store_dword v131, off, s[0:3], 0 offset:188
	buffer_store_dword v130, off, s[0:3], 0 offset:184
	s_and_saveexec_b64 s[4:5], vcc
	s_cbranch_execz .LBB63_347
; %bb.346:
	buffer_load_dword v130, off, s[0:3], 0 offset:176
	buffer_load_dword v131, off, s[0:3], 0 offset:180
	v_mov_b32_e32 v132, 0
	buffer_store_dword v132, off, s[0:3], 0 offset:176
	buffer_store_dword v132, off, s[0:3], 0 offset:180
	s_waitcnt vmcnt(2)
	ds_write_b64 v1, v[130:131]
.LBB63_347:
	s_or_b64 exec, exec, s[4:5]
	s_waitcnt lgkmcnt(0)
	; wave barrier
	s_waitcnt lgkmcnt(0)
	buffer_load_dword v130, off, s[0:3], 0 offset:176
	buffer_load_dword v131, off, s[0:3], 0 offset:180
	;; [unrolled: 1-line block ×16, first 2 shown]
	v_mov_b32_e32 v134, 0
	ds_read2_b64 v[136:139], v134 offset0:87 offset1:88
	v_cmp_lt_u32_e32 vcc, 21, v0
	s_waitcnt vmcnt(12) lgkmcnt(0)
	v_fma_f64 v[132:133], v[132:133], v[136:137], 0
	s_waitcnt vmcnt(10)
	v_fmac_f64_e32 v[132:133], v[140:141], v[138:139]
	ds_read2_b64 v[136:139], v134 offset0:89 offset1:90
	s_waitcnt vmcnt(8) lgkmcnt(0)
	v_fmac_f64_e32 v[132:133], v[142:143], v[136:137]
	s_waitcnt vmcnt(6)
	v_fmac_f64_e32 v[132:133], v[144:145], v[138:139]
	ds_read2_b64 v[136:139], v134 offset0:91 offset1:92
	s_waitcnt vmcnt(4) lgkmcnt(0)
	v_fmac_f64_e32 v[132:133], v[146:147], v[136:137]
	;; [unrolled: 5-line block ×3, first 2 shown]
	buffer_load_dword v137, off, s[0:3], 0 offset:244
	buffer_load_dword v136, off, s[0:3], 0 offset:240
	buffer_load_dword v141, off, s[0:3], 0 offset:252
	buffer_load_dword v140, off, s[0:3], 0 offset:248
	s_waitcnt vmcnt(2)
	v_fmac_f64_e32 v[132:133], v[136:137], v[138:139]
	ds_read2_b64 v[136:139], v134 offset0:95 offset1:96
	s_waitcnt vmcnt(0) lgkmcnt(0)
	v_fmac_f64_e32 v[132:133], v[140:141], v[136:137]
	buffer_load_dword v137, off, s[0:3], 0 offset:260
	buffer_load_dword v136, off, s[0:3], 0 offset:256
	buffer_load_dword v141, off, s[0:3], 0 offset:268
	buffer_load_dword v140, off, s[0:3], 0 offset:264
	s_waitcnt vmcnt(2)
	v_fmac_f64_e32 v[132:133], v[136:137], v[138:139]
	ds_read2_b64 v[136:139], v134 offset0:97 offset1:98
	s_waitcnt vmcnt(0) lgkmcnt(0)
	v_fmac_f64_e32 v[132:133], v[140:141], v[136:137]
	;; [unrolled: 9-line block ×16, first 2 shown]
	buffer_load_dword v137, off, s[0:3], 0 offset:500
	buffer_load_dword v136, off, s[0:3], 0 offset:496
	s_waitcnt vmcnt(0)
	v_fmac_f64_e32 v[132:133], v[136:137], v[138:139]
	buffer_load_dword v137, off, s[0:3], 0 offset:508
	buffer_load_dword v136, off, s[0:3], 0 offset:504
	ds_read_b64 v[138:139], v134 offset:1016
	s_waitcnt vmcnt(0) lgkmcnt(0)
	v_fmac_f64_e32 v[132:133], v[136:137], v[138:139]
	v_add_f64 v[130:131], v[130:131], -v[132:133]
	buffer_store_dword v131, off, s[0:3], 0 offset:180
	buffer_store_dword v130, off, s[0:3], 0 offset:176
	s_and_saveexec_b64 s[4:5], vcc
	s_cbranch_execz .LBB63_349
; %bb.348:
	buffer_load_dword v130, off, s[0:3], 0 offset:168
	buffer_load_dword v131, off, s[0:3], 0 offset:172
	s_waitcnt vmcnt(0)
	ds_write_b64 v1, v[130:131]
	buffer_store_dword v134, off, s[0:3], 0 offset:168
	buffer_store_dword v134, off, s[0:3], 0 offset:172
.LBB63_349:
	s_or_b64 exec, exec, s[4:5]
	s_waitcnt lgkmcnt(0)
	; wave barrier
	s_waitcnt lgkmcnt(0)
	buffer_load_dword v130, off, s[0:3], 0 offset:168
	buffer_load_dword v131, off, s[0:3], 0 offset:172
	buffer_load_dword v132, off, s[0:3], 0 offset:176
	buffer_load_dword v133, off, s[0:3], 0 offset:180
	buffer_load_dword v152, off, s[0:3], 0 offset:184
	buffer_load_dword v153, off, s[0:3], 0 offset:188
	buffer_load_dword v154, off, s[0:3], 0 offset:192
	buffer_load_dword v155, off, s[0:3], 0 offset:196
	buffer_load_dword v156, off, s[0:3], 0 offset:200
	buffer_load_dword v157, off, s[0:3], 0 offset:204
	buffer_load_dword v158, off, s[0:3], 0 offset:208
	buffer_load_dword v159, off, s[0:3], 0 offset:212
	buffer_load_dword v160, off, s[0:3], 0 offset:216
	buffer_load_dword v161, off, s[0:3], 0 offset:220
	buffer_load_dword v162, off, s[0:3], 0 offset:224
	buffer_load_dword v163, off, s[0:3], 0 offset:228
	ds_read_b128 v[136:139], v134 offset:688
	ds_read_b128 v[140:143], v134 offset:704
	;; [unrolled: 1-line block ×4, first 2 shown]
	v_cmp_lt_u32_e32 vcc, 20, v0
	s_waitcnt vmcnt(12) lgkmcnt(3)
	v_fma_f64 v[132:133], v[132:133], v[136:137], 0
	buffer_load_dword v137, off, s[0:3], 0 offset:236
	buffer_load_dword v136, off, s[0:3], 0 offset:232
	s_waitcnt vmcnt(12)
	v_fmac_f64_e32 v[132:133], v[152:153], v[138:139]
	s_waitcnt vmcnt(10) lgkmcnt(2)
	v_fmac_f64_e32 v[132:133], v[154:155], v[140:141]
	buffer_load_dword v141, off, s[0:3], 0 offset:244
	buffer_load_dword v140, off, s[0:3], 0 offset:240
	s_waitcnt vmcnt(10)
	v_fmac_f64_e32 v[132:133], v[156:157], v[142:143]
	s_waitcnt vmcnt(8) lgkmcnt(1)
	v_fmac_f64_e32 v[132:133], v[158:159], v[144:145]
	s_waitcnt vmcnt(6)
	v_fmac_f64_e32 v[132:133], v[160:161], v[146:147]
	s_waitcnt vmcnt(4) lgkmcnt(0)
	v_fmac_f64_e32 v[132:133], v[162:163], v[148:149]
	s_waitcnt vmcnt(2)
	v_fmac_f64_e32 v[132:133], v[136:137], v[150:151]
	ds_read_b128 v[136:139], v134 offset:752
	s_waitcnt vmcnt(0) lgkmcnt(0)
	v_fmac_f64_e32 v[132:133], v[140:141], v[136:137]
	buffer_load_dword v137, off, s[0:3], 0 offset:252
	buffer_load_dword v136, off, s[0:3], 0 offset:248
	buffer_load_dword v141, off, s[0:3], 0 offset:260
	buffer_load_dword v140, off, s[0:3], 0 offset:256
	s_waitcnt vmcnt(2)
	v_fmac_f64_e32 v[132:133], v[136:137], v[138:139]
	ds_read_b128 v[136:139], v134 offset:768
	s_waitcnt vmcnt(0) lgkmcnt(0)
	v_fmac_f64_e32 v[132:133], v[140:141], v[136:137]
	buffer_load_dword v137, off, s[0:3], 0 offset:268
	buffer_load_dword v136, off, s[0:3], 0 offset:264
	buffer_load_dword v141, off, s[0:3], 0 offset:276
	buffer_load_dword v140, off, s[0:3], 0 offset:272
	;; [unrolled: 9-line block ×15, first 2 shown]
	s_waitcnt vmcnt(2)
	v_fmac_f64_e32 v[132:133], v[136:137], v[138:139]
	ds_read_b128 v[136:139], v134 offset:992
	s_waitcnt vmcnt(0) lgkmcnt(0)
	v_fmac_f64_e32 v[132:133], v[140:141], v[136:137]
	buffer_load_dword v137, off, s[0:3], 0 offset:492
	buffer_load_dword v136, off, s[0:3], 0 offset:488
	s_waitcnt vmcnt(0)
	v_fmac_f64_e32 v[132:133], v[136:137], v[138:139]
	buffer_load_dword v139, off, s[0:3], 0 offset:500
	buffer_load_dword v138, off, s[0:3], 0 offset:496
	ds_read_b128 v[134:137], v134 offset:1008
	s_waitcnt vmcnt(0) lgkmcnt(0)
	v_fmac_f64_e32 v[132:133], v[138:139], v[134:135]
	buffer_load_dword v135, off, s[0:3], 0 offset:508
	buffer_load_dword v134, off, s[0:3], 0 offset:504
	s_waitcnt vmcnt(0)
	v_fmac_f64_e32 v[132:133], v[134:135], v[136:137]
	v_add_f64 v[130:131], v[130:131], -v[132:133]
	buffer_store_dword v131, off, s[0:3], 0 offset:172
	buffer_store_dword v130, off, s[0:3], 0 offset:168
	s_and_saveexec_b64 s[4:5], vcc
	s_cbranch_execz .LBB63_351
; %bb.350:
	buffer_load_dword v130, off, s[0:3], 0 offset:160
	buffer_load_dword v131, off, s[0:3], 0 offset:164
	v_mov_b32_e32 v132, 0
	buffer_store_dword v132, off, s[0:3], 0 offset:160
	buffer_store_dword v132, off, s[0:3], 0 offset:164
	s_waitcnt vmcnt(2)
	ds_write_b64 v1, v[130:131]
.LBB63_351:
	s_or_b64 exec, exec, s[4:5]
	s_waitcnt lgkmcnt(0)
	; wave barrier
	s_waitcnt lgkmcnt(0)
	buffer_load_dword v130, off, s[0:3], 0 offset:160
	buffer_load_dword v131, off, s[0:3], 0 offset:164
	buffer_load_dword v132, off, s[0:3], 0 offset:168
	buffer_load_dword v133, off, s[0:3], 0 offset:172
	buffer_load_dword v140, off, s[0:3], 0 offset:176
	buffer_load_dword v141, off, s[0:3], 0 offset:180
	buffer_load_dword v142, off, s[0:3], 0 offset:184
	buffer_load_dword v143, off, s[0:3], 0 offset:188
	buffer_load_dword v144, off, s[0:3], 0 offset:192
	buffer_load_dword v145, off, s[0:3], 0 offset:196
	buffer_load_dword v146, off, s[0:3], 0 offset:200
	buffer_load_dword v147, off, s[0:3], 0 offset:204
	buffer_load_dword v148, off, s[0:3], 0 offset:208
	buffer_load_dword v149, off, s[0:3], 0 offset:212
	buffer_load_dword v150, off, s[0:3], 0 offset:216
	buffer_load_dword v151, off, s[0:3], 0 offset:220
	v_mov_b32_e32 v134, 0
	ds_read2_b64 v[136:139], v134 offset0:85 offset1:86
	v_cmp_lt_u32_e32 vcc, 19, v0
	s_waitcnt vmcnt(12) lgkmcnt(0)
	v_fma_f64 v[132:133], v[132:133], v[136:137], 0
	s_waitcnt vmcnt(10)
	v_fmac_f64_e32 v[132:133], v[140:141], v[138:139]
	ds_read2_b64 v[136:139], v134 offset0:87 offset1:88
	s_waitcnt vmcnt(8) lgkmcnt(0)
	v_fmac_f64_e32 v[132:133], v[142:143], v[136:137]
	s_waitcnt vmcnt(6)
	v_fmac_f64_e32 v[132:133], v[144:145], v[138:139]
	ds_read2_b64 v[136:139], v134 offset0:89 offset1:90
	s_waitcnt vmcnt(4) lgkmcnt(0)
	v_fmac_f64_e32 v[132:133], v[146:147], v[136:137]
	;; [unrolled: 5-line block ×3, first 2 shown]
	buffer_load_dword v137, off, s[0:3], 0 offset:228
	buffer_load_dword v136, off, s[0:3], 0 offset:224
	buffer_load_dword v141, off, s[0:3], 0 offset:236
	buffer_load_dword v140, off, s[0:3], 0 offset:232
	s_waitcnt vmcnt(2)
	v_fmac_f64_e32 v[132:133], v[136:137], v[138:139]
	ds_read2_b64 v[136:139], v134 offset0:93 offset1:94
	s_waitcnt vmcnt(0) lgkmcnt(0)
	v_fmac_f64_e32 v[132:133], v[140:141], v[136:137]
	buffer_load_dword v137, off, s[0:3], 0 offset:244
	buffer_load_dword v136, off, s[0:3], 0 offset:240
	buffer_load_dword v141, off, s[0:3], 0 offset:252
	buffer_load_dword v140, off, s[0:3], 0 offset:248
	s_waitcnt vmcnt(2)
	v_fmac_f64_e32 v[132:133], v[136:137], v[138:139]
	ds_read2_b64 v[136:139], v134 offset0:95 offset1:96
	s_waitcnt vmcnt(0) lgkmcnt(0)
	v_fmac_f64_e32 v[132:133], v[140:141], v[136:137]
	;; [unrolled: 9-line block ×17, first 2 shown]
	buffer_load_dword v137, off, s[0:3], 0 offset:500
	buffer_load_dword v136, off, s[0:3], 0 offset:496
	s_waitcnt vmcnt(0)
	v_fmac_f64_e32 v[132:133], v[136:137], v[138:139]
	buffer_load_dword v137, off, s[0:3], 0 offset:508
	buffer_load_dword v136, off, s[0:3], 0 offset:504
	ds_read_b64 v[138:139], v134 offset:1016
	s_waitcnt vmcnt(0) lgkmcnt(0)
	v_fmac_f64_e32 v[132:133], v[136:137], v[138:139]
	v_add_f64 v[130:131], v[130:131], -v[132:133]
	buffer_store_dword v131, off, s[0:3], 0 offset:164
	buffer_store_dword v130, off, s[0:3], 0 offset:160
	s_and_saveexec_b64 s[4:5], vcc
	s_cbranch_execz .LBB63_353
; %bb.352:
	buffer_load_dword v130, off, s[0:3], 0 offset:152
	buffer_load_dword v131, off, s[0:3], 0 offset:156
	s_waitcnt vmcnt(0)
	ds_write_b64 v1, v[130:131]
	buffer_store_dword v134, off, s[0:3], 0 offset:152
	buffer_store_dword v134, off, s[0:3], 0 offset:156
.LBB63_353:
	s_or_b64 exec, exec, s[4:5]
	s_waitcnt lgkmcnt(0)
	; wave barrier
	s_waitcnt lgkmcnt(0)
	buffer_load_dword v130, off, s[0:3], 0 offset:152
	buffer_load_dword v131, off, s[0:3], 0 offset:156
	;; [unrolled: 1-line block ×16, first 2 shown]
	ds_read_b128 v[136:139], v134 offset:672
	ds_read_b128 v[140:143], v134 offset:688
	;; [unrolled: 1-line block ×4, first 2 shown]
	v_cmp_lt_u32_e32 vcc, 18, v0
	s_waitcnt vmcnt(12) lgkmcnt(3)
	v_fma_f64 v[132:133], v[132:133], v[136:137], 0
	buffer_load_dword v137, off, s[0:3], 0 offset:220
	buffer_load_dword v136, off, s[0:3], 0 offset:216
	s_waitcnt vmcnt(12)
	v_fmac_f64_e32 v[132:133], v[152:153], v[138:139]
	s_waitcnt vmcnt(10) lgkmcnt(2)
	v_fmac_f64_e32 v[132:133], v[154:155], v[140:141]
	buffer_load_dword v141, off, s[0:3], 0 offset:228
	buffer_load_dword v140, off, s[0:3], 0 offset:224
	s_waitcnt vmcnt(10)
	v_fmac_f64_e32 v[132:133], v[156:157], v[142:143]
	s_waitcnt vmcnt(8) lgkmcnt(1)
	v_fmac_f64_e32 v[132:133], v[158:159], v[144:145]
	s_waitcnt vmcnt(6)
	v_fmac_f64_e32 v[132:133], v[160:161], v[146:147]
	s_waitcnt vmcnt(4) lgkmcnt(0)
	v_fmac_f64_e32 v[132:133], v[162:163], v[148:149]
	s_waitcnt vmcnt(2)
	v_fmac_f64_e32 v[132:133], v[136:137], v[150:151]
	ds_read_b128 v[136:139], v134 offset:736
	s_waitcnt vmcnt(0) lgkmcnt(0)
	v_fmac_f64_e32 v[132:133], v[140:141], v[136:137]
	buffer_load_dword v137, off, s[0:3], 0 offset:236
	buffer_load_dword v136, off, s[0:3], 0 offset:232
	buffer_load_dword v141, off, s[0:3], 0 offset:244
	buffer_load_dword v140, off, s[0:3], 0 offset:240
	s_waitcnt vmcnt(2)
	v_fmac_f64_e32 v[132:133], v[136:137], v[138:139]
	ds_read_b128 v[136:139], v134 offset:752
	s_waitcnt vmcnt(0) lgkmcnt(0)
	v_fmac_f64_e32 v[132:133], v[140:141], v[136:137]
	buffer_load_dword v137, off, s[0:3], 0 offset:252
	buffer_load_dword v136, off, s[0:3], 0 offset:248
	buffer_load_dword v141, off, s[0:3], 0 offset:260
	buffer_load_dword v140, off, s[0:3], 0 offset:256
	;; [unrolled: 9-line block ×16, first 2 shown]
	s_waitcnt vmcnt(2)
	v_fmac_f64_e32 v[132:133], v[136:137], v[138:139]
	ds_read_b128 v[136:139], v134 offset:992
	s_waitcnt vmcnt(0) lgkmcnt(0)
	v_fmac_f64_e32 v[132:133], v[140:141], v[136:137]
	buffer_load_dword v137, off, s[0:3], 0 offset:492
	buffer_load_dword v136, off, s[0:3], 0 offset:488
	s_waitcnt vmcnt(0)
	v_fmac_f64_e32 v[132:133], v[136:137], v[138:139]
	buffer_load_dword v139, off, s[0:3], 0 offset:500
	buffer_load_dword v138, off, s[0:3], 0 offset:496
	ds_read_b128 v[134:137], v134 offset:1008
	s_waitcnt vmcnt(0) lgkmcnt(0)
	v_fmac_f64_e32 v[132:133], v[138:139], v[134:135]
	buffer_load_dword v135, off, s[0:3], 0 offset:508
	buffer_load_dword v134, off, s[0:3], 0 offset:504
	s_waitcnt vmcnt(0)
	v_fmac_f64_e32 v[132:133], v[134:135], v[136:137]
	v_add_f64 v[130:131], v[130:131], -v[132:133]
	buffer_store_dword v131, off, s[0:3], 0 offset:156
	buffer_store_dword v130, off, s[0:3], 0 offset:152
	s_and_saveexec_b64 s[4:5], vcc
	s_cbranch_execz .LBB63_355
; %bb.354:
	buffer_load_dword v130, off, s[0:3], 0 offset:144
	buffer_load_dword v131, off, s[0:3], 0 offset:148
	v_mov_b32_e32 v132, 0
	buffer_store_dword v132, off, s[0:3], 0 offset:144
	buffer_store_dword v132, off, s[0:3], 0 offset:148
	s_waitcnt vmcnt(2)
	ds_write_b64 v1, v[130:131]
.LBB63_355:
	s_or_b64 exec, exec, s[4:5]
	s_waitcnt lgkmcnt(0)
	; wave barrier
	s_waitcnt lgkmcnt(0)
	buffer_load_dword v130, off, s[0:3], 0 offset:144
	buffer_load_dword v131, off, s[0:3], 0 offset:148
	;; [unrolled: 1-line block ×16, first 2 shown]
	v_mov_b32_e32 v134, 0
	ds_read2_b64 v[136:139], v134 offset0:83 offset1:84
	v_cmp_lt_u32_e32 vcc, 17, v0
	s_waitcnt vmcnt(12) lgkmcnt(0)
	v_fma_f64 v[132:133], v[132:133], v[136:137], 0
	s_waitcnt vmcnt(10)
	v_fmac_f64_e32 v[132:133], v[140:141], v[138:139]
	ds_read2_b64 v[136:139], v134 offset0:85 offset1:86
	s_waitcnt vmcnt(8) lgkmcnt(0)
	v_fmac_f64_e32 v[132:133], v[142:143], v[136:137]
	s_waitcnt vmcnt(6)
	v_fmac_f64_e32 v[132:133], v[144:145], v[138:139]
	ds_read2_b64 v[136:139], v134 offset0:87 offset1:88
	s_waitcnt vmcnt(4) lgkmcnt(0)
	v_fmac_f64_e32 v[132:133], v[146:147], v[136:137]
	;; [unrolled: 5-line block ×3, first 2 shown]
	buffer_load_dword v137, off, s[0:3], 0 offset:212
	buffer_load_dword v136, off, s[0:3], 0 offset:208
	buffer_load_dword v141, off, s[0:3], 0 offset:220
	buffer_load_dword v140, off, s[0:3], 0 offset:216
	s_waitcnt vmcnt(2)
	v_fmac_f64_e32 v[132:133], v[136:137], v[138:139]
	ds_read2_b64 v[136:139], v134 offset0:91 offset1:92
	s_waitcnt vmcnt(0) lgkmcnt(0)
	v_fmac_f64_e32 v[132:133], v[140:141], v[136:137]
	buffer_load_dword v137, off, s[0:3], 0 offset:228
	buffer_load_dword v136, off, s[0:3], 0 offset:224
	buffer_load_dword v141, off, s[0:3], 0 offset:236
	buffer_load_dword v140, off, s[0:3], 0 offset:232
	s_waitcnt vmcnt(2)
	v_fmac_f64_e32 v[132:133], v[136:137], v[138:139]
	ds_read2_b64 v[136:139], v134 offset0:93 offset1:94
	s_waitcnt vmcnt(0) lgkmcnt(0)
	v_fmac_f64_e32 v[132:133], v[140:141], v[136:137]
	;; [unrolled: 9-line block ×18, first 2 shown]
	buffer_load_dword v137, off, s[0:3], 0 offset:500
	buffer_load_dword v136, off, s[0:3], 0 offset:496
	s_waitcnt vmcnt(0)
	v_fmac_f64_e32 v[132:133], v[136:137], v[138:139]
	buffer_load_dword v137, off, s[0:3], 0 offset:508
	buffer_load_dword v136, off, s[0:3], 0 offset:504
	ds_read_b64 v[138:139], v134 offset:1016
	s_waitcnt vmcnt(0) lgkmcnt(0)
	v_fmac_f64_e32 v[132:133], v[136:137], v[138:139]
	v_add_f64 v[130:131], v[130:131], -v[132:133]
	buffer_store_dword v131, off, s[0:3], 0 offset:148
	buffer_store_dword v130, off, s[0:3], 0 offset:144
	s_and_saveexec_b64 s[4:5], vcc
	s_cbranch_execz .LBB63_357
; %bb.356:
	buffer_load_dword v130, off, s[0:3], 0 offset:136
	buffer_load_dword v131, off, s[0:3], 0 offset:140
	s_waitcnt vmcnt(0)
	ds_write_b64 v1, v[130:131]
	buffer_store_dword v134, off, s[0:3], 0 offset:136
	buffer_store_dword v134, off, s[0:3], 0 offset:140
.LBB63_357:
	s_or_b64 exec, exec, s[4:5]
	s_waitcnt lgkmcnt(0)
	; wave barrier
	s_waitcnt lgkmcnt(0)
	buffer_load_dword v130, off, s[0:3], 0 offset:136
	buffer_load_dword v131, off, s[0:3], 0 offset:140
	;; [unrolled: 1-line block ×16, first 2 shown]
	ds_read_b128 v[136:139], v134 offset:656
	ds_read_b128 v[140:143], v134 offset:672
	ds_read_b128 v[144:147], v134 offset:688
	ds_read_b128 v[148:151], v134 offset:704
	v_cmp_lt_u32_e32 vcc, 16, v0
	s_waitcnt vmcnt(12) lgkmcnt(3)
	v_fma_f64 v[132:133], v[132:133], v[136:137], 0
	buffer_load_dword v137, off, s[0:3], 0 offset:204
	buffer_load_dword v136, off, s[0:3], 0 offset:200
	s_waitcnt vmcnt(12)
	v_fmac_f64_e32 v[132:133], v[152:153], v[138:139]
	s_waitcnt vmcnt(10) lgkmcnt(2)
	v_fmac_f64_e32 v[132:133], v[154:155], v[140:141]
	buffer_load_dword v141, off, s[0:3], 0 offset:212
	buffer_load_dword v140, off, s[0:3], 0 offset:208
	s_waitcnt vmcnt(10)
	v_fmac_f64_e32 v[132:133], v[156:157], v[142:143]
	s_waitcnt vmcnt(8) lgkmcnt(1)
	v_fmac_f64_e32 v[132:133], v[158:159], v[144:145]
	s_waitcnt vmcnt(6)
	v_fmac_f64_e32 v[132:133], v[160:161], v[146:147]
	s_waitcnt vmcnt(4) lgkmcnt(0)
	v_fmac_f64_e32 v[132:133], v[162:163], v[148:149]
	s_waitcnt vmcnt(2)
	v_fmac_f64_e32 v[132:133], v[136:137], v[150:151]
	ds_read_b128 v[136:139], v134 offset:720
	s_waitcnt vmcnt(0) lgkmcnt(0)
	v_fmac_f64_e32 v[132:133], v[140:141], v[136:137]
	buffer_load_dword v137, off, s[0:3], 0 offset:220
	buffer_load_dword v136, off, s[0:3], 0 offset:216
	buffer_load_dword v141, off, s[0:3], 0 offset:228
	buffer_load_dword v140, off, s[0:3], 0 offset:224
	s_waitcnt vmcnt(2)
	v_fmac_f64_e32 v[132:133], v[136:137], v[138:139]
	ds_read_b128 v[136:139], v134 offset:736
	s_waitcnt vmcnt(0) lgkmcnt(0)
	v_fmac_f64_e32 v[132:133], v[140:141], v[136:137]
	buffer_load_dword v137, off, s[0:3], 0 offset:236
	buffer_load_dword v136, off, s[0:3], 0 offset:232
	buffer_load_dword v141, off, s[0:3], 0 offset:244
	buffer_load_dword v140, off, s[0:3], 0 offset:240
	;; [unrolled: 9-line block ×17, first 2 shown]
	s_waitcnt vmcnt(2)
	v_fmac_f64_e32 v[132:133], v[136:137], v[138:139]
	ds_read_b128 v[136:139], v134 offset:992
	s_waitcnt vmcnt(0) lgkmcnt(0)
	v_fmac_f64_e32 v[132:133], v[140:141], v[136:137]
	buffer_load_dword v137, off, s[0:3], 0 offset:492
	buffer_load_dword v136, off, s[0:3], 0 offset:488
	s_waitcnt vmcnt(0)
	v_fmac_f64_e32 v[132:133], v[136:137], v[138:139]
	buffer_load_dword v139, off, s[0:3], 0 offset:500
	buffer_load_dword v138, off, s[0:3], 0 offset:496
	ds_read_b128 v[134:137], v134 offset:1008
	s_waitcnt vmcnt(0) lgkmcnt(0)
	v_fmac_f64_e32 v[132:133], v[138:139], v[134:135]
	buffer_load_dword v135, off, s[0:3], 0 offset:508
	buffer_load_dword v134, off, s[0:3], 0 offset:504
	s_waitcnt vmcnt(0)
	v_fmac_f64_e32 v[132:133], v[134:135], v[136:137]
	v_add_f64 v[130:131], v[130:131], -v[132:133]
	buffer_store_dword v131, off, s[0:3], 0 offset:140
	buffer_store_dword v130, off, s[0:3], 0 offset:136
	s_and_saveexec_b64 s[4:5], vcc
	s_cbranch_execz .LBB63_359
; %bb.358:
	buffer_load_dword v130, off, s[0:3], 0 offset:128
	buffer_load_dword v131, off, s[0:3], 0 offset:132
	v_mov_b32_e32 v132, 0
	buffer_store_dword v132, off, s[0:3], 0 offset:128
	buffer_store_dword v132, off, s[0:3], 0 offset:132
	s_waitcnt vmcnt(2)
	ds_write_b64 v1, v[130:131]
.LBB63_359:
	s_or_b64 exec, exec, s[4:5]
	s_waitcnt lgkmcnt(0)
	; wave barrier
	s_waitcnt lgkmcnt(0)
	buffer_load_dword v130, off, s[0:3], 0 offset:128
	buffer_load_dword v131, off, s[0:3], 0 offset:132
	;; [unrolled: 1-line block ×16, first 2 shown]
	v_mov_b32_e32 v134, 0
	ds_read2_b64 v[136:139], v134 offset0:81 offset1:82
	v_cmp_lt_u32_e32 vcc, 15, v0
	s_waitcnt vmcnt(12) lgkmcnt(0)
	v_fma_f64 v[132:133], v[132:133], v[136:137], 0
	s_waitcnt vmcnt(10)
	v_fmac_f64_e32 v[132:133], v[140:141], v[138:139]
	ds_read2_b64 v[136:139], v134 offset0:83 offset1:84
	s_waitcnt vmcnt(8) lgkmcnt(0)
	v_fmac_f64_e32 v[132:133], v[142:143], v[136:137]
	s_waitcnt vmcnt(6)
	v_fmac_f64_e32 v[132:133], v[144:145], v[138:139]
	ds_read2_b64 v[136:139], v134 offset0:85 offset1:86
	s_waitcnt vmcnt(4) lgkmcnt(0)
	v_fmac_f64_e32 v[132:133], v[146:147], v[136:137]
	;; [unrolled: 5-line block ×3, first 2 shown]
	buffer_load_dword v137, off, s[0:3], 0 offset:196
	buffer_load_dword v136, off, s[0:3], 0 offset:192
	buffer_load_dword v141, off, s[0:3], 0 offset:204
	buffer_load_dword v140, off, s[0:3], 0 offset:200
	s_waitcnt vmcnt(2)
	v_fmac_f64_e32 v[132:133], v[136:137], v[138:139]
	ds_read2_b64 v[136:139], v134 offset0:89 offset1:90
	s_waitcnt vmcnt(0) lgkmcnt(0)
	v_fmac_f64_e32 v[132:133], v[140:141], v[136:137]
	buffer_load_dword v137, off, s[0:3], 0 offset:212
	buffer_load_dword v136, off, s[0:3], 0 offset:208
	buffer_load_dword v141, off, s[0:3], 0 offset:220
	buffer_load_dword v140, off, s[0:3], 0 offset:216
	s_waitcnt vmcnt(2)
	v_fmac_f64_e32 v[132:133], v[136:137], v[138:139]
	ds_read2_b64 v[136:139], v134 offset0:91 offset1:92
	s_waitcnt vmcnt(0) lgkmcnt(0)
	v_fmac_f64_e32 v[132:133], v[140:141], v[136:137]
	buffer_load_dword v137, off, s[0:3], 0 offset:228
	buffer_load_dword v136, off, s[0:3], 0 offset:224
	buffer_load_dword v141, off, s[0:3], 0 offset:236
	buffer_load_dword v140, off, s[0:3], 0 offset:232
	s_waitcnt vmcnt(2)
	v_fmac_f64_e32 v[132:133], v[136:137], v[138:139]
	ds_read2_b64 v[136:139], v134 offset0:93 offset1:94
	s_waitcnt vmcnt(0) lgkmcnt(0)
	v_fmac_f64_e32 v[132:133], v[140:141], v[136:137]
	buffer_load_dword v137, off, s[0:3], 0 offset:244
	buffer_load_dword v136, off, s[0:3], 0 offset:240
	buffer_load_dword v141, off, s[0:3], 0 offset:252
	buffer_load_dword v140, off, s[0:3], 0 offset:248
	s_waitcnt vmcnt(2)
	v_fmac_f64_e32 v[132:133], v[136:137], v[138:139]
	ds_read2_b64 v[136:139], v134 offset0:95 offset1:96
	s_waitcnt vmcnt(0) lgkmcnt(0)
	v_fmac_f64_e32 v[132:133], v[140:141], v[136:137]
	buffer_load_dword v137, off, s[0:3], 0 offset:260
	buffer_load_dword v136, off, s[0:3], 0 offset:256
	buffer_load_dword v141, off, s[0:3], 0 offset:268
	buffer_load_dword v140, off, s[0:3], 0 offset:264
	s_waitcnt vmcnt(2)
	v_fmac_f64_e32 v[132:133], v[136:137], v[138:139]
	ds_read2_b64 v[136:139], v134 offset0:97 offset1:98
	s_waitcnt vmcnt(0) lgkmcnt(0)
	v_fmac_f64_e32 v[132:133], v[140:141], v[136:137]
	buffer_load_dword v137, off, s[0:3], 0 offset:276
	buffer_load_dword v136, off, s[0:3], 0 offset:272
	buffer_load_dword v141, off, s[0:3], 0 offset:284
	buffer_load_dword v140, off, s[0:3], 0 offset:280
	s_waitcnt vmcnt(2)
	v_fmac_f64_e32 v[132:133], v[136:137], v[138:139]
	ds_read2_b64 v[136:139], v134 offset0:99 offset1:100
	s_waitcnt vmcnt(0) lgkmcnt(0)
	v_fmac_f64_e32 v[132:133], v[140:141], v[136:137]
	buffer_load_dword v137, off, s[0:3], 0 offset:292
	buffer_load_dword v136, off, s[0:3], 0 offset:288
	buffer_load_dword v141, off, s[0:3], 0 offset:300
	buffer_load_dword v140, off, s[0:3], 0 offset:296
	s_waitcnt vmcnt(2)
	v_fmac_f64_e32 v[132:133], v[136:137], v[138:139]
	ds_read2_b64 v[136:139], v134 offset0:101 offset1:102
	s_waitcnt vmcnt(0) lgkmcnt(0)
	v_fmac_f64_e32 v[132:133], v[140:141], v[136:137]
	buffer_load_dword v137, off, s[0:3], 0 offset:308
	buffer_load_dword v136, off, s[0:3], 0 offset:304
	buffer_load_dword v141, off, s[0:3], 0 offset:316
	buffer_load_dword v140, off, s[0:3], 0 offset:312
	s_waitcnt vmcnt(2)
	v_fmac_f64_e32 v[132:133], v[136:137], v[138:139]
	ds_read2_b64 v[136:139], v134 offset0:103 offset1:104
	s_waitcnt vmcnt(0) lgkmcnt(0)
	v_fmac_f64_e32 v[132:133], v[140:141], v[136:137]
	buffer_load_dword v137, off, s[0:3], 0 offset:324
	buffer_load_dword v136, off, s[0:3], 0 offset:320
	buffer_load_dword v141, off, s[0:3], 0 offset:332
	buffer_load_dword v140, off, s[0:3], 0 offset:328
	s_waitcnt vmcnt(2)
	v_fmac_f64_e32 v[132:133], v[136:137], v[138:139]
	ds_read2_b64 v[136:139], v134 offset0:105 offset1:106
	s_waitcnt vmcnt(0) lgkmcnt(0)
	v_fmac_f64_e32 v[132:133], v[140:141], v[136:137]
	buffer_load_dword v137, off, s[0:3], 0 offset:340
	buffer_load_dword v136, off, s[0:3], 0 offset:336
	buffer_load_dword v141, off, s[0:3], 0 offset:348
	buffer_load_dword v140, off, s[0:3], 0 offset:344
	s_waitcnt vmcnt(2)
	v_fmac_f64_e32 v[132:133], v[136:137], v[138:139]
	ds_read2_b64 v[136:139], v134 offset0:107 offset1:108
	s_waitcnt vmcnt(0) lgkmcnt(0)
	v_fmac_f64_e32 v[132:133], v[140:141], v[136:137]
	buffer_load_dword v137, off, s[0:3], 0 offset:356
	buffer_load_dword v136, off, s[0:3], 0 offset:352
	buffer_load_dword v141, off, s[0:3], 0 offset:364
	buffer_load_dword v140, off, s[0:3], 0 offset:360
	s_waitcnt vmcnt(2)
	v_fmac_f64_e32 v[132:133], v[136:137], v[138:139]
	ds_read2_b64 v[136:139], v134 offset0:109 offset1:110
	s_waitcnt vmcnt(0) lgkmcnt(0)
	v_fmac_f64_e32 v[132:133], v[140:141], v[136:137]
	buffer_load_dword v137, off, s[0:3], 0 offset:372
	buffer_load_dword v136, off, s[0:3], 0 offset:368
	buffer_load_dword v141, off, s[0:3], 0 offset:380
	buffer_load_dword v140, off, s[0:3], 0 offset:376
	s_waitcnt vmcnt(2)
	v_fmac_f64_e32 v[132:133], v[136:137], v[138:139]
	ds_read2_b64 v[136:139], v134 offset0:111 offset1:112
	s_waitcnt vmcnt(0) lgkmcnt(0)
	v_fmac_f64_e32 v[132:133], v[140:141], v[136:137]
	buffer_load_dword v137, off, s[0:3], 0 offset:388
	buffer_load_dword v136, off, s[0:3], 0 offset:384
	buffer_load_dword v141, off, s[0:3], 0 offset:396
	buffer_load_dword v140, off, s[0:3], 0 offset:392
	s_waitcnt vmcnt(2)
	v_fmac_f64_e32 v[132:133], v[136:137], v[138:139]
	ds_read2_b64 v[136:139], v134 offset0:113 offset1:114
	s_waitcnt vmcnt(0) lgkmcnt(0)
	v_fmac_f64_e32 v[132:133], v[140:141], v[136:137]
	buffer_load_dword v137, off, s[0:3], 0 offset:404
	buffer_load_dword v136, off, s[0:3], 0 offset:400
	buffer_load_dword v141, off, s[0:3], 0 offset:412
	buffer_load_dword v140, off, s[0:3], 0 offset:408
	s_waitcnt vmcnt(2)
	v_fmac_f64_e32 v[132:133], v[136:137], v[138:139]
	ds_read2_b64 v[136:139], v134 offset0:115 offset1:116
	s_waitcnt vmcnt(0) lgkmcnt(0)
	v_fmac_f64_e32 v[132:133], v[140:141], v[136:137]
	buffer_load_dword v137, off, s[0:3], 0 offset:420
	buffer_load_dword v136, off, s[0:3], 0 offset:416
	buffer_load_dword v141, off, s[0:3], 0 offset:428
	buffer_load_dword v140, off, s[0:3], 0 offset:424
	s_waitcnt vmcnt(2)
	v_fmac_f64_e32 v[132:133], v[136:137], v[138:139]
	ds_read2_b64 v[136:139], v134 offset0:117 offset1:118
	s_waitcnt vmcnt(0) lgkmcnt(0)
	v_fmac_f64_e32 v[132:133], v[140:141], v[136:137]
	buffer_load_dword v137, off, s[0:3], 0 offset:436
	buffer_load_dword v136, off, s[0:3], 0 offset:432
	buffer_load_dword v141, off, s[0:3], 0 offset:444
	buffer_load_dword v140, off, s[0:3], 0 offset:440
	s_waitcnt vmcnt(2)
	v_fmac_f64_e32 v[132:133], v[136:137], v[138:139]
	ds_read2_b64 v[136:139], v134 offset0:119 offset1:120
	s_waitcnt vmcnt(0) lgkmcnt(0)
	v_fmac_f64_e32 v[132:133], v[140:141], v[136:137]
	buffer_load_dword v137, off, s[0:3], 0 offset:452
	buffer_load_dword v136, off, s[0:3], 0 offset:448
	buffer_load_dword v141, off, s[0:3], 0 offset:460
	buffer_load_dword v140, off, s[0:3], 0 offset:456
	s_waitcnt vmcnt(2)
	v_fmac_f64_e32 v[132:133], v[136:137], v[138:139]
	ds_read2_b64 v[136:139], v134 offset0:121 offset1:122
	s_waitcnt vmcnt(0) lgkmcnt(0)
	v_fmac_f64_e32 v[132:133], v[140:141], v[136:137]
	buffer_load_dword v137, off, s[0:3], 0 offset:468
	buffer_load_dword v136, off, s[0:3], 0 offset:464
	buffer_load_dword v141, off, s[0:3], 0 offset:476
	buffer_load_dword v140, off, s[0:3], 0 offset:472
	s_waitcnt vmcnt(2)
	v_fmac_f64_e32 v[132:133], v[136:137], v[138:139]
	ds_read2_b64 v[136:139], v134 offset0:123 offset1:124
	s_waitcnt vmcnt(0) lgkmcnt(0)
	v_fmac_f64_e32 v[132:133], v[140:141], v[136:137]
	buffer_load_dword v137, off, s[0:3], 0 offset:484
	buffer_load_dword v136, off, s[0:3], 0 offset:480
	buffer_load_dword v141, off, s[0:3], 0 offset:492
	buffer_load_dword v140, off, s[0:3], 0 offset:488
	s_waitcnt vmcnt(2)
	v_fmac_f64_e32 v[132:133], v[136:137], v[138:139]
	ds_read2_b64 v[136:139], v134 offset0:125 offset1:126
	s_waitcnt vmcnt(0) lgkmcnt(0)
	v_fmac_f64_e32 v[132:133], v[140:141], v[136:137]
	buffer_load_dword v137, off, s[0:3], 0 offset:500
	buffer_load_dword v136, off, s[0:3], 0 offset:496
	s_waitcnt vmcnt(0)
	v_fmac_f64_e32 v[132:133], v[136:137], v[138:139]
	buffer_load_dword v137, off, s[0:3], 0 offset:508
	buffer_load_dword v136, off, s[0:3], 0 offset:504
	ds_read_b64 v[138:139], v134 offset:1016
	s_waitcnt vmcnt(0) lgkmcnt(0)
	v_fmac_f64_e32 v[132:133], v[136:137], v[138:139]
	v_add_f64 v[130:131], v[130:131], -v[132:133]
	buffer_store_dword v131, off, s[0:3], 0 offset:132
	buffer_store_dword v130, off, s[0:3], 0 offset:128
	s_and_saveexec_b64 s[4:5], vcc
	s_cbranch_execz .LBB63_361
; %bb.360:
	buffer_load_dword v130, off, s[0:3], 0 offset:120
	buffer_load_dword v131, off, s[0:3], 0 offset:124
	s_waitcnt vmcnt(0)
	ds_write_b64 v1, v[130:131]
	buffer_store_dword v134, off, s[0:3], 0 offset:120
	buffer_store_dword v134, off, s[0:3], 0 offset:124
.LBB63_361:
	s_or_b64 exec, exec, s[4:5]
	s_waitcnt lgkmcnt(0)
	; wave barrier
	s_waitcnt lgkmcnt(0)
	buffer_load_dword v130, off, s[0:3], 0 offset:120
	buffer_load_dword v131, off, s[0:3], 0 offset:124
	;; [unrolled: 1-line block ×16, first 2 shown]
	ds_read_b128 v[136:139], v134 offset:640
	ds_read_b128 v[140:143], v134 offset:656
	;; [unrolled: 1-line block ×4, first 2 shown]
	v_cmp_lt_u32_e32 vcc, 14, v0
	s_waitcnt vmcnt(12) lgkmcnt(3)
	v_fma_f64 v[132:133], v[132:133], v[136:137], 0
	buffer_load_dword v137, off, s[0:3], 0 offset:188
	buffer_load_dword v136, off, s[0:3], 0 offset:184
	s_waitcnt vmcnt(12)
	v_fmac_f64_e32 v[132:133], v[152:153], v[138:139]
	s_waitcnt vmcnt(10) lgkmcnt(2)
	v_fmac_f64_e32 v[132:133], v[154:155], v[140:141]
	buffer_load_dword v141, off, s[0:3], 0 offset:196
	buffer_load_dword v140, off, s[0:3], 0 offset:192
	s_waitcnt vmcnt(10)
	v_fmac_f64_e32 v[132:133], v[156:157], v[142:143]
	s_waitcnt vmcnt(8) lgkmcnt(1)
	v_fmac_f64_e32 v[132:133], v[158:159], v[144:145]
	s_waitcnt vmcnt(6)
	v_fmac_f64_e32 v[132:133], v[160:161], v[146:147]
	s_waitcnt vmcnt(4) lgkmcnt(0)
	v_fmac_f64_e32 v[132:133], v[162:163], v[148:149]
	s_waitcnt vmcnt(2)
	v_fmac_f64_e32 v[132:133], v[136:137], v[150:151]
	ds_read_b128 v[136:139], v134 offset:704
	s_waitcnt vmcnt(0) lgkmcnt(0)
	v_fmac_f64_e32 v[132:133], v[140:141], v[136:137]
	buffer_load_dword v137, off, s[0:3], 0 offset:204
	buffer_load_dword v136, off, s[0:3], 0 offset:200
	buffer_load_dword v141, off, s[0:3], 0 offset:212
	buffer_load_dword v140, off, s[0:3], 0 offset:208
	s_waitcnt vmcnt(2)
	v_fmac_f64_e32 v[132:133], v[136:137], v[138:139]
	ds_read_b128 v[136:139], v134 offset:720
	s_waitcnt vmcnt(0) lgkmcnt(0)
	v_fmac_f64_e32 v[132:133], v[140:141], v[136:137]
	buffer_load_dword v137, off, s[0:3], 0 offset:220
	buffer_load_dword v136, off, s[0:3], 0 offset:216
	buffer_load_dword v141, off, s[0:3], 0 offset:228
	buffer_load_dword v140, off, s[0:3], 0 offset:224
	;; [unrolled: 9-line block ×18, first 2 shown]
	s_waitcnt vmcnt(2)
	v_fmac_f64_e32 v[132:133], v[136:137], v[138:139]
	ds_read_b128 v[136:139], v134 offset:992
	s_waitcnt vmcnt(0) lgkmcnt(0)
	v_fmac_f64_e32 v[132:133], v[140:141], v[136:137]
	buffer_load_dword v137, off, s[0:3], 0 offset:492
	buffer_load_dword v136, off, s[0:3], 0 offset:488
	s_waitcnt vmcnt(0)
	v_fmac_f64_e32 v[132:133], v[136:137], v[138:139]
	buffer_load_dword v139, off, s[0:3], 0 offset:500
	buffer_load_dword v138, off, s[0:3], 0 offset:496
	ds_read_b128 v[134:137], v134 offset:1008
	s_waitcnt vmcnt(0) lgkmcnt(0)
	v_fmac_f64_e32 v[132:133], v[138:139], v[134:135]
	buffer_load_dword v135, off, s[0:3], 0 offset:508
	buffer_load_dword v134, off, s[0:3], 0 offset:504
	s_waitcnt vmcnt(0)
	v_fmac_f64_e32 v[132:133], v[134:135], v[136:137]
	v_add_f64 v[130:131], v[130:131], -v[132:133]
	buffer_store_dword v131, off, s[0:3], 0 offset:124
	buffer_store_dword v130, off, s[0:3], 0 offset:120
	s_and_saveexec_b64 s[4:5], vcc
	s_cbranch_execz .LBB63_363
; %bb.362:
	buffer_load_dword v130, off, s[0:3], 0 offset:112
	buffer_load_dword v131, off, s[0:3], 0 offset:116
	v_mov_b32_e32 v132, 0
	buffer_store_dword v132, off, s[0:3], 0 offset:112
	buffer_store_dword v132, off, s[0:3], 0 offset:116
	s_waitcnt vmcnt(2)
	ds_write_b64 v1, v[130:131]
.LBB63_363:
	s_or_b64 exec, exec, s[4:5]
	s_waitcnt lgkmcnt(0)
	; wave barrier
	s_waitcnt lgkmcnt(0)
	buffer_load_dword v130, off, s[0:3], 0 offset:112
	buffer_load_dword v131, off, s[0:3], 0 offset:116
	;; [unrolled: 1-line block ×16, first 2 shown]
	v_mov_b32_e32 v134, 0
	ds_read2_b64 v[136:139], v134 offset0:79 offset1:80
	v_cmp_lt_u32_e32 vcc, 13, v0
	s_waitcnt vmcnt(12) lgkmcnt(0)
	v_fma_f64 v[132:133], v[132:133], v[136:137], 0
	s_waitcnt vmcnt(10)
	v_fmac_f64_e32 v[132:133], v[140:141], v[138:139]
	ds_read2_b64 v[136:139], v134 offset0:81 offset1:82
	s_waitcnt vmcnt(8) lgkmcnt(0)
	v_fmac_f64_e32 v[132:133], v[142:143], v[136:137]
	s_waitcnt vmcnt(6)
	v_fmac_f64_e32 v[132:133], v[144:145], v[138:139]
	ds_read2_b64 v[136:139], v134 offset0:83 offset1:84
	s_waitcnt vmcnt(4) lgkmcnt(0)
	v_fmac_f64_e32 v[132:133], v[146:147], v[136:137]
	;; [unrolled: 5-line block ×3, first 2 shown]
	buffer_load_dword v137, off, s[0:3], 0 offset:180
	buffer_load_dword v136, off, s[0:3], 0 offset:176
	buffer_load_dword v141, off, s[0:3], 0 offset:188
	buffer_load_dword v140, off, s[0:3], 0 offset:184
	s_waitcnt vmcnt(2)
	v_fmac_f64_e32 v[132:133], v[136:137], v[138:139]
	ds_read2_b64 v[136:139], v134 offset0:87 offset1:88
	s_waitcnt vmcnt(0) lgkmcnt(0)
	v_fmac_f64_e32 v[132:133], v[140:141], v[136:137]
	buffer_load_dword v137, off, s[0:3], 0 offset:196
	buffer_load_dword v136, off, s[0:3], 0 offset:192
	buffer_load_dword v141, off, s[0:3], 0 offset:204
	buffer_load_dword v140, off, s[0:3], 0 offset:200
	s_waitcnt vmcnt(2)
	v_fmac_f64_e32 v[132:133], v[136:137], v[138:139]
	ds_read2_b64 v[136:139], v134 offset0:89 offset1:90
	s_waitcnt vmcnt(0) lgkmcnt(0)
	v_fmac_f64_e32 v[132:133], v[140:141], v[136:137]
	;; [unrolled: 9-line block ×20, first 2 shown]
	buffer_load_dword v137, off, s[0:3], 0 offset:500
	buffer_load_dword v136, off, s[0:3], 0 offset:496
	s_waitcnt vmcnt(0)
	v_fmac_f64_e32 v[132:133], v[136:137], v[138:139]
	buffer_load_dword v137, off, s[0:3], 0 offset:508
	buffer_load_dword v136, off, s[0:3], 0 offset:504
	ds_read_b64 v[138:139], v134 offset:1016
	s_waitcnt vmcnt(0) lgkmcnt(0)
	v_fmac_f64_e32 v[132:133], v[136:137], v[138:139]
	v_add_f64 v[130:131], v[130:131], -v[132:133]
	buffer_store_dword v131, off, s[0:3], 0 offset:116
	buffer_store_dword v130, off, s[0:3], 0 offset:112
	s_and_saveexec_b64 s[4:5], vcc
	s_cbranch_execz .LBB63_365
; %bb.364:
	buffer_load_dword v130, off, s[0:3], 0 offset:104
	buffer_load_dword v131, off, s[0:3], 0 offset:108
	s_waitcnt vmcnt(0)
	ds_write_b64 v1, v[130:131]
	buffer_store_dword v134, off, s[0:3], 0 offset:104
	buffer_store_dword v134, off, s[0:3], 0 offset:108
.LBB63_365:
	s_or_b64 exec, exec, s[4:5]
	s_waitcnt lgkmcnt(0)
	; wave barrier
	s_waitcnt lgkmcnt(0)
	buffer_load_dword v130, off, s[0:3], 0 offset:104
	buffer_load_dword v131, off, s[0:3], 0 offset:108
	buffer_load_dword v132, off, s[0:3], 0 offset:112
	buffer_load_dword v133, off, s[0:3], 0 offset:116
	buffer_load_dword v140, off, s[0:3], 0 offset:120
	buffer_load_dword v141, off, s[0:3], 0 offset:124
	buffer_load_dword v142, off, s[0:3], 0 offset:128
	buffer_load_dword v143, off, s[0:3], 0 offset:132
	buffer_load_dword v144, off, s[0:3], 0 offset:136
	buffer_load_dword v145, off, s[0:3], 0 offset:140
	buffer_load_dword v146, off, s[0:3], 0 offset:144
	buffer_load_dword v147, off, s[0:3], 0 offset:148
	buffer_load_dword v148, off, s[0:3], 0 offset:152
	buffer_load_dword v149, off, s[0:3], 0 offset:156
	buffer_load_dword v150, off, s[0:3], 0 offset:160
	buffer_load_dword v151, off, s[0:3], 0 offset:164
	ds_read_b128 v[136:139], v134 offset:624
	v_cmp_lt_u32_e32 vcc, 12, v0
	s_waitcnt vmcnt(12) lgkmcnt(0)
	v_fma_f64 v[132:133], v[132:133], v[136:137], 0
	s_waitcnt vmcnt(10)
	v_fmac_f64_e32 v[132:133], v[140:141], v[138:139]
	ds_read_b128 v[136:139], v134 offset:640
	s_waitcnt vmcnt(8) lgkmcnt(0)
	v_fmac_f64_e32 v[132:133], v[142:143], v[136:137]
	s_waitcnt vmcnt(6)
	v_fmac_f64_e32 v[132:133], v[144:145], v[138:139]
	ds_read_b128 v[136:139], v134 offset:656
	s_waitcnt vmcnt(4) lgkmcnt(0)
	v_fmac_f64_e32 v[132:133], v[146:147], v[136:137]
	;; [unrolled: 5-line block ×3, first 2 shown]
	buffer_load_dword v137, off, s[0:3], 0 offset:172
	buffer_load_dword v136, off, s[0:3], 0 offset:168
	buffer_load_dword v141, off, s[0:3], 0 offset:180
	buffer_load_dword v140, off, s[0:3], 0 offset:176
	s_waitcnt vmcnt(2)
	v_fmac_f64_e32 v[132:133], v[136:137], v[138:139]
	ds_read_b128 v[136:139], v134 offset:688
	s_waitcnt vmcnt(0) lgkmcnt(0)
	v_fmac_f64_e32 v[132:133], v[140:141], v[136:137]
	buffer_load_dword v137, off, s[0:3], 0 offset:188
	buffer_load_dword v136, off, s[0:3], 0 offset:184
	buffer_load_dword v141, off, s[0:3], 0 offset:196
	buffer_load_dword v140, off, s[0:3], 0 offset:192
	s_waitcnt vmcnt(2)
	v_fmac_f64_e32 v[132:133], v[136:137], v[138:139]
	ds_read_b128 v[136:139], v134 offset:704
	s_waitcnt vmcnt(0) lgkmcnt(0)
	v_fmac_f64_e32 v[132:133], v[140:141], v[136:137]
	;; [unrolled: 9-line block ×20, first 2 shown]
	buffer_load_dword v137, off, s[0:3], 0 offset:492
	buffer_load_dword v136, off, s[0:3], 0 offset:488
	s_waitcnt vmcnt(0)
	v_fmac_f64_e32 v[132:133], v[136:137], v[138:139]
	buffer_load_dword v139, off, s[0:3], 0 offset:500
	buffer_load_dword v138, off, s[0:3], 0 offset:496
	ds_read_b128 v[134:137], v134 offset:1008
	s_waitcnt vmcnt(0) lgkmcnt(0)
	v_fmac_f64_e32 v[132:133], v[138:139], v[134:135]
	buffer_load_dword v135, off, s[0:3], 0 offset:508
	buffer_load_dword v134, off, s[0:3], 0 offset:504
	s_waitcnt vmcnt(0)
	v_fmac_f64_e32 v[132:133], v[134:135], v[136:137]
	v_add_f64 v[130:131], v[130:131], -v[132:133]
	buffer_store_dword v131, off, s[0:3], 0 offset:108
	buffer_store_dword v130, off, s[0:3], 0 offset:104
	s_and_saveexec_b64 s[4:5], vcc
	s_cbranch_execz .LBB63_367
; %bb.366:
	buffer_load_dword v130, off, s[0:3], 0 offset:96
	buffer_load_dword v131, off, s[0:3], 0 offset:100
	v_mov_b32_e32 v132, 0
	buffer_store_dword v132, off, s[0:3], 0 offset:96
	buffer_store_dword v132, off, s[0:3], 0 offset:100
	s_waitcnt vmcnt(2)
	ds_write_b64 v1, v[130:131]
.LBB63_367:
	s_or_b64 exec, exec, s[4:5]
	s_waitcnt lgkmcnt(0)
	; wave barrier
	s_waitcnt lgkmcnt(0)
	buffer_load_dword v130, off, s[0:3], 0 offset:96
	buffer_load_dword v131, off, s[0:3], 0 offset:100
	;; [unrolled: 1-line block ×16, first 2 shown]
	v_mov_b32_e32 v134, 0
	ds_read2_b64 v[136:139], v134 offset0:77 offset1:78
	v_cmp_lt_u32_e32 vcc, 11, v0
	s_waitcnt vmcnt(12) lgkmcnt(0)
	v_fma_f64 v[132:133], v[132:133], v[136:137], 0
	s_waitcnt vmcnt(10)
	v_fmac_f64_e32 v[132:133], v[140:141], v[138:139]
	ds_read2_b64 v[136:139], v134 offset0:79 offset1:80
	s_waitcnt vmcnt(8) lgkmcnt(0)
	v_fmac_f64_e32 v[132:133], v[142:143], v[136:137]
	s_waitcnt vmcnt(6)
	v_fmac_f64_e32 v[132:133], v[144:145], v[138:139]
	ds_read2_b64 v[136:139], v134 offset0:81 offset1:82
	s_waitcnt vmcnt(4) lgkmcnt(0)
	v_fmac_f64_e32 v[132:133], v[146:147], v[136:137]
	s_waitcnt vmcnt(2)
	v_fmac_f64_e32 v[132:133], v[148:149], v[138:139]
	ds_read2_b64 v[136:139], v134 offset0:83 offset1:84
	s_waitcnt vmcnt(0) lgkmcnt(0)
	v_fmac_f64_e32 v[132:133], v[150:151], v[136:137]
	buffer_load_dword v137, off, s[0:3], 0 offset:164
	buffer_load_dword v136, off, s[0:3], 0 offset:160
	buffer_load_dword v141, off, s[0:3], 0 offset:172
	buffer_load_dword v140, off, s[0:3], 0 offset:168
	s_waitcnt vmcnt(2)
	v_fmac_f64_e32 v[132:133], v[136:137], v[138:139]
	ds_read2_b64 v[136:139], v134 offset0:85 offset1:86
	s_waitcnt vmcnt(0) lgkmcnt(0)
	v_fmac_f64_e32 v[132:133], v[140:141], v[136:137]
	buffer_load_dword v137, off, s[0:3], 0 offset:180
	buffer_load_dword v136, off, s[0:3], 0 offset:176
	buffer_load_dword v141, off, s[0:3], 0 offset:188
	buffer_load_dword v140, off, s[0:3], 0 offset:184
	s_waitcnt vmcnt(2)
	v_fmac_f64_e32 v[132:133], v[136:137], v[138:139]
	ds_read2_b64 v[136:139], v134 offset0:87 offset1:88
	s_waitcnt vmcnt(0) lgkmcnt(0)
	v_fmac_f64_e32 v[132:133], v[140:141], v[136:137]
	;; [unrolled: 9-line block ×21, first 2 shown]
	buffer_load_dword v137, off, s[0:3], 0 offset:500
	buffer_load_dword v136, off, s[0:3], 0 offset:496
	s_waitcnt vmcnt(0)
	v_fmac_f64_e32 v[132:133], v[136:137], v[138:139]
	buffer_load_dword v137, off, s[0:3], 0 offset:508
	buffer_load_dword v136, off, s[0:3], 0 offset:504
	ds_read_b64 v[138:139], v134 offset:1016
	s_waitcnt vmcnt(0) lgkmcnt(0)
	v_fmac_f64_e32 v[132:133], v[136:137], v[138:139]
	v_add_f64 v[130:131], v[130:131], -v[132:133]
	buffer_store_dword v131, off, s[0:3], 0 offset:100
	buffer_store_dword v130, off, s[0:3], 0 offset:96
	s_and_saveexec_b64 s[4:5], vcc
	s_cbranch_execz .LBB63_369
; %bb.368:
	buffer_load_dword v130, off, s[0:3], 0 offset:88
	buffer_load_dword v131, off, s[0:3], 0 offset:92
	s_waitcnt vmcnt(0)
	ds_write_b64 v1, v[130:131]
	buffer_store_dword v134, off, s[0:3], 0 offset:88
	buffer_store_dword v134, off, s[0:3], 0 offset:92
.LBB63_369:
	s_or_b64 exec, exec, s[4:5]
	s_waitcnt lgkmcnt(0)
	; wave barrier
	s_waitcnt lgkmcnt(0)
	buffer_load_dword v130, off, s[0:3], 0 offset:88
	buffer_load_dword v131, off, s[0:3], 0 offset:92
	;; [unrolled: 1-line block ×16, first 2 shown]
	ds_read_b128 v[136:139], v134 offset:608
	v_cmp_lt_u32_e32 vcc, 10, v0
	s_waitcnt vmcnt(12) lgkmcnt(0)
	v_fma_f64 v[132:133], v[132:133], v[136:137], 0
	s_waitcnt vmcnt(10)
	v_fmac_f64_e32 v[132:133], v[140:141], v[138:139]
	ds_read_b128 v[136:139], v134 offset:624
	s_waitcnt vmcnt(8) lgkmcnt(0)
	v_fmac_f64_e32 v[132:133], v[142:143], v[136:137]
	s_waitcnt vmcnt(6)
	v_fmac_f64_e32 v[132:133], v[144:145], v[138:139]
	ds_read_b128 v[136:139], v134 offset:640
	s_waitcnt vmcnt(4) lgkmcnt(0)
	v_fmac_f64_e32 v[132:133], v[146:147], v[136:137]
	;; [unrolled: 5-line block ×3, first 2 shown]
	buffer_load_dword v137, off, s[0:3], 0 offset:156
	buffer_load_dword v136, off, s[0:3], 0 offset:152
	buffer_load_dword v141, off, s[0:3], 0 offset:164
	buffer_load_dword v140, off, s[0:3], 0 offset:160
	s_waitcnt vmcnt(2)
	v_fmac_f64_e32 v[132:133], v[136:137], v[138:139]
	ds_read_b128 v[136:139], v134 offset:672
	s_waitcnt vmcnt(0) lgkmcnt(0)
	v_fmac_f64_e32 v[132:133], v[140:141], v[136:137]
	buffer_load_dword v137, off, s[0:3], 0 offset:172
	buffer_load_dword v136, off, s[0:3], 0 offset:168
	buffer_load_dword v141, off, s[0:3], 0 offset:180
	buffer_load_dword v140, off, s[0:3], 0 offset:176
	s_waitcnt vmcnt(2)
	v_fmac_f64_e32 v[132:133], v[136:137], v[138:139]
	ds_read_b128 v[136:139], v134 offset:688
	s_waitcnt vmcnt(0) lgkmcnt(0)
	v_fmac_f64_e32 v[132:133], v[140:141], v[136:137]
	;; [unrolled: 9-line block ×21, first 2 shown]
	buffer_load_dword v137, off, s[0:3], 0 offset:492
	buffer_load_dword v136, off, s[0:3], 0 offset:488
	s_waitcnt vmcnt(0)
	v_fmac_f64_e32 v[132:133], v[136:137], v[138:139]
	buffer_load_dword v139, off, s[0:3], 0 offset:500
	buffer_load_dword v138, off, s[0:3], 0 offset:496
	ds_read_b128 v[134:137], v134 offset:1008
	s_waitcnt vmcnt(0) lgkmcnt(0)
	v_fmac_f64_e32 v[132:133], v[138:139], v[134:135]
	buffer_load_dword v135, off, s[0:3], 0 offset:508
	buffer_load_dword v134, off, s[0:3], 0 offset:504
	s_waitcnt vmcnt(0)
	v_fmac_f64_e32 v[132:133], v[134:135], v[136:137]
	v_add_f64 v[130:131], v[130:131], -v[132:133]
	buffer_store_dword v131, off, s[0:3], 0 offset:92
	buffer_store_dword v130, off, s[0:3], 0 offset:88
	s_and_saveexec_b64 s[4:5], vcc
	s_cbranch_execz .LBB63_371
; %bb.370:
	buffer_load_dword v130, off, s[0:3], 0 offset:80
	buffer_load_dword v131, off, s[0:3], 0 offset:84
	v_mov_b32_e32 v132, 0
	buffer_store_dword v132, off, s[0:3], 0 offset:80
	buffer_store_dword v132, off, s[0:3], 0 offset:84
	s_waitcnt vmcnt(2)
	ds_write_b64 v1, v[130:131]
.LBB63_371:
	s_or_b64 exec, exec, s[4:5]
	s_waitcnt lgkmcnt(0)
	; wave barrier
	s_waitcnt lgkmcnt(0)
	buffer_load_dword v130, off, s[0:3], 0 offset:80
	buffer_load_dword v131, off, s[0:3], 0 offset:84
	buffer_load_dword v132, off, s[0:3], 0 offset:88
	buffer_load_dword v133, off, s[0:3], 0 offset:92
	buffer_load_dword v140, off, s[0:3], 0 offset:96
	buffer_load_dword v141, off, s[0:3], 0 offset:100
	buffer_load_dword v142, off, s[0:3], 0 offset:104
	buffer_load_dword v143, off, s[0:3], 0 offset:108
	buffer_load_dword v144, off, s[0:3], 0 offset:112
	buffer_load_dword v145, off, s[0:3], 0 offset:116
	buffer_load_dword v146, off, s[0:3], 0 offset:120
	buffer_load_dword v147, off, s[0:3], 0 offset:124
	buffer_load_dword v148, off, s[0:3], 0 offset:128
	buffer_load_dword v149, off, s[0:3], 0 offset:132
	buffer_load_dword v150, off, s[0:3], 0 offset:136
	buffer_load_dword v151, off, s[0:3], 0 offset:140
	v_mov_b32_e32 v134, 0
	ds_read2_b64 v[136:139], v134 offset0:75 offset1:76
	v_cmp_lt_u32_e32 vcc, 9, v0
	s_waitcnt vmcnt(12) lgkmcnt(0)
	v_fma_f64 v[132:133], v[132:133], v[136:137], 0
	s_waitcnt vmcnt(10)
	v_fmac_f64_e32 v[132:133], v[140:141], v[138:139]
	ds_read2_b64 v[136:139], v134 offset0:77 offset1:78
	s_waitcnt vmcnt(8) lgkmcnt(0)
	v_fmac_f64_e32 v[132:133], v[142:143], v[136:137]
	s_waitcnt vmcnt(6)
	v_fmac_f64_e32 v[132:133], v[144:145], v[138:139]
	ds_read2_b64 v[136:139], v134 offset0:79 offset1:80
	s_waitcnt vmcnt(4) lgkmcnt(0)
	v_fmac_f64_e32 v[132:133], v[146:147], v[136:137]
	;; [unrolled: 5-line block ×3, first 2 shown]
	buffer_load_dword v137, off, s[0:3], 0 offset:148
	buffer_load_dword v136, off, s[0:3], 0 offset:144
	buffer_load_dword v141, off, s[0:3], 0 offset:156
	buffer_load_dword v140, off, s[0:3], 0 offset:152
	s_waitcnt vmcnt(2)
	v_fmac_f64_e32 v[132:133], v[136:137], v[138:139]
	ds_read2_b64 v[136:139], v134 offset0:83 offset1:84
	s_waitcnt vmcnt(0) lgkmcnt(0)
	v_fmac_f64_e32 v[132:133], v[140:141], v[136:137]
	buffer_load_dword v137, off, s[0:3], 0 offset:164
	buffer_load_dword v136, off, s[0:3], 0 offset:160
	buffer_load_dword v141, off, s[0:3], 0 offset:172
	buffer_load_dword v140, off, s[0:3], 0 offset:168
	s_waitcnt vmcnt(2)
	v_fmac_f64_e32 v[132:133], v[136:137], v[138:139]
	ds_read2_b64 v[136:139], v134 offset0:85 offset1:86
	s_waitcnt vmcnt(0) lgkmcnt(0)
	v_fmac_f64_e32 v[132:133], v[140:141], v[136:137]
	;; [unrolled: 9-line block ×22, first 2 shown]
	buffer_load_dword v137, off, s[0:3], 0 offset:500
	buffer_load_dword v136, off, s[0:3], 0 offset:496
	s_waitcnt vmcnt(0)
	v_fmac_f64_e32 v[132:133], v[136:137], v[138:139]
	buffer_load_dword v137, off, s[0:3], 0 offset:508
	buffer_load_dword v136, off, s[0:3], 0 offset:504
	ds_read_b64 v[138:139], v134 offset:1016
	s_waitcnt vmcnt(0) lgkmcnt(0)
	v_fmac_f64_e32 v[132:133], v[136:137], v[138:139]
	v_add_f64 v[130:131], v[130:131], -v[132:133]
	buffer_store_dword v131, off, s[0:3], 0 offset:84
	buffer_store_dword v130, off, s[0:3], 0 offset:80
	s_and_saveexec_b64 s[4:5], vcc
	s_cbranch_execz .LBB63_373
; %bb.372:
	buffer_load_dword v130, off, s[0:3], 0 offset:72
	buffer_load_dword v131, off, s[0:3], 0 offset:76
	s_waitcnt vmcnt(0)
	ds_write_b64 v1, v[130:131]
	buffer_store_dword v134, off, s[0:3], 0 offset:72
	buffer_store_dword v134, off, s[0:3], 0 offset:76
.LBB63_373:
	s_or_b64 exec, exec, s[4:5]
	s_waitcnt lgkmcnt(0)
	; wave barrier
	s_waitcnt lgkmcnt(0)
	buffer_load_dword v130, off, s[0:3], 0 offset:72
	buffer_load_dword v131, off, s[0:3], 0 offset:76
	;; [unrolled: 1-line block ×16, first 2 shown]
	ds_read_b128 v[136:139], v134 offset:592
	v_cmp_lt_u32_e32 vcc, 8, v0
	s_waitcnt vmcnt(12) lgkmcnt(0)
	v_fma_f64 v[132:133], v[132:133], v[136:137], 0
	s_waitcnt vmcnt(10)
	v_fmac_f64_e32 v[132:133], v[140:141], v[138:139]
	ds_read_b128 v[136:139], v134 offset:608
	s_waitcnt vmcnt(8) lgkmcnt(0)
	v_fmac_f64_e32 v[132:133], v[142:143], v[136:137]
	s_waitcnt vmcnt(6)
	v_fmac_f64_e32 v[132:133], v[144:145], v[138:139]
	ds_read_b128 v[136:139], v134 offset:624
	s_waitcnt vmcnt(4) lgkmcnt(0)
	v_fmac_f64_e32 v[132:133], v[146:147], v[136:137]
	;; [unrolled: 5-line block ×3, first 2 shown]
	buffer_load_dword v137, off, s[0:3], 0 offset:140
	buffer_load_dword v136, off, s[0:3], 0 offset:136
	buffer_load_dword v141, off, s[0:3], 0 offset:148
	buffer_load_dword v140, off, s[0:3], 0 offset:144
	s_waitcnt vmcnt(2)
	v_fmac_f64_e32 v[132:133], v[136:137], v[138:139]
	ds_read_b128 v[136:139], v134 offset:656
	s_waitcnt vmcnt(0) lgkmcnt(0)
	v_fmac_f64_e32 v[132:133], v[140:141], v[136:137]
	buffer_load_dword v137, off, s[0:3], 0 offset:156
	buffer_load_dword v136, off, s[0:3], 0 offset:152
	buffer_load_dword v141, off, s[0:3], 0 offset:164
	buffer_load_dword v140, off, s[0:3], 0 offset:160
	s_waitcnt vmcnt(2)
	v_fmac_f64_e32 v[132:133], v[136:137], v[138:139]
	ds_read_b128 v[136:139], v134 offset:672
	s_waitcnt vmcnt(0) lgkmcnt(0)
	v_fmac_f64_e32 v[132:133], v[140:141], v[136:137]
	;; [unrolled: 9-line block ×22, first 2 shown]
	buffer_load_dword v137, off, s[0:3], 0 offset:492
	buffer_load_dword v136, off, s[0:3], 0 offset:488
	s_waitcnt vmcnt(0)
	v_fmac_f64_e32 v[132:133], v[136:137], v[138:139]
	buffer_load_dword v139, off, s[0:3], 0 offset:500
	buffer_load_dword v138, off, s[0:3], 0 offset:496
	ds_read_b128 v[134:137], v134 offset:1008
	s_waitcnt vmcnt(0) lgkmcnt(0)
	v_fmac_f64_e32 v[132:133], v[138:139], v[134:135]
	buffer_load_dword v135, off, s[0:3], 0 offset:508
	buffer_load_dword v134, off, s[0:3], 0 offset:504
	s_waitcnt vmcnt(0)
	v_fmac_f64_e32 v[132:133], v[134:135], v[136:137]
	v_add_f64 v[130:131], v[130:131], -v[132:133]
	buffer_store_dword v131, off, s[0:3], 0 offset:76
	buffer_store_dword v130, off, s[0:3], 0 offset:72
	s_and_saveexec_b64 s[4:5], vcc
	s_cbranch_execz .LBB63_375
; %bb.374:
	buffer_load_dword v130, off, s[0:3], 0 offset:64
	buffer_load_dword v131, off, s[0:3], 0 offset:68
	v_mov_b32_e32 v132, 0
	buffer_store_dword v132, off, s[0:3], 0 offset:64
	buffer_store_dword v132, off, s[0:3], 0 offset:68
	s_waitcnt vmcnt(2)
	ds_write_b64 v1, v[130:131]
.LBB63_375:
	s_or_b64 exec, exec, s[4:5]
	s_waitcnt lgkmcnt(0)
	; wave barrier
	s_waitcnt lgkmcnt(0)
	buffer_load_dword v130, off, s[0:3], 0 offset:64
	buffer_load_dword v131, off, s[0:3], 0 offset:68
	;; [unrolled: 1-line block ×16, first 2 shown]
	v_mov_b32_e32 v134, 0
	ds_read2_b64 v[136:139], v134 offset0:73 offset1:74
	v_cmp_lt_u32_e32 vcc, 7, v0
	s_waitcnt vmcnt(12) lgkmcnt(0)
	v_fma_f64 v[132:133], v[132:133], v[136:137], 0
	s_waitcnt vmcnt(10)
	v_fmac_f64_e32 v[132:133], v[140:141], v[138:139]
	ds_read2_b64 v[136:139], v134 offset0:75 offset1:76
	s_waitcnt vmcnt(8) lgkmcnt(0)
	v_fmac_f64_e32 v[132:133], v[142:143], v[136:137]
	s_waitcnt vmcnt(6)
	v_fmac_f64_e32 v[132:133], v[144:145], v[138:139]
	ds_read2_b64 v[136:139], v134 offset0:77 offset1:78
	s_waitcnt vmcnt(4) lgkmcnt(0)
	v_fmac_f64_e32 v[132:133], v[146:147], v[136:137]
	;; [unrolled: 5-line block ×3, first 2 shown]
	buffer_load_dword v137, off, s[0:3], 0 offset:132
	buffer_load_dword v136, off, s[0:3], 0 offset:128
	buffer_load_dword v141, off, s[0:3], 0 offset:140
	buffer_load_dword v140, off, s[0:3], 0 offset:136
	s_waitcnt vmcnt(2)
	v_fmac_f64_e32 v[132:133], v[136:137], v[138:139]
	ds_read2_b64 v[136:139], v134 offset0:81 offset1:82
	s_waitcnt vmcnt(0) lgkmcnt(0)
	v_fmac_f64_e32 v[132:133], v[140:141], v[136:137]
	buffer_load_dword v137, off, s[0:3], 0 offset:148
	buffer_load_dword v136, off, s[0:3], 0 offset:144
	buffer_load_dword v141, off, s[0:3], 0 offset:156
	buffer_load_dword v140, off, s[0:3], 0 offset:152
	s_waitcnt vmcnt(2)
	v_fmac_f64_e32 v[132:133], v[136:137], v[138:139]
	ds_read2_b64 v[136:139], v134 offset0:83 offset1:84
	s_waitcnt vmcnt(0) lgkmcnt(0)
	v_fmac_f64_e32 v[132:133], v[140:141], v[136:137]
	;; [unrolled: 9-line block ×23, first 2 shown]
	buffer_load_dword v137, off, s[0:3], 0 offset:500
	buffer_load_dword v136, off, s[0:3], 0 offset:496
	s_waitcnt vmcnt(0)
	v_fmac_f64_e32 v[132:133], v[136:137], v[138:139]
	buffer_load_dword v137, off, s[0:3], 0 offset:508
	buffer_load_dword v136, off, s[0:3], 0 offset:504
	ds_read_b64 v[138:139], v134 offset:1016
	s_waitcnt vmcnt(0) lgkmcnt(0)
	v_fmac_f64_e32 v[132:133], v[136:137], v[138:139]
	v_add_f64 v[130:131], v[130:131], -v[132:133]
	buffer_store_dword v131, off, s[0:3], 0 offset:68
	buffer_store_dword v130, off, s[0:3], 0 offset:64
	s_and_saveexec_b64 s[4:5], vcc
	s_cbranch_execz .LBB63_377
; %bb.376:
	buffer_load_dword v130, off, s[0:3], 0 offset:56
	buffer_load_dword v131, off, s[0:3], 0 offset:60
	s_waitcnt vmcnt(0)
	ds_write_b64 v1, v[130:131]
	buffer_store_dword v134, off, s[0:3], 0 offset:56
	buffer_store_dword v134, off, s[0:3], 0 offset:60
.LBB63_377:
	s_or_b64 exec, exec, s[4:5]
	s_waitcnt lgkmcnt(0)
	; wave barrier
	s_waitcnt lgkmcnt(0)
	buffer_load_dword v130, off, s[0:3], 0 offset:56
	buffer_load_dword v131, off, s[0:3], 0 offset:60
	;; [unrolled: 1-line block ×16, first 2 shown]
	ds_read_b128 v[136:139], v134 offset:576
	v_cmp_lt_u32_e32 vcc, 6, v0
	s_waitcnt vmcnt(12) lgkmcnt(0)
	v_fma_f64 v[132:133], v[132:133], v[136:137], 0
	s_waitcnt vmcnt(10)
	v_fmac_f64_e32 v[132:133], v[140:141], v[138:139]
	ds_read_b128 v[136:139], v134 offset:592
	s_waitcnt vmcnt(8) lgkmcnt(0)
	v_fmac_f64_e32 v[132:133], v[142:143], v[136:137]
	s_waitcnt vmcnt(6)
	v_fmac_f64_e32 v[132:133], v[144:145], v[138:139]
	ds_read_b128 v[136:139], v134 offset:608
	s_waitcnt vmcnt(4) lgkmcnt(0)
	v_fmac_f64_e32 v[132:133], v[146:147], v[136:137]
	;; [unrolled: 5-line block ×3, first 2 shown]
	buffer_load_dword v137, off, s[0:3], 0 offset:124
	buffer_load_dword v136, off, s[0:3], 0 offset:120
	buffer_load_dword v141, off, s[0:3], 0 offset:132
	buffer_load_dword v140, off, s[0:3], 0 offset:128
	s_waitcnt vmcnt(2)
	v_fmac_f64_e32 v[132:133], v[136:137], v[138:139]
	ds_read_b128 v[136:139], v134 offset:640
	s_waitcnt vmcnt(0) lgkmcnt(0)
	v_fmac_f64_e32 v[132:133], v[140:141], v[136:137]
	buffer_load_dword v137, off, s[0:3], 0 offset:140
	buffer_load_dword v136, off, s[0:3], 0 offset:136
	buffer_load_dword v141, off, s[0:3], 0 offset:148
	buffer_load_dword v140, off, s[0:3], 0 offset:144
	s_waitcnt vmcnt(2)
	v_fmac_f64_e32 v[132:133], v[136:137], v[138:139]
	ds_read_b128 v[136:139], v134 offset:656
	s_waitcnt vmcnt(0) lgkmcnt(0)
	v_fmac_f64_e32 v[132:133], v[140:141], v[136:137]
	;; [unrolled: 9-line block ×23, first 2 shown]
	buffer_load_dword v137, off, s[0:3], 0 offset:492
	buffer_load_dword v136, off, s[0:3], 0 offset:488
	s_waitcnt vmcnt(0)
	v_fmac_f64_e32 v[132:133], v[136:137], v[138:139]
	buffer_load_dword v139, off, s[0:3], 0 offset:500
	buffer_load_dword v138, off, s[0:3], 0 offset:496
	ds_read_b128 v[134:137], v134 offset:1008
	s_waitcnt vmcnt(0) lgkmcnt(0)
	v_fmac_f64_e32 v[132:133], v[138:139], v[134:135]
	buffer_load_dword v135, off, s[0:3], 0 offset:508
	buffer_load_dword v134, off, s[0:3], 0 offset:504
	s_waitcnt vmcnt(0)
	v_fmac_f64_e32 v[132:133], v[134:135], v[136:137]
	v_add_f64 v[130:131], v[130:131], -v[132:133]
	buffer_store_dword v131, off, s[0:3], 0 offset:60
	buffer_store_dword v130, off, s[0:3], 0 offset:56
	s_and_saveexec_b64 s[4:5], vcc
	s_cbranch_execz .LBB63_379
; %bb.378:
	buffer_load_dword v130, off, s[0:3], 0 offset:48
	buffer_load_dword v131, off, s[0:3], 0 offset:52
	v_mov_b32_e32 v132, 0
	buffer_store_dword v132, off, s[0:3], 0 offset:48
	buffer_store_dword v132, off, s[0:3], 0 offset:52
	s_waitcnt vmcnt(2)
	ds_write_b64 v1, v[130:131]
.LBB63_379:
	s_or_b64 exec, exec, s[4:5]
	s_waitcnt lgkmcnt(0)
	; wave barrier
	s_waitcnt lgkmcnt(0)
	buffer_load_dword v130, off, s[0:3], 0 offset:48
	buffer_load_dword v131, off, s[0:3], 0 offset:52
	;; [unrolled: 1-line block ×16, first 2 shown]
	v_mov_b32_e32 v134, 0
	ds_read2_b64 v[136:139], v134 offset0:71 offset1:72
	v_cmp_lt_u32_e32 vcc, 5, v0
	s_waitcnt vmcnt(12) lgkmcnt(0)
	v_fma_f64 v[132:133], v[132:133], v[136:137], 0
	s_waitcnt vmcnt(10)
	v_fmac_f64_e32 v[132:133], v[140:141], v[138:139]
	ds_read2_b64 v[136:139], v134 offset0:73 offset1:74
	s_waitcnt vmcnt(8) lgkmcnt(0)
	v_fmac_f64_e32 v[132:133], v[142:143], v[136:137]
	s_waitcnt vmcnt(6)
	v_fmac_f64_e32 v[132:133], v[144:145], v[138:139]
	ds_read2_b64 v[136:139], v134 offset0:75 offset1:76
	s_waitcnt vmcnt(4) lgkmcnt(0)
	v_fmac_f64_e32 v[132:133], v[146:147], v[136:137]
	;; [unrolled: 5-line block ×3, first 2 shown]
	buffer_load_dword v137, off, s[0:3], 0 offset:116
	buffer_load_dword v136, off, s[0:3], 0 offset:112
	buffer_load_dword v141, off, s[0:3], 0 offset:124
	buffer_load_dword v140, off, s[0:3], 0 offset:120
	s_waitcnt vmcnt(2)
	v_fmac_f64_e32 v[132:133], v[136:137], v[138:139]
	ds_read2_b64 v[136:139], v134 offset0:79 offset1:80
	s_waitcnt vmcnt(0) lgkmcnt(0)
	v_fmac_f64_e32 v[132:133], v[140:141], v[136:137]
	buffer_load_dword v137, off, s[0:3], 0 offset:132
	buffer_load_dword v136, off, s[0:3], 0 offset:128
	buffer_load_dword v141, off, s[0:3], 0 offset:140
	buffer_load_dword v140, off, s[0:3], 0 offset:136
	s_waitcnt vmcnt(2)
	v_fmac_f64_e32 v[132:133], v[136:137], v[138:139]
	ds_read2_b64 v[136:139], v134 offset0:81 offset1:82
	s_waitcnt vmcnt(0) lgkmcnt(0)
	v_fmac_f64_e32 v[132:133], v[140:141], v[136:137]
	;; [unrolled: 9-line block ×24, first 2 shown]
	buffer_load_dword v137, off, s[0:3], 0 offset:500
	buffer_load_dword v136, off, s[0:3], 0 offset:496
	s_waitcnt vmcnt(0)
	v_fmac_f64_e32 v[132:133], v[136:137], v[138:139]
	buffer_load_dword v137, off, s[0:3], 0 offset:508
	buffer_load_dword v136, off, s[0:3], 0 offset:504
	ds_read_b64 v[138:139], v134 offset:1016
	s_waitcnt vmcnt(0) lgkmcnt(0)
	v_fmac_f64_e32 v[132:133], v[136:137], v[138:139]
	v_add_f64 v[130:131], v[130:131], -v[132:133]
	buffer_store_dword v131, off, s[0:3], 0 offset:52
	buffer_store_dword v130, off, s[0:3], 0 offset:48
	s_and_saveexec_b64 s[4:5], vcc
	s_cbranch_execz .LBB63_381
; %bb.380:
	buffer_load_dword v130, off, s[0:3], 0 offset:40
	buffer_load_dword v131, off, s[0:3], 0 offset:44
	s_waitcnt vmcnt(0)
	ds_write_b64 v1, v[130:131]
	buffer_store_dword v134, off, s[0:3], 0 offset:40
	buffer_store_dword v134, off, s[0:3], 0 offset:44
.LBB63_381:
	s_or_b64 exec, exec, s[4:5]
	s_waitcnt lgkmcnt(0)
	; wave barrier
	s_waitcnt lgkmcnt(0)
	buffer_load_dword v130, off, s[0:3], 0 offset:40
	buffer_load_dword v131, off, s[0:3], 0 offset:44
	;; [unrolled: 1-line block ×16, first 2 shown]
	ds_read_b128 v[136:139], v134 offset:560
	v_cmp_lt_u32_e32 vcc, 4, v0
	s_waitcnt vmcnt(12) lgkmcnt(0)
	v_fma_f64 v[132:133], v[132:133], v[136:137], 0
	s_waitcnt vmcnt(10)
	v_fmac_f64_e32 v[132:133], v[140:141], v[138:139]
	ds_read_b128 v[136:139], v134 offset:576
	s_waitcnt vmcnt(8) lgkmcnt(0)
	v_fmac_f64_e32 v[132:133], v[142:143], v[136:137]
	s_waitcnt vmcnt(6)
	v_fmac_f64_e32 v[132:133], v[144:145], v[138:139]
	ds_read_b128 v[136:139], v134 offset:592
	s_waitcnt vmcnt(4) lgkmcnt(0)
	v_fmac_f64_e32 v[132:133], v[146:147], v[136:137]
	;; [unrolled: 5-line block ×3, first 2 shown]
	buffer_load_dword v137, off, s[0:3], 0 offset:108
	buffer_load_dword v136, off, s[0:3], 0 offset:104
	buffer_load_dword v141, off, s[0:3], 0 offset:116
	buffer_load_dword v140, off, s[0:3], 0 offset:112
	s_waitcnt vmcnt(2)
	v_fmac_f64_e32 v[132:133], v[136:137], v[138:139]
	ds_read_b128 v[136:139], v134 offset:624
	s_waitcnt vmcnt(0) lgkmcnt(0)
	v_fmac_f64_e32 v[132:133], v[140:141], v[136:137]
	buffer_load_dword v137, off, s[0:3], 0 offset:124
	buffer_load_dword v136, off, s[0:3], 0 offset:120
	buffer_load_dword v141, off, s[0:3], 0 offset:132
	buffer_load_dword v140, off, s[0:3], 0 offset:128
	s_waitcnt vmcnt(2)
	v_fmac_f64_e32 v[132:133], v[136:137], v[138:139]
	ds_read_b128 v[136:139], v134 offset:640
	s_waitcnt vmcnt(0) lgkmcnt(0)
	v_fmac_f64_e32 v[132:133], v[140:141], v[136:137]
	;; [unrolled: 9-line block ×24, first 2 shown]
	buffer_load_dword v137, off, s[0:3], 0 offset:492
	buffer_load_dword v136, off, s[0:3], 0 offset:488
	s_waitcnt vmcnt(0)
	v_fmac_f64_e32 v[132:133], v[136:137], v[138:139]
	buffer_load_dword v139, off, s[0:3], 0 offset:500
	buffer_load_dword v138, off, s[0:3], 0 offset:496
	ds_read_b128 v[134:137], v134 offset:1008
	s_waitcnt vmcnt(0) lgkmcnt(0)
	v_fmac_f64_e32 v[132:133], v[138:139], v[134:135]
	buffer_load_dword v135, off, s[0:3], 0 offset:508
	buffer_load_dword v134, off, s[0:3], 0 offset:504
	s_waitcnt vmcnt(0)
	v_fmac_f64_e32 v[132:133], v[134:135], v[136:137]
	v_add_f64 v[130:131], v[130:131], -v[132:133]
	buffer_store_dword v131, off, s[0:3], 0 offset:44
	buffer_store_dword v130, off, s[0:3], 0 offset:40
	s_and_saveexec_b64 s[4:5], vcc
	s_cbranch_execz .LBB63_383
; %bb.382:
	buffer_load_dword v130, off, s[0:3], 0 offset:32
	buffer_load_dword v131, off, s[0:3], 0 offset:36
	v_mov_b32_e32 v132, 0
	buffer_store_dword v132, off, s[0:3], 0 offset:32
	buffer_store_dword v132, off, s[0:3], 0 offset:36
	s_waitcnt vmcnt(2)
	ds_write_b64 v1, v[130:131]
.LBB63_383:
	s_or_b64 exec, exec, s[4:5]
	s_waitcnt lgkmcnt(0)
	; wave barrier
	s_waitcnt lgkmcnt(0)
	buffer_load_dword v130, off, s[0:3], 0 offset:32
	buffer_load_dword v131, off, s[0:3], 0 offset:36
	;; [unrolled: 1-line block ×16, first 2 shown]
	v_mov_b32_e32 v136, 0
	ds_read2_b64 v[132:135], v136 offset0:69 offset1:70
	v_cmp_lt_u32_e32 vcc, 3, v0
	s_waitcnt vmcnt(12) lgkmcnt(0)
	v_fma_f64 v[132:133], v[138:139], v[132:133], 0
	s_waitcnt vmcnt(10)
	v_fmac_f64_e32 v[132:133], v[140:141], v[134:135]
	ds_read2_b64 v[138:141], v136 offset0:71 offset1:72
	s_waitcnt vmcnt(8) lgkmcnt(0)
	v_fmac_f64_e32 v[132:133], v[142:143], v[138:139]
	s_waitcnt vmcnt(6)
	v_fmac_f64_e32 v[132:133], v[144:145], v[140:141]
	ds_read2_b64 v[138:141], v136 offset0:73 offset1:74
	s_waitcnt vmcnt(4) lgkmcnt(0)
	v_fmac_f64_e32 v[132:133], v[146:147], v[138:139]
	s_waitcnt vmcnt(2)
	v_fmac_f64_e32 v[132:133], v[148:149], v[140:141]
	ds_read2_b64 v[138:141], v136 offset0:75 offset1:76
	buffer_load_dword v135, off, s[0:3], 0 offset:100
	buffer_load_dword v134, off, s[0:3], 0 offset:96
	s_waitcnt vmcnt(2) lgkmcnt(0)
	v_fmac_f64_e32 v[132:133], v[150:151], v[138:139]
	s_waitcnt vmcnt(0)
	v_fmac_f64_e32 v[132:133], v[134:135], v[140:141]
	buffer_load_dword v135, off, s[0:3], 0 offset:108
	buffer_load_dword v134, off, s[0:3], 0 offset:104
	ds_read2_b64 v[138:141], v136 offset0:77 offset1:78
	s_waitcnt vmcnt(0) lgkmcnt(0)
	v_fmac_f64_e32 v[132:133], v[134:135], v[138:139]
	buffer_load_dword v135, off, s[0:3], 0 offset:116
	buffer_load_dword v134, off, s[0:3], 0 offset:112
	s_waitcnt vmcnt(0)
	v_fmac_f64_e32 v[132:133], v[134:135], v[140:141]
	buffer_load_dword v135, off, s[0:3], 0 offset:124
	buffer_load_dword v134, off, s[0:3], 0 offset:120
	ds_read2_b64 v[138:141], v136 offset0:79 offset1:80
	s_waitcnt vmcnt(0) lgkmcnt(0)
	v_fmac_f64_e32 v[132:133], v[134:135], v[138:139]
	buffer_load_dword v135, off, s[0:3], 0 offset:132
	buffer_load_dword v134, off, s[0:3], 0 offset:128
	;; [unrolled: 9-line block ×25, first 2 shown]
	s_waitcnt vmcnt(0)
	v_fmac_f64_e32 v[132:133], v[134:135], v[140:141]
	buffer_load_dword v135, off, s[0:3], 0 offset:508
	buffer_load_dword v134, off, s[0:3], 0 offset:504
	ds_read_b64 v[138:139], v136 offset:1016
	s_waitcnt vmcnt(0) lgkmcnt(0)
	v_fmac_f64_e32 v[132:133], v[134:135], v[138:139]
	v_add_f64 v[130:131], v[130:131], -v[132:133]
	buffer_store_dword v131, off, s[0:3], 0 offset:36
	buffer_store_dword v130, off, s[0:3], 0 offset:32
	s_and_saveexec_b64 s[4:5], vcc
	s_cbranch_execz .LBB63_385
; %bb.384:
	buffer_load_dword v130, off, s[0:3], 0 offset:24
	buffer_load_dword v131, off, s[0:3], 0 offset:28
	s_waitcnt vmcnt(0)
	ds_write_b64 v1, v[130:131]
	buffer_store_dword v136, off, s[0:3], 0 offset:24
	buffer_store_dword v136, off, s[0:3], 0 offset:28
.LBB63_385:
	s_or_b64 exec, exec, s[4:5]
	s_waitcnt lgkmcnt(0)
	; wave barrier
	s_waitcnt lgkmcnt(0)
	buffer_load_dword v130, off, s[0:3], 0 offset:24
	buffer_load_dword v131, off, s[0:3], 0 offset:28
	;; [unrolled: 1-line block ×16, first 2 shown]
	ds_read_b128 v[132:135], v136 offset:544
	v_cmp_lt_u32_e32 vcc, 2, v0
	s_waitcnt vmcnt(12) lgkmcnt(0)
	v_fma_f64 v[132:133], v[138:139], v[132:133], 0
	s_waitcnt vmcnt(10)
	v_fmac_f64_e32 v[132:133], v[140:141], v[134:135]
	ds_read_b128 v[138:141], v136 offset:560
	s_waitcnt vmcnt(8) lgkmcnt(0)
	v_fmac_f64_e32 v[132:133], v[142:143], v[138:139]
	s_waitcnt vmcnt(6)
	v_fmac_f64_e32 v[132:133], v[144:145], v[140:141]
	ds_read_b128 v[138:141], v136 offset:576
	s_waitcnt vmcnt(4) lgkmcnt(0)
	v_fmac_f64_e32 v[132:133], v[146:147], v[138:139]
	s_waitcnt vmcnt(2)
	v_fmac_f64_e32 v[132:133], v[148:149], v[140:141]
	ds_read_b128 v[138:141], v136 offset:592
	buffer_load_dword v135, off, s[0:3], 0 offset:92
	buffer_load_dword v134, off, s[0:3], 0 offset:88
	s_waitcnt vmcnt(2) lgkmcnt(0)
	v_fmac_f64_e32 v[132:133], v[150:151], v[138:139]
	s_waitcnt vmcnt(0)
	v_fmac_f64_e32 v[132:133], v[134:135], v[140:141]
	buffer_load_dword v135, off, s[0:3], 0 offset:100
	buffer_load_dword v134, off, s[0:3], 0 offset:96
	ds_read_b128 v[138:141], v136 offset:608
	s_waitcnt vmcnt(0) lgkmcnt(0)
	v_fmac_f64_e32 v[132:133], v[134:135], v[138:139]
	buffer_load_dword v135, off, s[0:3], 0 offset:108
	buffer_load_dword v134, off, s[0:3], 0 offset:104
	s_waitcnt vmcnt(0)
	v_fmac_f64_e32 v[132:133], v[134:135], v[140:141]
	buffer_load_dword v135, off, s[0:3], 0 offset:116
	buffer_load_dword v134, off, s[0:3], 0 offset:112
	ds_read_b128 v[138:141], v136 offset:624
	s_waitcnt vmcnt(0) lgkmcnt(0)
	v_fmac_f64_e32 v[132:133], v[134:135], v[138:139]
	buffer_load_dword v135, off, s[0:3], 0 offset:124
	buffer_load_dword v134, off, s[0:3], 0 offset:120
	;; [unrolled: 9-line block ×25, first 2 shown]
	buffer_load_dword v139, off, s[0:3], 0 offset:500
	buffer_load_dword v138, off, s[0:3], 0 offset:496
	s_waitcnt vmcnt(2)
	v_fmac_f64_e32 v[132:133], v[134:135], v[140:141]
	ds_read_b128 v[134:137], v136 offset:1008
	s_waitcnt vmcnt(0) lgkmcnt(0)
	v_fmac_f64_e32 v[132:133], v[138:139], v[134:135]
	buffer_load_dword v135, off, s[0:3], 0 offset:508
	buffer_load_dword v134, off, s[0:3], 0 offset:504
	s_waitcnt vmcnt(0)
	v_fmac_f64_e32 v[132:133], v[134:135], v[136:137]
	v_add_f64 v[130:131], v[130:131], -v[132:133]
	buffer_store_dword v131, off, s[0:3], 0 offset:28
	buffer_store_dword v130, off, s[0:3], 0 offset:24
	s_and_saveexec_b64 s[4:5], vcc
	s_cbranch_execz .LBB63_387
; %bb.386:
	buffer_load_dword v130, off, s[0:3], 0 offset:16
	buffer_load_dword v131, off, s[0:3], 0 offset:20
	v_mov_b32_e32 v132, 0
	buffer_store_dword v132, off, s[0:3], 0 offset:16
	buffer_store_dword v132, off, s[0:3], 0 offset:20
	s_waitcnt vmcnt(2)
	ds_write_b64 v1, v[130:131]
.LBB63_387:
	s_or_b64 exec, exec, s[4:5]
	s_waitcnt lgkmcnt(0)
	; wave barrier
	s_waitcnt lgkmcnt(0)
	buffer_load_dword v130, off, s[0:3], 0 offset:16
	buffer_load_dword v131, off, s[0:3], 0 offset:20
	;; [unrolled: 1-line block ×16, first 2 shown]
	v_mov_b32_e32 v134, 0
	ds_read2_b64 v[136:139], v134 offset0:67 offset1:68
	v_cmp_lt_u32_e32 vcc, 1, v0
	s_waitcnt vmcnt(12) lgkmcnt(0)
	v_fma_f64 v[132:133], v[132:133], v[136:137], 0
	s_waitcnt vmcnt(10)
	v_fmac_f64_e32 v[132:133], v[140:141], v[138:139]
	ds_read2_b64 v[136:139], v134 offset0:69 offset1:70
	s_waitcnt vmcnt(8) lgkmcnt(0)
	v_fmac_f64_e32 v[132:133], v[142:143], v[136:137]
	s_waitcnt vmcnt(6)
	v_fmac_f64_e32 v[132:133], v[144:145], v[138:139]
	ds_read2_b64 v[136:139], v134 offset0:71 offset1:72
	s_waitcnt vmcnt(4) lgkmcnt(0)
	v_fmac_f64_e32 v[132:133], v[146:147], v[136:137]
	;; [unrolled: 5-line block ×3, first 2 shown]
	buffer_load_dword v137, off, s[0:3], 0 offset:84
	buffer_load_dword v136, off, s[0:3], 0 offset:80
	buffer_load_dword v141, off, s[0:3], 0 offset:92
	buffer_load_dword v140, off, s[0:3], 0 offset:88
	s_waitcnt vmcnt(2)
	v_fmac_f64_e32 v[132:133], v[136:137], v[138:139]
	ds_read2_b64 v[136:139], v134 offset0:75 offset1:76
	s_waitcnt vmcnt(0) lgkmcnt(0)
	v_fmac_f64_e32 v[132:133], v[140:141], v[136:137]
	buffer_load_dword v137, off, s[0:3], 0 offset:100
	buffer_load_dword v136, off, s[0:3], 0 offset:96
	buffer_load_dword v141, off, s[0:3], 0 offset:108
	buffer_load_dword v140, off, s[0:3], 0 offset:104
	s_waitcnt vmcnt(2)
	v_fmac_f64_e32 v[132:133], v[136:137], v[138:139]
	ds_read2_b64 v[136:139], v134 offset0:77 offset1:78
	s_waitcnt vmcnt(0) lgkmcnt(0)
	v_fmac_f64_e32 v[132:133], v[140:141], v[136:137]
	;; [unrolled: 9-line block ×26, first 2 shown]
	buffer_load_dword v137, off, s[0:3], 0 offset:500
	buffer_load_dword v136, off, s[0:3], 0 offset:496
	s_waitcnt vmcnt(0)
	v_fmac_f64_e32 v[132:133], v[136:137], v[138:139]
	buffer_load_dword v137, off, s[0:3], 0 offset:508
	buffer_load_dword v136, off, s[0:3], 0 offset:504
	ds_read_b64 v[138:139], v134 offset:1016
	s_waitcnt vmcnt(0) lgkmcnt(0)
	v_fmac_f64_e32 v[132:133], v[136:137], v[138:139]
	v_add_f64 v[130:131], v[130:131], -v[132:133]
	buffer_store_dword v131, off, s[0:3], 0 offset:20
	buffer_store_dword v130, off, s[0:3], 0 offset:16
	s_and_saveexec_b64 s[4:5], vcc
	s_cbranch_execz .LBB63_389
; %bb.388:
	buffer_load_dword v130, off, s[0:3], 0 offset:8
	buffer_load_dword v131, off, s[0:3], 0 offset:12
	s_waitcnt vmcnt(0)
	ds_write_b64 v1, v[130:131]
	buffer_store_dword v134, off, s[0:3], 0 offset:8
	buffer_store_dword v134, off, s[0:3], 0 offset:12
.LBB63_389:
	s_or_b64 exec, exec, s[4:5]
	s_waitcnt lgkmcnt(0)
	; wave barrier
	s_waitcnt lgkmcnt(0)
	buffer_load_dword v130, off, s[0:3], 0 offset:8
	buffer_load_dword v131, off, s[0:3], 0 offset:12
	;; [unrolled: 1-line block ×16, first 2 shown]
	ds_read_b128 v[136:139], v134 offset:528
	v_cmp_ne_u32_e32 vcc, 0, v0
	s_waitcnt vmcnt(12) lgkmcnt(0)
	v_fma_f64 v[132:133], v[132:133], v[136:137], 0
	s_waitcnt vmcnt(10)
	v_fmac_f64_e32 v[132:133], v[140:141], v[138:139]
	ds_read_b128 v[136:139], v134 offset:544
	s_waitcnt vmcnt(8) lgkmcnt(0)
	v_fmac_f64_e32 v[132:133], v[142:143], v[136:137]
	s_waitcnt vmcnt(6)
	v_fmac_f64_e32 v[132:133], v[144:145], v[138:139]
	ds_read_b128 v[136:139], v134 offset:560
	s_waitcnt vmcnt(4) lgkmcnt(0)
	v_fmac_f64_e32 v[132:133], v[146:147], v[136:137]
	;; [unrolled: 5-line block ×3, first 2 shown]
	buffer_load_dword v137, off, s[0:3], 0 offset:76
	buffer_load_dword v136, off, s[0:3], 0 offset:72
	buffer_load_dword v141, off, s[0:3], 0 offset:84
	buffer_load_dword v140, off, s[0:3], 0 offset:80
	s_waitcnt vmcnt(2)
	v_fmac_f64_e32 v[132:133], v[136:137], v[138:139]
	ds_read_b128 v[136:139], v134 offset:592
	s_waitcnt vmcnt(0) lgkmcnt(0)
	v_fmac_f64_e32 v[132:133], v[140:141], v[136:137]
	buffer_load_dword v137, off, s[0:3], 0 offset:92
	buffer_load_dword v136, off, s[0:3], 0 offset:88
	buffer_load_dword v141, off, s[0:3], 0 offset:100
	buffer_load_dword v140, off, s[0:3], 0 offset:96
	s_waitcnt vmcnt(2)
	v_fmac_f64_e32 v[132:133], v[136:137], v[138:139]
	ds_read_b128 v[136:139], v134 offset:608
	s_waitcnt vmcnt(0) lgkmcnt(0)
	v_fmac_f64_e32 v[132:133], v[140:141], v[136:137]
	;; [unrolled: 9-line block ×26, first 2 shown]
	buffer_load_dword v137, off, s[0:3], 0 offset:492
	buffer_load_dword v136, off, s[0:3], 0 offset:488
	s_waitcnt vmcnt(0)
	v_fmac_f64_e32 v[132:133], v[136:137], v[138:139]
	buffer_load_dword v139, off, s[0:3], 0 offset:500
	buffer_load_dword v138, off, s[0:3], 0 offset:496
	ds_read_b128 v[134:137], v134 offset:1008
	s_waitcnt vmcnt(0) lgkmcnt(0)
	v_fmac_f64_e32 v[132:133], v[138:139], v[134:135]
	buffer_load_dword v135, off, s[0:3], 0 offset:508
	buffer_load_dword v134, off, s[0:3], 0 offset:504
	s_waitcnt vmcnt(0)
	v_fmac_f64_e32 v[132:133], v[134:135], v[136:137]
	v_add_f64 v[130:131], v[130:131], -v[132:133]
	buffer_store_dword v131, off, s[0:3], 0 offset:12
	buffer_store_dword v130, off, s[0:3], 0 offset:8
	s_and_saveexec_b64 s[4:5], vcc
	s_cbranch_execz .LBB63_391
; %bb.390:
	buffer_load_dword v130, off, s[0:3], 0
	buffer_load_dword v131, off, s[0:3], 0 offset:4
	v_mov_b32_e32 v0, 0
	buffer_store_dword v0, off, s[0:3], 0
	buffer_store_dword v0, off, s[0:3], 0 offset:4
	s_waitcnt vmcnt(2)
	ds_write_b64 v1, v[130:131]
.LBB63_391:
	s_or_b64 exec, exec, s[4:5]
	s_waitcnt lgkmcnt(0)
	; wave barrier
	s_waitcnt lgkmcnt(0)
	buffer_load_dword v0, off, s[0:3], 0
	buffer_load_dword v1, off, s[0:3], 0 offset:4
	buffer_load_dword v136, off, s[0:3], 0 offset:8
	;; [unrolled: 1-line block ×15, first 2 shown]
	v_mov_b32_e32 v134, 0
	ds_read2_b64 v[130:133], v134 offset0:65 offset1:66
	s_and_b64 vcc, exec, s[20:21]
	s_waitcnt vmcnt(12) lgkmcnt(0)
	v_fma_f64 v[130:131], v[136:137], v[130:131], 0
	s_waitcnt vmcnt(10)
	v_fmac_f64_e32 v[130:131], v[138:139], v[132:133]
	ds_read2_b64 v[136:139], v134 offset0:67 offset1:68
	s_waitcnt vmcnt(8) lgkmcnt(0)
	v_fmac_f64_e32 v[130:131], v[140:141], v[136:137]
	s_waitcnt vmcnt(6)
	v_fmac_f64_e32 v[130:131], v[142:143], v[138:139]
	ds_read2_b64 v[136:139], v134 offset0:69 offset1:70
	s_waitcnt vmcnt(4) lgkmcnt(0)
	v_fmac_f64_e32 v[130:131], v[144:145], v[136:137]
	s_waitcnt vmcnt(2)
	v_fmac_f64_e32 v[130:131], v[146:147], v[138:139]
	ds_read2_b64 v[136:139], v134 offset0:71 offset1:72
	buffer_load_dword v133, off, s[0:3], 0 offset:68
	buffer_load_dword v132, off, s[0:3], 0 offset:64
	s_waitcnt vmcnt(2) lgkmcnt(0)
	v_fmac_f64_e32 v[130:131], v[148:149], v[136:137]
	s_waitcnt vmcnt(0)
	v_fmac_f64_e32 v[130:131], v[132:133], v[138:139]
	buffer_load_dword v133, off, s[0:3], 0 offset:76
	buffer_load_dword v132, off, s[0:3], 0 offset:72
	ds_read2_b64 v[136:139], v134 offset0:73 offset1:74
	s_waitcnt vmcnt(0) lgkmcnt(0)
	v_fmac_f64_e32 v[130:131], v[132:133], v[136:137]
	buffer_load_dword v133, off, s[0:3], 0 offset:84
	buffer_load_dword v132, off, s[0:3], 0 offset:80
	s_waitcnt vmcnt(0)
	v_fmac_f64_e32 v[130:131], v[132:133], v[138:139]
	buffer_load_dword v133, off, s[0:3], 0 offset:92
	buffer_load_dword v132, off, s[0:3], 0 offset:88
	ds_read2_b64 v[136:139], v134 offset0:75 offset1:76
	s_waitcnt vmcnt(0) lgkmcnt(0)
	v_fmac_f64_e32 v[130:131], v[132:133], v[136:137]
	buffer_load_dword v133, off, s[0:3], 0 offset:100
	buffer_load_dword v132, off, s[0:3], 0 offset:96
	;; [unrolled: 9-line block ×27, first 2 shown]
	buffer_load_dword v137, off, s[0:3], 0 offset:508
	buffer_load_dword v136, off, s[0:3], 0 offset:504
	ds_read_b64 v[134:135], v134 offset:1016
	s_waitcnt vmcnt(2)
	v_fmac_f64_e32 v[130:131], v[132:133], v[138:139]
	s_waitcnt vmcnt(0) lgkmcnt(0)
	v_fmac_f64_e32 v[130:131], v[136:137], v[134:135]
	v_add_f64 v[0:1], v[0:1], -v[130:131]
	buffer_store_dword v1, off, s[0:3], 0 offset:4
	buffer_store_dword v0, off, s[0:3], 0
	s_cbranch_vccz .LBB63_519
; %bb.392:
	v_pk_mov_b32 v[0:1], s[10:11], s[10:11] op_sel:[0,1]
	flat_load_dword v0, v[0:1] offset:248
	s_waitcnt vmcnt(0) lgkmcnt(0)
	v_add_u32_e32 v0, -1, v0
	v_cmp_ne_u32_e32 vcc, 62, v0
	s_and_saveexec_b64 s[4:5], vcc
	s_cbranch_execz .LBB63_394
; %bb.393:
	v_mov_b32_e32 v1, 0
	v_lshl_add_u32 v0, v0, 3, v1
	buffer_load_dword v1, v0, s[0:3], 0 offen offset:4
	buffer_load_dword v130, v0, s[0:3], 0 offen
	s_waitcnt vmcnt(1)
	buffer_store_dword v1, off, s[0:3], 0 offset:500
	s_waitcnt vmcnt(1)
	buffer_store_dword v130, off, s[0:3], 0 offset:496
	buffer_store_dword v133, v0, s[0:3], 0 offen offset:4
	buffer_store_dword v132, v0, s[0:3], 0 offen
.LBB63_394:
	s_or_b64 exec, exec, s[4:5]
	v_pk_mov_b32 v[0:1], s[10:11], s[10:11] op_sel:[0,1]
	flat_load_dword v0, v[0:1] offset:244
	s_waitcnt vmcnt(0) lgkmcnt(0)
	v_add_u32_e32 v0, -1, v0
	v_cmp_ne_u32_e32 vcc, 61, v0
	s_and_saveexec_b64 s[4:5], vcc
	s_cbranch_execz .LBB63_396
; %bb.395:
	v_mov_b32_e32 v1, 0
	v_lshl_add_u32 v0, v0, 3, v1
	buffer_load_dword v1, v0, s[0:3], 0 offen
	buffer_load_dword v130, v0, s[0:3], 0 offen offset:4
	buffer_load_dword v131, off, s[0:3], 0 offset:488
	buffer_load_dword v132, off, s[0:3], 0 offset:492
	s_waitcnt vmcnt(3)
	buffer_store_dword v1, off, s[0:3], 0 offset:488
	s_waitcnt vmcnt(3)
	buffer_store_dword v130, off, s[0:3], 0 offset:492
	s_waitcnt vmcnt(3)
	buffer_store_dword v131, v0, s[0:3], 0 offen
	s_waitcnt vmcnt(3)
	buffer_store_dword v132, v0, s[0:3], 0 offen offset:4
.LBB63_396:
	s_or_b64 exec, exec, s[4:5]
	v_pk_mov_b32 v[0:1], s[10:11], s[10:11] op_sel:[0,1]
	flat_load_dword v0, v[0:1] offset:240
	s_waitcnt vmcnt(0) lgkmcnt(0)
	v_add_u32_e32 v0, -1, v0
	v_cmp_ne_u32_e32 vcc, 60, v0
	s_and_saveexec_b64 s[4:5], vcc
	s_cbranch_execz .LBB63_398
; %bb.397:
	v_mov_b32_e32 v1, 0
	v_lshl_add_u32 v0, v0, 3, v1
	buffer_load_dword v1, v0, s[0:3], 0 offen
	buffer_load_dword v130, v0, s[0:3], 0 offen offset:4
	buffer_load_dword v131, off, s[0:3], 0 offset:484
	buffer_load_dword v132, off, s[0:3], 0 offset:480
	s_waitcnt vmcnt(3)
	buffer_store_dword v1, off, s[0:3], 0 offset:480
	s_waitcnt vmcnt(3)
	buffer_store_dword v130, off, s[0:3], 0 offset:484
	s_waitcnt vmcnt(3)
	buffer_store_dword v131, v0, s[0:3], 0 offen offset:4
	s_waitcnt vmcnt(3)
	buffer_store_dword v132, v0, s[0:3], 0 offen
.LBB63_398:
	s_or_b64 exec, exec, s[4:5]
	v_pk_mov_b32 v[0:1], s[10:11], s[10:11] op_sel:[0,1]
	flat_load_dword v0, v[0:1] offset:236
	s_waitcnt vmcnt(0) lgkmcnt(0)
	v_add_u32_e32 v0, -1, v0
	v_cmp_ne_u32_e32 vcc, 59, v0
	s_and_saveexec_b64 s[4:5], vcc
	s_cbranch_execz .LBB63_400
; %bb.399:
	v_mov_b32_e32 v1, 0
	v_lshl_add_u32 v0, v0, 3, v1
	buffer_load_dword v1, v0, s[0:3], 0 offen
	buffer_load_dword v130, v0, s[0:3], 0 offen offset:4
	buffer_load_dword v131, off, s[0:3], 0 offset:472
	buffer_load_dword v132, off, s[0:3], 0 offset:476
	s_waitcnt vmcnt(3)
	buffer_store_dword v1, off, s[0:3], 0 offset:472
	s_waitcnt vmcnt(3)
	buffer_store_dword v130, off, s[0:3], 0 offset:476
	s_waitcnt vmcnt(3)
	buffer_store_dword v131, v0, s[0:3], 0 offen
	s_waitcnt vmcnt(3)
	buffer_store_dword v132, v0, s[0:3], 0 offen offset:4
.LBB63_400:
	s_or_b64 exec, exec, s[4:5]
	v_pk_mov_b32 v[0:1], s[10:11], s[10:11] op_sel:[0,1]
	flat_load_dword v0, v[0:1] offset:232
	s_waitcnt vmcnt(0) lgkmcnt(0)
	v_add_u32_e32 v0, -1, v0
	v_cmp_ne_u32_e32 vcc, 58, v0
	s_and_saveexec_b64 s[4:5], vcc
	s_cbranch_execz .LBB63_402
; %bb.401:
	v_mov_b32_e32 v1, 0
	v_lshl_add_u32 v0, v0, 3, v1
	buffer_load_dword v1, v0, s[0:3], 0 offen
	buffer_load_dword v130, v0, s[0:3], 0 offen offset:4
	buffer_load_dword v131, off, s[0:3], 0 offset:468
	buffer_load_dword v132, off, s[0:3], 0 offset:464
	s_waitcnt vmcnt(3)
	buffer_store_dword v1, off, s[0:3], 0 offset:464
	s_waitcnt vmcnt(3)
	buffer_store_dword v130, off, s[0:3], 0 offset:468
	s_waitcnt vmcnt(3)
	buffer_store_dword v131, v0, s[0:3], 0 offen offset:4
	s_waitcnt vmcnt(3)
	buffer_store_dword v132, v0, s[0:3], 0 offen
.LBB63_402:
	;; [unrolled: 48-line block ×30, first 2 shown]
	s_or_b64 exec, exec, s[4:5]
	v_pk_mov_b32 v[0:1], s[10:11], s[10:11] op_sel:[0,1]
	flat_load_dword v0, v[0:1] offset:4
	s_waitcnt vmcnt(0) lgkmcnt(0)
	v_add_u32_e32 v0, -1, v0
	v_cmp_ne_u32_e32 vcc, 1, v0
	s_and_saveexec_b64 s[4:5], vcc
	s_cbranch_execz .LBB63_516
; %bb.515:
	v_mov_b32_e32 v1, 0
	v_lshl_add_u32 v0, v0, 3, v1
	buffer_load_dword v1, v0, s[0:3], 0 offen
	buffer_load_dword v130, v0, s[0:3], 0 offen offset:4
	buffer_load_dword v131, off, s[0:3], 0 offset:8
	buffer_load_dword v132, off, s[0:3], 0 offset:12
	s_waitcnt vmcnt(3)
	buffer_store_dword v1, off, s[0:3], 0 offset:8
	s_waitcnt vmcnt(3)
	buffer_store_dword v130, off, s[0:3], 0 offset:12
	s_waitcnt vmcnt(3)
	buffer_store_dword v131, v0, s[0:3], 0 offen
	s_waitcnt vmcnt(3)
	buffer_store_dword v132, v0, s[0:3], 0 offen offset:4
.LBB63_516:
	s_or_b64 exec, exec, s[4:5]
	v_pk_mov_b32 v[0:1], s[10:11], s[10:11] op_sel:[0,1]
	flat_load_dword v130, v[0:1]
	s_nop 0
	buffer_load_dword v0, off, s[0:3], 0
	buffer_load_dword v1, off, s[0:3], 0 offset:4
	s_waitcnt vmcnt(0) lgkmcnt(0)
	v_add_u32_e32 v130, -1, v130
	v_cmp_ne_u32_e32 vcc, 0, v130
	s_and_saveexec_b64 s[4:5], vcc
	s_cbranch_execz .LBB63_518
; %bb.517:
	v_mov_b32_e32 v131, 0
	v_lshl_add_u32 v130, v130, 3, v131
	buffer_load_dword v131, v130, s[0:3], 0 offen offset:4
	buffer_load_dword v132, v130, s[0:3], 0 offen
	s_waitcnt vmcnt(1)
	buffer_store_dword v131, off, s[0:3], 0 offset:4
	s_waitcnt vmcnt(1)
	buffer_store_dword v132, off, s[0:3], 0
	buffer_store_dword v1, v130, s[0:3], 0 offen offset:4
	buffer_store_dword v0, v130, s[0:3], 0 offen
	buffer_load_dword v0, off, s[0:3], 0
	s_nop 0
	buffer_load_dword v1, off, s[0:3], 0 offset:4
.LBB63_518:
	s_or_b64 exec, exec, s[4:5]
.LBB63_519:
	s_waitcnt vmcnt(0)
	global_store_dwordx2 v[128:129], v[0:1], off
	buffer_load_dword v0, off, s[0:3], 0 offset:8
	s_nop 0
	buffer_load_dword v1, off, s[0:3], 0 offset:12
	buffer_load_dword v128, off, s[0:3], 0 offset:16
	;; [unrolled: 1-line block ×15, first 2 shown]
	s_waitcnt vmcnt(14)
	global_store_dwordx2 v[126:127], v[0:1], off
	s_waitcnt vmcnt(13)
	global_store_dwordx2 v[2:3], v[128:129], off
	;; [unrolled: 2-line block ×8, first 2 shown]
	buffer_load_dword v0, off, s[0:3], 0 offset:72
	buffer_load_dword v1, off, s[0:3], 0 offset:76
	s_waitcnt vmcnt(0)
	global_store_dwordx2 v[14:15], v[0:1], off
	buffer_load_dword v0, off, s[0:3], 0 offset:80
	s_nop 0
	buffer_load_dword v1, off, s[0:3], 0 offset:84
	s_waitcnt vmcnt(0)
	global_store_dwordx2 v[16:17], v[0:1], off
	buffer_load_dword v0, off, s[0:3], 0 offset:88
	s_nop 0
	;; [unrolled: 5-line block ×54, first 2 shown]
	buffer_load_dword v1, off, s[0:3], 0 offset:508
	s_waitcnt vmcnt(0)
	global_store_dwordx2 v[110:111], v[0:1], off
	s_endpgm
	.section	.rodata,"a",@progbits
	.p2align	6, 0x0
	.amdhsa_kernel _ZN9rocsolver6v33100L18getri_kernel_smallILi64EdPdEEvT1_iilPiilS4_bb
		.amdhsa_group_segment_fixed_size 1032
		.amdhsa_private_segment_fixed_size 528
		.amdhsa_kernarg_size 60
		.amdhsa_user_sgpr_count 8
		.amdhsa_user_sgpr_private_segment_buffer 1
		.amdhsa_user_sgpr_dispatch_ptr 0
		.amdhsa_user_sgpr_queue_ptr 0
		.amdhsa_user_sgpr_kernarg_segment_ptr 1
		.amdhsa_user_sgpr_dispatch_id 0
		.amdhsa_user_sgpr_flat_scratch_init 1
		.amdhsa_user_sgpr_kernarg_preload_length 0
		.amdhsa_user_sgpr_kernarg_preload_offset 0
		.amdhsa_user_sgpr_private_segment_size 0
		.amdhsa_uses_dynamic_stack 0
		.amdhsa_system_sgpr_private_segment_wavefront_offset 1
		.amdhsa_system_sgpr_workgroup_id_x 1
		.amdhsa_system_sgpr_workgroup_id_y 0
		.amdhsa_system_sgpr_workgroup_id_z 0
		.amdhsa_system_sgpr_workgroup_info 0
		.amdhsa_system_vgpr_workitem_id 0
		.amdhsa_next_free_vgpr 166
		.amdhsa_next_free_sgpr 23
		.amdhsa_accum_offset 168
		.amdhsa_reserve_vcc 1
		.amdhsa_reserve_flat_scratch 1
		.amdhsa_float_round_mode_32 0
		.amdhsa_float_round_mode_16_64 0
		.amdhsa_float_denorm_mode_32 3
		.amdhsa_float_denorm_mode_16_64 3
		.amdhsa_dx10_clamp 1
		.amdhsa_ieee_mode 1
		.amdhsa_fp16_overflow 0
		.amdhsa_tg_split 0
		.amdhsa_exception_fp_ieee_invalid_op 0
		.amdhsa_exception_fp_denorm_src 0
		.amdhsa_exception_fp_ieee_div_zero 0
		.amdhsa_exception_fp_ieee_overflow 0
		.amdhsa_exception_fp_ieee_underflow 0
		.amdhsa_exception_fp_ieee_inexact 0
		.amdhsa_exception_int_div_zero 0
	.end_amdhsa_kernel
	.section	.text._ZN9rocsolver6v33100L18getri_kernel_smallILi64EdPdEEvT1_iilPiilS4_bb,"axG",@progbits,_ZN9rocsolver6v33100L18getri_kernel_smallILi64EdPdEEvT1_iilPiilS4_bb,comdat
.Lfunc_end63:
	.size	_ZN9rocsolver6v33100L18getri_kernel_smallILi64EdPdEEvT1_iilPiilS4_bb, .Lfunc_end63-_ZN9rocsolver6v33100L18getri_kernel_smallILi64EdPdEEvT1_iilPiilS4_bb
                                        ; -- End function
	.section	.AMDGPU.csdata,"",@progbits
; Kernel info:
; codeLenInByte = 90036
; NumSgprs: 29
; NumVgprs: 166
; NumAgprs: 0
; TotalNumVgprs: 166
; ScratchSize: 528
; MemoryBound: 1
; FloatMode: 240
; IeeeMode: 1
; LDSByteSize: 1032 bytes/workgroup (compile time only)
; SGPRBlocks: 3
; VGPRBlocks: 20
; NumSGPRsForWavesPerEU: 29
; NumVGPRsForWavesPerEU: 166
; AccumOffset: 168
; Occupancy: 3
; WaveLimiterHint : 1
; COMPUTE_PGM_RSRC2:SCRATCH_EN: 1
; COMPUTE_PGM_RSRC2:USER_SGPR: 8
; COMPUTE_PGM_RSRC2:TRAP_HANDLER: 0
; COMPUTE_PGM_RSRC2:TGID_X_EN: 1
; COMPUTE_PGM_RSRC2:TGID_Y_EN: 0
; COMPUTE_PGM_RSRC2:TGID_Z_EN: 0
; COMPUTE_PGM_RSRC2:TIDIG_COMP_CNT: 0
; COMPUTE_PGM_RSRC3_GFX90A:ACCUM_OFFSET: 41
; COMPUTE_PGM_RSRC3_GFX90A:TG_SPLIT: 0
	.section	.text._ZN9rocsolver6v33100L18getri_kernel_smallILi1EdPKPdEEvT1_iilPiilS6_bb,"axG",@progbits,_ZN9rocsolver6v33100L18getri_kernel_smallILi1EdPKPdEEvT1_iilPiilS6_bb,comdat
	.globl	_ZN9rocsolver6v33100L18getri_kernel_smallILi1EdPKPdEEvT1_iilPiilS6_bb ; -- Begin function _ZN9rocsolver6v33100L18getri_kernel_smallILi1EdPKPdEEvT1_iilPiilS6_bb
	.p2align	8
	.type	_ZN9rocsolver6v33100L18getri_kernel_smallILi1EdPKPdEEvT1_iilPiilS6_bb,@function
_ZN9rocsolver6v33100L18getri_kernel_smallILi1EdPKPdEEvT1_iilPiilS6_bb: ; @_ZN9rocsolver6v33100L18getri_kernel_smallILi1EdPKPdEEvT1_iilPiilS6_bb
; %bb.0:
	v_cmp_eq_u32_e32 vcc, 0, v0
	s_and_saveexec_b64 s[0:1], vcc
	s_cbranch_execz .LBB64_12
; %bb.1:
	s_load_dword s0, s[4:5], 0x8
	s_load_dword s7, s[4:5], 0x38
	s_load_dwordx2 s[2:3], s[4:5], 0x0
	s_load_dwordx2 s[8:9], s[4:5], 0x30
	s_waitcnt lgkmcnt(0)
	s_ashr_i32 s1, s0, 31
	s_bitcmp1_b32 s7, 0
	s_cselect_b64 s[10:11], -1, 0
	s_ashr_i32 s7, s6, 31
	s_lshl_b64 s[4:5], s[6:7], 3
	s_add_u32 s2, s2, s4
	s_addc_u32 s3, s3, s5
	s_load_dwordx2 s[2:3], s[2:3], 0x0
	s_lshl_b64 s[0:1], s[0:1], 3
	s_waitcnt lgkmcnt(0)
	s_add_u32 s2, s2, s0
	s_addc_u32 s3, s3, s1
	s_load_dwordx2 s[4:5], s[2:3], 0x0
	s_and_b64 vcc, exec, s[10:11]
	s_cbranch_vccnz .LBB64_4
; %bb.2:
	s_lshl_b64 s[0:1], s[6:7], 2
	s_add_u32 s0, s8, s0
	s_addc_u32 s1, s9, s1
	s_load_dword s0, s[0:1], 0x0
	s_mov_b64 s[10:11], -1
	s_waitcnt lgkmcnt(0)
	s_cmp_eq_u32 s0, 0
	s_cselect_b64 s[0:1], -1, 0
	s_cbranch_execz .LBB64_5
; %bb.3:
	s_waitcnt lgkmcnt(0)
	v_pk_mov_b32 v[0:1], s[4:5], s[4:5] op_sel:[0,1]
	s_and_b64 vcc, exec, s[10:11]
	s_cbranch_vccz .LBB64_12
	s_branch .LBB64_14
.LBB64_4:
	s_mov_b64 s[10:11], 0
                                        ; implicit-def: $sgpr0_sgpr1
.LBB64_5:
	s_waitcnt lgkmcnt(0)
	v_cmp_neq_f64_e64 s[0:1], s[4:5], 0
	v_mov_b32_e32 v0, 0
	s_and_b64 vcc, exec, s[0:1]
	ds_write_b32 v0, v0
	s_waitcnt lgkmcnt(0)
	; wave barrier
	s_waitcnt lgkmcnt(0)
	s_cbranch_vccnz .LBB64_10
; %bb.6:
	ds_read_b32 v1, v0
	s_waitcnt lgkmcnt(0)
	v_readfirstlane_b32 s12, v1
	s_cmp_lg_u32 s12, 0
	s_cselect_b64 s[0:1], -1, 0
	s_cmp_lt_i32 s12, 2
	s_cselect_b64 s[12:13], -1, 0
	s_and_b64 s[0:1], s[0:1], s[12:13]
	s_and_b64 vcc, exec, s[0:1]
	s_cbranch_vccnz .LBB64_10
; %bb.7:
	s_mov_b64 s[12:13], 0
	v_mov_b32_e32 v2, 1
	v_mov_b32_e32 v3, 0
.LBB64_8:                               ; =>This Inner Loop Header: Depth=1
	ds_cmpst_rtn_b32 v1, v3, v1, v2
	s_waitcnt lgkmcnt(0)
	v_cmp_ne_u32_e32 vcc, 0, v1
	v_cmp_gt_i32_e64 s[0:1], 2, v1
	s_and_b64 s[0:1], vcc, s[0:1]
	s_and_b64 s[0:1], exec, s[0:1]
	s_or_b64 s[12:13], s[0:1], s[12:13]
	s_andn2_b64 exec, exec, s[12:13]
	s_cbranch_execnz .LBB64_8
; %bb.9:
	s_or_b64 exec, exec, s[12:13]
.LBB64_10:
	s_waitcnt lgkmcnt(0)
	; wave barrier
	ds_read_b32 v1, v0
	s_lshl_b64 s[0:1], s[6:7], 2
	s_add_u32 s0, s8, s0
	s_addc_u32 s1, s9, s1
	s_waitcnt lgkmcnt(0)
	v_cmp_ne_u32_e32 vcc, 0, v1
	global_store_dword v0, v1, s[0:1]
	s_cbranch_vccz .LBB64_13
; %bb.11:
                                        ; implicit-def: $vgpr0_vgpr1
                                        ; implicit-def: $sgpr0_sgpr1
	s_and_b64 vcc, exec, s[10:11]
	s_cbranch_vccnz .LBB64_14
.LBB64_12:
	s_endpgm
.LBB64_13:
	v_div_scale_f64 v[0:1], s[0:1], s[4:5], s[4:5], 1.0
	v_rcp_f64_e32 v[2:3], v[0:1]
	v_div_scale_f64 v[4:5], vcc, 1.0, s[4:5], 1.0
	s_mov_b64 s[0:1], -1
	v_fma_f64 v[6:7], -v[0:1], v[2:3], 1.0
	v_fmac_f64_e32 v[2:3], v[2:3], v[6:7]
	v_fma_f64 v[6:7], -v[0:1], v[2:3], 1.0
	v_fmac_f64_e32 v[2:3], v[2:3], v[6:7]
	v_mul_f64 v[6:7], v[4:5], v[2:3]
	v_fma_f64 v[0:1], -v[0:1], v[6:7], v[4:5]
	v_div_fmas_f64 v[0:1], v[0:1], v[2:3], v[6:7]
	v_div_fixup_f64 v[0:1], v[0:1], s[4:5], 1.0
	s_cbranch_execz .LBB64_12
.LBB64_14:
	s_andn2_b64 vcc, exec, s[0:1]
	s_cbranch_vccnz .LBB64_12
; %bb.15:
	v_mov_b32_e32 v2, 0
	global_store_dwordx2 v2, v[0:1], s[2:3]
	s_endpgm
	.section	.rodata,"a",@progbits
	.p2align	6, 0x0
	.amdhsa_kernel _ZN9rocsolver6v33100L18getri_kernel_smallILi1EdPKPdEEvT1_iilPiilS6_bb
		.amdhsa_group_segment_fixed_size 4
		.amdhsa_private_segment_fixed_size 0
		.amdhsa_kernarg_size 60
		.amdhsa_user_sgpr_count 6
		.amdhsa_user_sgpr_private_segment_buffer 1
		.amdhsa_user_sgpr_dispatch_ptr 0
		.amdhsa_user_sgpr_queue_ptr 0
		.amdhsa_user_sgpr_kernarg_segment_ptr 1
		.amdhsa_user_sgpr_dispatch_id 0
		.amdhsa_user_sgpr_flat_scratch_init 0
		.amdhsa_user_sgpr_kernarg_preload_length 0
		.amdhsa_user_sgpr_kernarg_preload_offset 0
		.amdhsa_user_sgpr_private_segment_size 0
		.amdhsa_uses_dynamic_stack 0
		.amdhsa_system_sgpr_private_segment_wavefront_offset 0
		.amdhsa_system_sgpr_workgroup_id_x 1
		.amdhsa_system_sgpr_workgroup_id_y 0
		.amdhsa_system_sgpr_workgroup_id_z 0
		.amdhsa_system_sgpr_workgroup_info 0
		.amdhsa_system_vgpr_workitem_id 0
		.amdhsa_next_free_vgpr 8
		.amdhsa_next_free_sgpr 14
		.amdhsa_accum_offset 8
		.amdhsa_reserve_vcc 1
		.amdhsa_reserve_flat_scratch 0
		.amdhsa_float_round_mode_32 0
		.amdhsa_float_round_mode_16_64 0
		.amdhsa_float_denorm_mode_32 3
		.amdhsa_float_denorm_mode_16_64 3
		.amdhsa_dx10_clamp 1
		.amdhsa_ieee_mode 1
		.amdhsa_fp16_overflow 0
		.amdhsa_tg_split 0
		.amdhsa_exception_fp_ieee_invalid_op 0
		.amdhsa_exception_fp_denorm_src 0
		.amdhsa_exception_fp_ieee_div_zero 0
		.amdhsa_exception_fp_ieee_overflow 0
		.amdhsa_exception_fp_ieee_underflow 0
		.amdhsa_exception_fp_ieee_inexact 0
		.amdhsa_exception_int_div_zero 0
	.end_amdhsa_kernel
	.section	.text._ZN9rocsolver6v33100L18getri_kernel_smallILi1EdPKPdEEvT1_iilPiilS6_bb,"axG",@progbits,_ZN9rocsolver6v33100L18getri_kernel_smallILi1EdPKPdEEvT1_iilPiilS6_bb,comdat
.Lfunc_end64:
	.size	_ZN9rocsolver6v33100L18getri_kernel_smallILi1EdPKPdEEvT1_iilPiilS6_bb, .Lfunc_end64-_ZN9rocsolver6v33100L18getri_kernel_smallILi1EdPKPdEEvT1_iilPiilS6_bb
                                        ; -- End function
	.section	.AMDGPU.csdata,"",@progbits
; Kernel info:
; codeLenInByte = 492
; NumSgprs: 18
; NumVgprs: 8
; NumAgprs: 0
; TotalNumVgprs: 8
; ScratchSize: 0
; MemoryBound: 0
; FloatMode: 240
; IeeeMode: 1
; LDSByteSize: 4 bytes/workgroup (compile time only)
; SGPRBlocks: 2
; VGPRBlocks: 0
; NumSGPRsForWavesPerEU: 18
; NumVGPRsForWavesPerEU: 8
; AccumOffset: 8
; Occupancy: 8
; WaveLimiterHint : 1
; COMPUTE_PGM_RSRC2:SCRATCH_EN: 0
; COMPUTE_PGM_RSRC2:USER_SGPR: 6
; COMPUTE_PGM_RSRC2:TRAP_HANDLER: 0
; COMPUTE_PGM_RSRC2:TGID_X_EN: 1
; COMPUTE_PGM_RSRC2:TGID_Y_EN: 0
; COMPUTE_PGM_RSRC2:TGID_Z_EN: 0
; COMPUTE_PGM_RSRC2:TIDIG_COMP_CNT: 0
; COMPUTE_PGM_RSRC3_GFX90A:ACCUM_OFFSET: 1
; COMPUTE_PGM_RSRC3_GFX90A:TG_SPLIT: 0
	.section	.text._ZN9rocsolver6v33100L18getri_kernel_smallILi2EdPKPdEEvT1_iilPiilS6_bb,"axG",@progbits,_ZN9rocsolver6v33100L18getri_kernel_smallILi2EdPKPdEEvT1_iilPiilS6_bb,comdat
	.globl	_ZN9rocsolver6v33100L18getri_kernel_smallILi2EdPKPdEEvT1_iilPiilS6_bb ; -- Begin function _ZN9rocsolver6v33100L18getri_kernel_smallILi2EdPKPdEEvT1_iilPiilS6_bb
	.p2align	8
	.type	_ZN9rocsolver6v33100L18getri_kernel_smallILi2EdPKPdEEvT1_iilPiilS6_bb,@function
_ZN9rocsolver6v33100L18getri_kernel_smallILi2EdPKPdEEvT1_iilPiilS6_bb: ; @_ZN9rocsolver6v33100L18getri_kernel_smallILi2EdPKPdEEvT1_iilPiilS6_bb
; %bb.0:
	v_cmp_gt_u32_e32 vcc, 2, v0
	s_and_saveexec_b64 s[0:1], vcc
	s_cbranch_execz .LBB65_16
; %bb.1:
	s_load_dword s2, s[4:5], 0x38
	s_load_dwordx2 s[0:1], s[4:5], 0x0
	s_load_dwordx4 s[8:11], s[4:5], 0x28
	s_waitcnt lgkmcnt(0)
	s_bitcmp1_b32 s2, 8
	s_cselect_b64 s[12:13], -1, 0
	s_ashr_i32 s7, s6, 31
	s_lshl_b64 s[14:15], s[6:7], 3
	s_add_u32 s0, s0, s14
	s_addc_u32 s1, s1, s15
	s_load_dwordx2 s[0:1], s[0:1], 0x0
	s_bfe_u32 s3, s2, 0x10008
	s_cmp_eq_u32 s3, 0
                                        ; implicit-def: $sgpr14_sgpr15
	s_cbranch_scc1 .LBB65_3
; %bb.2:
	s_load_dword s14, s[4:5], 0x20
	s_load_dwordx2 s[16:17], s[4:5], 0x18
	s_mul_i32 s3, s6, s9
	s_mul_hi_u32 s9, s6, s8
	s_add_i32 s3, s9, s3
	s_mul_i32 s9, s7, s8
	s_add_i32 s9, s3, s9
	s_mul_i32 s8, s6, s8
	s_waitcnt lgkmcnt(0)
	s_ashr_i32 s15, s14, 31
	s_lshl_b64 s[8:9], s[8:9], 2
	s_add_u32 s3, s16, s8
	s_addc_u32 s16, s17, s9
	s_lshl_b64 s[8:9], s[14:15], 2
	s_add_u32 s14, s3, s8
	s_addc_u32 s15, s16, s9
.LBB65_3:
	s_load_dwordx2 s[4:5], s[4:5], 0x8
	v_lshlrev_b32_e32 v1, 3, v0
	s_waitcnt lgkmcnt(0)
	s_ashr_i32 s9, s4, 31
	s_mov_b32 s8, s4
	s_lshl_b64 s[8:9], s[8:9], 3
	s_add_u32 s0, s0, s8
	s_addc_u32 s1, s1, s9
	v_mov_b32_e32 v2, s1
	v_add_co_u32_e32 v6, vcc, s0, v1
	s_ashr_i32 s9, s5, 31
	s_mov_b32 s8, s5
	v_addc_co_u32_e32 v7, vcc, 0, v2, vcc
	s_lshl_b64 s[4:5], s[8:9], 3
	v_mov_b32_e32 v2, s5
	v_add_co_u32_e32 v8, vcc, s4, v6
	v_addc_co_u32_e32 v9, vcc, v7, v2, vcc
	global_load_dwordx2 v[2:3], v1, s[0:1]
	global_load_dwordx2 v[4:5], v[8:9], off
	s_bitcmp0_b32 s2, 0
	s_mov_b64 s[0:1], -1
	s_cbranch_scc1 .LBB65_14
; %bb.4:
	v_cmp_eq_u32_e64 s[0:1], 0, v0
	s_and_saveexec_b64 s[2:3], s[0:1]
	s_cbranch_execz .LBB65_6
; %bb.5:
	v_mov_b32_e32 v10, 0
	ds_write_b32 v10, v10 offset:32
.LBB65_6:
	s_or_b64 exec, exec, s[2:3]
	v_cmp_eq_u32_e32 vcc, 1, v0
	s_waitcnt vmcnt(0)
	v_cndmask_b32_e32 v11, v3, v5, vcc
	v_cndmask_b32_e32 v10, v2, v4, vcc
	v_cmp_eq_f64_e32 vcc, 0, v[10:11]
	s_waitcnt lgkmcnt(0)
	; wave barrier
	s_waitcnt lgkmcnt(0)
	s_and_saveexec_b64 s[4:5], vcc
	s_cbranch_execz .LBB65_10
; %bb.7:
	v_mov_b32_e32 v12, 0
	ds_read_b32 v14, v12 offset:32
	v_add_u32_e32 v13, 1, v0
	s_waitcnt lgkmcnt(0)
	v_readfirstlane_b32 s2, v14
	s_cmp_eq_u32 s2, 0
	s_cselect_b64 s[8:9], -1, 0
	v_cmp_gt_i32_e32 vcc, s2, v13
	s_or_b64 s[8:9], s[8:9], vcc
	s_and_b64 exec, exec, s[8:9]
	s_cbranch_execz .LBB65_10
; %bb.8:
	s_mov_b64 s[8:9], 0
	v_mov_b32_e32 v14, s2
.LBB65_9:                               ; =>This Inner Loop Header: Depth=1
	ds_cmpst_rtn_b32 v14, v12, v14, v13 offset:32
	s_waitcnt lgkmcnt(0)
	v_cmp_ne_u32_e32 vcc, 0, v14
	v_cmp_le_i32_e64 s[2:3], v14, v13
	s_and_b64 s[2:3], vcc, s[2:3]
	s_and_b64 s[2:3], exec, s[2:3]
	s_or_b64 s[8:9], s[2:3], s[8:9]
	s_andn2_b64 exec, exec, s[8:9]
	s_cbranch_execnz .LBB65_9
.LBB65_10:
	s_or_b64 exec, exec, s[4:5]
	v_mov_b32_e32 v13, 0
	s_waitcnt lgkmcnt(0)
	; wave barrier
	ds_read_b32 v12, v13 offset:32
	s_and_saveexec_b64 s[2:3], s[0:1]
	s_cbranch_execz .LBB65_12
; %bb.11:
	s_lshl_b64 s[4:5], s[6:7], 2
	s_add_u32 s4, s10, s4
	s_addc_u32 s5, s11, s5
	s_waitcnt lgkmcnt(0)
	global_store_dword v13, v12, s[4:5]
.LBB65_12:
	s_or_b64 exec, exec, s[2:3]
	s_waitcnt lgkmcnt(0)
	v_cmp_ne_u32_e32 vcc, 0, v12
	s_cbranch_vccz .LBB65_17
; %bb.13:
	s_mov_b64 s[0:1], 0
                                        ; implicit-def: $vgpr2_vgpr3_vgpr4_vgpr5
.LBB65_14:
	s_and_b64 vcc, exec, s[0:1]
	s_cbranch_vccz .LBB65_16
.LBB65_15:
	s_lshl_b64 s[0:1], s[6:7], 2
	s_add_u32 s0, s10, s0
	s_addc_u32 s1, s11, s1
	v_mov_b32_e32 v1, 0
	global_load_dword v1, v1, s[0:1]
	s_waitcnt vmcnt(0)
	v_cmp_ne_u32_e32 vcc, 0, v1
	s_cbranch_vccz .LBB65_18
.LBB65_16:
	s_endpgm
.LBB65_17:
	v_div_scale_f64 v[12:13], s[2:3], v[10:11], v[10:11], 1.0
	v_rcp_f64_e32 v[14:15], v[12:13]
	v_div_scale_f64 v[16:17], vcc, 1.0, v[10:11], 1.0
	v_cmp_eq_u32_e64 s[2:3], 1, v0
	v_fma_f64 v[18:19], -v[12:13], v[14:15], 1.0
	v_fmac_f64_e32 v[14:15], v[14:15], v[18:19]
	v_fma_f64 v[18:19], -v[12:13], v[14:15], 1.0
	v_fmac_f64_e32 v[14:15], v[14:15], v[18:19]
	v_mul_f64 v[18:19], v[16:17], v[14:15]
	v_fma_f64 v[12:13], -v[12:13], v[18:19], v[16:17]
	v_div_fmas_f64 v[12:13], v[12:13], v[14:15], v[18:19]
	v_div_fixup_f64 v[14:15], v[12:13], v[10:11], 1.0
	v_cmp_eq_u32_e32 vcc, 0, v0
	v_cndmask_b32_e32 v3, v3, v15, vcc
	v_cndmask_b32_e64 v5, v5, v15, s[2:3]
	v_cndmask_b32_e64 v4, v4, v14, s[2:3]
	v_xor_b32_e32 v15, 0x80000000, v15
	ds_write2_b64 v1, v[14:15], v[4:5] offset1:2
	v_mov_b32_e32 v1, 0
	s_waitcnt lgkmcnt(0)
	; wave barrier
	s_waitcnt lgkmcnt(0)
	ds_read2_b64 v[10:13], v1 offset0:1 offset1:2
	v_cndmask_b32_e32 v2, v2, v14, vcc
	s_waitcnt lgkmcnt(0)
	; wave barrier
	s_waitcnt lgkmcnt(0)
	v_fma_f64 v[12:13], v[2:3], v[12:13], 0
	v_mul_f64 v[10:11], v[12:13], v[10:11]
	v_cndmask_b32_e64 v5, v5, v11, s[0:1]
	v_cndmask_b32_e64 v4, v4, v10, s[0:1]
	s_cbranch_execnz .LBB65_15
	s_branch .LBB65_16
.LBB65_18:
	v_cmp_eq_u32_e32 vcc, 1, v0
	s_and_saveexec_b64 s[0:1], vcc
	s_cbranch_execz .LBB65_20
; %bb.19:
	v_pk_mov_b32 v[12:13], v[4:5], v[4:5] op_sel:[0,1]
	s_mov_b32 s2, 0
	v_pk_mov_b32 v[10:11], v[2:3], v[2:3] op_sel:[0,1]
	v_mov_b32_e32 v10, s2
	v_mov_b32_e32 v11, s2
	;; [unrolled: 1-line block ×3, first 2 shown]
	ds_write_b64 v0, v[2:3] offset:24
	v_pk_mov_b32 v[2:3], v[10:11], v[10:11] op_sel:[0,1]
	v_pk_mov_b32 v[4:5], v[12:13], v[12:13] op_sel:[0,1]
.LBB65_20:
	s_or_b64 exec, exec, s[0:1]
	v_mov_b32_e32 v0, 0
	s_waitcnt lgkmcnt(0)
	; wave barrier
	s_waitcnt lgkmcnt(0)
	ds_read_b64 v[0:1], v0 offset:24
	s_andn2_b64 vcc, exec, s[12:13]
	s_waitcnt lgkmcnt(0)
	v_fma_f64 v[0:1], v[4:5], v[0:1], 0
	v_add_f64 v[2:3], v[2:3], -v[0:1]
	s_cbranch_vccnz .LBB65_22
; %bb.21:
	v_pk_mov_b32 v[0:1], s[14:15], s[14:15] op_sel:[0,1]
	flat_load_dword v0, v[0:1]
	s_waitcnt vmcnt(0) lgkmcnt(0)
	v_add_u32_e32 v0, -1, v0
	v_cmp_eq_u32_e32 vcc, 1, v0
	v_cndmask_b32_e32 v1, v3, v5, vcc
	v_cndmask_b32_e32 v10, v2, v4, vcc
	;; [unrolled: 1-line block ×4, first 2 shown]
	v_cmp_eq_u32_e32 vcc, 0, v0
	v_cndmask_b32_e32 v0, v10, v2, vcc
	v_cndmask_b32_e32 v1, v1, v3, vcc
	v_cndmask_b32_e32 v5, v12, v5, vcc
	v_cndmask_b32_e32 v4, v11, v4, vcc
	v_cndmask_b32_e32 v3, v1, v3, vcc
	v_cndmask_b32_e32 v2, v0, v2, vcc
.LBB65_22:
	global_store_dwordx2 v[6:7], v[2:3], off
	global_store_dwordx2 v[8:9], v[4:5], off
	s_endpgm
	.section	.rodata,"a",@progbits
	.p2align	6, 0x0
	.amdhsa_kernel _ZN9rocsolver6v33100L18getri_kernel_smallILi2EdPKPdEEvT1_iilPiilS6_bb
		.amdhsa_group_segment_fixed_size 40
		.amdhsa_private_segment_fixed_size 0
		.amdhsa_kernarg_size 60
		.amdhsa_user_sgpr_count 6
		.amdhsa_user_sgpr_private_segment_buffer 1
		.amdhsa_user_sgpr_dispatch_ptr 0
		.amdhsa_user_sgpr_queue_ptr 0
		.amdhsa_user_sgpr_kernarg_segment_ptr 1
		.amdhsa_user_sgpr_dispatch_id 0
		.amdhsa_user_sgpr_flat_scratch_init 0
		.amdhsa_user_sgpr_kernarg_preload_length 0
		.amdhsa_user_sgpr_kernarg_preload_offset 0
		.amdhsa_user_sgpr_private_segment_size 0
		.amdhsa_uses_dynamic_stack 0
		.amdhsa_system_sgpr_private_segment_wavefront_offset 0
		.amdhsa_system_sgpr_workgroup_id_x 1
		.amdhsa_system_sgpr_workgroup_id_y 0
		.amdhsa_system_sgpr_workgroup_id_z 0
		.amdhsa_system_sgpr_workgroup_info 0
		.amdhsa_system_vgpr_workitem_id 0
		.amdhsa_next_free_vgpr 20
		.amdhsa_next_free_sgpr 18
		.amdhsa_accum_offset 20
		.amdhsa_reserve_vcc 1
		.amdhsa_reserve_flat_scratch 0
		.amdhsa_float_round_mode_32 0
		.amdhsa_float_round_mode_16_64 0
		.amdhsa_float_denorm_mode_32 3
		.amdhsa_float_denorm_mode_16_64 3
		.amdhsa_dx10_clamp 1
		.amdhsa_ieee_mode 1
		.amdhsa_fp16_overflow 0
		.amdhsa_tg_split 0
		.amdhsa_exception_fp_ieee_invalid_op 0
		.amdhsa_exception_fp_denorm_src 0
		.amdhsa_exception_fp_ieee_div_zero 0
		.amdhsa_exception_fp_ieee_overflow 0
		.amdhsa_exception_fp_ieee_underflow 0
		.amdhsa_exception_fp_ieee_inexact 0
		.amdhsa_exception_int_div_zero 0
	.end_amdhsa_kernel
	.section	.text._ZN9rocsolver6v33100L18getri_kernel_smallILi2EdPKPdEEvT1_iilPiilS6_bb,"axG",@progbits,_ZN9rocsolver6v33100L18getri_kernel_smallILi2EdPKPdEEvT1_iilPiilS6_bb,comdat
.Lfunc_end65:
	.size	_ZN9rocsolver6v33100L18getri_kernel_smallILi2EdPKPdEEvT1_iilPiilS6_bb, .Lfunc_end65-_ZN9rocsolver6v33100L18getri_kernel_smallILi2EdPKPdEEvT1_iilPiilS6_bb
                                        ; -- End function
	.section	.AMDGPU.csdata,"",@progbits
; Kernel info:
; codeLenInByte = 956
; NumSgprs: 22
; NumVgprs: 20
; NumAgprs: 0
; TotalNumVgprs: 20
; ScratchSize: 0
; MemoryBound: 0
; FloatMode: 240
; IeeeMode: 1
; LDSByteSize: 40 bytes/workgroup (compile time only)
; SGPRBlocks: 2
; VGPRBlocks: 2
; NumSGPRsForWavesPerEU: 22
; NumVGPRsForWavesPerEU: 20
; AccumOffset: 20
; Occupancy: 8
; WaveLimiterHint : 1
; COMPUTE_PGM_RSRC2:SCRATCH_EN: 0
; COMPUTE_PGM_RSRC2:USER_SGPR: 6
; COMPUTE_PGM_RSRC2:TRAP_HANDLER: 0
; COMPUTE_PGM_RSRC2:TGID_X_EN: 1
; COMPUTE_PGM_RSRC2:TGID_Y_EN: 0
; COMPUTE_PGM_RSRC2:TGID_Z_EN: 0
; COMPUTE_PGM_RSRC2:TIDIG_COMP_CNT: 0
; COMPUTE_PGM_RSRC3_GFX90A:ACCUM_OFFSET: 4
; COMPUTE_PGM_RSRC3_GFX90A:TG_SPLIT: 0
	.section	.text._ZN9rocsolver6v33100L18getri_kernel_smallILi3EdPKPdEEvT1_iilPiilS6_bb,"axG",@progbits,_ZN9rocsolver6v33100L18getri_kernel_smallILi3EdPKPdEEvT1_iilPiilS6_bb,comdat
	.globl	_ZN9rocsolver6v33100L18getri_kernel_smallILi3EdPKPdEEvT1_iilPiilS6_bb ; -- Begin function _ZN9rocsolver6v33100L18getri_kernel_smallILi3EdPKPdEEvT1_iilPiilS6_bb
	.p2align	8
	.type	_ZN9rocsolver6v33100L18getri_kernel_smallILi3EdPKPdEEvT1_iilPiilS6_bb,@function
_ZN9rocsolver6v33100L18getri_kernel_smallILi3EdPKPdEEvT1_iilPiilS6_bb: ; @_ZN9rocsolver6v33100L18getri_kernel_smallILi3EdPKPdEEvT1_iilPiilS6_bb
; %bb.0:
	v_cmp_gt_u32_e32 vcc, 3, v0
	s_and_saveexec_b64 s[0:1], vcc
	s_cbranch_execz .LBB66_16
; %bb.1:
	s_load_dword s2, s[4:5], 0x38
	s_load_dwordx2 s[0:1], s[4:5], 0x0
	s_load_dwordx4 s[8:11], s[4:5], 0x28
	s_waitcnt lgkmcnt(0)
	s_bitcmp1_b32 s2, 8
	s_cselect_b64 s[14:15], -1, 0
	s_ashr_i32 s7, s6, 31
	s_lshl_b64 s[12:13], s[6:7], 3
	s_add_u32 s0, s0, s12
	s_addc_u32 s1, s1, s13
	s_load_dwordx2 s[0:1], s[0:1], 0x0
	s_bfe_u32 s3, s2, 0x10008
	s_cmp_eq_u32 s3, 0
                                        ; implicit-def: $sgpr12_sgpr13
	s_cbranch_scc1 .LBB66_3
; %bb.2:
	s_load_dword s12, s[4:5], 0x20
	s_load_dwordx2 s[16:17], s[4:5], 0x18
	s_mul_i32 s3, s6, s9
	s_mul_hi_u32 s9, s6, s8
	s_add_i32 s3, s9, s3
	s_mul_i32 s9, s7, s8
	s_add_i32 s9, s3, s9
	s_mul_i32 s8, s6, s8
	s_waitcnt lgkmcnt(0)
	s_ashr_i32 s13, s12, 31
	s_lshl_b64 s[8:9], s[8:9], 2
	s_add_u32 s3, s16, s8
	s_addc_u32 s16, s17, s9
	s_lshl_b64 s[8:9], s[12:13], 2
	s_add_u32 s12, s3, s8
	s_addc_u32 s13, s16, s9
.LBB66_3:
	s_load_dwordx2 s[4:5], s[4:5], 0x8
	v_lshlrev_b32_e32 v1, 3, v0
	s_waitcnt lgkmcnt(0)
	s_ashr_i32 s9, s4, 31
	s_mov_b32 s8, s4
	s_lshl_b64 s[8:9], s[8:9], 3
	s_add_u32 s0, s0, s8
	s_addc_u32 s1, s1, s9
	v_mov_b32_e32 v2, s1
	v_add_co_u32_e32 v8, vcc, s0, v1
	s_ashr_i32 s9, s5, 31
	s_mov_b32 s8, s5
	v_addc_co_u32_e32 v9, vcc, 0, v2, vcc
	s_lshl_b64 s[8:9], s[8:9], 3
	v_mov_b32_e32 v2, s9
	v_add_co_u32_e32 v10, vcc, s8, v8
	s_add_i32 s3, s5, s5
	v_addc_co_u32_e32 v11, vcc, v9, v2, vcc
	v_add_u32_e32 v2, s3, v0
	v_ashrrev_i32_e32 v3, 31, v2
	v_lshlrev_b64 v[2:3], 3, v[2:3]
	v_mov_b32_e32 v6, s1
	v_add_co_u32_e32 v12, vcc, s0, v2
	global_load_dwordx2 v[4:5], v[10:11], off
	v_addc_co_u32_e32 v13, vcc, v6, v3, vcc
	global_load_dwordx2 v[2:3], v1, s[0:1]
	global_load_dwordx2 v[6:7], v[12:13], off
	s_bitcmp0_b32 s2, 0
	s_mov_b64 s[0:1], -1
	s_cbranch_scc1 .LBB66_14
; %bb.4:
	v_cmp_eq_u32_e64 s[0:1], 0, v0
	s_and_saveexec_b64 s[2:3], s[0:1]
	s_cbranch_execz .LBB66_6
; %bb.5:
	v_mov_b32_e32 v14, 0
	ds_write_b32 v14, v14 offset:24
.LBB66_6:
	s_or_b64 exec, exec, s[2:3]
	v_cmp_eq_u32_e32 vcc, 1, v0
	s_waitcnt vmcnt(1)
	v_cndmask_b32_e32 v14, v3, v5, vcc
	v_cmp_eq_u32_e64 s[2:3], 2, v0
	s_waitcnt vmcnt(0)
	v_cndmask_b32_e64 v15, v14, v7, s[2:3]
	v_cndmask_b32_e32 v14, v2, v4, vcc
	v_cndmask_b32_e64 v14, v14, v6, s[2:3]
	v_cmp_eq_f64_e32 vcc, 0, v[14:15]
	s_waitcnt lgkmcnt(0)
	; wave barrier
	s_waitcnt lgkmcnt(0)
	s_and_saveexec_b64 s[4:5], vcc
	s_cbranch_execz .LBB66_10
; %bb.7:
	v_mov_b32_e32 v16, 0
	ds_read_b32 v18, v16 offset:24
	v_add_u32_e32 v17, 1, v0
	s_waitcnt lgkmcnt(0)
	v_readfirstlane_b32 s2, v18
	s_cmp_eq_u32 s2, 0
	s_cselect_b64 s[8:9], -1, 0
	v_cmp_gt_i32_e32 vcc, s2, v17
	s_or_b64 s[8:9], s[8:9], vcc
	s_and_b64 exec, exec, s[8:9]
	s_cbranch_execz .LBB66_10
; %bb.8:
	s_mov_b64 s[8:9], 0
	v_mov_b32_e32 v18, s2
.LBB66_9:                               ; =>This Inner Loop Header: Depth=1
	ds_cmpst_rtn_b32 v18, v16, v18, v17 offset:24
	s_waitcnt lgkmcnt(0)
	v_cmp_ne_u32_e32 vcc, 0, v18
	v_cmp_le_i32_e64 s[2:3], v18, v17
	s_and_b64 s[2:3], vcc, s[2:3]
	s_and_b64 s[2:3], exec, s[2:3]
	s_or_b64 s[8:9], s[2:3], s[8:9]
	s_andn2_b64 exec, exec, s[8:9]
	s_cbranch_execnz .LBB66_9
.LBB66_10:
	s_or_b64 exec, exec, s[4:5]
	v_mov_b32_e32 v17, 0
	s_waitcnt lgkmcnt(0)
	; wave barrier
	ds_read_b32 v16, v17 offset:24
	s_and_saveexec_b64 s[2:3], s[0:1]
	s_cbranch_execz .LBB66_12
; %bb.11:
	s_lshl_b64 s[4:5], s[6:7], 2
	s_add_u32 s4, s10, s4
	s_addc_u32 s5, s11, s5
	s_waitcnt lgkmcnt(0)
	global_store_dword v17, v16, s[4:5]
.LBB66_12:
	s_or_b64 exec, exec, s[2:3]
	s_waitcnt lgkmcnt(0)
	v_cmp_ne_u32_e32 vcc, 0, v16
	s_cbranch_vccz .LBB66_17
; %bb.13:
	s_mov_b64 s[0:1], 0
                                        ; implicit-def: $vgpr2_vgpr3_vgpr4_vgpr5_vgpr6_vgpr7
.LBB66_14:
	s_and_b64 vcc, exec, s[0:1]
	s_cbranch_vccz .LBB66_16
.LBB66_15:
	s_lshl_b64 s[0:1], s[6:7], 2
	s_add_u32 s0, s10, s0
	s_addc_u32 s1, s11, s1
	v_mov_b32_e32 v1, 0
	global_load_dword v1, v1, s[0:1]
	s_waitcnt vmcnt(0)
	v_cmp_ne_u32_e32 vcc, 0, v1
	s_cbranch_vccz .LBB66_22
.LBB66_16:
	s_endpgm
.LBB66_17:
	v_div_scale_f64 v[16:17], s[2:3], v[14:15], v[14:15], 1.0
	v_rcp_f64_e32 v[18:19], v[16:17]
	v_div_scale_f64 v[20:21], vcc, 1.0, v[14:15], 1.0
	v_fma_f64 v[22:23], -v[16:17], v[18:19], 1.0
	v_fmac_f64_e32 v[18:19], v[18:19], v[22:23]
	v_fma_f64 v[22:23], -v[16:17], v[18:19], 1.0
	v_fmac_f64_e32 v[18:19], v[18:19], v[22:23]
	v_mul_f64 v[22:23], v[20:21], v[18:19]
	v_fma_f64 v[16:17], -v[16:17], v[22:23], v[20:21]
	v_div_fmas_f64 v[16:17], v[16:17], v[18:19], v[22:23]
	v_div_fixup_f64 v[14:15], v[16:17], v[14:15], 1.0
	v_cmp_eq_u32_e32 vcc, 2, v0
	v_cndmask_b32_e32 v7, v7, v15, vcc
	v_cndmask_b32_e32 v6, v6, v14, vcc
	v_cmp_eq_u32_e32 vcc, 1, v0
	v_cndmask_b32_e32 v5, v5, v15, vcc
	v_cndmask_b32_e32 v4, v4, v14, vcc
	;; [unrolled: 3-line block ×3, first 2 shown]
	v_xor_b32_e32 v19, 0x80000000, v15
	v_mov_b32_e32 v18, v14
	v_add_u32_e32 v16, 32, v1
	ds_write2_b64 v1, v[18:19], v[4:5] offset1:4
	s_waitcnt lgkmcnt(0)
	; wave barrier
	s_waitcnt lgkmcnt(0)
	s_and_saveexec_b64 s[2:3], s[0:1]
	s_cbranch_execz .LBB66_19
; %bb.18:
	v_mov_b32_e32 v1, 0
	ds_read_b64 v[4:5], v16
	ds_read_b64 v[18:19], v1 offset:8
	s_waitcnt lgkmcnt(1)
	v_fma_f64 v[4:5], v[14:15], v[4:5], 0
	s_waitcnt lgkmcnt(0)
	v_mul_f64 v[4:5], v[4:5], v[18:19]
.LBB66_19:
	s_or_b64 exec, exec, s[2:3]
	v_cmp_ne_u32_e32 vcc, 2, v0
	s_waitcnt lgkmcnt(0)
	; wave barrier
	ds_write_b64 v16, v[6:7]
	s_waitcnt lgkmcnt(0)
	; wave barrier
	s_waitcnt lgkmcnt(0)
	s_and_saveexec_b64 s[4:5], vcc
	s_cbranch_execz .LBB66_21
; %bb.20:
	ds_read_b64 v[18:19], v16
	v_mov_b32_e32 v14, 0
	v_cmp_eq_u32_e32 vcc, 1, v0
	ds_read2_b64 v[14:17], v14 offset0:2 offset1:5
	v_cndmask_b32_e32 v1, v3, v5, vcc
	v_cmp_eq_u32_e64 s[2:3], 2, v0
	v_cndmask_b32_e64 v7, v1, v7, s[2:3]
	v_cndmask_b32_e32 v1, v2, v4, vcc
	v_cndmask_b32_e64 v6, v1, v6, s[2:3]
	s_waitcnt lgkmcnt(1)
	v_fma_f64 v[6:7], v[6:7], v[18:19], 0
	s_waitcnt lgkmcnt(0)
	v_fma_f64 v[16:17], v[4:5], v[16:17], v[6:7]
	v_cndmask_b32_e64 v7, v7, v17, s[0:1]
	v_cndmask_b32_e64 v6, v6, v16, s[0:1]
	v_mul_f64 v[6:7], v[6:7], v[14:15]
.LBB66_21:
	s_or_b64 exec, exec, s[4:5]
	s_waitcnt lgkmcnt(0)
	; wave barrier
	s_cbranch_execnz .LBB66_15
	s_branch .LBB66_16
.LBB66_22:
	v_lshl_add_u32 v1, v0, 3, 32
	v_cmp_eq_u32_e32 vcc, 2, v0
	s_and_saveexec_b64 s[0:1], vcc
	s_cbranch_execz .LBB66_24
; %bb.23:
	v_pk_mov_b32 v[18:19], v[6:7], v[6:7] op_sel:[0,1]
	s_mov_b32 s2, 0
	v_pk_mov_b32 v[16:17], v[4:5], v[4:5] op_sel:[0,1]
	v_pk_mov_b32 v[14:15], v[2:3], v[2:3] op_sel:[0,1]
	v_mov_b32_e32 v16, s2
	v_mov_b32_e32 v17, s2
	ds_write_b64 v1, v[4:5]
	v_pk_mov_b32 v[2:3], v[14:15], v[14:15] op_sel:[0,1]
	v_pk_mov_b32 v[4:5], v[16:17], v[16:17] op_sel:[0,1]
	;; [unrolled: 1-line block ×3, first 2 shown]
.LBB66_24:
	s_or_b64 exec, exec, s[0:1]
	v_mov_b32_e32 v14, 0
	s_waitcnt lgkmcnt(0)
	; wave barrier
	s_waitcnt lgkmcnt(0)
	ds_read_b64 v[16:17], v14 offset:48
	s_mov_b32 s2, 0
	v_cmp_ne_u32_e32 vcc, 0, v0
	s_waitcnt lgkmcnt(0)
	v_fma_f64 v[16:17], v[6:7], v[16:17], 0
	v_add_f64 v[4:5], v[4:5], -v[16:17]
	s_and_saveexec_b64 s[0:1], vcc
	s_cbranch_execz .LBB66_26
; %bb.25:
	v_pk_mov_b32 v[20:21], v[6:7], v[6:7] op_sel:[0,1]
	v_pk_mov_b32 v[16:17], v[2:3], v[2:3] op_sel:[0,1]
	v_mov_b32_e32 v16, s2
	v_mov_b32_e32 v17, s2
	v_pk_mov_b32 v[18:19], v[4:5], v[4:5] op_sel:[0,1]
	ds_write_b64 v1, v[2:3]
	v_pk_mov_b32 v[2:3], v[16:17], v[16:17] op_sel:[0,1]
	v_pk_mov_b32 v[4:5], v[18:19], v[18:19] op_sel:[0,1]
	;; [unrolled: 1-line block ×3, first 2 shown]
.LBB66_26:
	s_or_b64 exec, exec, s[0:1]
	s_waitcnt lgkmcnt(0)
	; wave barrier
	s_waitcnt lgkmcnt(0)
	ds_read2_b64 v[14:17], v14 offset0:5 offset1:6
	s_and_b64 vcc, exec, s[14:15]
	s_waitcnt lgkmcnt(0)
	v_fma_f64 v[0:1], v[4:5], v[14:15], 0
	v_fmac_f64_e32 v[0:1], v[6:7], v[16:17]
	v_add_f64 v[2:3], v[2:3], -v[0:1]
	s_cbranch_vccz .LBB66_32
; %bb.27:
	v_pk_mov_b32 v[0:1], s[12:13], s[12:13] op_sel:[0,1]
	flat_load_dword v0, v[0:1] offset:4
	s_waitcnt vmcnt(0) lgkmcnt(0)
	v_add_u32_e32 v0, -1, v0
	v_cmp_ne_u32_e32 vcc, 1, v0
	s_and_saveexec_b64 s[2:3], vcc
	s_cbranch_execz .LBB66_29
; %bb.28:
	v_cmp_eq_u32_e32 vcc, 1, v0
	v_cndmask_b32_e32 v1, v2, v4, vcc
	v_cmp_eq_u32_e64 s[0:1], 2, v0
	v_cndmask_b32_e32 v14, v3, v5, vcc
	v_cndmask_b32_e64 v1, v1, v6, s[0:1]
	v_cndmask_b32_e64 v14, v14, v7, s[0:1]
	v_cndmask_b32_e32 v17, v14, v5, vcc
	v_cndmask_b32_e32 v16, v1, v4, vcc
	v_cmp_eq_u32_e32 vcc, 0, v0
	v_cndmask_b32_e32 v15, v3, v5, vcc
	v_cndmask_b32_e32 v14, v2, v4, vcc
	v_cndmask_b32_e64 v19, v7, v5, s[0:1]
	v_cndmask_b32_e64 v18, v6, v4, s[0:1]
	v_pk_mov_b32 v[2:3], v[14:15], v[14:15] op_sel:[0,1]
	v_pk_mov_b32 v[4:5], v[16:17], v[16:17] op_sel:[0,1]
	;; [unrolled: 1-line block ×3, first 2 shown]
.LBB66_29:
	s_or_b64 exec, exec, s[2:3]
	v_pk_mov_b32 v[0:1], s[12:13], s[12:13] op_sel:[0,1]
	flat_load_dword v0, v[0:1]
	s_waitcnt vmcnt(0) lgkmcnt(0)
	v_add_u32_e32 v0, -1, v0
	v_cmp_ne_u32_e32 vcc, 0, v0
	s_and_saveexec_b64 s[4:5], vcc
	s_cbranch_execz .LBB66_31
; %bb.30:
	v_cmp_eq_u32_e32 vcc, 1, v0
	v_cndmask_b32_e32 v1, v2, v4, vcc
	v_cmp_eq_u32_e64 s[0:1], 2, v0
	v_cndmask_b32_e32 v14, v3, v5, vcc
	v_cndmask_b32_e64 v1, v1, v6, s[0:1]
	v_cndmask_b32_e64 v14, v14, v7, s[0:1]
	v_cmp_eq_u32_e64 s[2:3], 0, v0
	v_cndmask_b32_e64 v15, v14, v3, s[2:3]
	v_cndmask_b32_e64 v14, v1, v2, s[2:3]
	v_cndmask_b32_e64 v19, v7, v3, s[0:1]
	v_cndmask_b32_e64 v18, v6, v2, s[0:1]
	v_cndmask_b32_e32 v17, v5, v3, vcc
	v_cndmask_b32_e32 v16, v4, v2, vcc
	v_pk_mov_b32 v[2:3], v[14:15], v[14:15] op_sel:[0,1]
	v_pk_mov_b32 v[4:5], v[16:17], v[16:17] op_sel:[0,1]
	;; [unrolled: 1-line block ×3, first 2 shown]
.LBB66_31:
	s_or_b64 exec, exec, s[4:5]
.LBB66_32:
	global_store_dwordx2 v[8:9], v[2:3], off
	global_store_dwordx2 v[10:11], v[4:5], off
	;; [unrolled: 1-line block ×3, first 2 shown]
	s_endpgm
	.section	.rodata,"a",@progbits
	.p2align	6, 0x0
	.amdhsa_kernel _ZN9rocsolver6v33100L18getri_kernel_smallILi3EdPKPdEEvT1_iilPiilS6_bb
		.amdhsa_group_segment_fixed_size 56
		.amdhsa_private_segment_fixed_size 0
		.amdhsa_kernarg_size 60
		.amdhsa_user_sgpr_count 6
		.amdhsa_user_sgpr_private_segment_buffer 1
		.amdhsa_user_sgpr_dispatch_ptr 0
		.amdhsa_user_sgpr_queue_ptr 0
		.amdhsa_user_sgpr_kernarg_segment_ptr 1
		.amdhsa_user_sgpr_dispatch_id 0
		.amdhsa_user_sgpr_flat_scratch_init 0
		.amdhsa_user_sgpr_kernarg_preload_length 0
		.amdhsa_user_sgpr_kernarg_preload_offset 0
		.amdhsa_user_sgpr_private_segment_size 0
		.amdhsa_uses_dynamic_stack 0
		.amdhsa_system_sgpr_private_segment_wavefront_offset 0
		.amdhsa_system_sgpr_workgroup_id_x 1
		.amdhsa_system_sgpr_workgroup_id_y 0
		.amdhsa_system_sgpr_workgroup_id_z 0
		.amdhsa_system_sgpr_workgroup_info 0
		.amdhsa_system_vgpr_workitem_id 0
		.amdhsa_next_free_vgpr 24
		.amdhsa_next_free_sgpr 18
		.amdhsa_accum_offset 24
		.amdhsa_reserve_vcc 1
		.amdhsa_reserve_flat_scratch 0
		.amdhsa_float_round_mode_32 0
		.amdhsa_float_round_mode_16_64 0
		.amdhsa_float_denorm_mode_32 3
		.amdhsa_float_denorm_mode_16_64 3
		.amdhsa_dx10_clamp 1
		.amdhsa_ieee_mode 1
		.amdhsa_fp16_overflow 0
		.amdhsa_tg_split 0
		.amdhsa_exception_fp_ieee_invalid_op 0
		.amdhsa_exception_fp_denorm_src 0
		.amdhsa_exception_fp_ieee_div_zero 0
		.amdhsa_exception_fp_ieee_overflow 0
		.amdhsa_exception_fp_ieee_underflow 0
		.amdhsa_exception_fp_ieee_inexact 0
		.amdhsa_exception_int_div_zero 0
	.end_amdhsa_kernel
	.section	.text._ZN9rocsolver6v33100L18getri_kernel_smallILi3EdPKPdEEvT1_iilPiilS6_bb,"axG",@progbits,_ZN9rocsolver6v33100L18getri_kernel_smallILi3EdPKPdEEvT1_iilPiilS6_bb,comdat
.Lfunc_end66:
	.size	_ZN9rocsolver6v33100L18getri_kernel_smallILi3EdPKPdEEvT1_iilPiilS6_bb, .Lfunc_end66-_ZN9rocsolver6v33100L18getri_kernel_smallILi3EdPKPdEEvT1_iilPiilS6_bb
                                        ; -- End function
	.section	.AMDGPU.csdata,"",@progbits
; Kernel info:
; codeLenInByte = 1544
; NumSgprs: 22
; NumVgprs: 24
; NumAgprs: 0
; TotalNumVgprs: 24
; ScratchSize: 0
; MemoryBound: 0
; FloatMode: 240
; IeeeMode: 1
; LDSByteSize: 56 bytes/workgroup (compile time only)
; SGPRBlocks: 2
; VGPRBlocks: 2
; NumSGPRsForWavesPerEU: 22
; NumVGPRsForWavesPerEU: 24
; AccumOffset: 24
; Occupancy: 8
; WaveLimiterHint : 1
; COMPUTE_PGM_RSRC2:SCRATCH_EN: 0
; COMPUTE_PGM_RSRC2:USER_SGPR: 6
; COMPUTE_PGM_RSRC2:TRAP_HANDLER: 0
; COMPUTE_PGM_RSRC2:TGID_X_EN: 1
; COMPUTE_PGM_RSRC2:TGID_Y_EN: 0
; COMPUTE_PGM_RSRC2:TGID_Z_EN: 0
; COMPUTE_PGM_RSRC2:TIDIG_COMP_CNT: 0
; COMPUTE_PGM_RSRC3_GFX90A:ACCUM_OFFSET: 5
; COMPUTE_PGM_RSRC3_GFX90A:TG_SPLIT: 0
	.section	.text._ZN9rocsolver6v33100L18getri_kernel_smallILi4EdPKPdEEvT1_iilPiilS6_bb,"axG",@progbits,_ZN9rocsolver6v33100L18getri_kernel_smallILi4EdPKPdEEvT1_iilPiilS6_bb,comdat
	.globl	_ZN9rocsolver6v33100L18getri_kernel_smallILi4EdPKPdEEvT1_iilPiilS6_bb ; -- Begin function _ZN9rocsolver6v33100L18getri_kernel_smallILi4EdPKPdEEvT1_iilPiilS6_bb
	.p2align	8
	.type	_ZN9rocsolver6v33100L18getri_kernel_smallILi4EdPKPdEEvT1_iilPiilS6_bb,@function
_ZN9rocsolver6v33100L18getri_kernel_smallILi4EdPKPdEEvT1_iilPiilS6_bb: ; @_ZN9rocsolver6v33100L18getri_kernel_smallILi4EdPKPdEEvT1_iilPiilS6_bb
; %bb.0:
	v_cmp_gt_u32_e32 vcc, 4, v0
	s_and_saveexec_b64 s[0:1], vcc
	s_cbranch_execz .LBB67_16
; %bb.1:
	s_load_dword s2, s[4:5], 0x38
	s_load_dwordx2 s[0:1], s[4:5], 0x0
	s_load_dwordx4 s[8:11], s[4:5], 0x28
	s_waitcnt lgkmcnt(0)
	s_bitcmp1_b32 s2, 8
	s_cselect_b64 s[14:15], -1, 0
	s_ashr_i32 s7, s6, 31
	s_lshl_b64 s[12:13], s[6:7], 3
	s_add_u32 s0, s0, s12
	s_addc_u32 s1, s1, s13
	s_load_dwordx2 s[0:1], s[0:1], 0x0
	s_bfe_u32 s3, s2, 0x10008
	s_cmp_eq_u32 s3, 0
                                        ; implicit-def: $sgpr12_sgpr13
	s_cbranch_scc1 .LBB67_3
; %bb.2:
	s_load_dword s12, s[4:5], 0x20
	s_load_dwordx2 s[16:17], s[4:5], 0x18
	s_mul_i32 s3, s6, s9
	s_mul_hi_u32 s9, s6, s8
	s_add_i32 s3, s9, s3
	s_mul_i32 s9, s7, s8
	s_add_i32 s9, s3, s9
	s_mul_i32 s8, s6, s8
	s_waitcnt lgkmcnt(0)
	s_ashr_i32 s13, s12, 31
	s_lshl_b64 s[8:9], s[8:9], 2
	s_add_u32 s3, s16, s8
	s_addc_u32 s16, s17, s9
	s_lshl_b64 s[8:9], s[12:13], 2
	s_add_u32 s12, s3, s8
	s_addc_u32 s13, s16, s9
.LBB67_3:
	s_load_dwordx2 s[4:5], s[4:5], 0x8
	v_lshlrev_b32_e32 v20, 3, v0
	s_waitcnt lgkmcnt(0)
	s_ashr_i32 s9, s4, 31
	s_mov_b32 s8, s4
	s_lshl_b64 s[8:9], s[8:9], 3
	s_add_u32 s0, s0, s8
	s_addc_u32 s1, s1, s9
	v_mov_b32_e32 v1, s1
	v_add_co_u32_e32 v10, vcc, s0, v20
	s_ashr_i32 s9, s5, 31
	s_mov_b32 s8, s5
	s_add_i32 s3, s5, s5
	v_addc_co_u32_e32 v11, vcc, 0, v1, vcc
	s_lshl_b64 s[8:9], s[8:9], 3
	v_add_u32_e32 v2, s3, v0
	v_mov_b32_e32 v1, s9
	v_add_co_u32_e32 v12, vcc, s8, v10
	v_ashrrev_i32_e32 v3, 31, v2
	v_addc_co_u32_e32 v13, vcc, v11, v1, vcc
	v_lshlrev_b64 v[4:5], 3, v[2:3]
	v_add_u32_e32 v2, s5, v2
	v_mov_b32_e32 v1, s1
	v_add_co_u32_e32 v14, vcc, s0, v4
	v_ashrrev_i32_e32 v3, 31, v2
	v_addc_co_u32_e32 v15, vcc, v1, v5, vcc
	v_lshlrev_b64 v[2:3], 3, v[2:3]
	v_add_co_u32_e32 v16, vcc, s0, v2
	global_load_dwordx2 v[4:5], v[12:13], off
	global_load_dwordx2 v[6:7], v[14:15], off
	v_addc_co_u32_e32 v17, vcc, v1, v3, vcc
	global_load_dwordx2 v[2:3], v20, s[0:1]
	global_load_dwordx2 v[8:9], v[16:17], off
	v_mov_b32_e32 v1, 0
	s_bitcmp0_b32 s2, 0
	s_mov_b64 s[0:1], -1
	s_cbranch_scc1 .LBB67_14
; %bb.4:
	v_cmp_eq_u32_e64 s[0:1], 0, v0
	s_and_saveexec_b64 s[2:3], s[0:1]
	s_cbranch_execz .LBB67_6
; %bb.5:
	v_mov_b32_e32 v18, 0
	ds_write_b32 v18, v18 offset:64
.LBB67_6:
	s_or_b64 exec, exec, s[2:3]
	v_cmp_eq_u32_e32 vcc, 1, v0
	s_waitcnt vmcnt(1)
	v_cndmask_b32_e32 v18, v3, v5, vcc
	v_cmp_eq_u32_e64 s[2:3], 2, v0
	v_cndmask_b32_e64 v18, v18, v7, s[2:3]
	v_cmp_eq_u32_e64 s[4:5], 3, v0
	s_waitcnt vmcnt(0)
	v_cndmask_b32_e64 v19, v18, v9, s[4:5]
	v_cndmask_b32_e32 v18, v2, v4, vcc
	v_cndmask_b32_e64 v18, v18, v6, s[2:3]
	v_cndmask_b32_e64 v18, v18, v8, s[4:5]
	v_cmp_eq_f64_e32 vcc, 0, v[18:19]
	s_waitcnt lgkmcnt(0)
	; wave barrier
	s_waitcnt lgkmcnt(0)
	s_and_saveexec_b64 s[4:5], vcc
	s_cbranch_execz .LBB67_10
; %bb.7:
	v_mov_b32_e32 v21, 0
	ds_read_b32 v23, v21 offset:64
	v_add_u32_e32 v22, 1, v0
	s_waitcnt lgkmcnt(0)
	v_readfirstlane_b32 s2, v23
	s_cmp_eq_u32 s2, 0
	s_cselect_b64 s[8:9], -1, 0
	v_cmp_gt_i32_e32 vcc, s2, v22
	s_or_b64 s[8:9], s[8:9], vcc
	s_and_b64 exec, exec, s[8:9]
	s_cbranch_execz .LBB67_10
; %bb.8:
	s_mov_b64 s[8:9], 0
	v_mov_b32_e32 v23, s2
.LBB67_9:                               ; =>This Inner Loop Header: Depth=1
	ds_cmpst_rtn_b32 v23, v21, v23, v22 offset:64
	s_waitcnt lgkmcnt(0)
	v_cmp_ne_u32_e32 vcc, 0, v23
	v_cmp_le_i32_e64 s[2:3], v23, v22
	s_and_b64 s[2:3], vcc, s[2:3]
	s_and_b64 s[2:3], exec, s[2:3]
	s_or_b64 s[8:9], s[2:3], s[8:9]
	s_andn2_b64 exec, exec, s[8:9]
	s_cbranch_execnz .LBB67_9
.LBB67_10:
	s_or_b64 exec, exec, s[4:5]
	v_mov_b32_e32 v22, 0
	s_waitcnt lgkmcnt(0)
	; wave barrier
	ds_read_b32 v21, v22 offset:64
	s_and_saveexec_b64 s[2:3], s[0:1]
	s_cbranch_execz .LBB67_12
; %bb.11:
	s_lshl_b64 s[4:5], s[6:7], 2
	s_add_u32 s4, s10, s4
	s_addc_u32 s5, s11, s5
	s_waitcnt lgkmcnt(0)
	global_store_dword v22, v21, s[4:5]
.LBB67_12:
	s_or_b64 exec, exec, s[2:3]
	s_waitcnt lgkmcnt(0)
	v_cmp_ne_u32_e32 vcc, 0, v21
	s_cbranch_vccz .LBB67_17
; %bb.13:
	s_mov_b64 s[0:1], 0
                                        ; implicit-def: $vgpr2_vgpr3_vgpr4_vgpr5_vgpr6_vgpr7_vgpr8_vgpr9
.LBB67_14:
	s_and_b64 vcc, exec, s[0:1]
	s_cbranch_vccz .LBB67_16
.LBB67_15:
	s_lshl_b64 s[0:1], s[6:7], 2
	s_add_u32 s0, s10, s0
	s_addc_u32 s1, s11, s1
	v_mov_b32_e32 v1, 0
	global_load_dword v1, v1, s[0:1]
	s_waitcnt vmcnt(0)
	v_cmp_ne_u32_e32 vcc, 0, v1
	s_cbranch_vccz .LBB67_26
.LBB67_16:
	s_endpgm
.LBB67_17:
	v_div_scale_f64 v[22:23], s[2:3], v[18:19], v[18:19], 1.0
	v_rcp_f64_e32 v[24:25], v[22:23]
	v_div_scale_f64 v[26:27], vcc, 1.0, v[18:19], 1.0
	v_add_u32_e32 v21, 32, v20
	v_fma_f64 v[28:29], -v[22:23], v[24:25], 1.0
	v_fmac_f64_e32 v[24:25], v[24:25], v[28:29]
	v_fma_f64 v[28:29], -v[22:23], v[24:25], 1.0
	v_fmac_f64_e32 v[24:25], v[24:25], v[28:29]
	v_mul_f64 v[28:29], v[26:27], v[24:25]
	v_fma_f64 v[22:23], -v[22:23], v[28:29], v[26:27]
	v_div_fmas_f64 v[22:23], v[22:23], v[24:25], v[28:29]
	v_div_fixup_f64 v[18:19], v[22:23], v[18:19], 1.0
	v_cmp_eq_u32_e32 vcc, 3, v0
	v_cndmask_b32_e32 v9, v9, v19, vcc
	v_cndmask_b32_e32 v8, v8, v18, vcc
	v_cmp_eq_u32_e32 vcc, 2, v0
	v_cndmask_b32_e32 v7, v7, v19, vcc
	v_cndmask_b32_e32 v6, v6, v18, vcc
	;; [unrolled: 3-line block ×4, first 2 shown]
	v_xor_b32_e32 v23, 0x80000000, v19
	v_mov_b32_e32 v22, v18
	ds_write2_b64 v20, v[22:23], v[4:5] offset1:4
	s_waitcnt lgkmcnt(0)
	; wave barrier
	s_waitcnt lgkmcnt(0)
	s_and_saveexec_b64 s[2:3], s[0:1]
	s_cbranch_execz .LBB67_19
; %bb.18:
	v_mov_b32_e32 v20, 0
	ds_read_b64 v[4:5], v21
	ds_read_b64 v[22:23], v20 offset:8
	s_waitcnt lgkmcnt(1)
	v_fma_f64 v[4:5], v[18:19], v[4:5], 0
	s_waitcnt lgkmcnt(0)
	v_mul_f64 v[4:5], v[4:5], v[22:23]
.LBB67_19:
	s_or_b64 exec, exec, s[2:3]
	v_cmp_gt_u32_e32 vcc, 2, v0
	s_waitcnt lgkmcnt(0)
	; wave barrier
	ds_write_b64 v21, v[6:7]
	s_waitcnt lgkmcnt(0)
	; wave barrier
	s_waitcnt lgkmcnt(0)
	s_and_saveexec_b64 s[8:9], vcc
	s_cbranch_execz .LBB67_21
; %bb.20:
	v_cmp_eq_u32_e32 vcc, 1, v0
	v_cndmask_b32_e32 v18, v3, v5, vcc
	v_cmp_eq_u32_e64 s[2:3], 2, v0
	v_cndmask_b32_e64 v7, v18, v7, s[2:3]
	ds_read_b64 v[18:19], v21
	v_mov_b32_e32 v20, 0
	ds_read2_b64 v[22:25], v20 offset0:2 offset1:5
	v_cndmask_b32_e32 v20, v2, v4, vcc
	v_cmp_eq_u32_e64 s[4:5], 3, v0
	v_cndmask_b32_e64 v6, v20, v6, s[2:3]
	v_cndmask_b32_e64 v7, v7, v9, s[4:5]
	;; [unrolled: 1-line block ×3, first 2 shown]
	s_waitcnt lgkmcnt(1)
	v_fma_f64 v[6:7], v[6:7], v[18:19], 0
	s_waitcnt lgkmcnt(0)
	v_fma_f64 v[18:19], v[4:5], v[24:25], v[6:7]
	v_cndmask_b32_e64 v7, v7, v19, s[0:1]
	v_cndmask_b32_e64 v6, v6, v18, s[0:1]
	v_mul_f64 v[6:7], v[6:7], v[22:23]
.LBB67_21:
	s_or_b64 exec, exec, s[8:9]
	v_cmp_ne_u32_e32 vcc, 3, v0
	s_waitcnt lgkmcnt(0)
	; wave barrier
	ds_write_b64 v21, v[8:9]
	s_waitcnt lgkmcnt(0)
	; wave barrier
	s_waitcnt lgkmcnt(0)
	s_and_saveexec_b64 s[4:5], vcc
	s_cbranch_execz .LBB67_25
; %bb.22:
	v_lshl_add_u32 v22, v0, 3, 32
	s_mov_b64 s[8:9], 0
	v_pk_mov_b32 v[18:19], 0, 0
	v_pk_mov_b32 v[20:21], v[0:1], v[0:1] op_sel:[0,1]
.LBB67_23:                              ; =>This Inner Loop Header: Depth=1
	v_cmp_eq_u32_e32 vcc, 1, v20
	ds_read_b64 v[24:25], v22
	v_cndmask_b32_e32 v1, v3, v5, vcc
	v_cmp_eq_u32_e64 s[0:1], 2, v20
	v_cndmask_b32_e64 v1, v1, v7, s[0:1]
	v_cmp_eq_u32_e64 s[2:3], 3, v20
	v_cndmask_b32_e32 v23, v2, v4, vcc
	v_add_co_u32_e32 v20, vcc, 1, v20
	v_addc_co_u32_e32 v21, vcc, 0, v21, vcc
	v_cndmask_b32_e64 v27, v1, v9, s[2:3]
	v_cndmask_b32_e64 v1, v23, v6, s[0:1]
	v_add_u32_e32 v23, -1, v20
	v_cndmask_b32_e64 v26, v1, v8, s[2:3]
	v_cmp_lt_u32_e32 vcc, 1, v23
	v_add_u32_e32 v22, 8, v22
	s_or_b64 s[8:9], vcc, s[8:9]
	s_waitcnt lgkmcnt(0)
	v_fmac_f64_e32 v[18:19], v[26:27], v[24:25]
	s_andn2_b64 exec, exec, s[8:9]
	s_cbranch_execnz .LBB67_23
; %bb.24:
	s_or_b64 exec, exec, s[8:9]
	v_mov_b32_e32 v1, 0
	ds_read_b64 v[8:9], v1 offset:24
	s_waitcnt lgkmcnt(0)
	v_mul_f64 v[8:9], v[18:19], v[8:9]
.LBB67_25:
	s_or_b64 exec, exec, s[4:5]
	s_waitcnt lgkmcnt(0)
	; wave barrier
	s_cbranch_execnz .LBB67_15
	s_branch .LBB67_16
.LBB67_26:
	v_lshl_add_u32 v1, v0, 3, 32
	v_cmp_eq_u32_e32 vcc, 3, v0
	s_and_saveexec_b64 s[0:1], vcc
	s_cbranch_execz .LBB67_28
; %bb.27:
	v_pk_mov_b32 v[24:25], v[8:9], v[8:9] op_sel:[0,1]
	s_mov_b32 s2, 0
	v_pk_mov_b32 v[22:23], v[6:7], v[6:7] op_sel:[0,1]
	v_pk_mov_b32 v[18:19], v[2:3], v[2:3] op_sel:[0,1]
	;; [unrolled: 1-line block ×3, first 2 shown]
	v_mov_b32_e32 v22, s2
	v_mov_b32_e32 v23, s2
	ds_write_b64 v1, v[6:7]
	v_pk_mov_b32 v[2:3], v[18:19], v[18:19] op_sel:[0,1]
	v_pk_mov_b32 v[4:5], v[20:21], v[20:21] op_sel:[0,1]
	;; [unrolled: 1-line block ×4, first 2 shown]
.LBB67_28:
	s_or_b64 exec, exec, s[0:1]
	v_mov_b32_e32 v18, 0
	s_waitcnt lgkmcnt(0)
	; wave barrier
	s_waitcnt lgkmcnt(0)
	ds_read_b64 v[20:21], v18 offset:56
	v_cmp_lt_u32_e32 vcc, 1, v0
	s_waitcnt lgkmcnt(0)
	v_fma_f64 v[20:21], v[8:9], v[20:21], 0
	v_add_f64 v[6:7], v[6:7], -v[20:21]
	s_and_saveexec_b64 s[0:1], vcc
	s_cbranch_execz .LBB67_30
; %bb.29:
	v_pk_mov_b32 v[26:27], v[8:9], v[8:9] op_sel:[0,1]
	s_mov_b32 s2, 0
	v_pk_mov_b32 v[22:23], v[4:5], v[4:5] op_sel:[0,1]
	v_pk_mov_b32 v[20:21], v[2:3], v[2:3] op_sel:[0,1]
	;; [unrolled: 1-line block ×3, first 2 shown]
	v_mov_b32_e32 v22, s2
	v_mov_b32_e32 v23, s2
	ds_write_b64 v1, v[4:5]
	v_pk_mov_b32 v[2:3], v[20:21], v[20:21] op_sel:[0,1]
	v_pk_mov_b32 v[4:5], v[22:23], v[22:23] op_sel:[0,1]
	;; [unrolled: 1-line block ×4, first 2 shown]
.LBB67_30:
	s_or_b64 exec, exec, s[0:1]
	s_waitcnt lgkmcnt(0)
	; wave barrier
	s_waitcnt lgkmcnt(0)
	ds_read_b128 v[18:21], v18 offset:48
	s_mov_b32 s2, 0
	v_cmp_ne_u32_e32 vcc, 0, v0
	s_waitcnt lgkmcnt(0)
	v_fma_f64 v[18:19], v[6:7], v[18:19], 0
	v_fmac_f64_e32 v[18:19], v[8:9], v[20:21]
	v_add_f64 v[4:5], v[4:5], -v[18:19]
	s_and_saveexec_b64 s[0:1], vcc
	s_cbranch_execz .LBB67_32
; %bb.31:
	v_pk_mov_b32 v[24:25], v[8:9], v[8:9] op_sel:[0,1]
	v_pk_mov_b32 v[18:19], v[2:3], v[2:3] op_sel:[0,1]
	v_mov_b32_e32 v18, s2
	v_mov_b32_e32 v19, s2
	v_pk_mov_b32 v[22:23], v[6:7], v[6:7] op_sel:[0,1]
	v_pk_mov_b32 v[20:21], v[4:5], v[4:5] op_sel:[0,1]
	ds_write_b64 v1, v[2:3]
	v_pk_mov_b32 v[2:3], v[18:19], v[18:19] op_sel:[0,1]
	v_pk_mov_b32 v[4:5], v[20:21], v[20:21] op_sel:[0,1]
	;; [unrolled: 1-line block ×4, first 2 shown]
.LBB67_32:
	s_or_b64 exec, exec, s[0:1]
	v_mov_b32_e32 v0, 0
	s_waitcnt lgkmcnt(0)
	; wave barrier
	s_waitcnt lgkmcnt(0)
	ds_read2_b64 v[18:21], v0 offset0:5 offset1:6
	ds_read_b64 v[0:1], v0 offset:56
	s_and_b64 vcc, exec, s[14:15]
	s_waitcnt lgkmcnt(1)
	v_fma_f64 v[18:19], v[4:5], v[18:19], 0
	v_fmac_f64_e32 v[18:19], v[6:7], v[20:21]
	s_waitcnt lgkmcnt(0)
	v_fmac_f64_e32 v[18:19], v[8:9], v[0:1]
	v_add_f64 v[2:3], v[2:3], -v[18:19]
	s_cbranch_vccz .LBB67_40
; %bb.33:
	v_pk_mov_b32 v[0:1], s[12:13], s[12:13] op_sel:[0,1]
	flat_load_dword v0, v[0:1] offset:8
	s_waitcnt vmcnt(0) lgkmcnt(0)
	v_add_u32_e32 v0, -1, v0
	v_cmp_ne_u32_e32 vcc, 2, v0
	s_and_saveexec_b64 s[4:5], vcc
	s_cbranch_execz .LBB67_35
; %bb.34:
	v_cmp_eq_u32_e32 vcc, 1, v0
	v_cmp_eq_u32_e64 s[0:1], 2, v0
	v_cndmask_b32_e32 v18, v3, v5, vcc
	v_cndmask_b32_e32 v1, v2, v4, vcc
	v_cmp_eq_u32_e64 s[2:3], 3, v0
	v_cndmask_b32_e64 v18, v18, v7, s[0:1]
	v_cndmask_b32_e64 v1, v1, v6, s[0:1]
	;; [unrolled: 1-line block ×3, first 2 shown]
	v_cndmask_b32_e32 v21, v5, v7, vcc
	v_cndmask_b32_e32 v20, v4, v6, vcc
	v_cmp_eq_u32_e32 vcc, 0, v0
	v_cndmask_b32_e64 v1, v1, v8, s[2:3]
	v_cndmask_b32_e64 v23, v18, v7, s[0:1]
	v_cndmask_b32_e32 v19, v3, v7, vcc
	v_cndmask_b32_e32 v18, v2, v6, vcc
	v_cndmask_b32_e64 v22, v1, v6, s[0:1]
	v_cndmask_b32_e64 v25, v9, v7, s[2:3]
	;; [unrolled: 1-line block ×3, first 2 shown]
	v_pk_mov_b32 v[2:3], v[18:19], v[18:19] op_sel:[0,1]
	v_pk_mov_b32 v[4:5], v[20:21], v[20:21] op_sel:[0,1]
	;; [unrolled: 1-line block ×4, first 2 shown]
.LBB67_35:
	s_or_b64 exec, exec, s[4:5]
	v_pk_mov_b32 v[0:1], s[12:13], s[12:13] op_sel:[0,1]
	flat_load_dword v0, v[0:1] offset:4
	s_waitcnt vmcnt(0) lgkmcnt(0)
	v_add_u32_e32 v0, -1, v0
	v_cmp_ne_u32_e32 vcc, 1, v0
	s_and_saveexec_b64 s[4:5], vcc
	s_cbranch_execz .LBB67_37
; %bb.36:
	v_cmp_eq_u32_e32 vcc, 1, v0
	v_cndmask_b32_e32 v1, v2, v4, vcc
	v_cmp_eq_u32_e64 s[0:1], 2, v0
	v_cndmask_b32_e32 v18, v3, v5, vcc
	v_cndmask_b32_e64 v1, v1, v6, s[0:1]
	v_cmp_eq_u32_e64 s[2:3], 3, v0
	v_cndmask_b32_e64 v18, v18, v7, s[0:1]
	v_cndmask_b32_e64 v1, v1, v8, s[2:3]
	;; [unrolled: 1-line block ×3, first 2 shown]
	v_cndmask_b32_e32 v21, v18, v5, vcc
	v_cndmask_b32_e32 v20, v1, v4, vcc
	v_cmp_eq_u32_e32 vcc, 0, v0
	v_cndmask_b32_e32 v19, v3, v5, vcc
	v_cndmask_b32_e32 v18, v2, v4, vcc
	v_cndmask_b32_e64 v25, v9, v5, s[2:3]
	v_cndmask_b32_e64 v24, v8, v4, s[2:3]
	;; [unrolled: 1-line block ×4, first 2 shown]
	v_pk_mov_b32 v[2:3], v[18:19], v[18:19] op_sel:[0,1]
	v_pk_mov_b32 v[4:5], v[20:21], v[20:21] op_sel:[0,1]
	;; [unrolled: 1-line block ×4, first 2 shown]
.LBB67_37:
	s_or_b64 exec, exec, s[4:5]
	v_pk_mov_b32 v[0:1], s[12:13], s[12:13] op_sel:[0,1]
	flat_load_dword v0, v[0:1]
	s_waitcnt vmcnt(0) lgkmcnt(0)
	v_add_u32_e32 v0, -1, v0
	v_cmp_ne_u32_e32 vcc, 0, v0
	s_and_saveexec_b64 s[6:7], vcc
	s_cbranch_execz .LBB67_39
; %bb.38:
	v_cmp_eq_u32_e32 vcc, 1, v0
	v_cndmask_b32_e32 v1, v2, v4, vcc
	v_cmp_eq_u32_e64 s[0:1], 2, v0
	v_cndmask_b32_e32 v18, v3, v5, vcc
	v_cndmask_b32_e64 v1, v1, v6, s[0:1]
	v_cmp_eq_u32_e64 s[2:3], 3, v0
	v_cndmask_b32_e64 v18, v18, v7, s[0:1]
	v_cndmask_b32_e64 v1, v1, v8, s[2:3]
	;; [unrolled: 1-line block ×3, first 2 shown]
	v_cmp_eq_u32_e64 s[4:5], 0, v0
	v_cndmask_b32_e64 v19, v18, v3, s[4:5]
	v_cndmask_b32_e64 v18, v1, v2, s[4:5]
	;; [unrolled: 1-line block ×6, first 2 shown]
	v_cndmask_b32_e32 v21, v5, v3, vcc
	v_cndmask_b32_e32 v20, v4, v2, vcc
	v_pk_mov_b32 v[2:3], v[18:19], v[18:19] op_sel:[0,1]
	v_pk_mov_b32 v[4:5], v[20:21], v[20:21] op_sel:[0,1]
	v_pk_mov_b32 v[6:7], v[22:23], v[22:23] op_sel:[0,1]
	v_pk_mov_b32 v[8:9], v[24:25], v[24:25] op_sel:[0,1]
.LBB67_39:
	s_or_b64 exec, exec, s[6:7]
.LBB67_40:
	global_store_dwordx2 v[10:11], v[2:3], off
	global_store_dwordx2 v[12:13], v[4:5], off
	;; [unrolled: 1-line block ×4, first 2 shown]
	s_endpgm
	.section	.rodata,"a",@progbits
	.p2align	6, 0x0
	.amdhsa_kernel _ZN9rocsolver6v33100L18getri_kernel_smallILi4EdPKPdEEvT1_iilPiilS6_bb
		.amdhsa_group_segment_fixed_size 72
		.amdhsa_private_segment_fixed_size 0
		.amdhsa_kernarg_size 60
		.amdhsa_user_sgpr_count 6
		.amdhsa_user_sgpr_private_segment_buffer 1
		.amdhsa_user_sgpr_dispatch_ptr 0
		.amdhsa_user_sgpr_queue_ptr 0
		.amdhsa_user_sgpr_kernarg_segment_ptr 1
		.amdhsa_user_sgpr_dispatch_id 0
		.amdhsa_user_sgpr_flat_scratch_init 0
		.amdhsa_user_sgpr_kernarg_preload_length 0
		.amdhsa_user_sgpr_kernarg_preload_offset 0
		.amdhsa_user_sgpr_private_segment_size 0
		.amdhsa_uses_dynamic_stack 0
		.amdhsa_system_sgpr_private_segment_wavefront_offset 0
		.amdhsa_system_sgpr_workgroup_id_x 1
		.amdhsa_system_sgpr_workgroup_id_y 0
		.amdhsa_system_sgpr_workgroup_id_z 0
		.amdhsa_system_sgpr_workgroup_info 0
		.amdhsa_system_vgpr_workitem_id 0
		.amdhsa_next_free_vgpr 30
		.amdhsa_next_free_sgpr 18
		.amdhsa_accum_offset 32
		.amdhsa_reserve_vcc 1
		.amdhsa_reserve_flat_scratch 0
		.amdhsa_float_round_mode_32 0
		.amdhsa_float_round_mode_16_64 0
		.amdhsa_float_denorm_mode_32 3
		.amdhsa_float_denorm_mode_16_64 3
		.amdhsa_dx10_clamp 1
		.amdhsa_ieee_mode 1
		.amdhsa_fp16_overflow 0
		.amdhsa_tg_split 0
		.amdhsa_exception_fp_ieee_invalid_op 0
		.amdhsa_exception_fp_denorm_src 0
		.amdhsa_exception_fp_ieee_div_zero 0
		.amdhsa_exception_fp_ieee_overflow 0
		.amdhsa_exception_fp_ieee_underflow 0
		.amdhsa_exception_fp_ieee_inexact 0
		.amdhsa_exception_int_div_zero 0
	.end_amdhsa_kernel
	.section	.text._ZN9rocsolver6v33100L18getri_kernel_smallILi4EdPKPdEEvT1_iilPiilS6_bb,"axG",@progbits,_ZN9rocsolver6v33100L18getri_kernel_smallILi4EdPKPdEEvT1_iilPiilS6_bb,comdat
.Lfunc_end67:
	.size	_ZN9rocsolver6v33100L18getri_kernel_smallILi4EdPKPdEEvT1_iilPiilS6_bb, .Lfunc_end67-_ZN9rocsolver6v33100L18getri_kernel_smallILi4EdPKPdEEvT1_iilPiilS6_bb
                                        ; -- End function
	.section	.AMDGPU.csdata,"",@progbits
; Kernel info:
; codeLenInByte = 2320
; NumSgprs: 22
; NumVgprs: 30
; NumAgprs: 0
; TotalNumVgprs: 30
; ScratchSize: 0
; MemoryBound: 0
; FloatMode: 240
; IeeeMode: 1
; LDSByteSize: 72 bytes/workgroup (compile time only)
; SGPRBlocks: 2
; VGPRBlocks: 3
; NumSGPRsForWavesPerEU: 22
; NumVGPRsForWavesPerEU: 30
; AccumOffset: 32
; Occupancy: 8
; WaveLimiterHint : 1
; COMPUTE_PGM_RSRC2:SCRATCH_EN: 0
; COMPUTE_PGM_RSRC2:USER_SGPR: 6
; COMPUTE_PGM_RSRC2:TRAP_HANDLER: 0
; COMPUTE_PGM_RSRC2:TGID_X_EN: 1
; COMPUTE_PGM_RSRC2:TGID_Y_EN: 0
; COMPUTE_PGM_RSRC2:TGID_Z_EN: 0
; COMPUTE_PGM_RSRC2:TIDIG_COMP_CNT: 0
; COMPUTE_PGM_RSRC3_GFX90A:ACCUM_OFFSET: 7
; COMPUTE_PGM_RSRC3_GFX90A:TG_SPLIT: 0
	.section	.text._ZN9rocsolver6v33100L18getri_kernel_smallILi5EdPKPdEEvT1_iilPiilS6_bb,"axG",@progbits,_ZN9rocsolver6v33100L18getri_kernel_smallILi5EdPKPdEEvT1_iilPiilS6_bb,comdat
	.globl	_ZN9rocsolver6v33100L18getri_kernel_smallILi5EdPKPdEEvT1_iilPiilS6_bb ; -- Begin function _ZN9rocsolver6v33100L18getri_kernel_smallILi5EdPKPdEEvT1_iilPiilS6_bb
	.p2align	8
	.type	_ZN9rocsolver6v33100L18getri_kernel_smallILi5EdPKPdEEvT1_iilPiilS6_bb,@function
_ZN9rocsolver6v33100L18getri_kernel_smallILi5EdPKPdEEvT1_iilPiilS6_bb: ; @_ZN9rocsolver6v33100L18getri_kernel_smallILi5EdPKPdEEvT1_iilPiilS6_bb
; %bb.0:
	v_cmp_gt_u32_e32 vcc, 5, v0
	s_and_saveexec_b64 s[0:1], vcc
	s_cbranch_execz .LBB68_16
; %bb.1:
	s_load_dword s2, s[4:5], 0x38
	s_load_dwordx2 s[0:1], s[4:5], 0x0
	s_load_dwordx4 s[8:11], s[4:5], 0x28
	s_waitcnt lgkmcnt(0)
	s_bitcmp1_b32 s2, 8
	s_cselect_b64 s[14:15], -1, 0
	s_ashr_i32 s7, s6, 31
	s_lshl_b64 s[12:13], s[6:7], 3
	s_add_u32 s0, s0, s12
	s_addc_u32 s1, s1, s13
	s_load_dwordx2 s[0:1], s[0:1], 0x0
	s_bfe_u32 s3, s2, 0x10008
	s_cmp_eq_u32 s3, 0
                                        ; implicit-def: $sgpr12_sgpr13
	s_cbranch_scc1 .LBB68_3
; %bb.2:
	s_load_dword s12, s[4:5], 0x20
	s_load_dwordx2 s[16:17], s[4:5], 0x18
	s_mul_i32 s3, s6, s9
	s_mul_hi_u32 s9, s6, s8
	s_add_i32 s3, s9, s3
	s_mul_i32 s9, s7, s8
	s_add_i32 s9, s3, s9
	s_mul_i32 s8, s6, s8
	s_waitcnt lgkmcnt(0)
	s_ashr_i32 s13, s12, 31
	s_lshl_b64 s[8:9], s[8:9], 2
	s_add_u32 s3, s16, s8
	s_addc_u32 s16, s17, s9
	s_lshl_b64 s[8:9], s[12:13], 2
	s_add_u32 s12, s3, s8
	s_addc_u32 s13, s16, s9
.LBB68_3:
	s_load_dwordx2 s[4:5], s[4:5], 0x8
	v_lshlrev_b32_e32 v14, 3, v0
	s_waitcnt lgkmcnt(0)
	s_ashr_i32 s9, s4, 31
	s_mov_b32 s8, s4
	s_lshl_b64 s[8:9], s[8:9], 3
	s_add_u32 s0, s0, s8
	s_addc_u32 s1, s1, s9
	v_mov_b32_e32 v1, s1
	v_add_co_u32_e32 v28, vcc, s0, v14
	s_ashr_i32 s9, s5, 31
	s_mov_b32 s8, s5
	s_add_i32 s3, s5, s5
	v_addc_co_u32_e32 v29, vcc, 0, v1, vcc
	s_lshl_b64 s[8:9], s[8:9], 3
	v_add_u32_e32 v4, s3, v0
	v_mov_b32_e32 v1, s9
	v_add_co_u32_e32 v30, vcc, s8, v28
	v_ashrrev_i32_e32 v5, 31, v4
	v_addc_co_u32_e32 v31, vcc, v29, v1, vcc
	v_lshlrev_b64 v[6:7], 3, v[4:5]
	v_add_u32_e32 v4, s5, v4
	v_mov_b32_e32 v1, s1
	v_add_co_u32_e32 v32, vcc, s0, v6
	v_ashrrev_i32_e32 v5, 31, v4
	v_addc_co_u32_e32 v33, vcc, v1, v7, vcc
	v_lshlrev_b64 v[6:7], 3, v[4:5]
	v_add_u32_e32 v4, s5, v4
	v_add_co_u32_e32 v34, vcc, s0, v6
	v_ashrrev_i32_e32 v5, 31, v4
	v_addc_co_u32_e32 v35, vcc, v1, v7, vcc
	v_lshlrev_b64 v[4:5], 3, v[4:5]
	v_add_co_u32_e32 v36, vcc, s0, v4
	global_load_dwordx2 v[2:3], v14, s[0:1]
	v_addc_co_u32_e32 v37, vcc, v1, v5, vcc
	global_load_dwordx2 v[4:5], v[30:31], off
	global_load_dwordx2 v[6:7], v[32:33], off
	;; [unrolled: 1-line block ×4, first 2 shown]
	v_mov_b32_e32 v1, 0
	s_bitcmp0_b32 s2, 0
	s_mov_b64 s[0:1], -1
	s_cbranch_scc1 .LBB68_14
; %bb.4:
	v_cmp_eq_u32_e64 s[0:1], 0, v0
	s_and_saveexec_b64 s[2:3], s[0:1]
	s_cbranch_execz .LBB68_6
; %bb.5:
	v_mov_b32_e32 v12, 0
	ds_write_b32 v12, v12 offset:40
.LBB68_6:
	s_or_b64 exec, exec, s[2:3]
	v_cmp_eq_u32_e32 vcc, 1, v0
	s_waitcnt vmcnt(3)
	v_cndmask_b32_e32 v12, v3, v5, vcc
	v_cmp_eq_u32_e64 s[2:3], 2, v0
	s_waitcnt vmcnt(2)
	v_cndmask_b32_e64 v12, v12, v7, s[2:3]
	v_cmp_eq_u32_e64 s[4:5], 3, v0
	s_waitcnt vmcnt(1)
	v_cndmask_b32_e64 v12, v12, v9, s[4:5]
	;; [unrolled: 3-line block ×3, first 2 shown]
	v_cndmask_b32_e32 v12, v2, v4, vcc
	v_cndmask_b32_e64 v12, v12, v6, s[2:3]
	v_cndmask_b32_e64 v12, v12, v8, s[4:5]
	;; [unrolled: 1-line block ×3, first 2 shown]
	v_cmp_eq_f64_e32 vcc, 0, v[12:13]
	s_waitcnt lgkmcnt(0)
	; wave barrier
	s_waitcnt lgkmcnt(0)
	s_and_saveexec_b64 s[4:5], vcc
	s_cbranch_execz .LBB68_10
; %bb.7:
	v_mov_b32_e32 v15, 0
	ds_read_b32 v17, v15 offset:40
	v_add_u32_e32 v16, 1, v0
	s_waitcnt lgkmcnt(0)
	v_readfirstlane_b32 s2, v17
	s_cmp_eq_u32 s2, 0
	s_cselect_b64 s[8:9], -1, 0
	v_cmp_gt_i32_e32 vcc, s2, v16
	s_or_b64 s[8:9], s[8:9], vcc
	s_and_b64 exec, exec, s[8:9]
	s_cbranch_execz .LBB68_10
; %bb.8:
	s_mov_b64 s[8:9], 0
	v_mov_b32_e32 v17, s2
.LBB68_9:                               ; =>This Inner Loop Header: Depth=1
	ds_cmpst_rtn_b32 v17, v15, v17, v16 offset:40
	s_waitcnt lgkmcnt(0)
	v_cmp_ne_u32_e32 vcc, 0, v17
	v_cmp_le_i32_e64 s[2:3], v17, v16
	s_and_b64 s[2:3], vcc, s[2:3]
	s_and_b64 s[2:3], exec, s[2:3]
	s_or_b64 s[8:9], s[2:3], s[8:9]
	s_andn2_b64 exec, exec, s[8:9]
	s_cbranch_execnz .LBB68_9
.LBB68_10:
	s_or_b64 exec, exec, s[4:5]
	v_mov_b32_e32 v16, 0
	s_waitcnt lgkmcnt(0)
	; wave barrier
	ds_read_b32 v15, v16 offset:40
	s_and_saveexec_b64 s[2:3], s[0:1]
	s_cbranch_execz .LBB68_12
; %bb.11:
	s_lshl_b64 s[4:5], s[6:7], 2
	s_add_u32 s4, s10, s4
	s_addc_u32 s5, s11, s5
	s_waitcnt lgkmcnt(0)
	global_store_dword v16, v15, s[4:5]
.LBB68_12:
	s_or_b64 exec, exec, s[2:3]
	s_waitcnt lgkmcnt(0)
	v_cmp_ne_u32_e32 vcc, 0, v15
	s_cbranch_vccz .LBB68_17
; %bb.13:
	s_mov_b64 s[0:1], 0
                                        ; implicit-def: $vgpr2_vgpr3_vgpr4_vgpr5_vgpr6_vgpr7_vgpr8_vgpr9_vgpr10_vgpr11_vgpr12_vgpr13_vgpr14_vgpr15_vgpr16_vgpr17
.LBB68_14:
	s_and_b64 vcc, exec, s[0:1]
	s_cbranch_vccz .LBB68_16
.LBB68_15:
	s_lshl_b64 s[0:1], s[6:7], 2
	s_add_u32 s0, s10, s0
	s_addc_u32 s1, s11, s1
	v_mov_b32_e32 v1, 0
	global_load_dword v1, v1, s[0:1]
	s_waitcnt vmcnt(0)
	v_cmp_ne_u32_e32 vcc, 0, v1
	s_cbranch_vccz .LBB68_30
.LBB68_16:
	s_endpgm
.LBB68_17:
	v_div_scale_f64 v[16:17], s[2:3], v[12:13], v[12:13], 1.0
	v_rcp_f64_e32 v[18:19], v[16:17]
	v_div_scale_f64 v[20:21], vcc, 1.0, v[12:13], 1.0
	v_fma_f64 v[22:23], -v[16:17], v[18:19], 1.0
	v_fmac_f64_e32 v[18:19], v[18:19], v[22:23]
	v_fma_f64 v[22:23], -v[16:17], v[18:19], 1.0
	v_fmac_f64_e32 v[18:19], v[18:19], v[22:23]
	v_mul_f64 v[22:23], v[20:21], v[18:19]
	v_fma_f64 v[16:17], -v[16:17], v[22:23], v[20:21]
	v_div_fmas_f64 v[16:17], v[16:17], v[18:19], v[22:23]
	v_div_fixup_f64 v[12:13], v[16:17], v[12:13], 1.0
	v_cmp_eq_u32_e32 vcc, 4, v0
	v_cndmask_b32_e32 v11, v11, v13, vcc
	v_cndmask_b32_e32 v10, v10, v12, vcc
	v_cmp_eq_u32_e32 vcc, 3, v0
	v_cndmask_b32_e32 v9, v9, v13, vcc
	v_cndmask_b32_e32 v8, v8, v12, vcc
	;; [unrolled: 3-line block ×5, first 2 shown]
	v_xor_b32_e32 v19, 0x80000000, v13
	v_mov_b32_e32 v18, v12
	v_add_u32_e32 v16, 48, v14
	ds_write2_b64 v14, v[18:19], v[4:5] offset1:6
	s_waitcnt lgkmcnt(0)
	; wave barrier
	s_waitcnt lgkmcnt(0)
	s_and_saveexec_b64 s[2:3], s[0:1]
	s_cbranch_execz .LBB68_19
; %bb.18:
	v_mov_b32_e32 v14, 0
	ds_read_b64 v[4:5], v16
	ds_read_b64 v[14:15], v14 offset:8
	s_waitcnt lgkmcnt(1)
	v_fma_f64 v[4:5], v[12:13], v[4:5], 0
	s_waitcnt lgkmcnt(0)
	v_mul_f64 v[4:5], v[4:5], v[14:15]
.LBB68_19:
	s_or_b64 exec, exec, s[2:3]
	v_cmp_gt_u32_e32 vcc, 2, v0
	s_waitcnt lgkmcnt(0)
	; wave barrier
	ds_write_b64 v16, v[6:7]
	s_waitcnt lgkmcnt(0)
	; wave barrier
	s_waitcnt lgkmcnt(0)
	s_and_saveexec_b64 s[16:17], vcc
	s_cbranch_execz .LBB68_21
; %bb.20:
	v_cmp_eq_u32_e32 vcc, 1, v0
	v_cndmask_b32_e32 v12, v3, v5, vcc
	v_cmp_eq_u32_e64 s[2:3], 2, v0
	v_cndmask_b32_e64 v7, v12, v7, s[2:3]
	ds_read_b64 v[18:19], v16
	v_mov_b32_e32 v12, 0
	v_cndmask_b32_e32 v17, v2, v4, vcc
	ds_read2_b64 v[12:15], v12 offset0:2 offset1:7
	v_cmp_eq_u32_e64 s[4:5], 3, v0
	v_cndmask_b32_e64 v6, v17, v6, s[2:3]
	v_cndmask_b32_e64 v7, v7, v9, s[4:5]
	v_cmp_eq_u32_e64 s[8:9], 4, v0
	v_cndmask_b32_e64 v6, v6, v8, s[4:5]
	v_cndmask_b32_e64 v7, v7, v11, s[8:9]
	;; [unrolled: 1-line block ×3, first 2 shown]
	s_waitcnt lgkmcnt(1)
	v_fma_f64 v[6:7], v[6:7], v[18:19], 0
	s_waitcnt lgkmcnt(0)
	v_fma_f64 v[14:15], v[4:5], v[14:15], v[6:7]
	v_cndmask_b32_e64 v7, v7, v15, s[0:1]
	v_cndmask_b32_e64 v6, v6, v14, s[0:1]
	v_mul_f64 v[6:7], v[6:7], v[12:13]
.LBB68_21:
	s_or_b64 exec, exec, s[16:17]
	v_cmp_gt_u32_e32 vcc, 3, v0
	s_waitcnt lgkmcnt(0)
	; wave barrier
	ds_write_b64 v16, v[8:9]
	s_waitcnt lgkmcnt(0)
	; wave barrier
	s_waitcnt lgkmcnt(0)
	s_and_saveexec_b64 s[4:5], vcc
	s_cbranch_execz .LBB68_25
; %bb.22:
	v_lshl_add_u32 v17, v0, 3, 48
	s_mov_b64 s[8:9], 0
	v_pk_mov_b32 v[12:13], 0, 0
	v_pk_mov_b32 v[14:15], v[0:1], v[0:1] op_sel:[0,1]
.LBB68_23:                              ; =>This Inner Loop Header: Depth=1
	v_cmp_eq_u32_e32 vcc, 1, v14
	v_cndmask_b32_e32 v20, v3, v5, vcc
	ds_read_b64 v[18:19], v17
	v_cmp_eq_u32_e64 s[0:1], 2, v14
	v_cndmask_b32_e64 v20, v20, v7, s[0:1]
	v_cndmask_b32_e32 v21, v2, v4, vcc
	v_cmp_eq_u32_e32 vcc, 3, v14
	v_cndmask_b32_e32 v20, v20, v9, vcc
	v_cmp_eq_u32_e64 s[2:3], 4, v14
	v_cndmask_b32_e64 v22, v21, v6, s[0:1]
	v_add_co_u32_e64 v14, s[0:1], 1, v14
	v_cndmask_b32_e64 v21, v20, v11, s[2:3]
	v_cndmask_b32_e32 v20, v22, v8, vcc
	v_add_u32_e32 v22, -1, v14
	v_cndmask_b32_e64 v20, v20, v10, s[2:3]
	v_cmp_lt_u32_e32 vcc, 1, v22
	v_add_u32_e32 v17, 8, v17
	v_addc_co_u32_e64 v15, s[0:1], 0, v15, s[0:1]
	s_or_b64 s[8:9], vcc, s[8:9]
	s_waitcnt lgkmcnt(0)
	v_fmac_f64_e32 v[12:13], v[20:21], v[18:19]
	s_andn2_b64 exec, exec, s[8:9]
	s_cbranch_execnz .LBB68_23
; %bb.24:
	s_or_b64 exec, exec, s[8:9]
	v_mov_b32_e32 v8, 0
	ds_read_b64 v[8:9], v8 offset:24
	s_waitcnt lgkmcnt(0)
	v_mul_f64 v[8:9], v[12:13], v[8:9]
.LBB68_25:
	s_or_b64 exec, exec, s[4:5]
	v_cmp_ne_u32_e32 vcc, 4, v0
	s_waitcnt lgkmcnt(0)
	; wave barrier
	ds_write_b64 v16, v[10:11]
	s_waitcnt lgkmcnt(0)
	; wave barrier
	s_waitcnt lgkmcnt(0)
	s_and_saveexec_b64 s[4:5], vcc
	s_cbranch_execz .LBB68_29
; %bb.26:
	v_lshl_add_u32 v16, v0, 3, 48
	s_mov_b64 s[8:9], 0
	v_pk_mov_b32 v[12:13], 0, 0
	v_pk_mov_b32 v[14:15], v[0:1], v[0:1] op_sel:[0,1]
.LBB68_27:                              ; =>This Inner Loop Header: Depth=1
	v_cmp_eq_u32_e32 vcc, 1, v14
	v_cndmask_b32_e32 v1, v3, v5, vcc
	ds_read_b64 v[18:19], v16
	v_cmp_eq_u32_e64 s[0:1], 2, v14
	v_cndmask_b32_e64 v1, v1, v7, s[0:1]
	v_cndmask_b32_e32 v17, v2, v4, vcc
	v_cmp_eq_u32_e32 vcc, 3, v14
	v_cndmask_b32_e32 v1, v1, v9, vcc
	v_cmp_eq_u32_e64 s[2:3], 4, v14
	v_cndmask_b32_e64 v17, v17, v6, s[0:1]
	v_add_co_u32_e64 v14, s[0:1], 1, v14
	v_cndmask_b32_e64 v21, v1, v11, s[2:3]
	v_cndmask_b32_e32 v1, v17, v8, vcc
	v_add_u32_e32 v17, -1, v14
	v_cndmask_b32_e64 v20, v1, v10, s[2:3]
	v_cmp_lt_u32_e32 vcc, 2, v17
	v_add_u32_e32 v16, 8, v16
	v_addc_co_u32_e64 v15, s[0:1], 0, v15, s[0:1]
	s_or_b64 s[8:9], vcc, s[8:9]
	s_waitcnt lgkmcnt(0)
	v_fmac_f64_e32 v[12:13], v[20:21], v[18:19]
	s_andn2_b64 exec, exec, s[8:9]
	s_cbranch_execnz .LBB68_27
; %bb.28:
	s_or_b64 exec, exec, s[8:9]
	v_mov_b32_e32 v1, 0
	ds_read_b64 v[10:11], v1 offset:32
	s_waitcnt lgkmcnt(0)
	v_mul_f64 v[10:11], v[12:13], v[10:11]
.LBB68_29:
	s_or_b64 exec, exec, s[4:5]
	s_waitcnt lgkmcnt(0)
	; wave barrier
	s_cbranch_execnz .LBB68_15
	s_branch .LBB68_16
.LBB68_30:
	v_lshl_add_u32 v1, v0, 3, 48
	v_cmp_eq_u32_e32 vcc, 4, v0
	s_and_saveexec_b64 s[0:1], vcc
	s_cbranch_execz .LBB68_32
; %bb.31:
	v_mov_b32_e32 v18, 0
	v_mov_b32_e32 v12, v2
	;; [unrolled: 1-line block ×10, first 2 shown]
	ds_write_b64 v1, v[8:9]
	v_pk_mov_b32 v[2:3], v[12:13], v[12:13] op_sel:[0,1]
	v_pk_mov_b32 v[4:5], v[14:15], v[14:15] op_sel:[0,1]
	;; [unrolled: 1-line block ×8, first 2 shown]
.LBB68_32:
	s_or_b64 exec, exec, s[0:1]
	v_mov_b32_e32 v18, 0
	s_waitcnt lgkmcnt(0)
	; wave barrier
	s_waitcnt lgkmcnt(0)
	ds_read_b64 v[12:13], v18 offset:80
	v_cmp_lt_u32_e32 vcc, 2, v0
	s_waitcnt lgkmcnt(0)
	v_fma_f64 v[12:13], v[10:11], v[12:13], 0
	v_add_f64 v[8:9], v[8:9], -v[12:13]
	s_and_saveexec_b64 s[0:1], vcc
	s_cbranch_execz .LBB68_34
; %bb.33:
	v_mov_b32_e32 v14, v2
	v_mov_b32_e32 v15, v3
	;; [unrolled: 1-line block ×9, first 2 shown]
	ds_write_b64 v1, v[6:7]
	v_pk_mov_b32 v[2:3], v[14:15], v[14:15] op_sel:[0,1]
	v_pk_mov_b32 v[4:5], v[16:17], v[16:17] op_sel:[0,1]
	;; [unrolled: 1-line block ×8, first 2 shown]
.LBB68_34:
	s_or_b64 exec, exec, s[0:1]
	s_waitcnt lgkmcnt(0)
	; wave barrier
	s_waitcnt lgkmcnt(0)
	ds_read2_b64 v[12:15], v18 offset0:9 offset1:10
	v_cmp_lt_u32_e32 vcc, 1, v0
	s_waitcnt lgkmcnt(0)
	v_fma_f64 v[12:13], v[8:9], v[12:13], 0
	v_fmac_f64_e32 v[12:13], v[10:11], v[14:15]
	v_add_f64 v[6:7], v[6:7], -v[12:13]
	s_and_saveexec_b64 s[0:1], vcc
	s_cbranch_execz .LBB68_36
; %bb.35:
	v_mov_b32_e32 v14, 0
	v_mov_b32_e32 v12, v2
	;; [unrolled: 1-line block ×10, first 2 shown]
	ds_write_b64 v1, v[4:5]
	v_pk_mov_b32 v[2:3], v[12:13], v[12:13] op_sel:[0,1]
	v_pk_mov_b32 v[4:5], v[14:15], v[14:15] op_sel:[0,1]
	;; [unrolled: 1-line block ×8, first 2 shown]
.LBB68_36:
	s_or_b64 exec, exec, s[0:1]
	v_mov_b32_e32 v18, 0
	s_waitcnt lgkmcnt(0)
	; wave barrier
	s_waitcnt lgkmcnt(0)
	ds_read_b128 v[12:15], v18 offset:64
	ds_read_b64 v[16:17], v18 offset:80
	v_cmp_ne_u32_e32 vcc, 0, v0
	s_waitcnt lgkmcnt(1)
	v_fma_f64 v[12:13], v[6:7], v[12:13], 0
	v_fmac_f64_e32 v[12:13], v[8:9], v[14:15]
	s_waitcnt lgkmcnt(0)
	v_fmac_f64_e32 v[12:13], v[10:11], v[16:17]
	v_add_f64 v[4:5], v[4:5], -v[12:13]
	s_and_saveexec_b64 s[0:1], vcc
	s_cbranch_execz .LBB68_38
; %bb.37:
	v_mov_b32_e32 v19, v18
	v_mov_b32_e32 v20, v4
	v_mov_b32_e32 v21, v5
	v_mov_b32_e32 v22, v6
	v_mov_b32_e32 v23, v7
	v_mov_b32_e32 v24, v8
	v_mov_b32_e32 v25, v9
	v_mov_b32_e32 v26, v10
	v_mov_b32_e32 v27, v11
	ds_write_b64 v1, v[2:3]
	v_pk_mov_b32 v[2:3], v[18:19], v[18:19] op_sel:[0,1]
	v_pk_mov_b32 v[4:5], v[20:21], v[20:21] op_sel:[0,1]
	;; [unrolled: 1-line block ×8, first 2 shown]
.LBB68_38:
	s_or_b64 exec, exec, s[0:1]
	s_waitcnt lgkmcnt(0)
	; wave barrier
	s_waitcnt lgkmcnt(0)
	ds_read2_b64 v[12:15], v18 offset0:7 offset1:8
	ds_read2_b64 v[16:19], v18 offset0:9 offset1:10
	s_and_b64 vcc, exec, s[14:15]
	s_waitcnt lgkmcnt(1)
	v_fma_f64 v[0:1], v[4:5], v[12:13], 0
	v_fmac_f64_e32 v[0:1], v[6:7], v[14:15]
	s_waitcnt lgkmcnt(0)
	v_fmac_f64_e32 v[0:1], v[8:9], v[16:17]
	v_fmac_f64_e32 v[0:1], v[10:11], v[18:19]
	v_add_f64 v[2:3], v[2:3], -v[0:1]
	s_cbranch_vccz .LBB68_48
; %bb.39:
	v_pk_mov_b32 v[0:1], s[12:13], s[12:13] op_sel:[0,1]
	flat_load_dword v0, v[0:1] offset:12
	s_waitcnt vmcnt(0) lgkmcnt(0)
	v_add_u32_e32 v0, -1, v0
	v_cmp_ne_u32_e32 vcc, 3, v0
	s_and_saveexec_b64 s[6:7], vcc
	s_cbranch_execz .LBB68_41
; %bb.40:
	v_cmp_eq_u32_e32 vcc, 1, v0
	v_cndmask_b32_e32 v1, v2, v4, vcc
	v_cmp_eq_u32_e64 s[0:1], 2, v0
	v_cndmask_b32_e32 v12, v3, v5, vcc
	v_cndmask_b32_e64 v1, v1, v6, s[0:1]
	v_cmp_eq_u32_e64 s[2:3], 3, v0
	v_cndmask_b32_e64 v12, v12, v7, s[0:1]
	v_cndmask_b32_e64 v1, v1, v8, s[2:3]
	v_cmp_eq_u32_e64 s[4:5], 4, v0
	v_cndmask_b32_e64 v12, v12, v9, s[2:3]
	v_cndmask_b32_e64 v1, v1, v10, s[4:5]
	;; [unrolled: 1-line block ×5, first 2 shown]
	v_cndmask_b32_e32 v11, v5, v9, vcc
	v_cndmask_b32_e32 v10, v4, v8, vcc
	v_cmp_eq_u32_e32 vcc, 0, v0
	v_cndmask_b32_e64 v15, v12, v9, s[2:3]
	v_cndmask_b32_e64 v14, v1, v8, s[2:3]
	;; [unrolled: 1-line block ×4, first 2 shown]
	v_cndmask_b32_e32 v9, v3, v9, vcc
	v_cndmask_b32_e32 v8, v2, v8, vcc
	v_pk_mov_b32 v[2:3], v[8:9], v[8:9] op_sel:[0,1]
	v_pk_mov_b32 v[4:5], v[10:11], v[10:11] op_sel:[0,1]
	v_pk_mov_b32 v[6:7], v[12:13], v[12:13] op_sel:[0,1]
	v_pk_mov_b32 v[8:9], v[14:15], v[14:15] op_sel:[0,1]
	v_pk_mov_b32 v[10:11], v[16:17], v[16:17] op_sel:[0,1]
	v_pk_mov_b32 v[12:13], v[18:19], v[18:19] op_sel:[0,1]
	v_pk_mov_b32 v[14:15], v[20:21], v[20:21] op_sel:[0,1]
	v_pk_mov_b32 v[16:17], v[22:23], v[22:23] op_sel:[0,1]
.LBB68_41:
	s_or_b64 exec, exec, s[6:7]
	v_pk_mov_b32 v[0:1], s[12:13], s[12:13] op_sel:[0,1]
	flat_load_dword v0, v[0:1] offset:8
	s_waitcnt vmcnt(0) lgkmcnt(0)
	v_add_u32_e32 v0, -1, v0
	v_cmp_ne_u32_e32 vcc, 2, v0
	s_and_saveexec_b64 s[6:7], vcc
	s_cbranch_execz .LBB68_43
; %bb.42:
	v_cmp_eq_u32_e32 vcc, 1, v0
	v_cndmask_b32_e32 v1, v2, v4, vcc
	v_cmp_eq_u32_e64 s[0:1], 2, v0
	v_cndmask_b32_e32 v12, v3, v5, vcc
	v_cndmask_b32_e64 v1, v1, v6, s[0:1]
	v_cmp_eq_u32_e64 s[2:3], 3, v0
	v_cndmask_b32_e64 v12, v12, v7, s[0:1]
	v_cndmask_b32_e64 v1, v1, v8, s[2:3]
	v_cmp_eq_u32_e64 s[4:5], 4, v0
	v_cndmask_b32_e64 v12, v12, v9, s[2:3]
	v_cndmask_b32_e64 v1, v1, v10, s[4:5]
	;; [unrolled: 1-line block ×5, first 2 shown]
	v_cndmask_b32_e32 v11, v5, v7, vcc
	v_cndmask_b32_e32 v10, v4, v6, vcc
	v_cmp_eq_u32_e32 vcc, 0, v0
	v_cndmask_b32_e64 v13, v12, v7, s[0:1]
	v_cndmask_b32_e64 v12, v1, v6, s[0:1]
	;; [unrolled: 1-line block ×4, first 2 shown]
	v_cndmask_b32_e32 v9, v3, v7, vcc
	v_cndmask_b32_e32 v8, v2, v6, vcc
	v_pk_mov_b32 v[2:3], v[8:9], v[8:9] op_sel:[0,1]
	v_pk_mov_b32 v[4:5], v[10:11], v[10:11] op_sel:[0,1]
	;; [unrolled: 1-line block ×8, first 2 shown]
.LBB68_43:
	s_or_b64 exec, exec, s[6:7]
	v_pk_mov_b32 v[0:1], s[12:13], s[12:13] op_sel:[0,1]
	flat_load_dword v0, v[0:1] offset:4
	s_waitcnt vmcnt(0) lgkmcnt(0)
	v_add_u32_e32 v0, -1, v0
	v_cmp_ne_u32_e32 vcc, 1, v0
	s_and_saveexec_b64 s[6:7], vcc
	s_cbranch_execz .LBB68_45
; %bb.44:
	v_cmp_eq_u32_e32 vcc, 1, v0
	v_cndmask_b32_e32 v1, v2, v4, vcc
	v_cmp_eq_u32_e64 s[0:1], 2, v0
	v_cndmask_b32_e32 v12, v3, v5, vcc
	v_cndmask_b32_e64 v1, v1, v6, s[0:1]
	v_cmp_eq_u32_e64 s[2:3], 3, v0
	v_cndmask_b32_e64 v12, v12, v7, s[0:1]
	v_cndmask_b32_e64 v1, v1, v8, s[2:3]
	v_cmp_eq_u32_e64 s[4:5], 4, v0
	v_cndmask_b32_e64 v12, v12, v9, s[2:3]
	v_cndmask_b32_e64 v1, v1, v10, s[4:5]
	;; [unrolled: 1-line block ×3, first 2 shown]
	v_cndmask_b32_e32 v13, v12, v5, vcc
	v_cndmask_b32_e32 v12, v1, v4, vcc
	v_cmp_eq_u32_e32 vcc, 0, v0
	v_cndmask_b32_e64 v19, v11, v5, s[4:5]
	v_cndmask_b32_e64 v18, v10, v4, s[4:5]
	;; [unrolled: 1-line block ×6, first 2 shown]
	v_cndmask_b32_e32 v11, v3, v5, vcc
	v_cndmask_b32_e32 v10, v2, v4, vcc
	v_pk_mov_b32 v[2:3], v[10:11], v[10:11] op_sel:[0,1]
	v_pk_mov_b32 v[4:5], v[12:13], v[12:13] op_sel:[0,1]
	;; [unrolled: 1-line block ×8, first 2 shown]
.LBB68_45:
	s_or_b64 exec, exec, s[6:7]
	v_pk_mov_b32 v[0:1], s[12:13], s[12:13] op_sel:[0,1]
	flat_load_dword v0, v[0:1]
	s_waitcnt vmcnt(0) lgkmcnt(0)
	v_add_u32_e32 v0, -1, v0
	v_cmp_ne_u32_e32 vcc, 0, v0
	s_and_saveexec_b64 s[8:9], vcc
	s_cbranch_execz .LBB68_47
; %bb.46:
	v_cmp_eq_u32_e32 vcc, 1, v0
	v_cndmask_b32_e32 v1, v2, v4, vcc
	v_cmp_eq_u32_e64 s[0:1], 2, v0
	v_cndmask_b32_e32 v12, v3, v5, vcc
	v_cndmask_b32_e64 v1, v1, v6, s[0:1]
	v_cmp_eq_u32_e64 s[2:3], 3, v0
	v_cndmask_b32_e64 v12, v12, v7, s[0:1]
	v_cndmask_b32_e64 v1, v1, v8, s[2:3]
	v_cmp_eq_u32_e64 s[4:5], 4, v0
	v_cndmask_b32_e64 v12, v12, v9, s[2:3]
	v_cndmask_b32_e64 v1, v1, v10, s[4:5]
	;; [unrolled: 1-line block ×3, first 2 shown]
	v_cmp_eq_u32_e64 s[6:7], 0, v0
	v_cndmask_b32_e64 v13, v12, v3, s[6:7]
	v_cndmask_b32_e64 v12, v1, v2, s[6:7]
	;; [unrolled: 1-line block ×4, first 2 shown]
	v_cndmask_b32_e32 v15, v5, v3, vcc
	v_cndmask_b32_e32 v14, v4, v2, vcc
	v_cndmask_b32_e64 v21, v11, v3, s[4:5]
	v_cndmask_b32_e64 v20, v10, v2, s[4:5]
	;; [unrolled: 1-line block ×4, first 2 shown]
	v_pk_mov_b32 v[2:3], v[12:13], v[12:13] op_sel:[0,1]
	v_pk_mov_b32 v[4:5], v[14:15], v[14:15] op_sel:[0,1]
	;; [unrolled: 1-line block ×8, first 2 shown]
.LBB68_47:
	s_or_b64 exec, exec, s[8:9]
.LBB68_48:
	global_store_dwordx2 v[28:29], v[2:3], off
	global_store_dwordx2 v[30:31], v[4:5], off
	;; [unrolled: 1-line block ×5, first 2 shown]
	s_endpgm
	.section	.rodata,"a",@progbits
	.p2align	6, 0x0
	.amdhsa_kernel _ZN9rocsolver6v33100L18getri_kernel_smallILi5EdPKPdEEvT1_iilPiilS6_bb
		.amdhsa_group_segment_fixed_size 88
		.amdhsa_private_segment_fixed_size 0
		.amdhsa_kernarg_size 60
		.amdhsa_user_sgpr_count 6
		.amdhsa_user_sgpr_private_segment_buffer 1
		.amdhsa_user_sgpr_dispatch_ptr 0
		.amdhsa_user_sgpr_queue_ptr 0
		.amdhsa_user_sgpr_kernarg_segment_ptr 1
		.amdhsa_user_sgpr_dispatch_id 0
		.amdhsa_user_sgpr_flat_scratch_init 0
		.amdhsa_user_sgpr_kernarg_preload_length 0
		.amdhsa_user_sgpr_kernarg_preload_offset 0
		.amdhsa_user_sgpr_private_segment_size 0
		.amdhsa_uses_dynamic_stack 0
		.amdhsa_system_sgpr_private_segment_wavefront_offset 0
		.amdhsa_system_sgpr_workgroup_id_x 1
		.amdhsa_system_sgpr_workgroup_id_y 0
		.amdhsa_system_sgpr_workgroup_id_z 0
		.amdhsa_system_sgpr_workgroup_info 0
		.amdhsa_system_vgpr_workitem_id 0
		.amdhsa_next_free_vgpr 38
		.amdhsa_next_free_sgpr 18
		.amdhsa_accum_offset 40
		.amdhsa_reserve_vcc 1
		.amdhsa_reserve_flat_scratch 0
		.amdhsa_float_round_mode_32 0
		.amdhsa_float_round_mode_16_64 0
		.amdhsa_float_denorm_mode_32 3
		.amdhsa_float_denorm_mode_16_64 3
		.amdhsa_dx10_clamp 1
		.amdhsa_ieee_mode 1
		.amdhsa_fp16_overflow 0
		.amdhsa_tg_split 0
		.amdhsa_exception_fp_ieee_invalid_op 0
		.amdhsa_exception_fp_denorm_src 0
		.amdhsa_exception_fp_ieee_div_zero 0
		.amdhsa_exception_fp_ieee_overflow 0
		.amdhsa_exception_fp_ieee_underflow 0
		.amdhsa_exception_fp_ieee_inexact 0
		.amdhsa_exception_int_div_zero 0
	.end_amdhsa_kernel
	.section	.text._ZN9rocsolver6v33100L18getri_kernel_smallILi5EdPKPdEEvT1_iilPiilS6_bb,"axG",@progbits,_ZN9rocsolver6v33100L18getri_kernel_smallILi5EdPKPdEEvT1_iilPiilS6_bb,comdat
.Lfunc_end68:
	.size	_ZN9rocsolver6v33100L18getri_kernel_smallILi5EdPKPdEEvT1_iilPiilS6_bb, .Lfunc_end68-_ZN9rocsolver6v33100L18getri_kernel_smallILi5EdPKPdEEvT1_iilPiilS6_bb
                                        ; -- End function
	.section	.AMDGPU.csdata,"",@progbits
; Kernel info:
; codeLenInByte = 3404
; NumSgprs: 22
; NumVgprs: 38
; NumAgprs: 0
; TotalNumVgprs: 38
; ScratchSize: 0
; MemoryBound: 0
; FloatMode: 240
; IeeeMode: 1
; LDSByteSize: 88 bytes/workgroup (compile time only)
; SGPRBlocks: 2
; VGPRBlocks: 4
; NumSGPRsForWavesPerEU: 22
; NumVGPRsForWavesPerEU: 38
; AccumOffset: 40
; Occupancy: 8
; WaveLimiterHint : 1
; COMPUTE_PGM_RSRC2:SCRATCH_EN: 0
; COMPUTE_PGM_RSRC2:USER_SGPR: 6
; COMPUTE_PGM_RSRC2:TRAP_HANDLER: 0
; COMPUTE_PGM_RSRC2:TGID_X_EN: 1
; COMPUTE_PGM_RSRC2:TGID_Y_EN: 0
; COMPUTE_PGM_RSRC2:TGID_Z_EN: 0
; COMPUTE_PGM_RSRC2:TIDIG_COMP_CNT: 0
; COMPUTE_PGM_RSRC3_GFX90A:ACCUM_OFFSET: 9
; COMPUTE_PGM_RSRC3_GFX90A:TG_SPLIT: 0
	.section	.text._ZN9rocsolver6v33100L18getri_kernel_smallILi6EdPKPdEEvT1_iilPiilS6_bb,"axG",@progbits,_ZN9rocsolver6v33100L18getri_kernel_smallILi6EdPKPdEEvT1_iilPiilS6_bb,comdat
	.globl	_ZN9rocsolver6v33100L18getri_kernel_smallILi6EdPKPdEEvT1_iilPiilS6_bb ; -- Begin function _ZN9rocsolver6v33100L18getri_kernel_smallILi6EdPKPdEEvT1_iilPiilS6_bb
	.p2align	8
	.type	_ZN9rocsolver6v33100L18getri_kernel_smallILi6EdPKPdEEvT1_iilPiilS6_bb,@function
_ZN9rocsolver6v33100L18getri_kernel_smallILi6EdPKPdEEvT1_iilPiilS6_bb: ; @_ZN9rocsolver6v33100L18getri_kernel_smallILi6EdPKPdEEvT1_iilPiilS6_bb
; %bb.0:
	v_cmp_gt_u32_e32 vcc, 6, v0
	s_and_saveexec_b64 s[0:1], vcc
	s_cbranch_execz .LBB69_16
; %bb.1:
	s_load_dword s2, s[4:5], 0x38
	s_load_dwordx2 s[0:1], s[4:5], 0x0
	s_load_dwordx4 s[12:15], s[4:5], 0x28
                                        ; implicit-def: $sgpr16_sgpr17
	s_waitcnt lgkmcnt(0)
	s_bitcmp1_b32 s2, 8
	s_cselect_b64 s[18:19], -1, 0
	s_ashr_i32 s7, s6, 31
	s_lshl_b64 s[8:9], s[6:7], 3
	s_add_u32 s0, s0, s8
	s_addc_u32 s1, s1, s9
	s_load_dwordx2 s[0:1], s[0:1], 0x0
	s_bfe_u32 s3, s2, 0x10008
	s_cmp_eq_u32 s3, 0
	s_cbranch_scc1 .LBB69_3
; %bb.2:
	s_load_dword s8, s[4:5], 0x20
	s_load_dwordx2 s[10:11], s[4:5], 0x18
	s_mul_i32 s3, s6, s13
	s_mul_hi_u32 s9, s6, s12
	s_add_i32 s3, s9, s3
	s_mul_i32 s13, s7, s12
	s_add_i32 s13, s3, s13
	s_mul_i32 s12, s6, s12
	s_waitcnt lgkmcnt(0)
	s_ashr_i32 s9, s8, 31
	s_lshl_b64 s[12:13], s[12:13], 2
	s_add_u32 s3, s10, s12
	s_addc_u32 s10, s11, s13
	s_lshl_b64 s[8:9], s[8:9], 2
	s_add_u32 s16, s3, s8
	s_addc_u32 s17, s10, s9
.LBB69_3:
	s_load_dwordx2 s[4:5], s[4:5], 0x8
	v_lshlrev_b32_e32 v16, 3, v0
	s_waitcnt lgkmcnt(0)
	s_ashr_i32 s9, s4, 31
	s_mov_b32 s8, s4
	s_lshl_b64 s[8:9], s[8:9], 3
	s_add_u32 s0, s0, s8
	s_addc_u32 s1, s1, s9
	v_mov_b32_e32 v1, s1
	v_add_co_u32_e32 v28, vcc, s0, v16
	s_ashr_i32 s9, s5, 31
	s_mov_b32 s8, s5
	s_add_i32 s3, s5, s5
	v_addc_co_u32_e32 v29, vcc, 0, v1, vcc
	s_lshl_b64 s[8:9], s[8:9], 3
	v_add_u32_e32 v2, s3, v0
	v_mov_b32_e32 v1, s9
	v_add_co_u32_e32 v30, vcc, s8, v28
	v_ashrrev_i32_e32 v3, 31, v2
	v_addc_co_u32_e32 v31, vcc, v29, v1, vcc
	v_lshlrev_b64 v[4:5], 3, v[2:3]
	v_add_u32_e32 v2, s5, v2
	v_mov_b32_e32 v1, s1
	v_add_co_u32_e32 v32, vcc, s0, v4
	v_ashrrev_i32_e32 v3, 31, v2
	v_addc_co_u32_e32 v33, vcc, v1, v5, vcc
	v_lshlrev_b64 v[4:5], 3, v[2:3]
	v_add_u32_e32 v2, s5, v2
	v_add_co_u32_e32 v34, vcc, s0, v4
	v_ashrrev_i32_e32 v3, 31, v2
	v_addc_co_u32_e32 v35, vcc, v1, v5, vcc
	v_lshlrev_b64 v[4:5], 3, v[2:3]
	v_add_u32_e32 v2, s5, v2
	v_add_co_u32_e32 v36, vcc, s0, v4
	v_ashrrev_i32_e32 v3, 31, v2
	v_addc_co_u32_e32 v37, vcc, v1, v5, vcc
	global_load_dwordx2 v[4:5], v[30:31], off
	global_load_dwordx2 v[6:7], v[32:33], off
	;; [unrolled: 1-line block ×4, first 2 shown]
	v_lshlrev_b64 v[2:3], 3, v[2:3]
	v_add_co_u32_e32 v38, vcc, s0, v2
	v_addc_co_u32_e32 v39, vcc, v1, v3, vcc
	global_load_dwordx2 v[2:3], v16, s[0:1]
	global_load_dwordx2 v[12:13], v[38:39], off
	v_mov_b32_e32 v1, 0
	s_bitcmp0_b32 s2, 0
	s_mov_b64 s[0:1], -1
	s_cbranch_scc1 .LBB69_14
; %bb.4:
	v_cmp_eq_u32_e64 s[0:1], 0, v0
	s_and_saveexec_b64 s[2:3], s[0:1]
	s_cbranch_execz .LBB69_6
; %bb.5:
	v_mov_b32_e32 v14, 0
	ds_write_b32 v14, v14 offset:96
.LBB69_6:
	s_or_b64 exec, exec, s[2:3]
	v_cmp_eq_u32_e32 vcc, 1, v0
	s_waitcnt vmcnt(1)
	v_cndmask_b32_e32 v14, v3, v5, vcc
	v_cmp_eq_u32_e64 s[2:3], 2, v0
	v_cndmask_b32_e64 v14, v14, v7, s[2:3]
	v_cmp_eq_u32_e64 s[4:5], 3, v0
	v_cndmask_b32_e64 v14, v14, v9, s[4:5]
	;; [unrolled: 2-line block ×3, first 2 shown]
	v_cmp_eq_u32_e64 s[10:11], 5, v0
	s_waitcnt vmcnt(0)
	v_cndmask_b32_e64 v15, v14, v13, s[10:11]
	v_cndmask_b32_e32 v14, v2, v4, vcc
	v_cndmask_b32_e64 v14, v14, v6, s[2:3]
	v_cndmask_b32_e64 v14, v14, v8, s[4:5]
	;; [unrolled: 1-line block ×4, first 2 shown]
	v_cmp_eq_f64_e32 vcc, 0, v[14:15]
	s_waitcnt lgkmcnt(0)
	; wave barrier
	s_waitcnt lgkmcnt(0)
	s_and_saveexec_b64 s[4:5], vcc
	s_cbranch_execz .LBB69_10
; %bb.7:
	v_mov_b32_e32 v17, 0
	ds_read_b32 v19, v17 offset:96
	v_add_u32_e32 v18, 1, v0
	s_waitcnt lgkmcnt(0)
	v_readfirstlane_b32 s2, v19
	s_cmp_eq_u32 s2, 0
	s_cselect_b64 s[8:9], -1, 0
	v_cmp_gt_i32_e32 vcc, s2, v18
	s_or_b64 s[8:9], s[8:9], vcc
	s_and_b64 exec, exec, s[8:9]
	s_cbranch_execz .LBB69_10
; %bb.8:
	s_mov_b64 s[8:9], 0
	v_mov_b32_e32 v19, s2
.LBB69_9:                               ; =>This Inner Loop Header: Depth=1
	ds_cmpst_rtn_b32 v19, v17, v19, v18 offset:96
	s_waitcnt lgkmcnt(0)
	v_cmp_ne_u32_e32 vcc, 0, v19
	v_cmp_le_i32_e64 s[2:3], v19, v18
	s_and_b64 s[2:3], vcc, s[2:3]
	s_and_b64 s[2:3], exec, s[2:3]
	s_or_b64 s[8:9], s[2:3], s[8:9]
	s_andn2_b64 exec, exec, s[8:9]
	s_cbranch_execnz .LBB69_9
.LBB69_10:
	s_or_b64 exec, exec, s[4:5]
	v_mov_b32_e32 v18, 0
	s_waitcnt lgkmcnt(0)
	; wave barrier
	ds_read_b32 v17, v18 offset:96
	s_and_saveexec_b64 s[2:3], s[0:1]
	s_cbranch_execz .LBB69_12
; %bb.11:
	s_lshl_b64 s[4:5], s[6:7], 2
	s_add_u32 s4, s14, s4
	s_addc_u32 s5, s15, s5
	s_waitcnt lgkmcnt(0)
	global_store_dword v18, v17, s[4:5]
.LBB69_12:
	s_or_b64 exec, exec, s[2:3]
	s_waitcnt lgkmcnt(0)
	v_cmp_ne_u32_e32 vcc, 0, v17
	s_cbranch_vccz .LBB69_17
; %bb.13:
	s_mov_b64 s[0:1], 0
                                        ; implicit-def: $vgpr2_vgpr3_vgpr4_vgpr5_vgpr6_vgpr7_vgpr8_vgpr9_vgpr10_vgpr11_vgpr12_vgpr13_vgpr14_vgpr15_vgpr16_vgpr17
.LBB69_14:
	s_and_b64 vcc, exec, s[0:1]
	s_cbranch_vccz .LBB69_16
.LBB69_15:
	s_lshl_b64 s[0:1], s[6:7], 2
	s_add_u32 s0, s14, s0
	s_addc_u32 s1, s15, s1
	v_mov_b32_e32 v1, 0
	global_load_dword v1, v1, s[0:1]
	s_waitcnt vmcnt(0)
	v_cmp_ne_u32_e32 vcc, 0, v1
	s_cbranch_vccz .LBB69_34
.LBB69_16:
	s_endpgm
.LBB69_17:
	v_div_scale_f64 v[18:19], s[2:3], v[14:15], v[14:15], 1.0
	v_rcp_f64_e32 v[20:21], v[18:19]
	v_div_scale_f64 v[22:23], vcc, 1.0, v[14:15], 1.0
	v_fma_f64 v[24:25], -v[18:19], v[20:21], 1.0
	v_fmac_f64_e32 v[20:21], v[20:21], v[24:25]
	v_fma_f64 v[24:25], -v[18:19], v[20:21], 1.0
	v_fmac_f64_e32 v[20:21], v[20:21], v[24:25]
	v_mul_f64 v[24:25], v[22:23], v[20:21]
	v_fma_f64 v[18:19], -v[18:19], v[24:25], v[22:23]
	v_div_fmas_f64 v[18:19], v[18:19], v[20:21], v[24:25]
	v_div_fixup_f64 v[14:15], v[18:19], v[14:15], 1.0
	v_cmp_eq_u32_e32 vcc, 5, v0
	v_cndmask_b32_e32 v13, v13, v15, vcc
	v_cndmask_b32_e32 v12, v12, v14, vcc
	v_cmp_eq_u32_e32 vcc, 4, v0
	v_cndmask_b32_e32 v11, v11, v15, vcc
	v_cndmask_b32_e32 v10, v10, v14, vcc
	;; [unrolled: 3-line block ×6, first 2 shown]
	v_xor_b32_e32 v21, 0x80000000, v15
	v_mov_b32_e32 v20, v14
	v_add_u32_e32 v18, 48, v16
	ds_write2_b64 v16, v[20:21], v[4:5] offset1:6
	s_waitcnt lgkmcnt(0)
	; wave barrier
	s_waitcnt lgkmcnt(0)
	s_and_saveexec_b64 s[2:3], s[0:1]
	s_cbranch_execz .LBB69_19
; %bb.18:
	v_mov_b32_e32 v16, 0
	ds_read_b64 v[4:5], v18
	ds_read_b64 v[16:17], v16 offset:8
	s_waitcnt lgkmcnt(1)
	v_fma_f64 v[4:5], v[14:15], v[4:5], 0
	s_waitcnt lgkmcnt(0)
	v_mul_f64 v[4:5], v[4:5], v[16:17]
.LBB69_19:
	s_or_b64 exec, exec, s[2:3]
	v_cmp_gt_u32_e32 vcc, 2, v0
	s_waitcnt lgkmcnt(0)
	; wave barrier
	ds_write_b64 v18, v[6:7]
	s_waitcnt lgkmcnt(0)
	; wave barrier
	s_waitcnt lgkmcnt(0)
	s_and_saveexec_b64 s[12:13], vcc
	s_cbranch_execz .LBB69_21
; %bb.20:
	v_cmp_eq_u32_e32 vcc, 1, v0
	v_cndmask_b32_e32 v14, v3, v5, vcc
	v_cmp_eq_u32_e64 s[2:3], 2, v0
	v_cndmask_b32_e64 v7, v14, v7, s[2:3]
	v_cndmask_b32_e32 v14, v2, v4, vcc
	v_cndmask_b32_e64 v6, v14, v6, s[2:3]
	ds_read_b64 v[20:21], v18
	v_mov_b32_e32 v14, 0
	v_cmp_eq_u32_e64 s[4:5], 3, v0
	ds_read2_b64 v[14:17], v14 offset0:2 offset1:7
	v_cndmask_b32_e64 v7, v7, v9, s[4:5]
	v_cmp_eq_u32_e64 s[8:9], 4, v0
	v_cndmask_b32_e64 v6, v6, v8, s[4:5]
	v_cndmask_b32_e64 v7, v7, v11, s[8:9]
	v_cmp_eq_u32_e64 s[10:11], 5, v0
	v_cndmask_b32_e64 v6, v6, v10, s[8:9]
	v_cndmask_b32_e64 v7, v7, v13, s[10:11]
	;; [unrolled: 1-line block ×3, first 2 shown]
	s_waitcnt lgkmcnt(1)
	v_fma_f64 v[6:7], v[6:7], v[20:21], 0
	s_waitcnt lgkmcnt(0)
	v_fma_f64 v[16:17], v[4:5], v[16:17], v[6:7]
	v_cndmask_b32_e64 v7, v7, v17, s[0:1]
	v_cndmask_b32_e64 v6, v6, v16, s[0:1]
	v_mul_f64 v[6:7], v[6:7], v[14:15]
.LBB69_21:
	s_or_b64 exec, exec, s[12:13]
	v_cmp_gt_u32_e32 vcc, 3, v0
	s_waitcnt lgkmcnt(0)
	; wave barrier
	ds_write_b64 v18, v[8:9]
	s_waitcnt lgkmcnt(0)
	; wave barrier
	s_waitcnt lgkmcnt(0)
	s_and_saveexec_b64 s[4:5], vcc
	s_cbranch_execz .LBB69_25
; %bb.22:
	v_lshl_add_u32 v19, v0, 3, 48
	s_mov_b64 s[8:9], 0
	v_pk_mov_b32 v[14:15], 0, 0
	v_pk_mov_b32 v[16:17], v[0:1], v[0:1] op_sel:[0,1]
.LBB69_23:                              ; =>This Inner Loop Header: Depth=1
	v_cmp_eq_u32_e32 vcc, 1, v16
	v_cndmask_b32_e32 v22, v3, v5, vcc
	v_cmp_eq_u32_e64 s[0:1], 2, v16
	ds_read_b64 v[20:21], v19
	v_cndmask_b32_e64 v22, v22, v7, s[0:1]
	v_cndmask_b32_e32 v23, v2, v4, vcc
	v_cmp_eq_u32_e32 vcc, 3, v16
	v_cndmask_b32_e32 v22, v22, v9, vcc
	v_cndmask_b32_e64 v23, v23, v6, s[0:1]
	v_cmp_eq_u32_e64 s[0:1], 4, v16
	v_cndmask_b32_e64 v22, v22, v11, s[0:1]
	v_cmp_eq_u32_e64 s[2:3], 5, v16
	v_cndmask_b32_e32 v24, v23, v8, vcc
	v_add_co_u32_e32 v16, vcc, 1, v16
	v_addc_co_u32_e32 v17, vcc, 0, v17, vcc
	v_cndmask_b32_e64 v23, v22, v13, s[2:3]
	v_cndmask_b32_e64 v22, v24, v10, s[0:1]
	v_add_u32_e32 v24, -1, v16
	v_cndmask_b32_e64 v22, v22, v12, s[2:3]
	v_cmp_lt_u32_e32 vcc, 1, v24
	v_add_u32_e32 v19, 8, v19
	s_or_b64 s[8:9], vcc, s[8:9]
	s_waitcnt lgkmcnt(0)
	v_fmac_f64_e32 v[14:15], v[22:23], v[20:21]
	s_andn2_b64 exec, exec, s[8:9]
	s_cbranch_execnz .LBB69_23
; %bb.24:
	s_or_b64 exec, exec, s[8:9]
	v_mov_b32_e32 v8, 0
	ds_read_b64 v[8:9], v8 offset:24
	s_waitcnt lgkmcnt(0)
	v_mul_f64 v[8:9], v[14:15], v[8:9]
.LBB69_25:
	s_or_b64 exec, exec, s[4:5]
	v_cmp_gt_u32_e32 vcc, 4, v0
	s_waitcnt lgkmcnt(0)
	; wave barrier
	ds_write_b64 v18, v[10:11]
	s_waitcnt lgkmcnt(0)
	; wave barrier
	s_waitcnt lgkmcnt(0)
	s_and_saveexec_b64 s[4:5], vcc
	s_cbranch_execz .LBB69_29
; %bb.26:
	v_lshl_add_u32 v19, v0, 3, 48
	s_mov_b64 s[8:9], 0
	v_pk_mov_b32 v[14:15], 0, 0
	v_pk_mov_b32 v[16:17], v[0:1], v[0:1] op_sel:[0,1]
.LBB69_27:                              ; =>This Inner Loop Header: Depth=1
	v_cmp_eq_u32_e32 vcc, 1, v16
	v_cndmask_b32_e32 v22, v3, v5, vcc
	v_cmp_eq_u32_e64 s[0:1], 2, v16
	ds_read_b64 v[20:21], v19
	v_cndmask_b32_e64 v22, v22, v7, s[0:1]
	v_cndmask_b32_e32 v23, v2, v4, vcc
	v_cmp_eq_u32_e32 vcc, 3, v16
	v_cndmask_b32_e32 v22, v22, v9, vcc
	v_cndmask_b32_e64 v23, v23, v6, s[0:1]
	v_cmp_eq_u32_e64 s[0:1], 4, v16
	v_cndmask_b32_e64 v22, v22, v11, s[0:1]
	v_cmp_eq_u32_e64 s[2:3], 5, v16
	v_cndmask_b32_e32 v24, v23, v8, vcc
	v_add_co_u32_e32 v16, vcc, 1, v16
	v_addc_co_u32_e32 v17, vcc, 0, v17, vcc
	v_cndmask_b32_e64 v23, v22, v13, s[2:3]
	v_cndmask_b32_e64 v22, v24, v10, s[0:1]
	v_add_u32_e32 v24, -1, v16
	v_cndmask_b32_e64 v22, v22, v12, s[2:3]
	v_cmp_lt_u32_e32 vcc, 2, v24
	v_add_u32_e32 v19, 8, v19
	s_or_b64 s[8:9], vcc, s[8:9]
	s_waitcnt lgkmcnt(0)
	v_fmac_f64_e32 v[14:15], v[22:23], v[20:21]
	s_andn2_b64 exec, exec, s[8:9]
	s_cbranch_execnz .LBB69_27
; %bb.28:
	s_or_b64 exec, exec, s[8:9]
	v_mov_b32_e32 v10, 0
	ds_read_b64 v[10:11], v10 offset:32
	s_waitcnt lgkmcnt(0)
	v_mul_f64 v[10:11], v[14:15], v[10:11]
.LBB69_29:
	s_or_b64 exec, exec, s[4:5]
	v_cmp_ne_u32_e32 vcc, 5, v0
	s_waitcnt lgkmcnt(0)
	; wave barrier
	ds_write_b64 v18, v[12:13]
	s_waitcnt lgkmcnt(0)
	; wave barrier
	s_waitcnt lgkmcnt(0)
	s_and_saveexec_b64 s[4:5], vcc
	s_cbranch_execz .LBB69_33
; %bb.30:
	v_lshl_add_u32 v18, v0, 3, 48
	s_mov_b64 s[8:9], 0
	v_pk_mov_b32 v[14:15], 0, 0
	v_pk_mov_b32 v[16:17], v[0:1], v[0:1] op_sel:[0,1]
.LBB69_31:                              ; =>This Inner Loop Header: Depth=1
	v_cmp_eq_u32_e32 vcc, 1, v16
	v_cndmask_b32_e32 v1, v3, v5, vcc
	v_cmp_eq_u32_e64 s[0:1], 2, v16
	ds_read_b64 v[20:21], v18
	v_cndmask_b32_e64 v1, v1, v7, s[0:1]
	v_cndmask_b32_e32 v19, v2, v4, vcc
	v_cmp_eq_u32_e32 vcc, 3, v16
	v_cndmask_b32_e32 v1, v1, v9, vcc
	v_cndmask_b32_e64 v19, v19, v6, s[0:1]
	v_cmp_eq_u32_e64 s[0:1], 4, v16
	v_cndmask_b32_e64 v1, v1, v11, s[0:1]
	v_cmp_eq_u32_e64 s[2:3], 5, v16
	v_cndmask_b32_e32 v19, v19, v8, vcc
	v_add_co_u32_e32 v16, vcc, 1, v16
	v_addc_co_u32_e32 v17, vcc, 0, v17, vcc
	v_cndmask_b32_e64 v23, v1, v13, s[2:3]
	v_cndmask_b32_e64 v1, v19, v10, s[0:1]
	v_add_u32_e32 v19, -1, v16
	v_cndmask_b32_e64 v22, v1, v12, s[2:3]
	v_cmp_lt_u32_e32 vcc, 3, v19
	v_add_u32_e32 v18, 8, v18
	s_or_b64 s[8:9], vcc, s[8:9]
	s_waitcnt lgkmcnt(0)
	v_fmac_f64_e32 v[14:15], v[22:23], v[20:21]
	s_andn2_b64 exec, exec, s[8:9]
	s_cbranch_execnz .LBB69_31
; %bb.32:
	s_or_b64 exec, exec, s[8:9]
	v_mov_b32_e32 v1, 0
	ds_read_b64 v[12:13], v1 offset:40
	s_waitcnt lgkmcnt(0)
	v_mul_f64 v[12:13], v[14:15], v[12:13]
.LBB69_33:
	s_or_b64 exec, exec, s[4:5]
	s_waitcnt lgkmcnt(0)
	; wave barrier
	s_cbranch_execnz .LBB69_15
	s_branch .LBB69_16
.LBB69_34:
	v_lshl_add_u32 v1, v0, 3, 48
	v_cmp_eq_u32_e32 vcc, 5, v0
	s_and_saveexec_b64 s[0:1], vcc
	s_cbranch_execz .LBB69_36
; %bb.35:
	v_mov_b32_e32 v22, 0
	v_mov_b32_e32 v14, v2
	;; [unrolled: 1-line block ×12, first 2 shown]
	ds_write_b64 v1, v[10:11]
	v_pk_mov_b32 v[2:3], v[14:15], v[14:15] op_sel:[0,1]
	v_pk_mov_b32 v[4:5], v[16:17], v[16:17] op_sel:[0,1]
	;; [unrolled: 1-line block ×8, first 2 shown]
.LBB69_36:
	s_or_b64 exec, exec, s[0:1]
	v_mov_b32_e32 v20, 0
	s_waitcnt lgkmcnt(0)
	; wave barrier
	s_waitcnt lgkmcnt(0)
	ds_read_b64 v[14:15], v20 offset:88
	v_cmp_lt_u32_e32 vcc, 3, v0
	s_waitcnt lgkmcnt(0)
	v_fma_f64 v[14:15], v[12:13], v[14:15], 0
	v_add_f64 v[10:11], v[10:11], -v[14:15]
	s_and_saveexec_b64 s[0:1], vcc
	s_cbranch_execz .LBB69_38
; %bb.37:
	v_mov_b32_e32 v14, v2
	v_mov_b32_e32 v15, v3
	;; [unrolled: 1-line block ×11, first 2 shown]
	ds_write_b64 v1, v[8:9]
	v_pk_mov_b32 v[2:3], v[14:15], v[14:15] op_sel:[0,1]
	v_pk_mov_b32 v[4:5], v[16:17], v[16:17] op_sel:[0,1]
	;; [unrolled: 1-line block ×8, first 2 shown]
.LBB69_38:
	s_or_b64 exec, exec, s[0:1]
	s_waitcnt lgkmcnt(0)
	; wave barrier
	s_waitcnt lgkmcnt(0)
	ds_read_b128 v[14:17], v20 offset:80
	v_cmp_lt_u32_e32 vcc, 2, v0
	s_waitcnt lgkmcnt(0)
	v_fma_f64 v[14:15], v[10:11], v[14:15], 0
	v_fmac_f64_e32 v[14:15], v[12:13], v[16:17]
	v_add_f64 v[8:9], v[8:9], -v[14:15]
	s_and_saveexec_b64 s[0:1], vcc
	s_cbranch_execz .LBB69_40
; %bb.39:
	v_mov_b32_e32 v18, 0
	v_mov_b32_e32 v14, v2
	;; [unrolled: 1-line block ×12, first 2 shown]
	ds_write_b64 v1, v[6:7]
	v_pk_mov_b32 v[2:3], v[14:15], v[14:15] op_sel:[0,1]
	v_pk_mov_b32 v[4:5], v[16:17], v[16:17] op_sel:[0,1]
	;; [unrolled: 1-line block ×8, first 2 shown]
.LBB69_40:
	s_or_b64 exec, exec, s[0:1]
	v_mov_b32_e32 v18, 0
	s_waitcnt lgkmcnt(0)
	; wave barrier
	s_waitcnt lgkmcnt(0)
	ds_read2_b64 v[14:17], v18 offset0:9 offset1:10
	ds_read_b64 v[20:21], v18 offset:88
	v_cmp_lt_u32_e32 vcc, 1, v0
	s_waitcnt lgkmcnt(1)
	v_fma_f64 v[14:15], v[8:9], v[14:15], 0
	v_fmac_f64_e32 v[14:15], v[10:11], v[16:17]
	s_waitcnt lgkmcnt(0)
	v_fmac_f64_e32 v[14:15], v[12:13], v[20:21]
	v_add_f64 v[6:7], v[6:7], -v[14:15]
	s_and_saveexec_b64 s[0:1], vcc
	s_cbranch_execz .LBB69_42
; %bb.41:
	v_mov_b32_e32 v16, v2
	v_mov_b32_e32 v17, v3
	;; [unrolled: 1-line block ×11, first 2 shown]
	ds_write_b64 v1, v[4:5]
	v_pk_mov_b32 v[2:3], v[16:17], v[16:17] op_sel:[0,1]
	v_pk_mov_b32 v[4:5], v[18:19], v[18:19] op_sel:[0,1]
	;; [unrolled: 1-line block ×8, first 2 shown]
.LBB69_42:
	s_or_b64 exec, exec, s[0:1]
	s_waitcnt lgkmcnt(0)
	; wave barrier
	s_waitcnt lgkmcnt(0)
	ds_read_b128 v[14:17], v18 offset:64
	ds_read_b128 v[18:21], v18 offset:80
	v_cmp_ne_u32_e32 vcc, 0, v0
	s_waitcnt lgkmcnt(1)
	v_fma_f64 v[14:15], v[6:7], v[14:15], 0
	v_fmac_f64_e32 v[14:15], v[8:9], v[16:17]
	s_waitcnt lgkmcnt(0)
	v_fmac_f64_e32 v[14:15], v[10:11], v[18:19]
	v_fmac_f64_e32 v[14:15], v[12:13], v[20:21]
	v_add_f64 v[4:5], v[4:5], -v[14:15]
	s_and_saveexec_b64 s[0:1], vcc
	s_cbranch_execz .LBB69_44
; %bb.43:
	v_mov_b32_e32 v14, 0
	v_mov_b32_e32 v15, v14
	;; [unrolled: 1-line block ×12, first 2 shown]
	ds_write_b64 v1, v[2:3]
	v_pk_mov_b32 v[2:3], v[14:15], v[14:15] op_sel:[0,1]
	v_pk_mov_b32 v[4:5], v[16:17], v[16:17] op_sel:[0,1]
	;; [unrolled: 1-line block ×8, first 2 shown]
.LBB69_44:
	s_or_b64 exec, exec, s[0:1]
	v_mov_b32_e32 v0, 0
	s_waitcnt lgkmcnt(0)
	; wave barrier
	s_waitcnt lgkmcnt(0)
	ds_read2_b64 v[14:17], v0 offset0:7 offset1:8
	ds_read2_b64 v[18:21], v0 offset0:9 offset1:10
	ds_read_b64 v[0:1], v0 offset:88
	s_and_b64 vcc, exec, s[18:19]
	s_waitcnt lgkmcnt(2)
	v_fma_f64 v[14:15], v[4:5], v[14:15], 0
	v_fmac_f64_e32 v[14:15], v[6:7], v[16:17]
	s_waitcnt lgkmcnt(1)
	v_fmac_f64_e32 v[14:15], v[8:9], v[18:19]
	v_fmac_f64_e32 v[14:15], v[10:11], v[20:21]
	s_waitcnt lgkmcnt(0)
	v_fmac_f64_e32 v[14:15], v[12:13], v[0:1]
	v_add_f64 v[2:3], v[2:3], -v[14:15]
	s_cbranch_vccz .LBB69_56
; %bb.45:
	v_pk_mov_b32 v[0:1], s[16:17], s[16:17] op_sel:[0,1]
	flat_load_dword v0, v[0:1] offset:16
	s_waitcnt vmcnt(0) lgkmcnt(0)
	v_add_u32_e32 v0, -1, v0
	v_cmp_ne_u32_e32 vcc, 4, v0
	s_and_saveexec_b64 s[8:9], vcc
	s_cbranch_execz .LBB69_47
; %bb.46:
	v_cmp_eq_u32_e32 vcc, 1, v0
	v_cndmask_b32_e32 v1, v2, v4, vcc
	v_cmp_eq_u32_e64 s[0:1], 2, v0
	v_cndmask_b32_e32 v14, v3, v5, vcc
	v_cndmask_b32_e64 v1, v1, v6, s[0:1]
	v_cmp_eq_u32_e64 s[2:3], 3, v0
	v_cndmask_b32_e64 v14, v14, v7, s[0:1]
	v_cndmask_b32_e64 v1, v1, v8, s[2:3]
	v_cmp_eq_u32_e64 s[4:5], 4, v0
	v_cndmask_b32_e64 v14, v14, v9, s[2:3]
	v_cndmask_b32_e64 v1, v1, v10, s[4:5]
	v_cmp_eq_u32_e64 s[6:7], 5, v0
	v_cndmask_b32_e64 v14, v14, v11, s[4:5]
	v_cndmask_b32_e64 v1, v1, v12, s[6:7]
	v_cndmask_b32_e64 v14, v14, v13, s[6:7]
	v_cndmask_b32_e64 v21, v13, v11, s[6:7]
	v_cndmask_b32_e64 v20, v12, v10, s[6:7]
	v_cndmask_b32_e32 v13, v5, v11, vcc
	v_cndmask_b32_e32 v12, v4, v10, vcc
	v_cmp_eq_u32_e32 vcc, 0, v0
	v_cndmask_b32_e64 v19, v14, v11, s[4:5]
	v_cndmask_b32_e64 v18, v1, v10, s[4:5]
	v_cndmask_b32_e64 v17, v9, v11, s[2:3]
	v_cndmask_b32_e64 v16, v8, v10, s[2:3]
	v_cndmask_b32_e64 v15, v7, v11, s[0:1]
	v_cndmask_b32_e64 v14, v6, v10, s[0:1]
	v_cndmask_b32_e32 v11, v3, v11, vcc
	v_cndmask_b32_e32 v10, v2, v10, vcc
	v_pk_mov_b32 v[2:3], v[10:11], v[10:11] op_sel:[0,1]
	v_pk_mov_b32 v[4:5], v[12:13], v[12:13] op_sel:[0,1]
	v_pk_mov_b32 v[6:7], v[14:15], v[14:15] op_sel:[0,1]
	v_pk_mov_b32 v[8:9], v[16:17], v[16:17] op_sel:[0,1]
	v_pk_mov_b32 v[10:11], v[18:19], v[18:19] op_sel:[0,1]
	v_pk_mov_b32 v[12:13], v[20:21], v[20:21] op_sel:[0,1]
	v_pk_mov_b32 v[14:15], v[22:23], v[22:23] op_sel:[0,1]
	v_pk_mov_b32 v[16:17], v[24:25], v[24:25] op_sel:[0,1]
.LBB69_47:
	s_or_b64 exec, exec, s[8:9]
	v_pk_mov_b32 v[0:1], s[16:17], s[16:17] op_sel:[0,1]
	flat_load_dword v0, v[0:1] offset:12
	s_waitcnt vmcnt(0) lgkmcnt(0)
	v_add_u32_e32 v0, -1, v0
	v_cmp_ne_u32_e32 vcc, 3, v0
	s_and_saveexec_b64 s[8:9], vcc
	s_cbranch_execz .LBB69_49
; %bb.48:
	v_cmp_eq_u32_e32 vcc, 1, v0
	v_cndmask_b32_e32 v1, v2, v4, vcc
	v_cmp_eq_u32_e64 s[0:1], 2, v0
	v_cndmask_b32_e32 v14, v3, v5, vcc
	v_cndmask_b32_e64 v1, v1, v6, s[0:1]
	v_cmp_eq_u32_e64 s[2:3], 3, v0
	v_cndmask_b32_e64 v14, v14, v7, s[0:1]
	v_cndmask_b32_e64 v1, v1, v8, s[2:3]
	v_cmp_eq_u32_e64 s[4:5], 4, v0
	v_cndmask_b32_e64 v14, v14, v9, s[2:3]
	v_cndmask_b32_e64 v1, v1, v10, s[4:5]
	v_cmp_eq_u32_e64 s[6:7], 5, v0
	v_cndmask_b32_e64 v14, v14, v11, s[4:5]
	v_cndmask_b32_e64 v1, v1, v12, s[6:7]
	v_cndmask_b32_e64 v14, v14, v13, s[6:7]
	v_cndmask_b32_e64 v17, v11, v9, s[4:5]
	v_cndmask_b32_e64 v16, v10, v8, s[4:5]
	v_cndmask_b32_e32 v11, v5, v9, vcc
	v_cndmask_b32_e32 v10, v4, v8, vcc
	v_cmp_eq_u32_e32 vcc, 0, v0
	v_cndmask_b32_e64 v15, v14, v9, s[2:3]
	v_cndmask_b32_e64 v14, v1, v8, s[2:3]
	v_cndmask_b32_e64 v19, v13, v9, s[6:7]
	v_cndmask_b32_e64 v18, v12, v8, s[6:7]
	v_cndmask_b32_e64 v13, v7, v9, s[0:1]
	v_cndmask_b32_e64 v12, v6, v8, s[0:1]
	v_cndmask_b32_e32 v9, v3, v9, vcc
	v_cndmask_b32_e32 v8, v2, v8, vcc
	v_pk_mov_b32 v[2:3], v[8:9], v[8:9] op_sel:[0,1]
	v_pk_mov_b32 v[4:5], v[10:11], v[10:11] op_sel:[0,1]
	v_pk_mov_b32 v[6:7], v[12:13], v[12:13] op_sel:[0,1]
	v_pk_mov_b32 v[8:9], v[14:15], v[14:15] op_sel:[0,1]
	v_pk_mov_b32 v[10:11], v[16:17], v[16:17] op_sel:[0,1]
	v_pk_mov_b32 v[12:13], v[18:19], v[18:19] op_sel:[0,1]
	v_pk_mov_b32 v[14:15], v[20:21], v[20:21] op_sel:[0,1]
	v_pk_mov_b32 v[16:17], v[22:23], v[22:23] op_sel:[0,1]
.LBB69_49:
	s_or_b64 exec, exec, s[8:9]
	;; [unrolled: 46-line block ×3, first 2 shown]
	v_pk_mov_b32 v[0:1], s[16:17], s[16:17] op_sel:[0,1]
	flat_load_dword v0, v[0:1] offset:4
	s_waitcnt vmcnt(0) lgkmcnt(0)
	v_add_u32_e32 v0, -1, v0
	v_cmp_ne_u32_e32 vcc, 1, v0
	s_and_saveexec_b64 s[8:9], vcc
	s_cbranch_execz .LBB69_53
; %bb.52:
	v_cmp_eq_u32_e32 vcc, 1, v0
	v_cndmask_b32_e32 v1, v2, v4, vcc
	v_cmp_eq_u32_e64 s[0:1], 2, v0
	v_cndmask_b32_e32 v14, v3, v5, vcc
	v_cndmask_b32_e64 v1, v1, v6, s[0:1]
	v_cmp_eq_u32_e64 s[2:3], 3, v0
	v_cndmask_b32_e64 v14, v14, v7, s[0:1]
	v_cndmask_b32_e64 v1, v1, v8, s[2:3]
	v_cmp_eq_u32_e64 s[4:5], 4, v0
	v_cndmask_b32_e64 v14, v14, v9, s[2:3]
	;; [unrolled: 3-line block ×3, first 2 shown]
	v_cndmask_b32_e64 v1, v1, v12, s[6:7]
	v_cndmask_b32_e64 v14, v14, v13, s[6:7]
	v_cndmask_b32_e32 v15, v14, v5, vcc
	v_cndmask_b32_e32 v14, v1, v4, vcc
	v_cmp_eq_u32_e32 vcc, 0, v0
	v_cndmask_b32_e64 v23, v13, v5, s[6:7]
	v_cndmask_b32_e64 v22, v12, v4, s[6:7]
	;; [unrolled: 1-line block ×4, first 2 shown]
	v_cndmask_b32_e32 v13, v3, v5, vcc
	v_cndmask_b32_e32 v12, v2, v4, vcc
	v_cndmask_b32_e64 v21, v11, v5, s[4:5]
	v_cndmask_b32_e64 v20, v10, v4, s[4:5]
	;; [unrolled: 1-line block ×4, first 2 shown]
	v_pk_mov_b32 v[2:3], v[12:13], v[12:13] op_sel:[0,1]
	v_pk_mov_b32 v[4:5], v[14:15], v[14:15] op_sel:[0,1]
	;; [unrolled: 1-line block ×8, first 2 shown]
.LBB69_53:
	s_or_b64 exec, exec, s[8:9]
	v_pk_mov_b32 v[0:1], s[16:17], s[16:17] op_sel:[0,1]
	flat_load_dword v0, v[0:1]
	s_waitcnt vmcnt(0) lgkmcnt(0)
	v_add_u32_e32 v0, -1, v0
	v_cmp_ne_u32_e32 vcc, 0, v0
	s_and_saveexec_b64 s[10:11], vcc
	s_cbranch_execz .LBB69_55
; %bb.54:
	v_cmp_eq_u32_e32 vcc, 1, v0
	v_cndmask_b32_e32 v1, v2, v4, vcc
	v_cmp_eq_u32_e64 s[0:1], 2, v0
	v_cndmask_b32_e32 v14, v3, v5, vcc
	v_cndmask_b32_e64 v1, v1, v6, s[0:1]
	v_cmp_eq_u32_e64 s[2:3], 3, v0
	v_cndmask_b32_e64 v14, v14, v7, s[0:1]
	v_cndmask_b32_e64 v1, v1, v8, s[2:3]
	v_cmp_eq_u32_e64 s[4:5], 4, v0
	v_cndmask_b32_e64 v14, v14, v9, s[2:3]
	v_cndmask_b32_e64 v1, v1, v10, s[4:5]
	v_cmp_eq_u32_e64 s[6:7], 5, v0
	v_cndmask_b32_e64 v14, v14, v11, s[4:5]
	v_cndmask_b32_e64 v1, v1, v12, s[6:7]
	v_cndmask_b32_e64 v14, v14, v13, s[6:7]
	v_cmp_eq_u32_e64 s[8:9], 0, v0
	v_cndmask_b32_e64 v15, v14, v3, s[8:9]
	v_cndmask_b32_e64 v14, v1, v2, s[8:9]
	v_cndmask_b32_e32 v17, v5, v3, vcc
	v_cndmask_b32_e32 v16, v4, v2, vcc
	v_cndmask_b32_e64 v25, v13, v3, s[6:7]
	v_cndmask_b32_e64 v24, v12, v2, s[6:7]
	;; [unrolled: 1-line block ×8, first 2 shown]
	v_pk_mov_b32 v[2:3], v[14:15], v[14:15] op_sel:[0,1]
	v_pk_mov_b32 v[4:5], v[16:17], v[16:17] op_sel:[0,1]
	;; [unrolled: 1-line block ×8, first 2 shown]
.LBB69_55:
	s_or_b64 exec, exec, s[10:11]
.LBB69_56:
	global_store_dwordx2 v[28:29], v[2:3], off
	global_store_dwordx2 v[30:31], v[4:5], off
	;; [unrolled: 1-line block ×6, first 2 shown]
	s_endpgm
	.section	.rodata,"a",@progbits
	.p2align	6, 0x0
	.amdhsa_kernel _ZN9rocsolver6v33100L18getri_kernel_smallILi6EdPKPdEEvT1_iilPiilS6_bb
		.amdhsa_group_segment_fixed_size 104
		.amdhsa_private_segment_fixed_size 0
		.amdhsa_kernarg_size 60
		.amdhsa_user_sgpr_count 6
		.amdhsa_user_sgpr_private_segment_buffer 1
		.amdhsa_user_sgpr_dispatch_ptr 0
		.amdhsa_user_sgpr_queue_ptr 0
		.amdhsa_user_sgpr_kernarg_segment_ptr 1
		.amdhsa_user_sgpr_dispatch_id 0
		.amdhsa_user_sgpr_flat_scratch_init 0
		.amdhsa_user_sgpr_kernarg_preload_length 0
		.amdhsa_user_sgpr_kernarg_preload_offset 0
		.amdhsa_user_sgpr_private_segment_size 0
		.amdhsa_uses_dynamic_stack 0
		.amdhsa_system_sgpr_private_segment_wavefront_offset 0
		.amdhsa_system_sgpr_workgroup_id_x 1
		.amdhsa_system_sgpr_workgroup_id_y 0
		.amdhsa_system_sgpr_workgroup_id_z 0
		.amdhsa_system_sgpr_workgroup_info 0
		.amdhsa_system_vgpr_workitem_id 0
		.amdhsa_next_free_vgpr 40
		.amdhsa_next_free_sgpr 20
		.amdhsa_accum_offset 40
		.amdhsa_reserve_vcc 1
		.amdhsa_reserve_flat_scratch 0
		.amdhsa_float_round_mode_32 0
		.amdhsa_float_round_mode_16_64 0
		.amdhsa_float_denorm_mode_32 3
		.amdhsa_float_denorm_mode_16_64 3
		.amdhsa_dx10_clamp 1
		.amdhsa_ieee_mode 1
		.amdhsa_fp16_overflow 0
		.amdhsa_tg_split 0
		.amdhsa_exception_fp_ieee_invalid_op 0
		.amdhsa_exception_fp_denorm_src 0
		.amdhsa_exception_fp_ieee_div_zero 0
		.amdhsa_exception_fp_ieee_overflow 0
		.amdhsa_exception_fp_ieee_underflow 0
		.amdhsa_exception_fp_ieee_inexact 0
		.amdhsa_exception_int_div_zero 0
	.end_amdhsa_kernel
	.section	.text._ZN9rocsolver6v33100L18getri_kernel_smallILi6EdPKPdEEvT1_iilPiilS6_bb,"axG",@progbits,_ZN9rocsolver6v33100L18getri_kernel_smallILi6EdPKPdEEvT1_iilPiilS6_bb,comdat
.Lfunc_end69:
	.size	_ZN9rocsolver6v33100L18getri_kernel_smallILi6EdPKPdEEvT1_iilPiilS6_bb, .Lfunc_end69-_ZN9rocsolver6v33100L18getri_kernel_smallILi6EdPKPdEEvT1_iilPiilS6_bb
                                        ; -- End function
	.section	.AMDGPU.csdata,"",@progbits
; Kernel info:
; codeLenInByte = 4468
; NumSgprs: 24
; NumVgprs: 40
; NumAgprs: 0
; TotalNumVgprs: 40
; ScratchSize: 0
; MemoryBound: 0
; FloatMode: 240
; IeeeMode: 1
; LDSByteSize: 104 bytes/workgroup (compile time only)
; SGPRBlocks: 2
; VGPRBlocks: 4
; NumSGPRsForWavesPerEU: 24
; NumVGPRsForWavesPerEU: 40
; AccumOffset: 40
; Occupancy: 8
; WaveLimiterHint : 1
; COMPUTE_PGM_RSRC2:SCRATCH_EN: 0
; COMPUTE_PGM_RSRC2:USER_SGPR: 6
; COMPUTE_PGM_RSRC2:TRAP_HANDLER: 0
; COMPUTE_PGM_RSRC2:TGID_X_EN: 1
; COMPUTE_PGM_RSRC2:TGID_Y_EN: 0
; COMPUTE_PGM_RSRC2:TGID_Z_EN: 0
; COMPUTE_PGM_RSRC2:TIDIG_COMP_CNT: 0
; COMPUTE_PGM_RSRC3_GFX90A:ACCUM_OFFSET: 9
; COMPUTE_PGM_RSRC3_GFX90A:TG_SPLIT: 0
	.section	.text._ZN9rocsolver6v33100L18getri_kernel_smallILi7EdPKPdEEvT1_iilPiilS6_bb,"axG",@progbits,_ZN9rocsolver6v33100L18getri_kernel_smallILi7EdPKPdEEvT1_iilPiilS6_bb,comdat
	.globl	_ZN9rocsolver6v33100L18getri_kernel_smallILi7EdPKPdEEvT1_iilPiilS6_bb ; -- Begin function _ZN9rocsolver6v33100L18getri_kernel_smallILi7EdPKPdEEvT1_iilPiilS6_bb
	.p2align	8
	.type	_ZN9rocsolver6v33100L18getri_kernel_smallILi7EdPKPdEEvT1_iilPiilS6_bb,@function
_ZN9rocsolver6v33100L18getri_kernel_smallILi7EdPKPdEEvT1_iilPiilS6_bb: ; @_ZN9rocsolver6v33100L18getri_kernel_smallILi7EdPKPdEEvT1_iilPiilS6_bb
; %bb.0:
	v_cmp_gt_u32_e32 vcc, 7, v0
	s_and_saveexec_b64 s[0:1], vcc
	s_cbranch_execz .LBB70_16
; %bb.1:
	s_load_dword s8, s[4:5], 0x38
	s_load_dwordx2 s[0:1], s[4:5], 0x0
	s_load_dwordx4 s[12:15], s[4:5], 0x28
                                        ; implicit-def: $sgpr16_sgpr17
	s_waitcnt lgkmcnt(0)
	s_bitcmp1_b32 s8, 8
	s_cselect_b64 s[18:19], -1, 0
	s_ashr_i32 s7, s6, 31
	s_lshl_b64 s[2:3], s[6:7], 3
	s_add_u32 s0, s0, s2
	s_addc_u32 s1, s1, s3
	s_load_dwordx2 s[2:3], s[0:1], 0x0
	s_bfe_u32 s0, s8, 0x10008
	s_cmp_eq_u32 s0, 0
	s_cbranch_scc1 .LBB70_3
; %bb.2:
	s_load_dword s0, s[4:5], 0x20
	s_load_dwordx2 s[10:11], s[4:5], 0x18
	s_mul_i32 s1, s6, s13
	s_mul_hi_u32 s9, s6, s12
	s_add_i32 s9, s9, s1
	s_mul_i32 s13, s7, s12
	s_add_i32 s13, s9, s13
	s_mul_i32 s12, s6, s12
	s_waitcnt lgkmcnt(0)
	s_ashr_i32 s1, s0, 31
	s_lshl_b64 s[12:13], s[12:13], 2
	s_add_u32 s9, s10, s12
	s_addc_u32 s10, s11, s13
	s_lshl_b64 s[0:1], s[0:1], 2
	s_add_u32 s16, s9, s0
	s_addc_u32 s17, s10, s1
.LBB70_3:
	s_load_dwordx2 s[0:1], s[4:5], 0x8
	v_lshlrev_b32_e32 v18, 3, v0
	s_waitcnt lgkmcnt(0)
	s_ashr_i32 s5, s0, 31
	s_mov_b32 s4, s0
	s_lshl_b64 s[4:5], s[4:5], 3
	s_add_u32 s2, s2, s4
	s_addc_u32 s3, s3, s5
	v_mov_b32_e32 v1, s3
	v_add_co_u32_e32 v32, vcc, s2, v18
	s_ashr_i32 s5, s1, 31
	s_mov_b32 s4, s1
	s_add_i32 s0, s1, s1
	v_addc_co_u32_e32 v33, vcc, 0, v1, vcc
	s_lshl_b64 s[4:5], s[4:5], 3
	v_add_u32_e32 v2, s0, v0
	v_mov_b32_e32 v1, s5
	v_add_co_u32_e32 v34, vcc, s4, v32
	v_ashrrev_i32_e32 v3, 31, v2
	v_addc_co_u32_e32 v35, vcc, v33, v1, vcc
	v_lshlrev_b64 v[4:5], 3, v[2:3]
	v_add_u32_e32 v2, s1, v2
	v_mov_b32_e32 v1, s3
	v_add_co_u32_e32 v36, vcc, s2, v4
	v_ashrrev_i32_e32 v3, 31, v2
	v_addc_co_u32_e32 v37, vcc, v1, v5, vcc
	v_lshlrev_b64 v[4:5], 3, v[2:3]
	v_add_u32_e32 v2, s1, v2
	v_add_co_u32_e32 v38, vcc, s2, v4
	v_ashrrev_i32_e32 v3, 31, v2
	v_addc_co_u32_e32 v39, vcc, v1, v5, vcc
	v_lshlrev_b64 v[4:5], 3, v[2:3]
	v_add_u32_e32 v2, s1, v2
	;; [unrolled: 5-line block ×3, first 2 shown]
	v_add_co_u32_e32 v42, vcc, s2, v12
	v_ashrrev_i32_e32 v3, 31, v2
	global_load_dwordx2 v[4:5], v[34:35], off
	global_load_dwordx2 v[6:7], v[36:37], off
	;; [unrolled: 1-line block ×4, first 2 shown]
	v_addc_co_u32_e32 v43, vcc, v1, v13, vcc
	v_lshlrev_b64 v[2:3], 3, v[2:3]
	v_add_co_u32_e32 v44, vcc, s2, v2
	global_load_dwordx2 v[12:13], v[42:43], off
	v_addc_co_u32_e32 v45, vcc, v1, v3, vcc
	global_load_dwordx2 v[2:3], v18, s[2:3]
	global_load_dwordx2 v[14:15], v[44:45], off
	v_mov_b32_e32 v1, 0
	s_bitcmp0_b32 s8, 0
	s_mov_b64 s[0:1], -1
	s_cbranch_scc1 .LBB70_14
; %bb.4:
	v_cmp_eq_u32_e64 s[0:1], 0, v0
	s_and_saveexec_b64 s[2:3], s[0:1]
	s_cbranch_execz .LBB70_6
; %bb.5:
	v_mov_b32_e32 v16, 0
	ds_write_b32 v16, v16 offset:56
.LBB70_6:
	s_or_b64 exec, exec, s[2:3]
	v_cmp_eq_u32_e32 vcc, 1, v0
	s_waitcnt vmcnt(1)
	v_cndmask_b32_e32 v16, v3, v5, vcc
	v_cmp_eq_u32_e64 s[2:3], 2, v0
	v_cndmask_b32_e64 v16, v16, v7, s[2:3]
	v_cmp_eq_u32_e64 s[4:5], 3, v0
	v_cndmask_b32_e64 v16, v16, v9, s[4:5]
	v_cmp_eq_u32_e64 s[8:9], 4, v0
	v_cndmask_b32_e64 v16, v16, v11, s[8:9]
	v_cmp_eq_u32_e64 s[10:11], 5, v0
	v_cndmask_b32_e64 v16, v16, v13, s[10:11]
	v_cmp_eq_u32_e64 s[12:13], 6, v0
	s_waitcnt vmcnt(0)
	v_cndmask_b32_e64 v17, v16, v15, s[12:13]
	v_cndmask_b32_e32 v16, v2, v4, vcc
	v_cndmask_b32_e64 v16, v16, v6, s[2:3]
	v_cndmask_b32_e64 v16, v16, v8, s[4:5]
	;; [unrolled: 1-line block ×5, first 2 shown]
	v_cmp_eq_f64_e32 vcc, 0, v[16:17]
	s_waitcnt lgkmcnt(0)
	; wave barrier
	s_waitcnt lgkmcnt(0)
	s_and_saveexec_b64 s[4:5], vcc
	s_cbranch_execz .LBB70_10
; %bb.7:
	v_mov_b32_e32 v19, 0
	ds_read_b32 v21, v19 offset:56
	v_add_u32_e32 v20, 1, v0
	s_waitcnt lgkmcnt(0)
	v_readfirstlane_b32 s2, v21
	s_cmp_eq_u32 s2, 0
	s_cselect_b64 s[8:9], -1, 0
	v_cmp_gt_i32_e32 vcc, s2, v20
	s_or_b64 s[8:9], s[8:9], vcc
	s_and_b64 exec, exec, s[8:9]
	s_cbranch_execz .LBB70_10
; %bb.8:
	s_mov_b64 s[8:9], 0
	v_mov_b32_e32 v21, s2
.LBB70_9:                               ; =>This Inner Loop Header: Depth=1
	ds_cmpst_rtn_b32 v21, v19, v21, v20 offset:56
	s_waitcnt lgkmcnt(0)
	v_cmp_ne_u32_e32 vcc, 0, v21
	v_cmp_le_i32_e64 s[2:3], v21, v20
	s_and_b64 s[2:3], vcc, s[2:3]
	s_and_b64 s[2:3], exec, s[2:3]
	s_or_b64 s[8:9], s[2:3], s[8:9]
	s_andn2_b64 exec, exec, s[8:9]
	s_cbranch_execnz .LBB70_9
.LBB70_10:
	s_or_b64 exec, exec, s[4:5]
	v_mov_b32_e32 v20, 0
	s_waitcnt lgkmcnt(0)
	; wave barrier
	ds_read_b32 v19, v20 offset:56
	s_and_saveexec_b64 s[2:3], s[0:1]
	s_cbranch_execz .LBB70_12
; %bb.11:
	s_lshl_b64 s[4:5], s[6:7], 2
	s_add_u32 s4, s14, s4
	s_addc_u32 s5, s15, s5
	s_waitcnt lgkmcnt(0)
	global_store_dword v20, v19, s[4:5]
.LBB70_12:
	s_or_b64 exec, exec, s[2:3]
	s_waitcnt lgkmcnt(0)
	v_cmp_ne_u32_e32 vcc, 0, v19
	s_cbranch_vccz .LBB70_17
; %bb.13:
	s_mov_b64 s[0:1], 0
                                        ; implicit-def: $vgpr2_vgpr3_vgpr4_vgpr5_vgpr6_vgpr7_vgpr8_vgpr9_vgpr10_vgpr11_vgpr12_vgpr13_vgpr14_vgpr15_vgpr16_vgpr17
.LBB70_14:
	s_and_b64 vcc, exec, s[0:1]
	s_cbranch_vccz .LBB70_16
.LBB70_15:
	s_lshl_b64 s[0:1], s[6:7], 2
	s_add_u32 s0, s14, s0
	s_addc_u32 s1, s15, s1
	v_mov_b32_e32 v1, 0
	global_load_dword v1, v1, s[0:1]
	s_waitcnt vmcnt(0)
	v_cmp_ne_u32_e32 vcc, 0, v1
	s_cbranch_vccz .LBB70_38
.LBB70_16:
	s_endpgm
.LBB70_17:
	v_div_scale_f64 v[20:21], s[2:3], v[16:17], v[16:17], 1.0
	v_rcp_f64_e32 v[22:23], v[20:21]
	v_div_scale_f64 v[24:25], vcc, 1.0, v[16:17], 1.0
	v_fma_f64 v[26:27], -v[20:21], v[22:23], 1.0
	v_fmac_f64_e32 v[22:23], v[22:23], v[26:27]
	v_fma_f64 v[26:27], -v[20:21], v[22:23], 1.0
	v_fmac_f64_e32 v[22:23], v[22:23], v[26:27]
	v_mul_f64 v[26:27], v[24:25], v[22:23]
	v_fma_f64 v[20:21], -v[20:21], v[26:27], v[24:25]
	v_div_fmas_f64 v[20:21], v[20:21], v[22:23], v[26:27]
	v_div_fixup_f64 v[16:17], v[20:21], v[16:17], 1.0
	v_cmp_eq_u32_e32 vcc, 6, v0
	v_cndmask_b32_e32 v15, v15, v17, vcc
	v_cndmask_b32_e32 v14, v14, v16, vcc
	v_cmp_eq_u32_e32 vcc, 5, v0
	v_cndmask_b32_e32 v13, v13, v17, vcc
	v_cndmask_b32_e32 v12, v12, v16, vcc
	;; [unrolled: 3-line block ×7, first 2 shown]
	v_xor_b32_e32 v23, 0x80000000, v17
	v_mov_b32_e32 v22, v16
	v_add_u32_e32 v20, 64, v18
	ds_write2_b64 v18, v[22:23], v[4:5] offset1:8
	s_waitcnt lgkmcnt(0)
	; wave barrier
	s_waitcnt lgkmcnt(0)
	s_and_saveexec_b64 s[2:3], s[0:1]
	s_cbranch_execz .LBB70_19
; %bb.18:
	v_mov_b32_e32 v18, 0
	ds_read_b64 v[4:5], v20
	ds_read_b64 v[18:19], v18 offset:8
	s_waitcnt lgkmcnt(1)
	v_fma_f64 v[4:5], v[16:17], v[4:5], 0
	s_waitcnt lgkmcnt(0)
	v_mul_f64 v[4:5], v[4:5], v[18:19]
.LBB70_19:
	s_or_b64 exec, exec, s[2:3]
	v_cmp_gt_u32_e32 vcc, 2, v0
	s_waitcnt lgkmcnt(0)
	; wave barrier
	ds_write_b64 v20, v[6:7]
	s_waitcnt lgkmcnt(0)
	; wave barrier
	s_waitcnt lgkmcnt(0)
	s_and_saveexec_b64 s[20:21], vcc
	s_cbranch_execz .LBB70_21
; %bb.20:
	v_cmp_eq_u32_e32 vcc, 1, v0
	v_cndmask_b32_e32 v16, v3, v5, vcc
	v_cmp_eq_u32_e64 s[2:3], 2, v0
	v_cndmask_b32_e64 v7, v16, v7, s[2:3]
	v_cndmask_b32_e32 v16, v2, v4, vcc
	v_cmp_eq_u32_e64 s[4:5], 3, v0
	v_cndmask_b32_e64 v6, v16, v6, s[2:3]
	ds_read_b64 v[22:23], v20
	v_mov_b32_e32 v16, 0
	v_cndmask_b32_e64 v7, v7, v9, s[4:5]
	v_cmp_eq_u32_e64 s[8:9], 4, v0
	v_cndmask_b32_e64 v6, v6, v8, s[4:5]
	ds_read2_b64 v[16:19], v16 offset0:2 offset1:9
	v_cndmask_b32_e64 v7, v7, v11, s[8:9]
	v_cmp_eq_u32_e64 s[10:11], 5, v0
	v_cndmask_b32_e64 v6, v6, v10, s[8:9]
	v_cndmask_b32_e64 v7, v7, v13, s[10:11]
	v_cmp_eq_u32_e64 s[12:13], 6, v0
	v_cndmask_b32_e64 v6, v6, v12, s[10:11]
	v_cndmask_b32_e64 v7, v7, v15, s[12:13]
	;; [unrolled: 1-line block ×3, first 2 shown]
	s_waitcnt lgkmcnt(1)
	v_fma_f64 v[6:7], v[6:7], v[22:23], 0
	s_waitcnt lgkmcnt(0)
	v_fma_f64 v[18:19], v[4:5], v[18:19], v[6:7]
	v_cndmask_b32_e64 v7, v7, v19, s[0:1]
	v_cndmask_b32_e64 v6, v6, v18, s[0:1]
	v_mul_f64 v[6:7], v[6:7], v[16:17]
.LBB70_21:
	s_or_b64 exec, exec, s[20:21]
	v_cmp_gt_u32_e32 vcc, 3, v0
	s_waitcnt lgkmcnt(0)
	; wave barrier
	ds_write_b64 v20, v[8:9]
	s_waitcnt lgkmcnt(0)
	; wave barrier
	s_waitcnt lgkmcnt(0)
	s_and_saveexec_b64 s[4:5], vcc
	s_cbranch_execz .LBB70_25
; %bb.22:
	v_lshl_add_u32 v21, v0, 3, 64
	s_mov_b64 s[8:9], 0
	v_pk_mov_b32 v[16:17], 0, 0
	v_pk_mov_b32 v[18:19], v[0:1], v[0:1] op_sel:[0,1]
.LBB70_23:                              ; =>This Inner Loop Header: Depth=1
	v_cmp_eq_u32_e32 vcc, 1, v18
	v_cndmask_b32_e32 v24, v3, v5, vcc
	v_cmp_eq_u32_e64 s[0:1], 2, v18
	v_cndmask_b32_e64 v24, v24, v7, s[0:1]
	v_cndmask_b32_e32 v25, v2, v4, vcc
	v_cmp_eq_u32_e32 vcc, 3, v18
	ds_read_b64 v[22:23], v21
	v_cndmask_b32_e32 v24, v24, v9, vcc
	v_cndmask_b32_e64 v25, v25, v6, s[0:1]
	v_cmp_eq_u32_e64 s[0:1], 4, v18
	v_cndmask_b32_e64 v24, v24, v11, s[0:1]
	v_cndmask_b32_e32 v25, v25, v8, vcc
	v_cmp_eq_u32_e32 vcc, 5, v18
	v_cndmask_b32_e32 v24, v24, v13, vcc
	v_cmp_eq_u32_e64 s[2:3], 6, v18
	v_cndmask_b32_e64 v26, v25, v10, s[0:1]
	v_add_co_u32_e64 v18, s[0:1], 1, v18
	v_cndmask_b32_e64 v25, v24, v15, s[2:3]
	v_cndmask_b32_e32 v24, v26, v12, vcc
	v_add_u32_e32 v26, -1, v18
	v_cndmask_b32_e64 v24, v24, v14, s[2:3]
	v_cmp_lt_u32_e32 vcc, 1, v26
	v_add_u32_e32 v21, 8, v21
	v_addc_co_u32_e64 v19, s[0:1], 0, v19, s[0:1]
	s_or_b64 s[8:9], vcc, s[8:9]
	s_waitcnt lgkmcnt(0)
	v_fmac_f64_e32 v[16:17], v[24:25], v[22:23]
	s_andn2_b64 exec, exec, s[8:9]
	s_cbranch_execnz .LBB70_23
; %bb.24:
	s_or_b64 exec, exec, s[8:9]
	v_mov_b32_e32 v8, 0
	ds_read_b64 v[8:9], v8 offset:24
	s_waitcnt lgkmcnt(0)
	v_mul_f64 v[8:9], v[16:17], v[8:9]
.LBB70_25:
	s_or_b64 exec, exec, s[4:5]
	v_cmp_gt_u32_e32 vcc, 4, v0
	s_waitcnt lgkmcnt(0)
	; wave barrier
	ds_write_b64 v20, v[10:11]
	s_waitcnt lgkmcnt(0)
	; wave barrier
	s_waitcnt lgkmcnt(0)
	s_and_saveexec_b64 s[4:5], vcc
	s_cbranch_execz .LBB70_29
; %bb.26:
	v_lshl_add_u32 v21, v0, 3, 64
	s_mov_b64 s[8:9], 0
	v_pk_mov_b32 v[16:17], 0, 0
	v_pk_mov_b32 v[18:19], v[0:1], v[0:1] op_sel:[0,1]
.LBB70_27:                              ; =>This Inner Loop Header: Depth=1
	v_cmp_eq_u32_e32 vcc, 1, v18
	v_cndmask_b32_e32 v24, v3, v5, vcc
	v_cmp_eq_u32_e64 s[0:1], 2, v18
	v_cndmask_b32_e64 v24, v24, v7, s[0:1]
	v_cndmask_b32_e32 v25, v2, v4, vcc
	v_cmp_eq_u32_e32 vcc, 3, v18
	ds_read_b64 v[22:23], v21
	v_cndmask_b32_e32 v24, v24, v9, vcc
	v_cndmask_b32_e64 v25, v25, v6, s[0:1]
	v_cmp_eq_u32_e64 s[0:1], 4, v18
	v_cndmask_b32_e64 v24, v24, v11, s[0:1]
	v_cndmask_b32_e32 v25, v25, v8, vcc
	v_cmp_eq_u32_e32 vcc, 5, v18
	v_cndmask_b32_e32 v24, v24, v13, vcc
	v_cmp_eq_u32_e64 s[2:3], 6, v18
	v_cndmask_b32_e64 v26, v25, v10, s[0:1]
	v_add_co_u32_e64 v18, s[0:1], 1, v18
	v_cndmask_b32_e64 v25, v24, v15, s[2:3]
	v_cndmask_b32_e32 v24, v26, v12, vcc
	v_add_u32_e32 v26, -1, v18
	v_cndmask_b32_e64 v24, v24, v14, s[2:3]
	v_cmp_lt_u32_e32 vcc, 2, v26
	v_add_u32_e32 v21, 8, v21
	v_addc_co_u32_e64 v19, s[0:1], 0, v19, s[0:1]
	s_or_b64 s[8:9], vcc, s[8:9]
	s_waitcnt lgkmcnt(0)
	v_fmac_f64_e32 v[16:17], v[24:25], v[22:23]
	s_andn2_b64 exec, exec, s[8:9]
	s_cbranch_execnz .LBB70_27
; %bb.28:
	s_or_b64 exec, exec, s[8:9]
	v_mov_b32_e32 v10, 0
	ds_read_b64 v[10:11], v10 offset:32
	s_waitcnt lgkmcnt(0)
	v_mul_f64 v[10:11], v[16:17], v[10:11]
.LBB70_29:
	;; [unrolled: 52-line block ×3, first 2 shown]
	s_or_b64 exec, exec, s[4:5]
	v_cmp_ne_u32_e32 vcc, 6, v0
	s_waitcnt lgkmcnt(0)
	; wave barrier
	ds_write_b64 v20, v[14:15]
	s_waitcnt lgkmcnt(0)
	; wave barrier
	s_waitcnt lgkmcnt(0)
	s_and_saveexec_b64 s[4:5], vcc
	s_cbranch_execz .LBB70_37
; %bb.34:
	v_lshl_add_u32 v20, v0, 3, 64
	s_mov_b64 s[8:9], 0
	v_pk_mov_b32 v[16:17], 0, 0
	v_pk_mov_b32 v[18:19], v[0:1], v[0:1] op_sel:[0,1]
.LBB70_35:                              ; =>This Inner Loop Header: Depth=1
	v_cmp_eq_u32_e32 vcc, 1, v18
	v_cndmask_b32_e32 v1, v3, v5, vcc
	v_cmp_eq_u32_e64 s[0:1], 2, v18
	v_cndmask_b32_e64 v1, v1, v7, s[0:1]
	v_cndmask_b32_e32 v21, v2, v4, vcc
	v_cmp_eq_u32_e32 vcc, 3, v18
	ds_read_b64 v[22:23], v20
	v_cndmask_b32_e32 v1, v1, v9, vcc
	v_cndmask_b32_e64 v21, v21, v6, s[0:1]
	v_cmp_eq_u32_e64 s[0:1], 4, v18
	v_cndmask_b32_e64 v1, v1, v11, s[0:1]
	v_cndmask_b32_e32 v21, v21, v8, vcc
	v_cmp_eq_u32_e32 vcc, 5, v18
	v_cndmask_b32_e32 v1, v1, v13, vcc
	v_cmp_eq_u32_e64 s[2:3], 6, v18
	v_cndmask_b32_e64 v21, v21, v10, s[0:1]
	v_add_co_u32_e64 v18, s[0:1], 1, v18
	v_cndmask_b32_e64 v25, v1, v15, s[2:3]
	v_cndmask_b32_e32 v1, v21, v12, vcc
	v_add_u32_e32 v21, -1, v18
	v_cndmask_b32_e64 v24, v1, v14, s[2:3]
	v_cmp_lt_u32_e32 vcc, 4, v21
	v_add_u32_e32 v20, 8, v20
	v_addc_co_u32_e64 v19, s[0:1], 0, v19, s[0:1]
	s_or_b64 s[8:9], vcc, s[8:9]
	s_waitcnt lgkmcnt(0)
	v_fmac_f64_e32 v[16:17], v[24:25], v[22:23]
	s_andn2_b64 exec, exec, s[8:9]
	s_cbranch_execnz .LBB70_35
; %bb.36:
	s_or_b64 exec, exec, s[8:9]
	v_mov_b32_e32 v1, 0
	ds_read_b64 v[14:15], v1 offset:48
	s_waitcnt lgkmcnt(0)
	v_mul_f64 v[14:15], v[16:17], v[14:15]
.LBB70_37:
	s_or_b64 exec, exec, s[4:5]
	s_waitcnt lgkmcnt(0)
	; wave barrier
	s_cbranch_execnz .LBB70_15
	s_branch .LBB70_16
.LBB70_38:
	v_lshl_add_u32 v1, v0, 3, 64
	v_cmp_eq_u32_e32 vcc, 6, v0
	s_and_saveexec_b64 s[0:1], vcc
	s_cbranch_execz .LBB70_40
; %bb.39:
	v_mov_b32_e32 v26, 0
	v_mov_b32_e32 v16, v2
	;; [unrolled: 1-line block ×14, first 2 shown]
	ds_write_b64 v1, v[12:13]
	v_pk_mov_b32 v[2:3], v[16:17], v[16:17] op_sel:[0,1]
	v_pk_mov_b32 v[4:5], v[18:19], v[18:19] op_sel:[0,1]
	;; [unrolled: 1-line block ×8, first 2 shown]
.LBB70_40:
	s_or_b64 exec, exec, s[0:1]
	v_mov_b32_e32 v24, 0
	s_waitcnt lgkmcnt(0)
	; wave barrier
	s_waitcnt lgkmcnt(0)
	ds_read_b64 v[16:17], v24 offset:112
	v_cmp_lt_u32_e32 vcc, 4, v0
	s_waitcnt lgkmcnt(0)
	v_fma_f64 v[16:17], v[14:15], v[16:17], 0
	v_add_f64 v[12:13], v[12:13], -v[16:17]
	s_and_saveexec_b64 s[0:1], vcc
	s_cbranch_execz .LBB70_42
; %bb.41:
	v_mov_b32_e32 v16, v2
	v_mov_b32_e32 v17, v3
	;; [unrolled: 1-line block ×13, first 2 shown]
	ds_write_b64 v1, v[10:11]
	v_pk_mov_b32 v[2:3], v[16:17], v[16:17] op_sel:[0,1]
	v_pk_mov_b32 v[4:5], v[18:19], v[18:19] op_sel:[0,1]
	;; [unrolled: 1-line block ×8, first 2 shown]
.LBB70_42:
	s_or_b64 exec, exec, s[0:1]
	s_waitcnt lgkmcnt(0)
	; wave barrier
	s_waitcnt lgkmcnt(0)
	ds_read2_b64 v[16:19], v24 offset0:13 offset1:14
	v_cmp_lt_u32_e32 vcc, 3, v0
	s_waitcnt lgkmcnt(0)
	v_fma_f64 v[16:17], v[12:13], v[16:17], 0
	v_fmac_f64_e32 v[16:17], v[14:15], v[18:19]
	v_add_f64 v[10:11], v[10:11], -v[16:17]
	s_and_saveexec_b64 s[0:1], vcc
	s_cbranch_execz .LBB70_44
; %bb.43:
	v_mov_b32_e32 v22, 0
	v_mov_b32_e32 v16, v2
	;; [unrolled: 1-line block ×14, first 2 shown]
	ds_write_b64 v1, v[8:9]
	v_pk_mov_b32 v[2:3], v[16:17], v[16:17] op_sel:[0,1]
	v_pk_mov_b32 v[4:5], v[18:19], v[18:19] op_sel:[0,1]
	;; [unrolled: 1-line block ×8, first 2 shown]
.LBB70_44:
	s_or_b64 exec, exec, s[0:1]
	v_mov_b32_e32 v20, 0
	s_waitcnt lgkmcnt(0)
	; wave barrier
	s_waitcnt lgkmcnt(0)
	ds_read_b128 v[16:19], v20 offset:96
	ds_read_b64 v[22:23], v20 offset:112
	v_cmp_lt_u32_e32 vcc, 2, v0
	s_waitcnt lgkmcnt(1)
	v_fma_f64 v[16:17], v[10:11], v[16:17], 0
	v_fmac_f64_e32 v[16:17], v[12:13], v[18:19]
	s_waitcnt lgkmcnt(0)
	v_fmac_f64_e32 v[16:17], v[14:15], v[22:23]
	v_add_f64 v[8:9], v[8:9], -v[16:17]
	s_and_saveexec_b64 s[0:1], vcc
	s_cbranch_execz .LBB70_46
; %bb.45:
	v_mov_b32_e32 v16, v2
	v_mov_b32_e32 v17, v3
	;; [unrolled: 1-line block ×13, first 2 shown]
	ds_write_b64 v1, v[6:7]
	v_pk_mov_b32 v[2:3], v[16:17], v[16:17] op_sel:[0,1]
	v_pk_mov_b32 v[4:5], v[18:19], v[18:19] op_sel:[0,1]
	;; [unrolled: 1-line block ×8, first 2 shown]
.LBB70_46:
	s_or_b64 exec, exec, s[0:1]
	s_waitcnt lgkmcnt(0)
	; wave barrier
	s_waitcnt lgkmcnt(0)
	ds_read2_b64 v[16:19], v20 offset0:11 offset1:12
	ds_read2_b64 v[20:23], v20 offset0:13 offset1:14
	v_cmp_lt_u32_e32 vcc, 1, v0
	s_waitcnt lgkmcnt(1)
	v_fma_f64 v[16:17], v[8:9], v[16:17], 0
	v_fmac_f64_e32 v[16:17], v[10:11], v[18:19]
	s_waitcnt lgkmcnt(0)
	v_fmac_f64_e32 v[16:17], v[12:13], v[20:21]
	v_fmac_f64_e32 v[16:17], v[14:15], v[22:23]
	v_add_f64 v[6:7], v[6:7], -v[16:17]
	s_and_saveexec_b64 s[0:1], vcc
	s_cbranch_execz .LBB70_48
; %bb.47:
	v_mov_b32_e32 v18, 0
	v_mov_b32_e32 v16, v2
	;; [unrolled: 1-line block ×14, first 2 shown]
	ds_write_b64 v1, v[4:5]
	v_pk_mov_b32 v[2:3], v[16:17], v[16:17] op_sel:[0,1]
	v_pk_mov_b32 v[4:5], v[18:19], v[18:19] op_sel:[0,1]
	;; [unrolled: 1-line block ×8, first 2 shown]
.LBB70_48:
	s_or_b64 exec, exec, s[0:1]
	v_mov_b32_e32 v18, 0
	s_waitcnt lgkmcnt(0)
	; wave barrier
	s_waitcnt lgkmcnt(0)
	ds_read_b128 v[20:23], v18 offset:80
	ds_read_b128 v[24:27], v18 offset:96
	ds_read_b64 v[16:17], v18 offset:112
	v_cmp_ne_u32_e32 vcc, 0, v0
	s_waitcnt lgkmcnt(2)
	v_fma_f64 v[20:21], v[6:7], v[20:21], 0
	v_fmac_f64_e32 v[20:21], v[8:9], v[22:23]
	s_waitcnt lgkmcnt(1)
	v_fmac_f64_e32 v[20:21], v[10:11], v[24:25]
	v_fmac_f64_e32 v[20:21], v[12:13], v[26:27]
	s_waitcnt lgkmcnt(0)
	v_fmac_f64_e32 v[20:21], v[14:15], v[16:17]
	v_add_f64 v[4:5], v[4:5], -v[20:21]
	s_and_saveexec_b64 s[0:1], vcc
	s_cbranch_execz .LBB70_50
; %bb.49:
	v_mov_b32_e32 v19, v18
	v_mov_b32_e32 v20, v4
	;; [unrolled: 1-line block ×13, first 2 shown]
	ds_write_b64 v1, v[2:3]
	v_pk_mov_b32 v[2:3], v[18:19], v[18:19] op_sel:[0,1]
	v_pk_mov_b32 v[4:5], v[20:21], v[20:21] op_sel:[0,1]
	;; [unrolled: 1-line block ×8, first 2 shown]
.LBB70_50:
	s_or_b64 exec, exec, s[0:1]
	s_waitcnt lgkmcnt(0)
	; wave barrier
	s_waitcnt lgkmcnt(0)
	ds_read2_b64 v[20:23], v18 offset0:9 offset1:10
	ds_read2_b64 v[24:27], v18 offset0:11 offset1:12
	;; [unrolled: 1-line block ×3, first 2 shown]
	s_and_b64 vcc, exec, s[18:19]
	s_waitcnt lgkmcnt(2)
	v_fma_f64 v[0:1], v[4:5], v[20:21], 0
	v_fmac_f64_e32 v[0:1], v[6:7], v[22:23]
	s_waitcnt lgkmcnt(1)
	v_fmac_f64_e32 v[0:1], v[8:9], v[24:25]
	v_fmac_f64_e32 v[0:1], v[10:11], v[26:27]
	s_waitcnt lgkmcnt(0)
	v_fmac_f64_e32 v[0:1], v[12:13], v[16:17]
	v_fmac_f64_e32 v[0:1], v[14:15], v[18:19]
	v_add_f64 v[2:3], v[2:3], -v[0:1]
	s_cbranch_vccz .LBB70_64
; %bb.51:
	v_pk_mov_b32 v[0:1], s[16:17], s[16:17] op_sel:[0,1]
	flat_load_dword v0, v[0:1] offset:20
	s_waitcnt vmcnt(0) lgkmcnt(0)
	v_add_u32_e32 v0, -1, v0
	v_cmp_ne_u32_e32 vcc, 5, v0
	s_and_saveexec_b64 s[10:11], vcc
	s_cbranch_execz .LBB70_53
; %bb.52:
	v_cmp_eq_u32_e32 vcc, 1, v0
	v_cndmask_b32_e32 v1, v2, v4, vcc
	v_cmp_eq_u32_e64 s[0:1], 2, v0
	v_cndmask_b32_e32 v16, v3, v5, vcc
	v_cndmask_b32_e64 v1, v1, v6, s[0:1]
	v_cmp_eq_u32_e64 s[2:3], 3, v0
	v_cndmask_b32_e64 v16, v16, v7, s[0:1]
	v_cndmask_b32_e64 v1, v1, v8, s[2:3]
	v_cmp_eq_u32_e64 s[4:5], 4, v0
	v_cndmask_b32_e64 v16, v16, v9, s[2:3]
	v_cndmask_b32_e64 v1, v1, v10, s[4:5]
	v_cmp_eq_u32_e64 s[6:7], 5, v0
	v_cndmask_b32_e64 v16, v16, v11, s[4:5]
	v_cndmask_b32_e64 v1, v1, v12, s[6:7]
	v_cmp_eq_u32_e64 s[8:9], 6, v0
	v_cndmask_b32_e64 v16, v16, v13, s[6:7]
	v_cndmask_b32_e64 v1, v1, v14, s[8:9]
	v_cndmask_b32_e64 v16, v16, v15, s[8:9]
	v_cndmask_b32_e64 v25, v15, v13, s[8:9]
	v_cndmask_b32_e64 v24, v14, v12, s[8:9]
	v_cndmask_b32_e32 v15, v5, v13, vcc
	v_cndmask_b32_e32 v14, v4, v12, vcc
	v_cmp_eq_u32_e32 vcc, 0, v0
	v_cndmask_b32_e64 v23, v16, v13, s[6:7]
	v_cndmask_b32_e64 v22, v1, v12, s[6:7]
	v_cndmask_b32_e64 v21, v11, v13, s[4:5]
	v_cndmask_b32_e64 v20, v10, v12, s[4:5]
	v_cndmask_b32_e64 v19, v9, v13, s[2:3]
	v_cndmask_b32_e64 v18, v8, v12, s[2:3]
	v_cndmask_b32_e64 v17, v7, v13, s[0:1]
	v_cndmask_b32_e64 v16, v6, v12, s[0:1]
	v_cndmask_b32_e32 v13, v3, v13, vcc
	v_cndmask_b32_e32 v12, v2, v12, vcc
	v_pk_mov_b32 v[2:3], v[12:13], v[12:13] op_sel:[0,1]
	v_pk_mov_b32 v[4:5], v[14:15], v[14:15] op_sel:[0,1]
	v_pk_mov_b32 v[6:7], v[16:17], v[16:17] op_sel:[0,1]
	v_pk_mov_b32 v[8:9], v[18:19], v[18:19] op_sel:[0,1]
	v_pk_mov_b32 v[10:11], v[20:21], v[20:21] op_sel:[0,1]
	v_pk_mov_b32 v[12:13], v[22:23], v[22:23] op_sel:[0,1]
	v_pk_mov_b32 v[14:15], v[24:25], v[24:25] op_sel:[0,1]
	v_pk_mov_b32 v[16:17], v[26:27], v[26:27] op_sel:[0,1]
.LBB70_53:
	s_or_b64 exec, exec, s[10:11]
	v_pk_mov_b32 v[0:1], s[16:17], s[16:17] op_sel:[0,1]
	flat_load_dword v0, v[0:1] offset:16
	s_waitcnt vmcnt(0) lgkmcnt(0)
	v_add_u32_e32 v0, -1, v0
	v_cmp_ne_u32_e32 vcc, 4, v0
	s_and_saveexec_b64 s[10:11], vcc
	s_cbranch_execz .LBB70_55
; %bb.54:
	v_cmp_eq_u32_e32 vcc, 1, v0
	v_cndmask_b32_e32 v1, v2, v4, vcc
	v_cmp_eq_u32_e64 s[0:1], 2, v0
	v_cndmask_b32_e32 v16, v3, v5, vcc
	v_cndmask_b32_e64 v1, v1, v6, s[0:1]
	v_cmp_eq_u32_e64 s[2:3], 3, v0
	v_cndmask_b32_e64 v16, v16, v7, s[0:1]
	v_cndmask_b32_e64 v1, v1, v8, s[2:3]
	v_cmp_eq_u32_e64 s[4:5], 4, v0
	v_cndmask_b32_e64 v16, v16, v9, s[2:3]
	v_cndmask_b32_e64 v1, v1, v10, s[4:5]
	v_cmp_eq_u32_e64 s[6:7], 5, v0
	v_cndmask_b32_e64 v16, v16, v11, s[4:5]
	v_cndmask_b32_e64 v1, v1, v12, s[6:7]
	v_cmp_eq_u32_e64 s[8:9], 6, v0
	v_cndmask_b32_e64 v16, v16, v13, s[6:7]
	v_cndmask_b32_e64 v1, v1, v14, s[8:9]
	v_cndmask_b32_e64 v16, v16, v15, s[8:9]
	v_cndmask_b32_e64 v21, v13, v11, s[6:7]
	v_cndmask_b32_e64 v20, v12, v10, s[6:7]
	v_cndmask_b32_e32 v13, v5, v11, vcc
	v_cndmask_b32_e32 v12, v4, v10, vcc
	v_cmp_eq_u32_e32 vcc, 0, v0
	v_cndmask_b32_e64 v19, v16, v11, s[4:5]
	v_cndmask_b32_e64 v18, v1, v10, s[4:5]
	v_cndmask_b32_e64 v23, v15, v11, s[8:9]
	v_cndmask_b32_e64 v22, v14, v10, s[8:9]
	v_cndmask_b32_e64 v17, v9, v11, s[2:3]
	v_cndmask_b32_e64 v16, v8, v10, s[2:3]
	v_cndmask_b32_e64 v15, v7, v11, s[0:1]
	v_cndmask_b32_e64 v14, v6, v10, s[0:1]
	v_cndmask_b32_e32 v11, v3, v11, vcc
	v_cndmask_b32_e32 v10, v2, v10, vcc
	v_pk_mov_b32 v[2:3], v[10:11], v[10:11] op_sel:[0,1]
	v_pk_mov_b32 v[4:5], v[12:13], v[12:13] op_sel:[0,1]
	v_pk_mov_b32 v[6:7], v[14:15], v[14:15] op_sel:[0,1]
	v_pk_mov_b32 v[8:9], v[16:17], v[16:17] op_sel:[0,1]
	v_pk_mov_b32 v[10:11], v[18:19], v[18:19] op_sel:[0,1]
	v_pk_mov_b32 v[12:13], v[20:21], v[20:21] op_sel:[0,1]
	v_pk_mov_b32 v[14:15], v[22:23], v[22:23] op_sel:[0,1]
	v_pk_mov_b32 v[16:17], v[24:25], v[24:25] op_sel:[0,1]
.LBB70_55:
	s_or_b64 exec, exec, s[10:11]
	;; [unrolled: 51-line block ×3, first 2 shown]
	v_pk_mov_b32 v[0:1], s[16:17], s[16:17] op_sel:[0,1]
	flat_load_dword v0, v[0:1] offset:8
	s_waitcnt vmcnt(0) lgkmcnt(0)
	v_add_u32_e32 v0, -1, v0
	v_cmp_ne_u32_e32 vcc, 2, v0
	s_and_saveexec_b64 s[10:11], vcc
	s_cbranch_execz .LBB70_59
; %bb.58:
	v_cmp_eq_u32_e32 vcc, 1, v0
	v_cndmask_b32_e32 v1, v2, v4, vcc
	v_cmp_eq_u32_e64 s[0:1], 2, v0
	v_cndmask_b32_e32 v16, v3, v5, vcc
	v_cndmask_b32_e64 v1, v1, v6, s[0:1]
	v_cmp_eq_u32_e64 s[2:3], 3, v0
	v_cndmask_b32_e64 v16, v16, v7, s[0:1]
	v_cndmask_b32_e64 v1, v1, v8, s[2:3]
	v_cmp_eq_u32_e64 s[4:5], 4, v0
	v_cndmask_b32_e64 v16, v16, v9, s[2:3]
	;; [unrolled: 3-line block ×4, first 2 shown]
	v_cndmask_b32_e64 v1, v1, v14, s[8:9]
	v_cndmask_b32_e64 v16, v16, v15, s[8:9]
	;; [unrolled: 1-line block ×4, first 2 shown]
	v_cndmask_b32_e32 v15, v5, v7, vcc
	v_cndmask_b32_e32 v14, v4, v6, vcc
	v_cmp_eq_u32_e32 vcc, 0, v0
	v_cndmask_b32_e64 v17, v16, v7, s[0:1]
	v_cndmask_b32_e64 v16, v1, v6, s[0:1]
	;; [unrolled: 1-line block ×4, first 2 shown]
	v_cndmask_b32_e32 v13, v3, v7, vcc
	v_cndmask_b32_e32 v12, v2, v6, vcc
	v_cndmask_b32_e64 v21, v11, v7, s[4:5]
	v_cndmask_b32_e64 v20, v10, v6, s[4:5]
	;; [unrolled: 1-line block ×4, first 2 shown]
	v_pk_mov_b32 v[2:3], v[12:13], v[12:13] op_sel:[0,1]
	v_pk_mov_b32 v[4:5], v[14:15], v[14:15] op_sel:[0,1]
	;; [unrolled: 1-line block ×8, first 2 shown]
.LBB70_59:
	s_or_b64 exec, exec, s[10:11]
	v_pk_mov_b32 v[0:1], s[16:17], s[16:17] op_sel:[0,1]
	flat_load_dword v0, v[0:1] offset:4
	s_waitcnt vmcnt(0) lgkmcnt(0)
	v_add_u32_e32 v0, -1, v0
	v_cmp_ne_u32_e32 vcc, 1, v0
	s_and_saveexec_b64 s[10:11], vcc
	s_cbranch_execz .LBB70_61
; %bb.60:
	v_cmp_eq_u32_e32 vcc, 1, v0
	v_cndmask_b32_e32 v1, v2, v4, vcc
	v_cmp_eq_u32_e64 s[0:1], 2, v0
	v_cndmask_b32_e32 v16, v3, v5, vcc
	v_cndmask_b32_e64 v1, v1, v6, s[0:1]
	v_cmp_eq_u32_e64 s[2:3], 3, v0
	v_cndmask_b32_e64 v16, v16, v7, s[0:1]
	v_cndmask_b32_e64 v1, v1, v8, s[2:3]
	v_cmp_eq_u32_e64 s[4:5], 4, v0
	v_cndmask_b32_e64 v16, v16, v9, s[2:3]
	;; [unrolled: 3-line block ×4, first 2 shown]
	v_cndmask_b32_e64 v1, v1, v14, s[8:9]
	v_cndmask_b32_e64 v16, v16, v15, s[8:9]
	v_cndmask_b32_e32 v17, v16, v5, vcc
	v_cndmask_b32_e32 v16, v1, v4, vcc
	v_cmp_eq_u32_e32 vcc, 0, v0
	v_cndmask_b32_e64 v27, v15, v5, s[8:9]
	v_cndmask_b32_e64 v26, v14, v4, s[8:9]
	v_cndmask_b32_e32 v15, v3, v5, vcc
	v_cndmask_b32_e32 v14, v2, v4, vcc
	v_cndmask_b32_e64 v25, v13, v5, s[6:7]
	v_cndmask_b32_e64 v24, v12, v4, s[6:7]
	;; [unrolled: 1-line block ×8, first 2 shown]
	v_pk_mov_b32 v[2:3], v[14:15], v[14:15] op_sel:[0,1]
	v_pk_mov_b32 v[4:5], v[16:17], v[16:17] op_sel:[0,1]
	;; [unrolled: 1-line block ×8, first 2 shown]
.LBB70_61:
	s_or_b64 exec, exec, s[10:11]
	v_pk_mov_b32 v[0:1], s[16:17], s[16:17] op_sel:[0,1]
	flat_load_dword v0, v[0:1]
	s_waitcnt vmcnt(0) lgkmcnt(0)
	v_add_u32_e32 v0, -1, v0
	v_cmp_ne_u32_e32 vcc, 0, v0
	s_and_saveexec_b64 s[12:13], vcc
	s_cbranch_execz .LBB70_63
; %bb.62:
	v_cmp_eq_u32_e32 vcc, 1, v0
	v_cndmask_b32_e32 v1, v2, v4, vcc
	v_cmp_eq_u32_e64 s[0:1], 2, v0
	v_cndmask_b32_e32 v16, v3, v5, vcc
	v_cndmask_b32_e64 v1, v1, v6, s[0:1]
	v_cmp_eq_u32_e64 s[2:3], 3, v0
	v_cndmask_b32_e64 v16, v16, v7, s[0:1]
	v_cndmask_b32_e64 v1, v1, v8, s[2:3]
	v_cmp_eq_u32_e64 s[4:5], 4, v0
	v_cndmask_b32_e64 v16, v16, v9, s[2:3]
	;; [unrolled: 3-line block ×4, first 2 shown]
	v_cndmask_b32_e64 v1, v1, v14, s[8:9]
	v_cndmask_b32_e64 v16, v16, v15, s[8:9]
	v_cmp_eq_u32_e64 s[10:11], 0, v0
	v_cndmask_b32_e64 v17, v16, v3, s[10:11]
	v_cndmask_b32_e64 v16, v1, v2, s[10:11]
	;; [unrolled: 1-line block ×12, first 2 shown]
	v_cndmask_b32_e32 v19, v5, v3, vcc
	v_cndmask_b32_e32 v18, v4, v2, vcc
	v_pk_mov_b32 v[2:3], v[16:17], v[16:17] op_sel:[0,1]
	v_pk_mov_b32 v[4:5], v[18:19], v[18:19] op_sel:[0,1]
	;; [unrolled: 1-line block ×8, first 2 shown]
.LBB70_63:
	s_or_b64 exec, exec, s[12:13]
.LBB70_64:
	global_store_dwordx2 v[32:33], v[2:3], off
	global_store_dwordx2 v[34:35], v[4:5], off
	;; [unrolled: 1-line block ×7, first 2 shown]
	s_endpgm
	.section	.rodata,"a",@progbits
	.p2align	6, 0x0
	.amdhsa_kernel _ZN9rocsolver6v33100L18getri_kernel_smallILi7EdPKPdEEvT1_iilPiilS6_bb
		.amdhsa_group_segment_fixed_size 120
		.amdhsa_private_segment_fixed_size 0
		.amdhsa_kernarg_size 60
		.amdhsa_user_sgpr_count 6
		.amdhsa_user_sgpr_private_segment_buffer 1
		.amdhsa_user_sgpr_dispatch_ptr 0
		.amdhsa_user_sgpr_queue_ptr 0
		.amdhsa_user_sgpr_kernarg_segment_ptr 1
		.amdhsa_user_sgpr_dispatch_id 0
		.amdhsa_user_sgpr_flat_scratch_init 0
		.amdhsa_user_sgpr_kernarg_preload_length 0
		.amdhsa_user_sgpr_kernarg_preload_offset 0
		.amdhsa_user_sgpr_private_segment_size 0
		.amdhsa_uses_dynamic_stack 0
		.amdhsa_system_sgpr_private_segment_wavefront_offset 0
		.amdhsa_system_sgpr_workgroup_id_x 1
		.amdhsa_system_sgpr_workgroup_id_y 0
		.amdhsa_system_sgpr_workgroup_id_z 0
		.amdhsa_system_sgpr_workgroup_info 0
		.amdhsa_system_vgpr_workitem_id 0
		.amdhsa_next_free_vgpr 46
		.amdhsa_next_free_sgpr 22
		.amdhsa_accum_offset 48
		.amdhsa_reserve_vcc 1
		.amdhsa_reserve_flat_scratch 0
		.amdhsa_float_round_mode_32 0
		.amdhsa_float_round_mode_16_64 0
		.amdhsa_float_denorm_mode_32 3
		.amdhsa_float_denorm_mode_16_64 3
		.amdhsa_dx10_clamp 1
		.amdhsa_ieee_mode 1
		.amdhsa_fp16_overflow 0
		.amdhsa_tg_split 0
		.amdhsa_exception_fp_ieee_invalid_op 0
		.amdhsa_exception_fp_denorm_src 0
		.amdhsa_exception_fp_ieee_div_zero 0
		.amdhsa_exception_fp_ieee_overflow 0
		.amdhsa_exception_fp_ieee_underflow 0
		.amdhsa_exception_fp_ieee_inexact 0
		.amdhsa_exception_int_div_zero 0
	.end_amdhsa_kernel
	.section	.text._ZN9rocsolver6v33100L18getri_kernel_smallILi7EdPKPdEEvT1_iilPiilS6_bb,"axG",@progbits,_ZN9rocsolver6v33100L18getri_kernel_smallILi7EdPKPdEEvT1_iilPiilS6_bb,comdat
.Lfunc_end70:
	.size	_ZN9rocsolver6v33100L18getri_kernel_smallILi7EdPKPdEEvT1_iilPiilS6_bb, .Lfunc_end70-_ZN9rocsolver6v33100L18getri_kernel_smallILi7EdPKPdEEvT1_iilPiilS6_bb
                                        ; -- End function
	.section	.AMDGPU.csdata,"",@progbits
; Kernel info:
; codeLenInByte = 5680
; NumSgprs: 26
; NumVgprs: 46
; NumAgprs: 0
; TotalNumVgprs: 46
; ScratchSize: 0
; MemoryBound: 0
; FloatMode: 240
; IeeeMode: 1
; LDSByteSize: 120 bytes/workgroup (compile time only)
; SGPRBlocks: 3
; VGPRBlocks: 5
; NumSGPRsForWavesPerEU: 26
; NumVGPRsForWavesPerEU: 46
; AccumOffset: 48
; Occupancy: 8
; WaveLimiterHint : 1
; COMPUTE_PGM_RSRC2:SCRATCH_EN: 0
; COMPUTE_PGM_RSRC2:USER_SGPR: 6
; COMPUTE_PGM_RSRC2:TRAP_HANDLER: 0
; COMPUTE_PGM_RSRC2:TGID_X_EN: 1
; COMPUTE_PGM_RSRC2:TGID_Y_EN: 0
; COMPUTE_PGM_RSRC2:TGID_Z_EN: 0
; COMPUTE_PGM_RSRC2:TIDIG_COMP_CNT: 0
; COMPUTE_PGM_RSRC3_GFX90A:ACCUM_OFFSET: 11
; COMPUTE_PGM_RSRC3_GFX90A:TG_SPLIT: 0
	.section	.text._ZN9rocsolver6v33100L18getri_kernel_smallILi8EdPKPdEEvT1_iilPiilS6_bb,"axG",@progbits,_ZN9rocsolver6v33100L18getri_kernel_smallILi8EdPKPdEEvT1_iilPiilS6_bb,comdat
	.globl	_ZN9rocsolver6v33100L18getri_kernel_smallILi8EdPKPdEEvT1_iilPiilS6_bb ; -- Begin function _ZN9rocsolver6v33100L18getri_kernel_smallILi8EdPKPdEEvT1_iilPiilS6_bb
	.p2align	8
	.type	_ZN9rocsolver6v33100L18getri_kernel_smallILi8EdPKPdEEvT1_iilPiilS6_bb,@function
_ZN9rocsolver6v33100L18getri_kernel_smallILi8EdPKPdEEvT1_iilPiilS6_bb: ; @_ZN9rocsolver6v33100L18getri_kernel_smallILi8EdPKPdEEvT1_iilPiilS6_bb
; %bb.0:
	v_cmp_gt_u32_e32 vcc, 8, v0
	s_and_saveexec_b64 s[0:1], vcc
	s_cbranch_execz .LBB71_16
; %bb.1:
	s_load_dword s8, s[4:5], 0x38
	s_load_dwordx2 s[0:1], s[4:5], 0x0
	s_load_dwordx4 s[16:19], s[4:5], 0x28
                                        ; implicit-def: $sgpr20_sgpr21
	s_waitcnt lgkmcnt(0)
	s_bitcmp1_b32 s8, 8
	s_cselect_b64 s[22:23], -1, 0
	s_ashr_i32 s7, s6, 31
	s_lshl_b64 s[2:3], s[6:7], 3
	s_add_u32 s0, s0, s2
	s_addc_u32 s1, s1, s3
	s_load_dwordx2 s[2:3], s[0:1], 0x0
	s_bfe_u32 s0, s8, 0x10008
	s_cmp_eq_u32 s0, 0
	s_cbranch_scc1 .LBB71_3
; %bb.2:
	s_load_dword s0, s[4:5], 0x20
	s_load_dwordx2 s[10:11], s[4:5], 0x18
	s_mul_i32 s1, s6, s17
	s_mul_hi_u32 s9, s6, s16
	s_add_i32 s9, s9, s1
	s_mul_i32 s12, s7, s16
	s_add_i32 s13, s9, s12
	s_mul_i32 s12, s6, s16
	s_waitcnt lgkmcnt(0)
	s_ashr_i32 s1, s0, 31
	s_lshl_b64 s[12:13], s[12:13], 2
	s_add_u32 s9, s10, s12
	s_addc_u32 s10, s11, s13
	s_lshl_b64 s[0:1], s[0:1], 2
	s_add_u32 s20, s9, s0
	s_addc_u32 s21, s10, s1
.LBB71_3:
	s_load_dwordx2 s[0:1], s[4:5], 0x8
	v_lshlrev_b32_e32 v20, 3, v0
	s_waitcnt lgkmcnt(0)
	s_ashr_i32 s5, s0, 31
	s_mov_b32 s4, s0
	s_lshl_b64 s[4:5], s[4:5], 3
	s_add_u32 s2, s2, s4
	s_addc_u32 s3, s3, s5
	v_mov_b32_e32 v1, s3
	v_add_co_u32_e32 v34, vcc, s2, v20
	s_ashr_i32 s5, s1, 31
	s_mov_b32 s4, s1
	s_add_i32 s0, s1, s1
	v_addc_co_u32_e32 v35, vcc, 0, v1, vcc
	s_lshl_b64 s[4:5], s[4:5], 3
	v_add_u32_e32 v2, s0, v0
	v_mov_b32_e32 v1, s5
	v_add_co_u32_e32 v36, vcc, s4, v34
	v_ashrrev_i32_e32 v3, 31, v2
	v_addc_co_u32_e32 v37, vcc, v35, v1, vcc
	v_lshlrev_b64 v[4:5], 3, v[2:3]
	v_add_u32_e32 v2, s1, v2
	v_mov_b32_e32 v1, s3
	v_add_co_u32_e32 v38, vcc, s2, v4
	v_ashrrev_i32_e32 v3, 31, v2
	v_addc_co_u32_e32 v39, vcc, v1, v5, vcc
	v_lshlrev_b64 v[4:5], 3, v[2:3]
	v_add_u32_e32 v2, s1, v2
	v_add_co_u32_e32 v40, vcc, s2, v4
	v_ashrrev_i32_e32 v3, 31, v2
	v_addc_co_u32_e32 v41, vcc, v1, v5, vcc
	v_lshlrev_b64 v[4:5], 3, v[2:3]
	v_add_u32_e32 v2, s1, v2
	;; [unrolled: 5-line block ×4, first 2 shown]
	v_add_co_u32_e32 v46, vcc, s2, v12
	v_ashrrev_i32_e32 v3, 31, v2
	global_load_dwordx2 v[4:5], v[36:37], off
	global_load_dwordx2 v[6:7], v[38:39], off
	;; [unrolled: 1-line block ×4, first 2 shown]
	v_addc_co_u32_e32 v47, vcc, v1, v13, vcc
	v_lshlrev_b64 v[2:3], 3, v[2:3]
	v_add_co_u32_e32 v48, vcc, s2, v2
	global_load_dwordx2 v[12:13], v[44:45], off
	global_load_dwordx2 v[14:15], v[46:47], off
	v_addc_co_u32_e32 v49, vcc, v1, v3, vcc
	global_load_dwordx2 v[2:3], v20, s[2:3]
	global_load_dwordx2 v[16:17], v[48:49], off
	v_mov_b32_e32 v1, 0
	s_bitcmp0_b32 s8, 0
	s_mov_b64 s[0:1], -1
	s_cbranch_scc1 .LBB71_14
; %bb.4:
	v_cmp_eq_u32_e64 s[0:1], 0, v0
	s_and_saveexec_b64 s[2:3], s[0:1]
	s_cbranch_execz .LBB71_6
; %bb.5:
	v_mov_b32_e32 v18, 0
	ds_write_b32 v18, v18 offset:128
.LBB71_6:
	s_or_b64 exec, exec, s[2:3]
	v_cmp_eq_u32_e32 vcc, 1, v0
	s_waitcnt vmcnt(1)
	v_cndmask_b32_e32 v18, v3, v5, vcc
	v_cmp_eq_u32_e64 s[2:3], 2, v0
	v_cndmask_b32_e64 v18, v18, v7, s[2:3]
	v_cmp_eq_u32_e64 s[4:5], 3, v0
	v_cndmask_b32_e64 v18, v18, v9, s[4:5]
	;; [unrolled: 2-line block ×5, first 2 shown]
	v_cmp_eq_u32_e64 s[14:15], 7, v0
	s_waitcnt vmcnt(0)
	v_cndmask_b32_e64 v19, v18, v17, s[14:15]
	v_cndmask_b32_e32 v18, v2, v4, vcc
	v_cndmask_b32_e64 v18, v18, v6, s[2:3]
	v_cndmask_b32_e64 v18, v18, v8, s[4:5]
	;; [unrolled: 1-line block ×6, first 2 shown]
	v_cmp_eq_f64_e32 vcc, 0, v[18:19]
	s_waitcnt lgkmcnt(0)
	; wave barrier
	s_waitcnt lgkmcnt(0)
	s_and_saveexec_b64 s[4:5], vcc
	s_cbranch_execz .LBB71_10
; %bb.7:
	v_mov_b32_e32 v21, 0
	ds_read_b32 v23, v21 offset:128
	v_add_u32_e32 v22, 1, v0
	s_waitcnt lgkmcnt(0)
	v_readfirstlane_b32 s2, v23
	s_cmp_eq_u32 s2, 0
	s_cselect_b64 s[8:9], -1, 0
	v_cmp_gt_i32_e32 vcc, s2, v22
	s_or_b64 s[8:9], s[8:9], vcc
	s_and_b64 exec, exec, s[8:9]
	s_cbranch_execz .LBB71_10
; %bb.8:
	s_mov_b64 s[8:9], 0
	v_mov_b32_e32 v23, s2
.LBB71_9:                               ; =>This Inner Loop Header: Depth=1
	ds_cmpst_rtn_b32 v23, v21, v23, v22 offset:128
	s_waitcnt lgkmcnt(0)
	v_cmp_ne_u32_e32 vcc, 0, v23
	v_cmp_le_i32_e64 s[2:3], v23, v22
	s_and_b64 s[2:3], vcc, s[2:3]
	s_and_b64 s[2:3], exec, s[2:3]
	s_or_b64 s[8:9], s[2:3], s[8:9]
	s_andn2_b64 exec, exec, s[8:9]
	s_cbranch_execnz .LBB71_9
.LBB71_10:
	s_or_b64 exec, exec, s[4:5]
	v_mov_b32_e32 v22, 0
	s_waitcnt lgkmcnt(0)
	; wave barrier
	ds_read_b32 v21, v22 offset:128
	s_and_saveexec_b64 s[2:3], s[0:1]
	s_cbranch_execz .LBB71_12
; %bb.11:
	s_lshl_b64 s[4:5], s[6:7], 2
	s_add_u32 s4, s18, s4
	s_addc_u32 s5, s19, s5
	s_waitcnt lgkmcnt(0)
	global_store_dword v22, v21, s[4:5]
.LBB71_12:
	s_or_b64 exec, exec, s[2:3]
	s_waitcnt lgkmcnt(0)
	v_cmp_ne_u32_e32 vcc, 0, v21
	s_cbranch_vccz .LBB71_17
; %bb.13:
	s_mov_b64 s[0:1], 0
                                        ; implicit-def: $vgpr2_vgpr3_vgpr4_vgpr5_vgpr6_vgpr7_vgpr8_vgpr9_vgpr10_vgpr11_vgpr12_vgpr13_vgpr14_vgpr15_vgpr16_vgpr17
.LBB71_14:
	s_and_b64 vcc, exec, s[0:1]
	s_cbranch_vccz .LBB71_16
.LBB71_15:
	s_lshl_b64 s[0:1], s[6:7], 2
	s_add_u32 s0, s18, s0
	s_addc_u32 s1, s19, s1
	v_mov_b32_e32 v1, 0
	global_load_dword v1, v1, s[0:1]
	s_waitcnt vmcnt(0)
	v_cmp_ne_u32_e32 vcc, 0, v1
	s_cbranch_vccz .LBB71_42
.LBB71_16:
	s_endpgm
.LBB71_17:
	v_div_scale_f64 v[22:23], s[2:3], v[18:19], v[18:19], 1.0
	v_rcp_f64_e32 v[24:25], v[22:23]
	v_div_scale_f64 v[26:27], vcc, 1.0, v[18:19], 1.0
	v_fma_f64 v[28:29], -v[22:23], v[24:25], 1.0
	v_fmac_f64_e32 v[24:25], v[24:25], v[28:29]
	v_fma_f64 v[28:29], -v[22:23], v[24:25], 1.0
	v_fmac_f64_e32 v[24:25], v[24:25], v[28:29]
	v_mul_f64 v[28:29], v[26:27], v[24:25]
	v_fma_f64 v[22:23], -v[22:23], v[28:29], v[26:27]
	v_div_fmas_f64 v[22:23], v[22:23], v[24:25], v[28:29]
	v_div_fixup_f64 v[18:19], v[22:23], v[18:19], 1.0
	v_cmp_eq_u32_e32 vcc, 7, v0
	v_cndmask_b32_e32 v17, v17, v19, vcc
	v_cndmask_b32_e32 v16, v16, v18, vcc
	v_cmp_eq_u32_e32 vcc, 6, v0
	v_cndmask_b32_e32 v15, v15, v19, vcc
	v_cndmask_b32_e32 v14, v14, v18, vcc
	;; [unrolled: 3-line block ×8, first 2 shown]
	v_xor_b32_e32 v25, 0x80000000, v19
	v_mov_b32_e32 v24, v18
	v_add_u32_e32 v22, 64, v20
	ds_write2_b64 v20, v[24:25], v[4:5] offset1:8
	s_waitcnt lgkmcnt(0)
	; wave barrier
	s_waitcnt lgkmcnt(0)
	s_and_saveexec_b64 s[2:3], s[0:1]
	s_cbranch_execz .LBB71_19
; %bb.18:
	v_mov_b32_e32 v20, 0
	ds_read_b64 v[4:5], v22
	ds_read_b64 v[20:21], v20 offset:8
	s_waitcnt lgkmcnt(1)
	v_fma_f64 v[4:5], v[18:19], v[4:5], 0
	s_waitcnt lgkmcnt(0)
	v_mul_f64 v[4:5], v[4:5], v[20:21]
.LBB71_19:
	s_or_b64 exec, exec, s[2:3]
	v_cmp_gt_u32_e32 vcc, 2, v0
	s_waitcnt lgkmcnt(0)
	; wave barrier
	ds_write_b64 v22, v[6:7]
	s_waitcnt lgkmcnt(0)
	; wave barrier
	s_waitcnt lgkmcnt(0)
	s_and_saveexec_b64 s[16:17], vcc
	s_cbranch_execz .LBB71_21
; %bb.20:
	v_cmp_eq_u32_e32 vcc, 1, v0
	v_cndmask_b32_e32 v18, v3, v5, vcc
	v_cmp_eq_u32_e64 s[2:3], 2, v0
	v_cndmask_b32_e64 v7, v18, v7, s[2:3]
	v_cndmask_b32_e32 v18, v2, v4, vcc
	v_cmp_eq_u32_e64 s[4:5], 3, v0
	v_cndmask_b32_e64 v6, v18, v6, s[2:3]
	v_cndmask_b32_e64 v7, v7, v9, s[4:5]
	v_cmp_eq_u32_e64 s[8:9], 4, v0
	v_cndmask_b32_e64 v6, v6, v8, s[4:5]
	ds_read_b64 v[24:25], v22
	v_mov_b32_e32 v18, 0
	v_cndmask_b32_e64 v7, v7, v11, s[8:9]
	v_cmp_eq_u32_e64 s[10:11], 5, v0
	v_cndmask_b32_e64 v6, v6, v10, s[8:9]
	ds_read2_b64 v[18:21], v18 offset0:2 offset1:9
	v_cndmask_b32_e64 v7, v7, v13, s[10:11]
	v_cmp_eq_u32_e64 s[12:13], 6, v0
	v_cndmask_b32_e64 v6, v6, v12, s[10:11]
	v_cndmask_b32_e64 v7, v7, v15, s[12:13]
	v_cmp_eq_u32_e64 s[14:15], 7, v0
	v_cndmask_b32_e64 v6, v6, v14, s[12:13]
	v_cndmask_b32_e64 v7, v7, v17, s[14:15]
	v_cndmask_b32_e64 v6, v6, v16, s[14:15]
	s_waitcnt lgkmcnt(1)
	v_fma_f64 v[6:7], v[6:7], v[24:25], 0
	s_waitcnt lgkmcnt(0)
	v_fma_f64 v[20:21], v[4:5], v[20:21], v[6:7]
	v_cndmask_b32_e64 v7, v7, v21, s[0:1]
	v_cndmask_b32_e64 v6, v6, v20, s[0:1]
	v_mul_f64 v[6:7], v[6:7], v[18:19]
.LBB71_21:
	s_or_b64 exec, exec, s[16:17]
	v_cmp_gt_u32_e32 vcc, 3, v0
	s_waitcnt lgkmcnt(0)
	; wave barrier
	ds_write_b64 v22, v[8:9]
	s_waitcnt lgkmcnt(0)
	; wave barrier
	s_waitcnt lgkmcnt(0)
	s_and_saveexec_b64 s[4:5], vcc
	s_cbranch_execz .LBB71_25
; %bb.22:
	v_lshl_add_u32 v23, v0, 3, 64
	s_mov_b64 s[8:9], 0
	v_pk_mov_b32 v[18:19], 0, 0
	v_pk_mov_b32 v[20:21], v[0:1], v[0:1] op_sel:[0,1]
.LBB71_23:                              ; =>This Inner Loop Header: Depth=1
	v_cmp_eq_u32_e32 vcc, 1, v20
	v_cndmask_b32_e32 v26, v3, v5, vcc
	v_cmp_eq_u32_e64 s[0:1], 2, v20
	v_cndmask_b32_e64 v26, v26, v7, s[0:1]
	v_cndmask_b32_e32 v27, v2, v4, vcc
	v_cmp_eq_u32_e32 vcc, 3, v20
	v_cndmask_b32_e32 v26, v26, v9, vcc
	v_cndmask_b32_e64 v27, v27, v6, s[0:1]
	v_cmp_eq_u32_e64 s[0:1], 4, v20
	ds_read_b64 v[24:25], v23
	v_cndmask_b32_e64 v26, v26, v11, s[0:1]
	v_cndmask_b32_e32 v27, v27, v8, vcc
	v_cmp_eq_u32_e32 vcc, 5, v20
	v_cndmask_b32_e32 v26, v26, v13, vcc
	v_cndmask_b32_e64 v27, v27, v10, s[0:1]
	v_cmp_eq_u32_e64 s[0:1], 6, v20
	v_cndmask_b32_e64 v26, v26, v15, s[0:1]
	v_cmp_eq_u32_e64 s[2:3], 7, v20
	v_cndmask_b32_e32 v28, v27, v12, vcc
	v_add_co_u32_e32 v20, vcc, 1, v20
	v_addc_co_u32_e32 v21, vcc, 0, v21, vcc
	v_cndmask_b32_e64 v27, v26, v17, s[2:3]
	v_cndmask_b32_e64 v26, v28, v14, s[0:1]
	v_add_u32_e32 v28, -1, v20
	v_cndmask_b32_e64 v26, v26, v16, s[2:3]
	v_cmp_lt_u32_e32 vcc, 1, v28
	v_add_u32_e32 v23, 8, v23
	s_or_b64 s[8:9], vcc, s[8:9]
	s_waitcnt lgkmcnt(0)
	v_fmac_f64_e32 v[18:19], v[26:27], v[24:25]
	s_andn2_b64 exec, exec, s[8:9]
	s_cbranch_execnz .LBB71_23
; %bb.24:
	s_or_b64 exec, exec, s[8:9]
	v_mov_b32_e32 v8, 0
	ds_read_b64 v[8:9], v8 offset:24
	s_waitcnt lgkmcnt(0)
	v_mul_f64 v[8:9], v[18:19], v[8:9]
.LBB71_25:
	s_or_b64 exec, exec, s[4:5]
	v_cmp_gt_u32_e32 vcc, 4, v0
	s_waitcnt lgkmcnt(0)
	; wave barrier
	ds_write_b64 v22, v[10:11]
	s_waitcnt lgkmcnt(0)
	; wave barrier
	s_waitcnt lgkmcnt(0)
	s_and_saveexec_b64 s[4:5], vcc
	s_cbranch_execz .LBB71_29
; %bb.26:
	v_lshl_add_u32 v23, v0, 3, 64
	s_mov_b64 s[8:9], 0
	v_pk_mov_b32 v[18:19], 0, 0
	v_pk_mov_b32 v[20:21], v[0:1], v[0:1] op_sel:[0,1]
.LBB71_27:                              ; =>This Inner Loop Header: Depth=1
	v_cmp_eq_u32_e32 vcc, 1, v20
	v_cndmask_b32_e32 v26, v3, v5, vcc
	v_cmp_eq_u32_e64 s[0:1], 2, v20
	v_cndmask_b32_e64 v26, v26, v7, s[0:1]
	v_cndmask_b32_e32 v27, v2, v4, vcc
	v_cmp_eq_u32_e32 vcc, 3, v20
	v_cndmask_b32_e32 v26, v26, v9, vcc
	v_cndmask_b32_e64 v27, v27, v6, s[0:1]
	v_cmp_eq_u32_e64 s[0:1], 4, v20
	ds_read_b64 v[24:25], v23
	v_cndmask_b32_e64 v26, v26, v11, s[0:1]
	v_cndmask_b32_e32 v27, v27, v8, vcc
	v_cmp_eq_u32_e32 vcc, 5, v20
	v_cndmask_b32_e32 v26, v26, v13, vcc
	v_cndmask_b32_e64 v27, v27, v10, s[0:1]
	v_cmp_eq_u32_e64 s[0:1], 6, v20
	v_cndmask_b32_e64 v26, v26, v15, s[0:1]
	v_cmp_eq_u32_e64 s[2:3], 7, v20
	v_cndmask_b32_e32 v28, v27, v12, vcc
	v_add_co_u32_e32 v20, vcc, 1, v20
	v_addc_co_u32_e32 v21, vcc, 0, v21, vcc
	v_cndmask_b32_e64 v27, v26, v17, s[2:3]
	v_cndmask_b32_e64 v26, v28, v14, s[0:1]
	v_add_u32_e32 v28, -1, v20
	v_cndmask_b32_e64 v26, v26, v16, s[2:3]
	v_cmp_lt_u32_e32 vcc, 2, v28
	v_add_u32_e32 v23, 8, v23
	s_or_b64 s[8:9], vcc, s[8:9]
	s_waitcnt lgkmcnt(0)
	v_fmac_f64_e32 v[18:19], v[26:27], v[24:25]
	s_andn2_b64 exec, exec, s[8:9]
	s_cbranch_execnz .LBB71_27
; %bb.28:
	s_or_b64 exec, exec, s[8:9]
	v_mov_b32_e32 v10, 0
	ds_read_b64 v[10:11], v10 offset:32
	s_waitcnt lgkmcnt(0)
	v_mul_f64 v[10:11], v[18:19], v[10:11]
.LBB71_29:
	;; [unrolled: 55-line block ×4, first 2 shown]
	s_or_b64 exec, exec, s[4:5]
	v_cmp_ne_u32_e32 vcc, 7, v0
	s_waitcnt lgkmcnt(0)
	; wave barrier
	ds_write_b64 v22, v[16:17]
	s_waitcnt lgkmcnt(0)
	; wave barrier
	s_waitcnt lgkmcnt(0)
	s_and_saveexec_b64 s[4:5], vcc
	s_cbranch_execz .LBB71_41
; %bb.38:
	v_lshl_add_u32 v22, v0, 3, 64
	s_mov_b64 s[8:9], 0
	v_pk_mov_b32 v[18:19], 0, 0
	v_pk_mov_b32 v[20:21], v[0:1], v[0:1] op_sel:[0,1]
.LBB71_39:                              ; =>This Inner Loop Header: Depth=1
	v_cmp_eq_u32_e32 vcc, 1, v20
	v_cndmask_b32_e32 v1, v3, v5, vcc
	v_cmp_eq_u32_e64 s[0:1], 2, v20
	v_cndmask_b32_e64 v1, v1, v7, s[0:1]
	v_cndmask_b32_e32 v23, v2, v4, vcc
	v_cmp_eq_u32_e32 vcc, 3, v20
	v_cndmask_b32_e32 v1, v1, v9, vcc
	v_cndmask_b32_e64 v23, v23, v6, s[0:1]
	v_cmp_eq_u32_e64 s[0:1], 4, v20
	ds_read_b64 v[24:25], v22
	v_cndmask_b32_e64 v1, v1, v11, s[0:1]
	v_cndmask_b32_e32 v23, v23, v8, vcc
	v_cmp_eq_u32_e32 vcc, 5, v20
	v_cndmask_b32_e32 v1, v1, v13, vcc
	v_cndmask_b32_e64 v23, v23, v10, s[0:1]
	v_cmp_eq_u32_e64 s[0:1], 6, v20
	v_cndmask_b32_e64 v1, v1, v15, s[0:1]
	v_cmp_eq_u32_e64 s[2:3], 7, v20
	v_cndmask_b32_e32 v23, v23, v12, vcc
	v_add_co_u32_e32 v20, vcc, 1, v20
	v_addc_co_u32_e32 v21, vcc, 0, v21, vcc
	v_cndmask_b32_e64 v27, v1, v17, s[2:3]
	v_cndmask_b32_e64 v1, v23, v14, s[0:1]
	v_add_u32_e32 v23, -1, v20
	v_cndmask_b32_e64 v26, v1, v16, s[2:3]
	v_cmp_lt_u32_e32 vcc, 5, v23
	v_add_u32_e32 v22, 8, v22
	s_or_b64 s[8:9], vcc, s[8:9]
	s_waitcnt lgkmcnt(0)
	v_fmac_f64_e32 v[18:19], v[26:27], v[24:25]
	s_andn2_b64 exec, exec, s[8:9]
	s_cbranch_execnz .LBB71_39
; %bb.40:
	s_or_b64 exec, exec, s[8:9]
	v_mov_b32_e32 v1, 0
	ds_read_b64 v[16:17], v1 offset:56
	s_waitcnt lgkmcnt(0)
	v_mul_f64 v[16:17], v[18:19], v[16:17]
.LBB71_41:
	s_or_b64 exec, exec, s[4:5]
	s_waitcnt lgkmcnt(0)
	; wave barrier
	s_cbranch_execnz .LBB71_15
	s_branch .LBB71_16
.LBB71_42:
	v_lshl_add_u32 v1, v0, 3, 64
	v_cmp_eq_u32_e32 vcc, 7, v0
	s_and_saveexec_b64 s[0:1], vcc
	s_cbranch_execz .LBB71_44
; %bb.43:
	v_pk_mov_b32 v[30:31], v[16:17], v[16:17] op_sel:[0,1]
	s_mov_b32 s2, 0
	v_pk_mov_b32 v[28:29], v[14:15], v[14:15] op_sel:[0,1]
	v_pk_mov_b32 v[26:27], v[12:13], v[12:13] op_sel:[0,1]
	;; [unrolled: 1-line block ×7, first 2 shown]
	v_mov_b32_e32 v28, s2
	v_mov_b32_e32 v29, s2
	ds_write_b64 v1, v[14:15]
	v_pk_mov_b32 v[2:3], v[16:17], v[16:17] op_sel:[0,1]
	v_pk_mov_b32 v[4:5], v[18:19], v[18:19] op_sel:[0,1]
	;; [unrolled: 1-line block ×8, first 2 shown]
.LBB71_44:
	s_or_b64 exec, exec, s[0:1]
	v_mov_b32_e32 v30, 0
	s_waitcnt lgkmcnt(0)
	; wave barrier
	s_waitcnt lgkmcnt(0)
	ds_read_b64 v[18:19], v30 offset:120
	v_cmp_lt_u32_e32 vcc, 5, v0
	s_waitcnt lgkmcnt(0)
	v_fma_f64 v[18:19], v[16:17], v[18:19], 0
	v_add_f64 v[14:15], v[14:15], -v[18:19]
	s_and_saveexec_b64 s[0:1], vcc
	s_cbranch_execz .LBB71_46
; %bb.45:
	v_pk_mov_b32 v[28:29], v[16:17], v[16:17] op_sel:[0,1]
	s_mov_b32 s2, 0
	v_pk_mov_b32 v[26:27], v[14:15], v[14:15] op_sel:[0,1]
	v_pk_mov_b32 v[24:25], v[12:13], v[12:13] op_sel:[0,1]
	;; [unrolled: 1-line block ×7, first 2 shown]
	v_mov_b32_e32 v24, s2
	v_mov_b32_e32 v25, s2
	ds_write_b64 v1, v[12:13]
	v_pk_mov_b32 v[2:3], v[14:15], v[14:15] op_sel:[0,1]
	v_pk_mov_b32 v[4:5], v[16:17], v[16:17] op_sel:[0,1]
	;; [unrolled: 1-line block ×8, first 2 shown]
.LBB71_46:
	s_or_b64 exec, exec, s[0:1]
	s_waitcnt lgkmcnt(0)
	; wave barrier
	s_waitcnt lgkmcnt(0)
	ds_read_b128 v[18:21], v30 offset:112
	v_cmp_lt_u32_e32 vcc, 4, v0
	s_waitcnt lgkmcnt(0)
	v_fma_f64 v[18:19], v[14:15], v[18:19], 0
	v_fmac_f64_e32 v[18:19], v[16:17], v[20:21]
	v_add_f64 v[12:13], v[12:13], -v[18:19]
	s_and_saveexec_b64 s[0:1], vcc
	s_cbranch_execz .LBB71_48
; %bb.47:
	v_pk_mov_b32 v[26:27], v[16:17], v[16:17] op_sel:[0,1]
	s_mov_b32 s2, 0
	v_pk_mov_b32 v[24:25], v[14:15], v[14:15] op_sel:[0,1]
	v_pk_mov_b32 v[22:23], v[12:13], v[12:13] op_sel:[0,1]
	;; [unrolled: 1-line block ×7, first 2 shown]
	v_mov_b32_e32 v20, s2
	v_mov_b32_e32 v21, s2
	ds_write_b64 v1, v[10:11]
	v_pk_mov_b32 v[2:3], v[12:13], v[12:13] op_sel:[0,1]
	v_pk_mov_b32 v[4:5], v[14:15], v[14:15] op_sel:[0,1]
	;; [unrolled: 1-line block ×8, first 2 shown]
.LBB71_48:
	s_or_b64 exec, exec, s[0:1]
	v_mov_b32_e32 v26, 0
	s_waitcnt lgkmcnt(0)
	; wave barrier
	s_waitcnt lgkmcnt(0)
	ds_read2_b64 v[18:21], v26 offset0:13 offset1:14
	ds_read_b64 v[22:23], v26 offset:120
	v_cmp_lt_u32_e32 vcc, 3, v0
	s_waitcnt lgkmcnt(1)
	v_fma_f64 v[18:19], v[12:13], v[18:19], 0
	v_fmac_f64_e32 v[18:19], v[14:15], v[20:21]
	s_waitcnt lgkmcnt(0)
	v_fmac_f64_e32 v[18:19], v[16:17], v[22:23]
	v_add_f64 v[10:11], v[10:11], -v[18:19]
	s_and_saveexec_b64 s[0:1], vcc
	s_cbranch_execz .LBB71_50
; %bb.49:
	v_pk_mov_b32 v[24:25], v[16:17], v[16:17] op_sel:[0,1]
	s_mov_b32 s2, 0
	v_pk_mov_b32 v[22:23], v[14:15], v[14:15] op_sel:[0,1]
	v_pk_mov_b32 v[20:21], v[12:13], v[12:13] op_sel:[0,1]
	;; [unrolled: 1-line block ×7, first 2 shown]
	v_mov_b32_e32 v16, s2
	v_mov_b32_e32 v17, s2
	ds_write_b64 v1, v[8:9]
	v_pk_mov_b32 v[2:3], v[10:11], v[10:11] op_sel:[0,1]
	v_pk_mov_b32 v[4:5], v[12:13], v[12:13] op_sel:[0,1]
	v_pk_mov_b32 v[6:7], v[14:15], v[14:15] op_sel:[0,1]
	v_pk_mov_b32 v[8:9], v[16:17], v[16:17] op_sel:[0,1]
	v_pk_mov_b32 v[10:11], v[18:19], v[18:19] op_sel:[0,1]
	v_pk_mov_b32 v[12:13], v[20:21], v[20:21] op_sel:[0,1]
	v_pk_mov_b32 v[14:15], v[22:23], v[22:23] op_sel:[0,1]
	v_pk_mov_b32 v[16:17], v[24:25], v[24:25] op_sel:[0,1]
.LBB71_50:
	s_or_b64 exec, exec, s[0:1]
	s_waitcnt lgkmcnt(0)
	; wave barrier
	s_waitcnt lgkmcnt(0)
	ds_read_b128 v[18:21], v26 offset:96
	ds_read_b128 v[22:25], v26 offset:112
	v_cmp_lt_u32_e32 vcc, 2, v0
	s_waitcnt lgkmcnt(1)
	v_fma_f64 v[18:19], v[10:11], v[18:19], 0
	v_fmac_f64_e32 v[18:19], v[12:13], v[20:21]
	s_waitcnt lgkmcnt(0)
	v_fmac_f64_e32 v[18:19], v[14:15], v[22:23]
	v_fmac_f64_e32 v[18:19], v[16:17], v[24:25]
	v_add_f64 v[8:9], v[8:9], -v[18:19]
	s_and_saveexec_b64 s[0:1], vcc
	s_cbranch_execz .LBB71_52
; %bb.51:
	v_pk_mov_b32 v[22:23], v[16:17], v[16:17] op_sel:[0,1]
	s_mov_b32 s2, 0
	v_pk_mov_b32 v[20:21], v[14:15], v[14:15] op_sel:[0,1]
	v_pk_mov_b32 v[18:19], v[12:13], v[12:13] op_sel:[0,1]
	;; [unrolled: 1-line block ×7, first 2 shown]
	v_mov_b32_e32 v12, s2
	v_mov_b32_e32 v13, s2
	ds_write_b64 v1, v[6:7]
	v_pk_mov_b32 v[2:3], v[8:9], v[8:9] op_sel:[0,1]
	v_pk_mov_b32 v[4:5], v[10:11], v[10:11] op_sel:[0,1]
	;; [unrolled: 1-line block ×8, first 2 shown]
.LBB71_52:
	s_or_b64 exec, exec, s[0:1]
	v_mov_b32_e32 v22, 0
	s_waitcnt lgkmcnt(0)
	; wave barrier
	s_waitcnt lgkmcnt(0)
	ds_read2_b64 v[18:21], v22 offset0:11 offset1:12
	ds_read2_b64 v[24:27], v22 offset0:13 offset1:14
	ds_read_b64 v[28:29], v22 offset:120
	v_cmp_lt_u32_e32 vcc, 1, v0
	s_waitcnt lgkmcnt(2)
	v_fma_f64 v[18:19], v[8:9], v[18:19], 0
	v_fmac_f64_e32 v[18:19], v[10:11], v[20:21]
	s_waitcnt lgkmcnt(1)
	v_fmac_f64_e32 v[18:19], v[12:13], v[24:25]
	v_fmac_f64_e32 v[18:19], v[14:15], v[26:27]
	s_waitcnt lgkmcnt(0)
	v_fmac_f64_e32 v[18:19], v[16:17], v[28:29]
	v_add_f64 v[6:7], v[6:7], -v[18:19]
	s_and_saveexec_b64 s[0:1], vcc
	s_cbranch_execz .LBB71_54
; %bb.53:
	v_pk_mov_b32 v[20:21], v[16:17], v[16:17] op_sel:[0,1]
	s_mov_b32 s2, 0
	v_pk_mov_b32 v[18:19], v[14:15], v[14:15] op_sel:[0,1]
	v_pk_mov_b32 v[16:17], v[12:13], v[12:13] op_sel:[0,1]
	;; [unrolled: 1-line block ×7, first 2 shown]
	v_mov_b32_e32 v8, s2
	v_mov_b32_e32 v9, s2
	ds_write_b64 v1, v[4:5]
	v_pk_mov_b32 v[2:3], v[6:7], v[6:7] op_sel:[0,1]
	v_pk_mov_b32 v[4:5], v[8:9], v[8:9] op_sel:[0,1]
	;; [unrolled: 1-line block ×8, first 2 shown]
.LBB71_54:
	s_or_b64 exec, exec, s[0:1]
	s_waitcnt lgkmcnt(0)
	; wave barrier
	s_waitcnt lgkmcnt(0)
	ds_read_b128 v[18:21], v22 offset:80
	ds_read_b128 v[24:27], v22 offset:96
	;; [unrolled: 1-line block ×3, first 2 shown]
	s_mov_b32 s2, 0
	v_cmp_ne_u32_e32 vcc, 0, v0
	s_waitcnt lgkmcnt(2)
	v_fma_f64 v[18:19], v[6:7], v[18:19], 0
	v_fmac_f64_e32 v[18:19], v[8:9], v[20:21]
	s_waitcnt lgkmcnt(1)
	v_fmac_f64_e32 v[18:19], v[10:11], v[24:25]
	v_fmac_f64_e32 v[18:19], v[12:13], v[26:27]
	s_waitcnt lgkmcnt(0)
	v_fmac_f64_e32 v[18:19], v[14:15], v[28:29]
	v_fmac_f64_e32 v[18:19], v[16:17], v[30:31]
	v_add_f64 v[4:5], v[4:5], -v[18:19]
	s_and_saveexec_b64 s[0:1], vcc
	s_cbranch_execz .LBB71_56
; %bb.55:
	v_pk_mov_b32 v[18:19], v[16:17], v[16:17] op_sel:[0,1]
	v_pk_mov_b32 v[16:17], v[14:15], v[14:15] op_sel:[0,1]
	;; [unrolled: 1-line block ×8, first 2 shown]
	v_mov_b32_e32 v4, s2
	v_mov_b32_e32 v5, s2
	ds_write_b64 v1, v[2:3]
	v_pk_mov_b32 v[2:3], v[4:5], v[4:5] op_sel:[0,1]
	v_pk_mov_b32 v[4:5], v[6:7], v[6:7] op_sel:[0,1]
	;; [unrolled: 1-line block ×8, first 2 shown]
.LBB71_56:
	s_or_b64 exec, exec, s[0:1]
	v_mov_b32_e32 v30, 0
	s_waitcnt lgkmcnt(0)
	; wave barrier
	s_waitcnt lgkmcnt(0)
	ds_read2_b64 v[18:21], v30 offset0:9 offset1:10
	ds_read2_b64 v[22:25], v30 offset0:11 offset1:12
	;; [unrolled: 1-line block ×3, first 2 shown]
	s_and_b64 vcc, exec, s[22:23]
	s_waitcnt lgkmcnt(2)
	v_fma_f64 v[0:1], v[4:5], v[18:19], 0
	ds_read_b64 v[18:19], v30 offset:120
	v_fmac_f64_e32 v[0:1], v[6:7], v[20:21]
	s_waitcnt lgkmcnt(2)
	v_fmac_f64_e32 v[0:1], v[8:9], v[22:23]
	v_fmac_f64_e32 v[0:1], v[10:11], v[24:25]
	s_waitcnt lgkmcnt(1)
	v_fmac_f64_e32 v[0:1], v[12:13], v[26:27]
	;; [unrolled: 3-line block ×3, first 2 shown]
	v_add_f64 v[2:3], v[2:3], -v[0:1]
	s_cbranch_vccz .LBB71_72
; %bb.57:
	v_pk_mov_b32 v[0:1], s[20:21], s[20:21] op_sel:[0,1]
	flat_load_dword v0, v[0:1] offset:24
	s_waitcnt vmcnt(0) lgkmcnt(0)
	v_add_u32_e32 v0, -1, v0
	v_cmp_ne_u32_e32 vcc, 6, v0
	s_and_saveexec_b64 s[12:13], vcc
	s_cbranch_execz .LBB71_59
; %bb.58:
	v_cmp_eq_u32_e32 vcc, 1, v0
	v_cndmask_b32_e32 v1, v2, v4, vcc
	v_cmp_eq_u32_e64 s[0:1], 2, v0
	v_cndmask_b32_e32 v18, v3, v5, vcc
	v_cndmask_b32_e64 v1, v1, v6, s[0:1]
	v_cmp_eq_u32_e64 s[2:3], 3, v0
	v_cndmask_b32_e64 v18, v18, v7, s[0:1]
	v_cndmask_b32_e64 v1, v1, v8, s[2:3]
	v_cmp_eq_u32_e64 s[4:5], 4, v0
	v_cndmask_b32_e64 v18, v18, v9, s[2:3]
	v_cndmask_b32_e64 v1, v1, v10, s[4:5]
	v_cmp_eq_u32_e64 s[6:7], 5, v0
	v_cndmask_b32_e64 v18, v18, v11, s[4:5]
	v_cndmask_b32_e64 v1, v1, v12, s[6:7]
	v_cmp_eq_u32_e64 s[8:9], 6, v0
	v_cndmask_b32_e64 v18, v18, v13, s[6:7]
	v_cndmask_b32_e64 v1, v1, v14, s[8:9]
	v_cmp_eq_u32_e64 s[10:11], 7, v0
	v_cndmask_b32_e64 v18, v18, v15, s[8:9]
	v_cndmask_b32_e64 v1, v1, v16, s[10:11]
	v_cndmask_b32_e64 v18, v18, v17, s[10:11]
	v_cndmask_b32_e64 v29, v17, v15, s[10:11]
	v_cndmask_b32_e64 v28, v16, v14, s[10:11]
	v_cndmask_b32_e32 v17, v5, v15, vcc
	v_cndmask_b32_e32 v16, v4, v14, vcc
	v_cmp_eq_u32_e32 vcc, 0, v0
	v_cndmask_b32_e64 v27, v18, v15, s[8:9]
	v_cndmask_b32_e64 v26, v1, v14, s[8:9]
	v_cndmask_b32_e64 v25, v13, v15, s[6:7]
	v_cndmask_b32_e64 v24, v12, v14, s[6:7]
	v_cndmask_b32_e64 v23, v11, v15, s[4:5]
	v_cndmask_b32_e64 v22, v10, v14, s[4:5]
	v_cndmask_b32_e64 v21, v9, v15, s[2:3]
	v_cndmask_b32_e64 v20, v8, v14, s[2:3]
	v_cndmask_b32_e64 v19, v7, v15, s[0:1]
	v_cndmask_b32_e64 v18, v6, v14, s[0:1]
	v_cndmask_b32_e32 v15, v3, v15, vcc
	v_cndmask_b32_e32 v14, v2, v14, vcc
	v_pk_mov_b32 v[2:3], v[14:15], v[14:15] op_sel:[0,1]
	v_pk_mov_b32 v[4:5], v[16:17], v[16:17] op_sel:[0,1]
	v_pk_mov_b32 v[6:7], v[18:19], v[18:19] op_sel:[0,1]
	v_pk_mov_b32 v[8:9], v[20:21], v[20:21] op_sel:[0,1]
	v_pk_mov_b32 v[10:11], v[22:23], v[22:23] op_sel:[0,1]
	v_pk_mov_b32 v[12:13], v[24:25], v[24:25] op_sel:[0,1]
	v_pk_mov_b32 v[14:15], v[26:27], v[26:27] op_sel:[0,1]
	v_pk_mov_b32 v[16:17], v[28:29], v[28:29] op_sel:[0,1]
.LBB71_59:
	s_or_b64 exec, exec, s[12:13]
	v_pk_mov_b32 v[0:1], s[20:21], s[20:21] op_sel:[0,1]
	flat_load_dword v0, v[0:1] offset:20
	s_waitcnt vmcnt(0) lgkmcnt(0)
	v_add_u32_e32 v0, -1, v0
	v_cmp_ne_u32_e32 vcc, 5, v0
	s_and_saveexec_b64 s[12:13], vcc
	s_cbranch_execz .LBB71_61
; %bb.60:
	v_cmp_eq_u32_e32 vcc, 1, v0
	v_cndmask_b32_e32 v1, v2, v4, vcc
	v_cmp_eq_u32_e64 s[0:1], 2, v0
	v_cndmask_b32_e32 v18, v3, v5, vcc
	v_cndmask_b32_e64 v1, v1, v6, s[0:1]
	v_cmp_eq_u32_e64 s[2:3], 3, v0
	v_cndmask_b32_e64 v18, v18, v7, s[0:1]
	v_cndmask_b32_e64 v1, v1, v8, s[2:3]
	v_cmp_eq_u32_e64 s[4:5], 4, v0
	v_cndmask_b32_e64 v18, v18, v9, s[2:3]
	v_cndmask_b32_e64 v1, v1, v10, s[4:5]
	v_cmp_eq_u32_e64 s[6:7], 5, v0
	v_cndmask_b32_e64 v18, v18, v11, s[4:5]
	v_cndmask_b32_e64 v1, v1, v12, s[6:7]
	v_cmp_eq_u32_e64 s[8:9], 6, v0
	v_cndmask_b32_e64 v18, v18, v13, s[6:7]
	v_cndmask_b32_e64 v1, v1, v14, s[8:9]
	v_cmp_eq_u32_e64 s[10:11], 7, v0
	v_cndmask_b32_e64 v18, v18, v15, s[8:9]
	v_cndmask_b32_e64 v1, v1, v16, s[10:11]
	v_cndmask_b32_e64 v18, v18, v17, s[10:11]
	v_cndmask_b32_e64 v25, v15, v13, s[8:9]
	v_cndmask_b32_e64 v24, v14, v12, s[8:9]
	v_cndmask_b32_e32 v15, v5, v13, vcc
	v_cndmask_b32_e32 v14, v4, v12, vcc
	v_cmp_eq_u32_e32 vcc, 0, v0
	v_cndmask_b32_e64 v23, v18, v13, s[6:7]
	v_cndmask_b32_e64 v22, v1, v12, s[6:7]
	v_cndmask_b32_e64 v27, v17, v13, s[10:11]
	v_cndmask_b32_e64 v26, v16, v12, s[10:11]
	v_cndmask_b32_e64 v21, v11, v13, s[4:5]
	v_cndmask_b32_e64 v20, v10, v12, s[4:5]
	v_cndmask_b32_e64 v19, v9, v13, s[2:3]
	v_cndmask_b32_e64 v18, v8, v12, s[2:3]
	v_cndmask_b32_e64 v17, v7, v13, s[0:1]
	v_cndmask_b32_e64 v16, v6, v12, s[0:1]
	v_cndmask_b32_e32 v13, v3, v13, vcc
	v_cndmask_b32_e32 v12, v2, v12, vcc
	v_pk_mov_b32 v[2:3], v[12:13], v[12:13] op_sel:[0,1]
	v_pk_mov_b32 v[4:5], v[14:15], v[14:15] op_sel:[0,1]
	v_pk_mov_b32 v[6:7], v[16:17], v[16:17] op_sel:[0,1]
	v_pk_mov_b32 v[8:9], v[18:19], v[18:19] op_sel:[0,1]
	v_pk_mov_b32 v[10:11], v[20:21], v[20:21] op_sel:[0,1]
	v_pk_mov_b32 v[12:13], v[22:23], v[22:23] op_sel:[0,1]
	v_pk_mov_b32 v[14:15], v[24:25], v[24:25] op_sel:[0,1]
	v_pk_mov_b32 v[16:17], v[26:27], v[26:27] op_sel:[0,1]
.LBB71_61:
	s_or_b64 exec, exec, s[12:13]
	;; [unrolled: 56-line block ×3, first 2 shown]
	v_pk_mov_b32 v[0:1], s[20:21], s[20:21] op_sel:[0,1]
	flat_load_dword v0, v[0:1] offset:12
	s_waitcnt vmcnt(0) lgkmcnt(0)
	v_add_u32_e32 v0, -1, v0
	v_cmp_ne_u32_e32 vcc, 3, v0
	s_and_saveexec_b64 s[12:13], vcc
	s_cbranch_execz .LBB71_65
; %bb.64:
	v_cmp_eq_u32_e32 vcc, 1, v0
	v_cndmask_b32_e32 v1, v2, v4, vcc
	v_cmp_eq_u32_e64 s[0:1], 2, v0
	v_cndmask_b32_e32 v18, v3, v5, vcc
	v_cndmask_b32_e64 v1, v1, v6, s[0:1]
	v_cmp_eq_u32_e64 s[2:3], 3, v0
	v_cndmask_b32_e64 v18, v18, v7, s[0:1]
	v_cndmask_b32_e64 v1, v1, v8, s[2:3]
	v_cmp_eq_u32_e64 s[4:5], 4, v0
	v_cndmask_b32_e64 v18, v18, v9, s[2:3]
	;; [unrolled: 3-line block ×5, first 2 shown]
	v_cndmask_b32_e64 v25, v15, v9, s[8:9]
	v_cndmask_b32_e64 v24, v14, v8, s[8:9]
	v_cndmask_b32_e32 v15, v5, v9, vcc
	v_cndmask_b32_e32 v14, v4, v8, vcc
	v_cmp_eq_u32_e32 vcc, 0, v0
	v_cndmask_b32_e64 v1, v1, v16, s[10:11]
	v_cndmask_b32_e64 v18, v18, v17, s[10:11]
	;; [unrolled: 1-line block ×8, first 2 shown]
	v_cndmask_b32_e32 v13, v3, v9, vcc
	v_cndmask_b32_e32 v12, v2, v8, vcc
	v_cndmask_b32_e64 v19, v18, v9, s[2:3]
	v_cndmask_b32_e64 v18, v1, v8, s[2:3]
	;; [unrolled: 1-line block ×4, first 2 shown]
	v_pk_mov_b32 v[2:3], v[12:13], v[12:13] op_sel:[0,1]
	v_pk_mov_b32 v[4:5], v[14:15], v[14:15] op_sel:[0,1]
	;; [unrolled: 1-line block ×8, first 2 shown]
.LBB71_65:
	s_or_b64 exec, exec, s[12:13]
	v_pk_mov_b32 v[0:1], s[20:21], s[20:21] op_sel:[0,1]
	flat_load_dword v0, v[0:1] offset:8
	s_waitcnt vmcnt(0) lgkmcnt(0)
	v_add_u32_e32 v0, -1, v0
	v_cmp_ne_u32_e32 vcc, 2, v0
	s_and_saveexec_b64 s[12:13], vcc
	s_cbranch_execz .LBB71_67
; %bb.66:
	v_cmp_eq_u32_e32 vcc, 1, v0
	v_cndmask_b32_e32 v1, v2, v4, vcc
	v_cmp_eq_u32_e64 s[0:1], 2, v0
	v_cndmask_b32_e32 v18, v3, v5, vcc
	v_cndmask_b32_e64 v1, v1, v6, s[0:1]
	v_cmp_eq_u32_e64 s[2:3], 3, v0
	v_cndmask_b32_e64 v18, v18, v7, s[0:1]
	v_cndmask_b32_e64 v1, v1, v8, s[2:3]
	v_cmp_eq_u32_e64 s[4:5], 4, v0
	v_cndmask_b32_e64 v18, v18, v9, s[2:3]
	;; [unrolled: 3-line block ×5, first 2 shown]
	v_cndmask_b32_e64 v1, v1, v16, s[10:11]
	v_cndmask_b32_e64 v18, v18, v17, s[10:11]
	;; [unrolled: 1-line block ×4, first 2 shown]
	v_cndmask_b32_e32 v17, v5, v7, vcc
	v_cndmask_b32_e32 v16, v4, v6, vcc
	v_cmp_eq_u32_e32 vcc, 0, v0
	v_cndmask_b32_e64 v27, v15, v7, s[8:9]
	v_cndmask_b32_e64 v26, v14, v6, s[8:9]
	v_cndmask_b32_e32 v15, v3, v7, vcc
	v_cndmask_b32_e32 v14, v2, v6, vcc
	v_cndmask_b32_e64 v19, v18, v7, s[0:1]
	v_cndmask_b32_e64 v18, v1, v6, s[0:1]
	;; [unrolled: 1-line block ×8, first 2 shown]
	v_pk_mov_b32 v[2:3], v[14:15], v[14:15] op_sel:[0,1]
	v_pk_mov_b32 v[4:5], v[16:17], v[16:17] op_sel:[0,1]
	;; [unrolled: 1-line block ×8, first 2 shown]
.LBB71_67:
	s_or_b64 exec, exec, s[12:13]
	v_pk_mov_b32 v[0:1], s[20:21], s[20:21] op_sel:[0,1]
	flat_load_dword v0, v[0:1] offset:4
	s_waitcnt vmcnt(0) lgkmcnt(0)
	v_add_u32_e32 v0, -1, v0
	v_cmp_ne_u32_e32 vcc, 1, v0
	s_and_saveexec_b64 s[12:13], vcc
	s_cbranch_execz .LBB71_69
; %bb.68:
	v_cmp_eq_u32_e32 vcc, 1, v0
	v_cndmask_b32_e32 v1, v2, v4, vcc
	v_cmp_eq_u32_e64 s[0:1], 2, v0
	v_cndmask_b32_e32 v18, v3, v5, vcc
	v_cndmask_b32_e64 v1, v1, v6, s[0:1]
	v_cmp_eq_u32_e64 s[2:3], 3, v0
	v_cndmask_b32_e64 v18, v18, v7, s[0:1]
	v_cndmask_b32_e64 v1, v1, v8, s[2:3]
	v_cmp_eq_u32_e64 s[4:5], 4, v0
	v_cndmask_b32_e64 v18, v18, v9, s[2:3]
	;; [unrolled: 3-line block ×5, first 2 shown]
	v_cndmask_b32_e64 v1, v1, v16, s[10:11]
	v_cndmask_b32_e64 v18, v18, v17, s[10:11]
	v_cndmask_b32_e32 v19, v18, v5, vcc
	v_cndmask_b32_e32 v18, v1, v4, vcc
	v_cmp_eq_u32_e32 vcc, 0, v0
	v_cndmask_b32_e64 v31, v17, v5, s[10:11]
	v_cndmask_b32_e64 v30, v16, v4, s[10:11]
	v_cndmask_b32_e32 v17, v3, v5, vcc
	v_cndmask_b32_e32 v16, v2, v4, vcc
	v_cndmask_b32_e64 v29, v15, v5, s[8:9]
	v_cndmask_b32_e64 v28, v14, v4, s[8:9]
	;; [unrolled: 1-line block ×10, first 2 shown]
	v_pk_mov_b32 v[2:3], v[16:17], v[16:17] op_sel:[0,1]
	v_pk_mov_b32 v[4:5], v[18:19], v[18:19] op_sel:[0,1]
	;; [unrolled: 1-line block ×8, first 2 shown]
.LBB71_69:
	s_or_b64 exec, exec, s[12:13]
	v_pk_mov_b32 v[0:1], s[20:21], s[20:21] op_sel:[0,1]
	flat_load_dword v0, v[0:1]
	s_waitcnt vmcnt(0) lgkmcnt(0)
	v_add_u32_e32 v0, -1, v0
	v_cmp_ne_u32_e32 vcc, 0, v0
	s_and_saveexec_b64 s[14:15], vcc
	s_cbranch_execz .LBB71_71
; %bb.70:
	v_cmp_eq_u32_e32 vcc, 1, v0
	v_cndmask_b32_e32 v1, v2, v4, vcc
	v_cmp_eq_u32_e64 s[0:1], 2, v0
	v_cndmask_b32_e32 v18, v3, v5, vcc
	v_cndmask_b32_e64 v1, v1, v6, s[0:1]
	v_cmp_eq_u32_e64 s[2:3], 3, v0
	v_cndmask_b32_e64 v18, v18, v7, s[0:1]
	v_cndmask_b32_e64 v1, v1, v8, s[2:3]
	v_cmp_eq_u32_e64 s[4:5], 4, v0
	v_cndmask_b32_e64 v18, v18, v9, s[2:3]
	v_cndmask_b32_e64 v1, v1, v10, s[4:5]
	v_cmp_eq_u32_e64 s[6:7], 5, v0
	v_cndmask_b32_e64 v18, v18, v11, s[4:5]
	v_cndmask_b32_e64 v1, v1, v12, s[6:7]
	v_cmp_eq_u32_e64 s[8:9], 6, v0
	v_cndmask_b32_e64 v18, v18, v13, s[6:7]
	v_cndmask_b32_e64 v1, v1, v14, s[8:9]
	v_cmp_eq_u32_e64 s[10:11], 7, v0
	v_cndmask_b32_e64 v18, v18, v15, s[8:9]
	v_cndmask_b32_e64 v1, v1, v16, s[10:11]
	v_cndmask_b32_e64 v18, v18, v17, s[10:11]
	v_cmp_eq_u32_e64 s[12:13], 0, v0
	v_cndmask_b32_e64 v19, v18, v3, s[12:13]
	v_cndmask_b32_e64 v18, v1, v2, s[12:13]
	;; [unrolled: 1-line block ×14, first 2 shown]
	v_cndmask_b32_e32 v21, v5, v3, vcc
	v_cndmask_b32_e32 v20, v4, v2, vcc
	v_pk_mov_b32 v[2:3], v[18:19], v[18:19] op_sel:[0,1]
	v_pk_mov_b32 v[4:5], v[20:21], v[20:21] op_sel:[0,1]
	v_pk_mov_b32 v[6:7], v[22:23], v[22:23] op_sel:[0,1]
	v_pk_mov_b32 v[8:9], v[24:25], v[24:25] op_sel:[0,1]
	v_pk_mov_b32 v[10:11], v[26:27], v[26:27] op_sel:[0,1]
	v_pk_mov_b32 v[12:13], v[28:29], v[28:29] op_sel:[0,1]
	v_pk_mov_b32 v[14:15], v[30:31], v[30:31] op_sel:[0,1]
	v_pk_mov_b32 v[16:17], v[32:33], v[32:33] op_sel:[0,1]
.LBB71_71:
	s_or_b64 exec, exec, s[14:15]
.LBB71_72:
	global_store_dwordx2 v[34:35], v[2:3], off
	global_store_dwordx2 v[36:37], v[4:5], off
	;; [unrolled: 1-line block ×8, first 2 shown]
	s_endpgm
	.section	.rodata,"a",@progbits
	.p2align	6, 0x0
	.amdhsa_kernel _ZN9rocsolver6v33100L18getri_kernel_smallILi8EdPKPdEEvT1_iilPiilS6_bb
		.amdhsa_group_segment_fixed_size 136
		.amdhsa_private_segment_fixed_size 0
		.amdhsa_kernarg_size 60
		.amdhsa_user_sgpr_count 6
		.amdhsa_user_sgpr_private_segment_buffer 1
		.amdhsa_user_sgpr_dispatch_ptr 0
		.amdhsa_user_sgpr_queue_ptr 0
		.amdhsa_user_sgpr_kernarg_segment_ptr 1
		.amdhsa_user_sgpr_dispatch_id 0
		.amdhsa_user_sgpr_flat_scratch_init 0
		.amdhsa_user_sgpr_kernarg_preload_length 0
		.amdhsa_user_sgpr_kernarg_preload_offset 0
		.amdhsa_user_sgpr_private_segment_size 0
		.amdhsa_uses_dynamic_stack 0
		.amdhsa_system_sgpr_private_segment_wavefront_offset 0
		.amdhsa_system_sgpr_workgroup_id_x 1
		.amdhsa_system_sgpr_workgroup_id_y 0
		.amdhsa_system_sgpr_workgroup_id_z 0
		.amdhsa_system_sgpr_workgroup_info 0
		.amdhsa_system_vgpr_workitem_id 0
		.amdhsa_next_free_vgpr 50
		.amdhsa_next_free_sgpr 24
		.amdhsa_accum_offset 52
		.amdhsa_reserve_vcc 1
		.amdhsa_reserve_flat_scratch 0
		.amdhsa_float_round_mode_32 0
		.amdhsa_float_round_mode_16_64 0
		.amdhsa_float_denorm_mode_32 3
		.amdhsa_float_denorm_mode_16_64 3
		.amdhsa_dx10_clamp 1
		.amdhsa_ieee_mode 1
		.amdhsa_fp16_overflow 0
		.amdhsa_tg_split 0
		.amdhsa_exception_fp_ieee_invalid_op 0
		.amdhsa_exception_fp_denorm_src 0
		.amdhsa_exception_fp_ieee_div_zero 0
		.amdhsa_exception_fp_ieee_overflow 0
		.amdhsa_exception_fp_ieee_underflow 0
		.amdhsa_exception_fp_ieee_inexact 0
		.amdhsa_exception_int_div_zero 0
	.end_amdhsa_kernel
	.section	.text._ZN9rocsolver6v33100L18getri_kernel_smallILi8EdPKPdEEvT1_iilPiilS6_bb,"axG",@progbits,_ZN9rocsolver6v33100L18getri_kernel_smallILi8EdPKPdEEvT1_iilPiilS6_bb,comdat
.Lfunc_end71:
	.size	_ZN9rocsolver6v33100L18getri_kernel_smallILi8EdPKPdEEvT1_iilPiilS6_bb, .Lfunc_end71-_ZN9rocsolver6v33100L18getri_kernel_smallILi8EdPKPdEEvT1_iilPiilS6_bb
                                        ; -- End function
	.section	.AMDGPU.csdata,"",@progbits
; Kernel info:
; codeLenInByte = 7128
; NumSgprs: 28
; NumVgprs: 50
; NumAgprs: 0
; TotalNumVgprs: 50
; ScratchSize: 0
; MemoryBound: 0
; FloatMode: 240
; IeeeMode: 1
; LDSByteSize: 136 bytes/workgroup (compile time only)
; SGPRBlocks: 3
; VGPRBlocks: 6
; NumSGPRsForWavesPerEU: 28
; NumVGPRsForWavesPerEU: 50
; AccumOffset: 52
; Occupancy: 8
; WaveLimiterHint : 1
; COMPUTE_PGM_RSRC2:SCRATCH_EN: 0
; COMPUTE_PGM_RSRC2:USER_SGPR: 6
; COMPUTE_PGM_RSRC2:TRAP_HANDLER: 0
; COMPUTE_PGM_RSRC2:TGID_X_EN: 1
; COMPUTE_PGM_RSRC2:TGID_Y_EN: 0
; COMPUTE_PGM_RSRC2:TGID_Z_EN: 0
; COMPUTE_PGM_RSRC2:TIDIG_COMP_CNT: 0
; COMPUTE_PGM_RSRC3_GFX90A:ACCUM_OFFSET: 12
; COMPUTE_PGM_RSRC3_GFX90A:TG_SPLIT: 0
	.section	.text._ZN9rocsolver6v33100L18getri_kernel_smallILi9EdPKPdEEvT1_iilPiilS6_bb,"axG",@progbits,_ZN9rocsolver6v33100L18getri_kernel_smallILi9EdPKPdEEvT1_iilPiilS6_bb,comdat
	.globl	_ZN9rocsolver6v33100L18getri_kernel_smallILi9EdPKPdEEvT1_iilPiilS6_bb ; -- Begin function _ZN9rocsolver6v33100L18getri_kernel_smallILi9EdPKPdEEvT1_iilPiilS6_bb
	.p2align	8
	.type	_ZN9rocsolver6v33100L18getri_kernel_smallILi9EdPKPdEEvT1_iilPiilS6_bb,@function
_ZN9rocsolver6v33100L18getri_kernel_smallILi9EdPKPdEEvT1_iilPiilS6_bb: ; @_ZN9rocsolver6v33100L18getri_kernel_smallILi9EdPKPdEEvT1_iilPiilS6_bb
; %bb.0:
	v_cmp_gt_u32_e32 vcc, 9, v0
	s_and_saveexec_b64 s[0:1], vcc
	s_cbranch_execz .LBB72_16
; %bb.1:
	s_load_dword s8, s[4:5], 0x38
	s_load_dwordx2 s[0:1], s[4:5], 0x0
	s_load_dwordx4 s[24:27], s[4:5], 0x28
                                        ; implicit-def: $sgpr28_sgpr29
	s_waitcnt lgkmcnt(0)
	s_bitcmp1_b32 s8, 8
	s_cselect_b64 s[30:31], -1, 0
	s_ashr_i32 s7, s6, 31
	s_lshl_b64 s[2:3], s[6:7], 3
	s_add_u32 s0, s0, s2
	s_addc_u32 s1, s1, s3
	s_load_dwordx2 s[2:3], s[0:1], 0x0
	s_bfe_u32 s0, s8, 0x10008
	s_cmp_eq_u32 s0, 0
	s_cbranch_scc1 .LBB72_3
; %bb.2:
	s_load_dword s0, s[4:5], 0x20
	s_load_dwordx2 s[10:11], s[4:5], 0x18
	s_mul_i32 s1, s6, s25
	s_mul_hi_u32 s9, s6, s24
	s_add_i32 s9, s9, s1
	s_mul_i32 s12, s7, s24
	s_add_i32 s13, s9, s12
	s_mul_i32 s12, s6, s24
	s_waitcnt lgkmcnt(0)
	s_ashr_i32 s1, s0, 31
	s_lshl_b64 s[12:13], s[12:13], 2
	s_add_u32 s9, s10, s12
	s_addc_u32 s10, s11, s13
	s_lshl_b64 s[0:1], s[0:1], 2
	s_add_u32 s28, s9, s0
	s_addc_u32 s29, s10, s1
.LBB72_3:
	s_load_dwordx2 s[0:1], s[4:5], 0x8
	v_lshlrev_b32_e32 v22, 3, v0
	s_waitcnt lgkmcnt(0)
	s_ashr_i32 s5, s0, 31
	s_mov_b32 s4, s0
	s_lshl_b64 s[4:5], s[4:5], 3
	s_add_u32 s2, s2, s4
	s_addc_u32 s3, s3, s5
	v_mov_b32_e32 v1, s3
	v_add_co_u32_e32 v52, vcc, s2, v22
	s_ashr_i32 s5, s1, 31
	s_mov_b32 s4, s1
	s_add_i32 s0, s1, s1
	v_addc_co_u32_e32 v53, vcc, 0, v1, vcc
	s_lshl_b64 s[4:5], s[4:5], 3
	v_add_u32_e32 v4, s0, v0
	v_mov_b32_e32 v1, s5
	v_add_co_u32_e32 v54, vcc, s4, v52
	v_ashrrev_i32_e32 v5, 31, v4
	v_addc_co_u32_e32 v55, vcc, v53, v1, vcc
	v_lshlrev_b64 v[6:7], 3, v[4:5]
	v_add_u32_e32 v4, s1, v4
	v_mov_b32_e32 v1, s3
	v_add_co_u32_e32 v56, vcc, s2, v6
	v_ashrrev_i32_e32 v5, 31, v4
	v_addc_co_u32_e32 v57, vcc, v1, v7, vcc
	v_lshlrev_b64 v[6:7], 3, v[4:5]
	v_add_u32_e32 v12, s1, v4
	v_add_co_u32_e32 v58, vcc, s2, v6
	v_ashrrev_i32_e32 v13, 31, v12
	v_addc_co_u32_e32 v59, vcc, v1, v7, vcc
	v_lshlrev_b64 v[4:5], 3, v[12:13]
	v_add_u32_e32 v12, s1, v12
	;; [unrolled: 5-line block ×5, first 2 shown]
	v_add_co_u32_e32 v66, vcc, s2, v14
	v_ashrrev_i32_e32 v13, 31, v12
	v_addc_co_u32_e32 v67, vcc, v1, v15, vcc
	v_lshlrev_b64 v[12:13], 3, v[12:13]
	v_add_co_u32_e32 v68, vcc, s2, v12
	global_load_dwordx2 v[2:3], v22, s[2:3]
	global_load_dwordx2 v[4:5], v[54:55], off
	global_load_dwordx2 v[6:7], v[56:57], off
	;; [unrolled: 1-line block ×4, first 2 shown]
	v_addc_co_u32_e32 v69, vcc, v1, v13, vcc
	global_load_dwordx2 v[12:13], v[62:63], off
	global_load_dwordx2 v[14:15], v[64:65], off
	;; [unrolled: 1-line block ×4, first 2 shown]
	v_mov_b32_e32 v1, 0
	s_bitcmp0_b32 s8, 0
	s_mov_b64 s[0:1], -1
	s_cbranch_scc1 .LBB72_14
; %bb.4:
	v_cmp_eq_u32_e64 s[0:1], 0, v0
	s_and_saveexec_b64 s[2:3], s[0:1]
	s_cbranch_execz .LBB72_6
; %bb.5:
	v_mov_b32_e32 v20, 0
	ds_write_b32 v20, v20 offset:72
.LBB72_6:
	s_or_b64 exec, exec, s[2:3]
	v_cmp_eq_u32_e32 vcc, 1, v0
	s_waitcnt vmcnt(7)
	v_cndmask_b32_e32 v20, v3, v5, vcc
	v_cmp_eq_u32_e64 s[2:3], 2, v0
	s_waitcnt vmcnt(6)
	v_cndmask_b32_e64 v20, v20, v7, s[2:3]
	v_cmp_eq_u32_e64 s[4:5], 3, v0
	s_waitcnt vmcnt(5)
	v_cndmask_b32_e64 v20, v20, v9, s[4:5]
	;; [unrolled: 3-line block ×7, first 2 shown]
	v_cndmask_b32_e32 v20, v2, v4, vcc
	v_cndmask_b32_e64 v20, v20, v6, s[2:3]
	v_cndmask_b32_e64 v20, v20, v8, s[4:5]
	;; [unrolled: 1-line block ×7, first 2 shown]
	v_cmp_eq_f64_e32 vcc, 0, v[20:21]
	s_waitcnt lgkmcnt(0)
	; wave barrier
	s_waitcnt lgkmcnt(0)
	s_and_saveexec_b64 s[4:5], vcc
	s_cbranch_execz .LBB72_10
; %bb.7:
	v_mov_b32_e32 v23, 0
	ds_read_b32 v25, v23 offset:72
	v_add_u32_e32 v24, 1, v0
	s_waitcnt lgkmcnt(0)
	v_readfirstlane_b32 s2, v25
	s_cmp_eq_u32 s2, 0
	s_cselect_b64 s[8:9], -1, 0
	v_cmp_gt_i32_e32 vcc, s2, v24
	s_or_b64 s[8:9], s[8:9], vcc
	s_and_b64 exec, exec, s[8:9]
	s_cbranch_execz .LBB72_10
; %bb.8:
	s_mov_b64 s[8:9], 0
	v_mov_b32_e32 v25, s2
.LBB72_9:                               ; =>This Inner Loop Header: Depth=1
	ds_cmpst_rtn_b32 v25, v23, v25, v24 offset:72
	s_waitcnt lgkmcnt(0)
	v_cmp_ne_u32_e32 vcc, 0, v25
	v_cmp_le_i32_e64 s[2:3], v25, v24
	s_and_b64 s[2:3], vcc, s[2:3]
	s_and_b64 s[2:3], exec, s[2:3]
	s_or_b64 s[8:9], s[2:3], s[8:9]
	s_andn2_b64 exec, exec, s[8:9]
	s_cbranch_execnz .LBB72_9
.LBB72_10:
	s_or_b64 exec, exec, s[4:5]
	v_mov_b32_e32 v24, 0
	s_waitcnt lgkmcnt(0)
	; wave barrier
	ds_read_b32 v23, v24 offset:72
	s_and_saveexec_b64 s[2:3], s[0:1]
	s_cbranch_execz .LBB72_12
; %bb.11:
	s_lshl_b64 s[4:5], s[6:7], 2
	s_add_u32 s4, s26, s4
	s_addc_u32 s5, s27, s5
	s_waitcnt lgkmcnt(0)
	global_store_dword v24, v23, s[4:5]
.LBB72_12:
	s_or_b64 exec, exec, s[2:3]
	s_waitcnt lgkmcnt(0)
	v_cmp_ne_u32_e32 vcc, 0, v23
	s_cbranch_vccz .LBB72_17
; %bb.13:
	s_mov_b64 s[0:1], 0
                                        ; implicit-def: $vgpr2_vgpr3_vgpr4_vgpr5_vgpr6_vgpr7_vgpr8_vgpr9_vgpr10_vgpr11_vgpr12_vgpr13_vgpr14_vgpr15_vgpr16_vgpr17_vgpr18_vgpr19_vgpr20_vgpr21_vgpr22_vgpr23_vgpr24_vgpr25_vgpr26_vgpr27_vgpr28_vgpr29_vgpr30_vgpr31_vgpr32_vgpr33
.LBB72_14:
	s_and_b64 vcc, exec, s[0:1]
	s_cbranch_vccz .LBB72_16
.LBB72_15:
	s_lshl_b64 s[0:1], s[6:7], 2
	s_add_u32 s0, s26, s0
	s_addc_u32 s1, s27, s1
	v_mov_b32_e32 v1, 0
	global_load_dword v1, v1, s[0:1]
	s_waitcnt vmcnt(0)
	v_cmp_ne_u32_e32 vcc, 0, v1
	s_cbranch_vccz .LBB72_58
.LBB72_16:
	s_endpgm
.LBB72_17:
	v_div_scale_f64 v[24:25], s[2:3], v[20:21], v[20:21], 1.0
	v_rcp_f64_e32 v[26:27], v[24:25]
	v_div_scale_f64 v[28:29], vcc, 1.0, v[20:21], 1.0
	v_fma_f64 v[30:31], -v[24:25], v[26:27], 1.0
	v_fmac_f64_e32 v[26:27], v[26:27], v[30:31]
	v_fma_f64 v[30:31], -v[24:25], v[26:27], 1.0
	v_fmac_f64_e32 v[26:27], v[26:27], v[30:31]
	v_mul_f64 v[30:31], v[28:29], v[26:27]
	v_fma_f64 v[24:25], -v[24:25], v[30:31], v[28:29]
	v_div_fmas_f64 v[24:25], v[24:25], v[26:27], v[30:31]
	v_div_fixup_f64 v[20:21], v[24:25], v[20:21], 1.0
	v_cmp_eq_u32_e32 vcc, 8, v0
	v_cndmask_b32_e32 v19, v19, v21, vcc
	v_cndmask_b32_e32 v18, v18, v20, vcc
	v_cmp_eq_u32_e32 vcc, 7, v0
	v_cndmask_b32_e32 v17, v17, v21, vcc
	v_cndmask_b32_e32 v16, v16, v20, vcc
	;; [unrolled: 3-line block ×9, first 2 shown]
	v_xor_b32_e32 v27, 0x80000000, v21
	v_mov_b32_e32 v26, v20
	v_add_u32_e32 v24, 0x50, v22
	ds_write2_b64 v22, v[26:27], v[4:5] offset1:10
	s_waitcnt lgkmcnt(0)
	; wave barrier
	s_waitcnt lgkmcnt(0)
	s_and_saveexec_b64 s[2:3], s[0:1]
	s_cbranch_execz .LBB72_19
; %bb.18:
	v_mov_b32_e32 v22, 0
	ds_read_b64 v[4:5], v24
	ds_read_b64 v[22:23], v22 offset:8
	s_waitcnt lgkmcnt(1)
	v_fma_f64 v[4:5], v[20:21], v[4:5], 0
	s_waitcnt lgkmcnt(0)
	v_mul_f64 v[4:5], v[4:5], v[22:23]
.LBB72_19:
	s_or_b64 exec, exec, s[2:3]
	v_cmp_gt_u32_e32 vcc, 2, v0
	s_waitcnt lgkmcnt(0)
	; wave barrier
	ds_write_b64 v24, v[6:7]
	s_waitcnt lgkmcnt(0)
	; wave barrier
	s_waitcnt lgkmcnt(0)
	s_and_saveexec_b64 s[18:19], vcc
	s_cbranch_execz .LBB72_21
; %bb.20:
	v_cmp_eq_u32_e32 vcc, 1, v0
	v_cndmask_b32_e32 v20, v3, v5, vcc
	v_cmp_eq_u32_e64 s[2:3], 2, v0
	v_cndmask_b32_e64 v7, v20, v7, s[2:3]
	v_cndmask_b32_e32 v20, v2, v4, vcc
	v_cmp_eq_u32_e64 s[4:5], 3, v0
	v_cndmask_b32_e64 v6, v20, v6, s[2:3]
	v_cndmask_b32_e64 v7, v7, v9, s[4:5]
	v_cmp_eq_u32_e64 s[8:9], 4, v0
	v_cndmask_b32_e64 v6, v6, v8, s[4:5]
	v_cndmask_b32_e64 v7, v7, v11, s[8:9]
	v_cmp_eq_u32_e64 s[10:11], 5, v0
	v_cndmask_b32_e64 v6, v6, v10, s[8:9]
	ds_read_b64 v[26:27], v24
	v_mov_b32_e32 v20, 0
	v_cndmask_b32_e64 v7, v7, v13, s[10:11]
	v_cmp_eq_u32_e64 s[12:13], 6, v0
	v_cndmask_b32_e64 v6, v6, v12, s[10:11]
	ds_read2_b64 v[20:23], v20 offset0:2 offset1:11
	v_cndmask_b32_e64 v7, v7, v15, s[12:13]
	v_cmp_eq_u32_e64 s[14:15], 7, v0
	v_cndmask_b32_e64 v6, v6, v14, s[12:13]
	v_cndmask_b32_e64 v7, v7, v17, s[14:15]
	v_cmp_eq_u32_e64 s[16:17], 8, v0
	v_cndmask_b32_e64 v6, v6, v16, s[14:15]
	v_cndmask_b32_e64 v7, v7, v19, s[16:17]
	;; [unrolled: 1-line block ×3, first 2 shown]
	s_waitcnt lgkmcnt(1)
	v_fma_f64 v[6:7], v[6:7], v[26:27], 0
	s_waitcnt lgkmcnt(0)
	v_fma_f64 v[22:23], v[4:5], v[22:23], v[6:7]
	v_cndmask_b32_e64 v7, v7, v23, s[0:1]
	v_cndmask_b32_e64 v6, v6, v22, s[0:1]
	v_mul_f64 v[6:7], v[6:7], v[20:21]
.LBB72_21:
	s_or_b64 exec, exec, s[18:19]
	v_cmp_gt_u32_e32 vcc, 3, v0
	s_waitcnt lgkmcnt(0)
	; wave barrier
	ds_write_b64 v24, v[8:9]
	s_waitcnt lgkmcnt(0)
	; wave barrier
	s_waitcnt lgkmcnt(0)
	s_and_saveexec_b64 s[10:11], vcc
	s_cbranch_execz .LBB72_25
; %bb.22:
	v_mov_b32_e32 v20, 0x50
	v_lshl_add_u32 v25, v0, 3, v20
	s_mov_b64 s[12:13], 0
	v_pk_mov_b32 v[20:21], 0, 0
	v_pk_mov_b32 v[22:23], v[0:1], v[0:1] op_sel:[0,1]
.LBB72_23:                              ; =>This Inner Loop Header: Depth=1
	v_cmp_eq_u32_e64 s[2:3], 1, v22
	v_cndmask_b32_e64 v28, v3, v5, s[2:3]
	v_cmp_eq_u32_e64 s[4:5], 2, v22
	v_cndmask_b32_e64 v28, v28, v7, s[4:5]
	v_cndmask_b32_e64 v29, v2, v4, s[2:3]
	v_cmp_eq_u32_e64 s[2:3], 3, v22
	v_cndmask_b32_e64 v28, v28, v9, s[2:3]
	v_cndmask_b32_e64 v29, v29, v6, s[4:5]
	v_cmp_eq_u32_e64 s[4:5], 4, v22
	v_cndmask_b32_e64 v28, v28, v11, s[4:5]
	v_cndmask_b32_e64 v29, v29, v8, s[2:3]
	v_cmp_eq_u32_e64 s[2:3], 5, v22
	ds_read_b64 v[26:27], v25
	v_cndmask_b32_e64 v28, v28, v13, s[2:3]
	v_cndmask_b32_e64 v29, v29, v10, s[4:5]
	v_cmp_eq_u32_e64 s[4:5], 6, v22
	v_cndmask_b32_e64 v28, v28, v15, s[4:5]
	v_cndmask_b32_e64 v29, v29, v12, s[2:3]
	v_cmp_eq_u32_e64 s[2:3], 7, v22
	v_cndmask_b32_e64 v28, v28, v17, s[2:3]
	v_cmp_eq_u32_e64 s[8:9], 8, v22
	v_cndmask_b32_e64 v30, v29, v14, s[4:5]
	v_add_co_u32_e64 v22, s[4:5], 1, v22
	v_cndmask_b32_e64 v29, v28, v19, s[8:9]
	v_cndmask_b32_e64 v28, v30, v16, s[2:3]
	v_add_u32_e32 v30, -1, v22
	v_cndmask_b32_e64 v28, v28, v18, s[8:9]
	v_cmp_lt_u32_e64 s[2:3], 1, v30
	v_add_u32_e32 v25, 8, v25
	v_addc_co_u32_e64 v23, s[4:5], 0, v23, s[4:5]
	s_or_b64 s[12:13], s[2:3], s[12:13]
	s_waitcnt lgkmcnt(0)
	v_fmac_f64_e32 v[20:21], v[28:29], v[26:27]
	s_andn2_b64 exec, exec, s[12:13]
	s_cbranch_execnz .LBB72_23
; %bb.24:
	s_or_b64 exec, exec, s[12:13]
	v_mov_b32_e32 v8, 0
	ds_read_b64 v[8:9], v8 offset:24
	s_waitcnt lgkmcnt(0)
	v_mul_f64 v[8:9], v[20:21], v[8:9]
.LBB72_25:
	s_or_b64 exec, exec, s[10:11]
	v_cmp_gt_u32_e64 s[2:3], 4, v0
	s_waitcnt lgkmcnt(0)
	; wave barrier
	ds_write_b64 v24, v[10:11]
	s_waitcnt lgkmcnt(0)
	; wave barrier
	s_waitcnt lgkmcnt(0)
	s_and_saveexec_b64 s[10:11], s[2:3]
	s_cbranch_execz .LBB72_29
; %bb.26:
	v_mov_b32_e32 v20, 0x50
	v_lshl_add_u32 v25, v0, 3, v20
	s_mov_b64 s[12:13], 0
	v_pk_mov_b32 v[20:21], 0, 0
	v_pk_mov_b32 v[22:23], v[0:1], v[0:1] op_sel:[0,1]
.LBB72_27:                              ; =>This Inner Loop Header: Depth=1
	v_cmp_eq_u32_e64 s[2:3], 1, v22
	v_cndmask_b32_e64 v28, v3, v5, s[2:3]
	v_cmp_eq_u32_e64 s[4:5], 2, v22
	v_cndmask_b32_e64 v28, v28, v7, s[4:5]
	v_cndmask_b32_e64 v29, v2, v4, s[2:3]
	v_cmp_eq_u32_e64 s[2:3], 3, v22
	v_cndmask_b32_e64 v28, v28, v9, s[2:3]
	v_cndmask_b32_e64 v29, v29, v6, s[4:5]
	v_cmp_eq_u32_e64 s[4:5], 4, v22
	v_cndmask_b32_e64 v28, v28, v11, s[4:5]
	v_cndmask_b32_e64 v29, v29, v8, s[2:3]
	v_cmp_eq_u32_e64 s[2:3], 5, v22
	ds_read_b64 v[26:27], v25
	v_cndmask_b32_e64 v28, v28, v13, s[2:3]
	v_cndmask_b32_e64 v29, v29, v10, s[4:5]
	v_cmp_eq_u32_e64 s[4:5], 6, v22
	v_cndmask_b32_e64 v28, v28, v15, s[4:5]
	v_cndmask_b32_e64 v29, v29, v12, s[2:3]
	v_cmp_eq_u32_e64 s[2:3], 7, v22
	v_cndmask_b32_e64 v28, v28, v17, s[2:3]
	v_cmp_eq_u32_e64 s[8:9], 8, v22
	v_cndmask_b32_e64 v30, v29, v14, s[4:5]
	v_add_co_u32_e64 v22, s[4:5], 1, v22
	v_cndmask_b32_e64 v29, v28, v19, s[8:9]
	v_cndmask_b32_e64 v28, v30, v16, s[2:3]
	v_add_u32_e32 v30, -1, v22
	v_cndmask_b32_e64 v28, v28, v18, s[8:9]
	v_cmp_lt_u32_e64 s[2:3], 2, v30
	v_add_u32_e32 v25, 8, v25
	v_addc_co_u32_e64 v23, s[4:5], 0, v23, s[4:5]
	s_or_b64 s[12:13], s[2:3], s[12:13]
	s_waitcnt lgkmcnt(0)
	v_fmac_f64_e32 v[20:21], v[28:29], v[26:27]
	s_andn2_b64 exec, exec, s[12:13]
	s_cbranch_execnz .LBB72_27
; %bb.28:
	s_or_b64 exec, exec, s[12:13]
	v_mov_b32_e32 v10, 0
	ds_read_b64 v[10:11], v10 offset:32
	s_waitcnt lgkmcnt(0)
	v_mul_f64 v[10:11], v[20:21], v[10:11]
.LBB72_29:
	s_or_b64 exec, exec, s[10:11]
	v_cmp_gt_u32_e64 s[2:3], 5, v0
	s_waitcnt lgkmcnt(0)
	; wave barrier
	ds_write_b64 v24, v[12:13]
	s_waitcnt lgkmcnt(0)
	; wave barrier
	s_waitcnt lgkmcnt(0)
	s_and_saveexec_b64 s[12:13], s[2:3]
	;; [unrolled: 59-line block ×4, first 2 shown]
	s_cbranch_execz .LBB72_41
; %bb.38:
	v_mov_b32_e32 v20, 0x50
	v_lshl_add_u32 v25, v0, 3, v20
	s_mov_b64 s[16:17], 0
	v_pk_mov_b32 v[20:21], 0, 0
	v_pk_mov_b32 v[22:23], v[0:1], v[0:1] op_sel:[0,1]
.LBB72_39:                              ; =>This Inner Loop Header: Depth=1
	v_cmp_eq_u32_e64 s[8:9], 1, v22
	v_cndmask_b32_e64 v1, v3, v5, s[8:9]
	v_cmp_eq_u32_e64 s[10:11], 2, v22
	v_cndmask_b32_e64 v1, v1, v7, s[10:11]
	v_cndmask_b32_e64 v28, v2, v4, s[8:9]
	v_cmp_eq_u32_e64 s[8:9], 3, v22
	v_cndmask_b32_e64 v1, v1, v9, s[8:9]
	;; [unrolled: 3-line block ×3, first 2 shown]
	v_cndmask_b32_e64 v28, v28, v8, s[8:9]
	v_cmp_eq_u32_e64 s[8:9], 5, v22
	ds_read_b64 v[26:27], v25
	v_cndmask_b32_e64 v1, v1, v13, s[8:9]
	v_cndmask_b32_e64 v28, v28, v10, s[10:11]
	v_cmp_eq_u32_e64 s[10:11], 6, v22
	v_cndmask_b32_e64 v1, v1, v15, s[10:11]
	v_cndmask_b32_e64 v28, v28, v12, s[8:9]
	v_cmp_eq_u32_e64 s[8:9], 7, v22
	v_cndmask_b32_e64 v1, v1, v17, s[8:9]
	v_cmp_eq_u32_e64 s[12:13], 8, v22
	v_cndmask_b32_e64 v28, v28, v14, s[10:11]
	v_add_co_u32_e64 v22, s[10:11], 1, v22
	v_cndmask_b32_e64 v29, v1, v19, s[12:13]
	v_cndmask_b32_e64 v1, v28, v16, s[8:9]
	v_add_u32_e32 v30, -1, v22
	v_cndmask_b32_e64 v28, v1, v18, s[12:13]
	v_cmp_lt_u32_e64 s[8:9], 5, v30
	v_add_u32_e32 v25, 8, v25
	v_addc_co_u32_e64 v23, s[10:11], 0, v23, s[10:11]
	s_or_b64 s[16:17], s[8:9], s[16:17]
	s_waitcnt lgkmcnt(0)
	v_fmac_f64_e32 v[20:21], v[28:29], v[26:27]
	s_andn2_b64 exec, exec, s[16:17]
	s_cbranch_execnz .LBB72_39
; %bb.40:
	s_or_b64 exec, exec, s[16:17]
	v_mov_b32_e32 v1, 0
	ds_read_b64 v[16:17], v1 offset:56
	s_waitcnt lgkmcnt(0)
	v_mul_f64 v[16:17], v[20:21], v[16:17]
.LBB72_41:
	s_or_b64 exec, exec, s[14:15]
	v_cmp_ne_u32_e64 s[8:9], 8, v0
	s_waitcnt lgkmcnt(0)
	; wave barrier
	ds_write_b64 v24, v[18:19]
	s_waitcnt lgkmcnt(0)
	; wave barrier
	s_waitcnt lgkmcnt(0)
	s_and_saveexec_b64 s[24:25], s[8:9]
	s_cbranch_execz .LBB72_57
; %bb.42:
	v_cmp_eq_u32_e64 s[8:9], 1, v0
	v_cndmask_b32_e64 v1, v3, v5, s[8:9]
	v_cmp_eq_u32_e64 s[10:11], 2, v0
	v_cndmask_b32_e64 v1, v1, v7, s[10:11]
	v_cmp_eq_u32_e64 s[12:13], 3, v0
	v_cndmask_b32_e64 v1, v1, v9, s[12:13]
	v_cmp_eq_u32_e64 s[14:15], 4, v0
	v_cndmask_b32_e64 v1, v1, v11, s[14:15]
	v_cmp_eq_u32_e64 s[16:17], 5, v0
	v_cndmask_b32_e64 v1, v1, v13, s[16:17]
	v_cmp_eq_u32_e64 s[18:19], 6, v0
	v_cndmask_b32_e64 v1, v1, v15, s[18:19]
	v_cmp_eq_u32_e64 s[20:21], 7, v0
	v_cndmask_b32_e64 v1, v1, v17, s[20:21]
	v_cmp_eq_u32_e64 s[22:23], 8, v0
	v_cndmask_b32_e64 v21, v1, v19, s[22:23]
	v_cndmask_b32_e64 v1, v2, v4, s[8:9]
	v_cndmask_b32_e64 v1, v1, v6, s[10:11]
	;; [unrolled: 1-line block ×4, first 2 shown]
	ds_read_b64 v[22:23], v24
	v_cndmask_b32_e64 v1, v1, v12, s[16:17]
	v_cndmask_b32_e64 v1, v1, v14, s[18:19]
	;; [unrolled: 1-line block ×4, first 2 shown]
	s_waitcnt lgkmcnt(0)
	v_fma_f64 v[20:21], v[20:21], v[22:23], 0
	s_and_saveexec_b64 s[22:23], s[4:5]
	s_cbranch_execz .LBB72_56
; %bb.43:
	v_add_u32_e32 v1, 1, v0
	v_cmp_eq_u32_e64 s[4:5], 1, v1
	v_cndmask_b32_e64 v22, v3, v5, s[4:5]
	v_cmp_eq_u32_e64 s[8:9], 2, v1
	v_cmp_eq_u32_e64 s[10:11], 3, v1
	;; [unrolled: 1-line block ×7, first 2 shown]
	v_cndmask_b32_e64 v1, v2, v4, s[4:5]
	v_cndmask_b32_e64 v22, v22, v7, s[8:9]
	;; [unrolled: 1-line block ×7, first 2 shown]
	ds_read_b64 v[26:27], v24 offset:8
	v_cndmask_b32_e64 v22, v22, v13, s[14:15]
	v_cndmask_b32_e64 v1, v1, v12, s[14:15]
	;; [unrolled: 1-line block ×8, first 2 shown]
	s_waitcnt lgkmcnt(0)
	v_fmac_f64_e32 v[20:21], v[22:23], v[26:27]
	v_cmp_ne_u32_e64 s[4:5], 6, v0
	s_and_saveexec_b64 s[34:35], s[4:5]
	s_cbranch_execz .LBB72_55
; %bb.44:
	v_add_u32_e32 v1, 2, v0
	v_cmp_eq_u32_e64 s[4:5], 1, v1
	v_cndmask_b32_e64 v22, v3, v5, s[4:5]
	v_cmp_eq_u32_e64 s[8:9], 2, v1
	v_cmp_eq_u32_e64 s[10:11], 3, v1
	;; [unrolled: 1-line block ×7, first 2 shown]
	v_cndmask_b32_e64 v1, v2, v4, s[4:5]
	v_cndmask_b32_e64 v22, v22, v7, s[8:9]
	;; [unrolled: 1-line block ×7, first 2 shown]
	ds_read_b64 v[26:27], v24 offset:16
	v_cndmask_b32_e64 v22, v22, v13, s[14:15]
	v_cndmask_b32_e64 v1, v1, v12, s[14:15]
	;; [unrolled: 1-line block ×8, first 2 shown]
	s_waitcnt lgkmcnt(0)
	v_fmac_f64_e32 v[20:21], v[22:23], v[26:27]
	s_and_saveexec_b64 s[20:21], s[2:3]
	s_cbranch_execz .LBB72_54
; %bb.45:
	v_add_u32_e32 v1, 3, v0
	v_cmp_eq_u32_e64 s[2:3], 1, v1
	v_cndmask_b32_e64 v22, v3, v5, s[2:3]
	v_cmp_eq_u32_e64 s[4:5], 2, v1
	v_cmp_eq_u32_e64 s[8:9], 3, v1
	;; [unrolled: 1-line block ×7, first 2 shown]
	v_cndmask_b32_e64 v1, v2, v4, s[2:3]
	v_cndmask_b32_e64 v22, v22, v7, s[4:5]
	;; [unrolled: 1-line block ×7, first 2 shown]
	ds_read_b64 v[26:27], v24 offset:24
	v_cndmask_b32_e64 v22, v22, v13, s[12:13]
	v_cndmask_b32_e64 v1, v1, v12, s[12:13]
	;; [unrolled: 1-line block ×8, first 2 shown]
	s_waitcnt lgkmcnt(0)
	v_fmac_f64_e32 v[20:21], v[22:23], v[26:27]
	v_cmp_ne_u32_e64 s[2:3], 4, v0
	s_and_saveexec_b64 s[36:37], s[2:3]
	s_cbranch_execz .LBB72_53
; %bb.46:
	v_add_u32_e32 v1, 4, v0
	v_cmp_eq_u32_e64 s[2:3], 1, v1
	v_cndmask_b32_e64 v22, v3, v5, s[2:3]
	v_cmp_eq_u32_e64 s[4:5], 2, v1
	v_cmp_eq_u32_e64 s[8:9], 3, v1
	;; [unrolled: 1-line block ×7, first 2 shown]
	v_cndmask_b32_e64 v1, v2, v4, s[2:3]
	v_cndmask_b32_e64 v22, v22, v7, s[4:5]
	;; [unrolled: 1-line block ×7, first 2 shown]
	ds_read_b64 v[26:27], v24 offset:32
	v_cndmask_b32_e64 v22, v22, v13, s[12:13]
	v_cndmask_b32_e64 v1, v1, v12, s[12:13]
	;; [unrolled: 1-line block ×8, first 2 shown]
	s_waitcnt lgkmcnt(0)
	v_fmac_f64_e32 v[20:21], v[22:23], v[26:27]
	s_and_saveexec_b64 s[18:19], vcc
	s_cbranch_execz .LBB72_52
; %bb.47:
	v_add_u32_e32 v1, 5, v0
	v_cmp_eq_u32_e32 vcc, 1, v1
	v_cndmask_b32_e32 v22, v3, v5, vcc
	v_cmp_eq_u32_e64 s[2:3], 2, v1
	v_cmp_eq_u32_e64 s[4:5], 3, v1
	;; [unrolled: 1-line block ×7, first 2 shown]
	v_cndmask_b32_e32 v1, v2, v4, vcc
	v_cndmask_b32_e64 v22, v22, v7, s[2:3]
	v_cndmask_b32_e64 v1, v1, v6, s[2:3]
	;; [unrolled: 1-line block ×6, first 2 shown]
	ds_read_b64 v[26:27], v24 offset:40
	v_cndmask_b32_e64 v22, v22, v13, s[10:11]
	v_cndmask_b32_e64 v1, v1, v12, s[10:11]
	;; [unrolled: 1-line block ×8, first 2 shown]
	s_waitcnt lgkmcnt(0)
	v_fmac_f64_e32 v[20:21], v[22:23], v[26:27]
	v_cmp_ne_u32_e32 vcc, 2, v0
	s_and_saveexec_b64 s[38:39], vcc
	s_cbranch_execz .LBB72_51
; %bb.48:
	v_add_u32_e32 v1, 6, v0
	v_cmp_eq_u32_e32 vcc, 1, v1
	v_cndmask_b32_e32 v22, v3, v5, vcc
	v_cmp_eq_u32_e64 s[2:3], 2, v1
	v_cndmask_b32_e64 v22, v22, v7, s[2:3]
	v_cmp_eq_u32_e64 s[4:5], 3, v1
	v_cndmask_b32_e64 v22, v22, v9, s[4:5]
	;; [unrolled: 2-line block ×4, first 2 shown]
	v_cmp_eq_u32_e64 s[12:13], 6, v1
	v_cmp_eq_u32_e64 s[14:15], 7, v1
	;; [unrolled: 1-line block ×3, first 2 shown]
	v_cndmask_b32_e32 v1, v2, v4, vcc
	v_cndmask_b32_e64 v22, v22, v15, s[12:13]
	v_cndmask_b32_e64 v1, v1, v6, s[2:3]
	;; [unrolled: 1-line block ×6, first 2 shown]
	ds_read_b64 v[22:23], v24 offset:48
	v_cndmask_b32_e64 v1, v1, v12, s[10:11]
	v_cndmask_b32_e64 v1, v1, v14, s[12:13]
	v_cndmask_b32_e64 v1, v1, v16, s[14:15]
	v_cndmask_b32_e64 v18, v1, v18, s[16:17]
	s_waitcnt lgkmcnt(0)
	v_fmac_f64_e32 v[20:21], v[18:19], v[22:23]
	s_and_saveexec_b64 s[2:3], s[0:1]
	s_cbranch_execz .LBB72_50
; %bb.49:
	ds_read_b64 v[18:19], v24 offset:56
	s_waitcnt lgkmcnt(0)
	v_fmac_f64_e32 v[20:21], v[16:17], v[18:19]
.LBB72_50:
	s_or_b64 exec, exec, s[2:3]
.LBB72_51:
	s_or_b64 exec, exec, s[38:39]
.LBB72_52:
	s_or_b64 exec, exec, s[18:19]
.LBB72_53:
	s_or_b64 exec, exec, s[36:37]
.LBB72_54:
	s_or_b64 exec, exec, s[20:21]
.LBB72_55:
	s_or_b64 exec, exec, s[34:35]
.LBB72_56:
	s_or_b64 exec, exec, s[22:23]
	v_mov_b32_e32 v1, 0
	ds_read_b64 v[18:19], v1 offset:64
	s_waitcnt lgkmcnt(0)
	v_mul_f64 v[18:19], v[20:21], v[18:19]
.LBB72_57:
	s_or_b64 exec, exec, s[24:25]
	s_waitcnt lgkmcnt(0)
	; wave barrier
	s_cbranch_execnz .LBB72_15
	s_branch .LBB72_16
.LBB72_58:
	v_mov_b32_e32 v1, 0x50
	v_lshl_add_u32 v1, v0, 3, v1
	v_cmp_eq_u32_e32 vcc, 8, v0
	s_and_saveexec_b64 s[0:1], vcc
	s_cbranch_execz .LBB72_60
; %bb.59:
	ds_write_b64 v1, v[16:17]
	v_mov_b32_e32 v16, 0
	v_mov_b32_e32 v17, v16
.LBB72_60:
	s_or_b64 exec, exec, s[0:1]
	v_mov_b32_e32 v34, 0
	s_waitcnt lgkmcnt(0)
	; wave barrier
	s_waitcnt lgkmcnt(0)
	ds_read_b64 v[20:21], v34 offset:144
	v_cmp_lt_u32_e32 vcc, 6, v0
	s_waitcnt lgkmcnt(0)
	v_fma_f64 v[20:21], v[18:19], v[20:21], 0
	v_add_f64 v[16:17], v[16:17], -v[20:21]
	s_and_saveexec_b64 s[0:1], vcc
	s_cbranch_execz .LBB72_62
; %bb.61:
	v_mov_b32_e32 v22, v2
	v_mov_b32_e32 v23, v3
	;; [unrolled: 1-line block ×17, first 2 shown]
	ds_write_b64 v1, v[14:15]
	v_pk_mov_b32 v[2:3], v[22:23], v[22:23] op_sel:[0,1]
	v_pk_mov_b32 v[4:5], v[24:25], v[24:25] op_sel:[0,1]
	;; [unrolled: 1-line block ×16, first 2 shown]
.LBB72_62:
	s_or_b64 exec, exec, s[0:1]
	s_waitcnt lgkmcnt(0)
	; wave barrier
	s_waitcnt lgkmcnt(0)
	ds_read2_b64 v[20:23], v34 offset0:17 offset1:18
	v_cmp_lt_u32_e32 vcc, 5, v0
	s_waitcnt lgkmcnt(0)
	v_fma_f64 v[20:21], v[16:17], v[20:21], 0
	v_fmac_f64_e32 v[20:21], v[18:19], v[22:23]
	v_add_f64 v[14:15], v[14:15], -v[20:21]
	s_and_saveexec_b64 s[0:1], vcc
	s_cbranch_execz .LBB72_64
; %bb.63:
	v_mov_b32_e32 v30, 0
	v_mov_b32_e32 v20, v2
	v_mov_b32_e32 v21, v3
	v_mov_b32_e32 v22, v4
	v_mov_b32_e32 v23, v5
	v_mov_b32_e32 v24, v6
	v_mov_b32_e32 v25, v7
	v_mov_b32_e32 v26, v8
	v_mov_b32_e32 v27, v9
	v_mov_b32_e32 v28, v10
	v_mov_b32_e32 v29, v11
	v_mov_b32_e32 v31, v30
	v_mov_b32_e32 v32, v14
	v_mov_b32_e32 v33, v15
	v_mov_b32_e32 v34, v16
	v_mov_b32_e32 v35, v17
	v_mov_b32_e32 v36, v18
	v_mov_b32_e32 v37, v19
	ds_write_b64 v1, v[12:13]
	v_pk_mov_b32 v[2:3], v[20:21], v[20:21] op_sel:[0,1]
	v_pk_mov_b32 v[4:5], v[22:23], v[22:23] op_sel:[0,1]
	;; [unrolled: 1-line block ×16, first 2 shown]
.LBB72_64:
	s_or_b64 exec, exec, s[0:1]
	v_mov_b32_e32 v34, 0
	s_waitcnt lgkmcnt(0)
	; wave barrier
	s_waitcnt lgkmcnt(0)
	ds_read_b128 v[20:23], v34 offset:128
	v_cmp_lt_u32_e32 vcc, 4, v0
	s_waitcnt lgkmcnt(0)
	v_fma_f64 v[20:21], v[14:15], v[20:21], 0
	v_fmac_f64_e32 v[20:21], v[16:17], v[22:23]
	ds_read_b64 v[22:23], v34 offset:144
	s_waitcnt lgkmcnt(0)
	v_fmac_f64_e32 v[20:21], v[18:19], v[22:23]
	v_add_f64 v[12:13], v[12:13], -v[20:21]
	s_and_saveexec_b64 s[0:1], vcc
	s_cbranch_execz .LBB72_66
; %bb.65:
	v_mov_b32_e32 v26, v2
	v_mov_b32_e32 v27, v3
	;; [unrolled: 1-line block ×17, first 2 shown]
	ds_write_b64 v1, v[10:11]
	v_pk_mov_b32 v[2:3], v[26:27], v[26:27] op_sel:[0,1]
	v_pk_mov_b32 v[4:5], v[28:29], v[28:29] op_sel:[0,1]
	;; [unrolled: 1-line block ×16, first 2 shown]
.LBB72_66:
	s_or_b64 exec, exec, s[0:1]
	s_waitcnt lgkmcnt(0)
	; wave barrier
	s_waitcnt lgkmcnt(0)
	ds_read2_b64 v[20:23], v34 offset0:15 offset1:16
	ds_read2_b64 v[24:27], v34 offset0:17 offset1:18
	v_cmp_lt_u32_e32 vcc, 3, v0
	s_waitcnt lgkmcnt(1)
	v_fma_f64 v[20:21], v[12:13], v[20:21], 0
	v_fmac_f64_e32 v[20:21], v[14:15], v[22:23]
	s_waitcnt lgkmcnt(0)
	v_fmac_f64_e32 v[20:21], v[16:17], v[24:25]
	v_fmac_f64_e32 v[20:21], v[18:19], v[26:27]
	v_add_f64 v[10:11], v[10:11], -v[20:21]
	s_and_saveexec_b64 s[0:1], vcc
	s_cbranch_execz .LBB72_68
; %bb.67:
	v_mov_b32_e32 v26, 0
	v_mov_b32_e32 v20, v2
	;; [unrolled: 1-line block ×18, first 2 shown]
	ds_write_b64 v1, v[8:9]
	v_pk_mov_b32 v[2:3], v[20:21], v[20:21] op_sel:[0,1]
	v_pk_mov_b32 v[4:5], v[22:23], v[22:23] op_sel:[0,1]
	;; [unrolled: 1-line block ×16, first 2 shown]
.LBB72_68:
	s_or_b64 exec, exec, s[0:1]
	v_mov_b32_e32 v34, 0
	s_waitcnt lgkmcnt(0)
	; wave barrier
	s_waitcnt lgkmcnt(0)
	ds_read_b128 v[20:23], v34 offset:112
	ds_read_b128 v[24:27], v34 offset:128
	v_cmp_lt_u32_e32 vcc, 2, v0
	s_waitcnt lgkmcnt(1)
	v_fma_f64 v[20:21], v[10:11], v[20:21], 0
	v_fmac_f64_e32 v[20:21], v[12:13], v[22:23]
	ds_read_b64 v[22:23], v34 offset:144
	s_waitcnt lgkmcnt(1)
	v_fmac_f64_e32 v[20:21], v[14:15], v[24:25]
	v_fmac_f64_e32 v[20:21], v[16:17], v[26:27]
	s_waitcnt lgkmcnt(0)
	v_fmac_f64_e32 v[20:21], v[18:19], v[22:23]
	v_add_f64 v[8:9], v[8:9], -v[20:21]
	s_and_saveexec_b64 s[0:1], vcc
	s_cbranch_execz .LBB72_70
; %bb.69:
	v_mov_b32_e32 v30, v2
	v_mov_b32_e32 v31, v3
	;; [unrolled: 1-line block ×17, first 2 shown]
	ds_write_b64 v1, v[6:7]
	v_pk_mov_b32 v[2:3], v[30:31], v[30:31] op_sel:[0,1]
	v_pk_mov_b32 v[4:5], v[32:33], v[32:33] op_sel:[0,1]
	;; [unrolled: 1-line block ×16, first 2 shown]
.LBB72_70:
	s_or_b64 exec, exec, s[0:1]
	s_waitcnt lgkmcnt(0)
	; wave barrier
	s_waitcnt lgkmcnt(0)
	ds_read2_b64 v[20:23], v34 offset0:13 offset1:14
	ds_read2_b64 v[24:27], v34 offset0:15 offset1:16
	;; [unrolled: 1-line block ×3, first 2 shown]
	v_cmp_lt_u32_e32 vcc, 1, v0
	s_waitcnt lgkmcnt(2)
	v_fma_f64 v[20:21], v[8:9], v[20:21], 0
	v_fmac_f64_e32 v[20:21], v[10:11], v[22:23]
	s_waitcnt lgkmcnt(1)
	v_fmac_f64_e32 v[20:21], v[12:13], v[24:25]
	v_fmac_f64_e32 v[20:21], v[14:15], v[26:27]
	s_waitcnt lgkmcnt(0)
	v_fmac_f64_e32 v[20:21], v[16:17], v[28:29]
	v_fmac_f64_e32 v[20:21], v[18:19], v[30:31]
	v_add_f64 v[6:7], v[6:7], -v[20:21]
	s_and_saveexec_b64 s[0:1], vcc
	s_cbranch_execz .LBB72_72
; %bb.71:
	v_mov_b32_e32 v22, 0
	v_mov_b32_e32 v20, v2
	;; [unrolled: 1-line block ×18, first 2 shown]
	ds_write_b64 v1, v[4:5]
	v_pk_mov_b32 v[2:3], v[20:21], v[20:21] op_sel:[0,1]
	v_pk_mov_b32 v[4:5], v[22:23], v[22:23] op_sel:[0,1]
	;; [unrolled: 1-line block ×16, first 2 shown]
.LBB72_72:
	s_or_b64 exec, exec, s[0:1]
	v_mov_b32_e32 v34, 0
	s_waitcnt lgkmcnt(0)
	; wave barrier
	s_waitcnt lgkmcnt(0)
	ds_read_b128 v[20:23], v34 offset:96
	ds_read_b128 v[24:27], v34 offset:112
	v_cmp_ne_u32_e32 vcc, 0, v0
	s_waitcnt lgkmcnt(1)
	v_fma_f64 v[28:29], v[6:7], v[20:21], 0
	v_fmac_f64_e32 v[28:29], v[8:9], v[22:23]
	ds_read_b128 v[20:23], v34 offset:128
	s_waitcnt lgkmcnt(1)
	v_fmac_f64_e32 v[28:29], v[10:11], v[24:25]
	v_fmac_f64_e32 v[28:29], v[12:13], v[26:27]
	s_waitcnt lgkmcnt(0)
	v_fmac_f64_e32 v[28:29], v[14:15], v[20:21]
	ds_read_b64 v[20:21], v34 offset:144
	v_fmac_f64_e32 v[28:29], v[16:17], v[22:23]
	s_waitcnt lgkmcnt(0)
	v_fmac_f64_e32 v[28:29], v[18:19], v[20:21]
	v_add_f64 v[4:5], v[4:5], -v[28:29]
	s_and_saveexec_b64 s[0:1], vcc
	s_cbranch_execz .LBB72_74
; %bb.73:
	v_mov_b32_e32 v35, v34
	v_mov_b32_e32 v36, v4
	;; [unrolled: 1-line block ×17, first 2 shown]
	ds_write_b64 v1, v[2:3]
	v_pk_mov_b32 v[2:3], v[34:35], v[34:35] op_sel:[0,1]
	v_pk_mov_b32 v[4:5], v[36:37], v[36:37] op_sel:[0,1]
	;; [unrolled: 1-line block ×16, first 2 shown]
.LBB72_74:
	s_or_b64 exec, exec, s[0:1]
	s_waitcnt lgkmcnt(0)
	; wave barrier
	s_waitcnt lgkmcnt(0)
	ds_read2_b64 v[20:23], v34 offset0:11 offset1:12
	ds_read2_b64 v[24:27], v34 offset0:13 offset1:14
	;; [unrolled: 1-line block ×4, first 2 shown]
	s_and_b64 vcc, exec, s[30:31]
	s_waitcnt lgkmcnt(3)
	v_fma_f64 v[0:1], v[4:5], v[20:21], 0
	v_fmac_f64_e32 v[0:1], v[6:7], v[22:23]
	s_waitcnt lgkmcnt(2)
	v_fmac_f64_e32 v[0:1], v[8:9], v[24:25]
	v_fmac_f64_e32 v[0:1], v[10:11], v[26:27]
	s_waitcnt lgkmcnt(1)
	v_fmac_f64_e32 v[0:1], v[12:13], v[28:29]
	v_fmac_f64_e32 v[0:1], v[14:15], v[30:31]
	s_waitcnt lgkmcnt(0)
	v_fmac_f64_e32 v[0:1], v[16:17], v[32:33]
	v_fmac_f64_e32 v[0:1], v[18:19], v[34:35]
	v_add_f64 v[2:3], v[2:3], -v[0:1]
	s_cbranch_vccz .LBB72_92
; %bb.75:
	v_pk_mov_b32 v[0:1], s[28:29], s[28:29] op_sel:[0,1]
	flat_load_dword v0, v[0:1] offset:28
	s_waitcnt vmcnt(0) lgkmcnt(0)
	v_add_u32_e32 v0, -1, v0
	v_cmp_ne_u32_e32 vcc, 7, v0
	s_and_saveexec_b64 s[14:15], vcc
	s_cbranch_execz .LBB72_77
; %bb.76:
	v_cmp_eq_u32_e32 vcc, 1, v0
	v_cndmask_b32_e32 v1, v2, v4, vcc
	v_cmp_eq_u32_e64 s[0:1], 2, v0
	v_cndmask_b32_e32 v20, v3, v5, vcc
	v_cndmask_b32_e64 v1, v1, v6, s[0:1]
	v_cmp_eq_u32_e64 s[2:3], 3, v0
	v_cndmask_b32_e64 v20, v20, v7, s[0:1]
	v_cndmask_b32_e64 v1, v1, v8, s[2:3]
	v_cmp_eq_u32_e64 s[4:5], 4, v0
	v_cndmask_b32_e64 v20, v20, v9, s[2:3]
	;; [unrolled: 3-line block ×6, first 2 shown]
	v_cndmask_b32_e64 v1, v1, v18, s[12:13]
	v_cndmask_b32_e64 v20, v20, v19, s[12:13]
	;; [unrolled: 1-line block ×4, first 2 shown]
	v_cndmask_b32_e32 v19, v5, v17, vcc
	v_cndmask_b32_e32 v18, v4, v16, vcc
	v_cmp_eq_u32_e32 vcc, 0, v0
	v_cndmask_b32_e64 v31, v20, v17, s[10:11]
	v_cndmask_b32_e64 v30, v1, v16, s[10:11]
	;; [unrolled: 1-line block ×12, first 2 shown]
	v_cndmask_b32_e32 v17, v3, v17, vcc
	v_cndmask_b32_e32 v16, v2, v16, vcc
	v_pk_mov_b32 v[2:3], v[16:17], v[16:17] op_sel:[0,1]
	v_pk_mov_b32 v[4:5], v[18:19], v[18:19] op_sel:[0,1]
	;; [unrolled: 1-line block ×16, first 2 shown]
.LBB72_77:
	s_or_b64 exec, exec, s[14:15]
	v_pk_mov_b32 v[0:1], s[28:29], s[28:29] op_sel:[0,1]
	flat_load_dword v0, v[0:1] offset:24
	s_waitcnt vmcnt(0) lgkmcnt(0)
	v_add_u32_e32 v0, -1, v0
	v_cmp_ne_u32_e32 vcc, 6, v0
	s_and_saveexec_b64 s[14:15], vcc
	s_cbranch_execz .LBB72_79
; %bb.78:
	v_cmp_eq_u32_e32 vcc, 1, v0
	v_cndmask_b32_e32 v1, v2, v4, vcc
	v_cmp_eq_u32_e64 s[0:1], 2, v0
	v_cndmask_b32_e32 v20, v3, v5, vcc
	v_cndmask_b32_e64 v1, v1, v6, s[0:1]
	v_cmp_eq_u32_e64 s[2:3], 3, v0
	v_cndmask_b32_e64 v20, v20, v7, s[0:1]
	v_cndmask_b32_e64 v1, v1, v8, s[2:3]
	v_cmp_eq_u32_e64 s[4:5], 4, v0
	v_cndmask_b32_e64 v20, v20, v9, s[2:3]
	;; [unrolled: 3-line block ×6, first 2 shown]
	v_cndmask_b32_e64 v1, v1, v18, s[12:13]
	v_cndmask_b32_e64 v20, v20, v19, s[12:13]
	;; [unrolled: 1-line block ×4, first 2 shown]
	v_cndmask_b32_e32 v17, v5, v15, vcc
	v_cndmask_b32_e32 v16, v4, v14, vcc
	v_cmp_eq_u32_e32 vcc, 0, v0
	v_cndmask_b32_e64 v27, v20, v15, s[8:9]
	v_cndmask_b32_e64 v26, v1, v14, s[8:9]
	v_cndmask_b32_e64 v31, v19, v15, s[12:13]
	v_cndmask_b32_e64 v30, v18, v14, s[12:13]
	v_cndmask_b32_e64 v25, v13, v15, s[6:7]
	v_cndmask_b32_e64 v24, v12, v14, s[6:7]
	v_cndmask_b32_e64 v23, v11, v15, s[4:5]
	v_cndmask_b32_e64 v22, v10, v14, s[4:5]
	v_cndmask_b32_e64 v21, v9, v15, s[2:3]
	v_cndmask_b32_e64 v20, v8, v14, s[2:3]
	v_cndmask_b32_e64 v19, v7, v15, s[0:1]
	v_cndmask_b32_e64 v18, v6, v14, s[0:1]
	v_cndmask_b32_e32 v15, v3, v15, vcc
	v_cndmask_b32_e32 v14, v2, v14, vcc
	v_pk_mov_b32 v[2:3], v[14:15], v[14:15] op_sel:[0,1]
	v_pk_mov_b32 v[4:5], v[16:17], v[16:17] op_sel:[0,1]
	;; [unrolled: 1-line block ×16, first 2 shown]
.LBB72_79:
	s_or_b64 exec, exec, s[14:15]
	v_pk_mov_b32 v[0:1], s[28:29], s[28:29] op_sel:[0,1]
	flat_load_dword v0, v[0:1] offset:20
	s_waitcnt vmcnt(0) lgkmcnt(0)
	v_add_u32_e32 v0, -1, v0
	v_cmp_ne_u32_e32 vcc, 5, v0
	s_and_saveexec_b64 s[14:15], vcc
	s_cbranch_execz .LBB72_81
; %bb.80:
	v_cmp_eq_u32_e32 vcc, 1, v0
	v_cndmask_b32_e32 v1, v2, v4, vcc
	v_cmp_eq_u32_e64 s[0:1], 2, v0
	v_cndmask_b32_e32 v20, v3, v5, vcc
	v_cndmask_b32_e64 v1, v1, v6, s[0:1]
	v_cmp_eq_u32_e64 s[2:3], 3, v0
	v_cndmask_b32_e64 v20, v20, v7, s[0:1]
	v_cndmask_b32_e64 v1, v1, v8, s[2:3]
	v_cmp_eq_u32_e64 s[4:5], 4, v0
	v_cndmask_b32_e64 v20, v20, v9, s[2:3]
	;; [unrolled: 3-line block ×6, first 2 shown]
	v_cndmask_b32_e64 v1, v1, v18, s[12:13]
	v_cndmask_b32_e64 v20, v20, v19, s[12:13]
	;; [unrolled: 1-line block ×4, first 2 shown]
	v_cndmask_b32_e32 v15, v5, v13, vcc
	v_cndmask_b32_e32 v14, v4, v12, vcc
	v_cmp_eq_u32_e32 vcc, 0, v0
	v_cndmask_b32_e64 v23, v20, v13, s[6:7]
	v_cndmask_b32_e64 v22, v1, v12, s[6:7]
	;; [unrolled: 1-line block ×12, first 2 shown]
	v_cndmask_b32_e32 v13, v3, v13, vcc
	v_cndmask_b32_e32 v12, v2, v12, vcc
	v_pk_mov_b32 v[2:3], v[12:13], v[12:13] op_sel:[0,1]
	v_pk_mov_b32 v[4:5], v[14:15], v[14:15] op_sel:[0,1]
	;; [unrolled: 1-line block ×16, first 2 shown]
.LBB72_81:
	s_or_b64 exec, exec, s[14:15]
	v_pk_mov_b32 v[0:1], s[28:29], s[28:29] op_sel:[0,1]
	flat_load_dword v0, v[0:1] offset:16
	s_waitcnt vmcnt(0) lgkmcnt(0)
	v_add_u32_e32 v0, -1, v0
	v_cmp_ne_u32_e32 vcc, 4, v0
	s_and_saveexec_b64 s[14:15], vcc
	s_cbranch_execz .LBB72_83
; %bb.82:
	v_cmp_eq_u32_e32 vcc, 1, v0
	v_cndmask_b32_e32 v1, v2, v4, vcc
	v_cmp_eq_u32_e64 s[0:1], 2, v0
	v_cndmask_b32_e32 v20, v3, v5, vcc
	v_cndmask_b32_e64 v1, v1, v6, s[0:1]
	v_cmp_eq_u32_e64 s[2:3], 3, v0
	v_cndmask_b32_e64 v20, v20, v7, s[0:1]
	v_cndmask_b32_e64 v1, v1, v8, s[2:3]
	v_cmp_eq_u32_e64 s[4:5], 4, v0
	v_cndmask_b32_e64 v20, v20, v9, s[2:3]
	;; [unrolled: 3-line block ×6, first 2 shown]
	v_cndmask_b32_e64 v1, v1, v18, s[12:13]
	v_cndmask_b32_e64 v20, v20, v19, s[12:13]
	;; [unrolled: 1-line block ×4, first 2 shown]
	v_cndmask_b32_e32 v15, v5, v11, vcc
	v_cndmask_b32_e32 v14, v4, v10, vcc
	v_cmp_eq_u32_e32 vcc, 0, v0
	v_cndmask_b32_e64 v21, v20, v11, s[4:5]
	v_cndmask_b32_e64 v20, v1, v10, s[4:5]
	;; [unrolled: 1-line block ×12, first 2 shown]
	v_cndmask_b32_e32 v13, v3, v11, vcc
	v_cndmask_b32_e32 v12, v2, v10, vcc
	v_pk_mov_b32 v[2:3], v[12:13], v[12:13] op_sel:[0,1]
	v_pk_mov_b32 v[4:5], v[14:15], v[14:15] op_sel:[0,1]
	;; [unrolled: 1-line block ×16, first 2 shown]
.LBB72_83:
	s_or_b64 exec, exec, s[14:15]
	v_pk_mov_b32 v[0:1], s[28:29], s[28:29] op_sel:[0,1]
	flat_load_dword v0, v[0:1] offset:12
	s_waitcnt vmcnt(0) lgkmcnt(0)
	v_add_u32_e32 v0, -1, v0
	v_cmp_ne_u32_e32 vcc, 3, v0
	s_and_saveexec_b64 s[14:15], vcc
	s_cbranch_execz .LBB72_85
; %bb.84:
	v_cmp_eq_u32_e32 vcc, 1, v0
	v_cndmask_b32_e32 v1, v2, v4, vcc
	v_cmp_eq_u32_e64 s[0:1], 2, v0
	v_cndmask_b32_e32 v20, v3, v5, vcc
	v_cndmask_b32_e64 v1, v1, v6, s[0:1]
	v_cmp_eq_u32_e64 s[2:3], 3, v0
	v_cndmask_b32_e64 v20, v20, v7, s[0:1]
	v_cndmask_b32_e64 v1, v1, v8, s[2:3]
	v_cmp_eq_u32_e64 s[4:5], 4, v0
	v_cndmask_b32_e64 v20, v20, v9, s[2:3]
	;; [unrolled: 3-line block ×6, first 2 shown]
	v_cndmask_b32_e64 v1, v1, v18, s[12:13]
	v_cndmask_b32_e64 v20, v20, v19, s[12:13]
	;; [unrolled: 1-line block ×4, first 2 shown]
	v_cndmask_b32_e32 v17, v5, v9, vcc
	v_cndmask_b32_e32 v16, v4, v8, vcc
	v_cmp_eq_u32_e32 vcc, 0, v0
	v_cndmask_b32_e64 v21, v20, v9, s[2:3]
	v_cndmask_b32_e64 v20, v1, v8, s[2:3]
	;; [unrolled: 1-line block ×12, first 2 shown]
	v_cndmask_b32_e32 v15, v3, v9, vcc
	v_cndmask_b32_e32 v14, v2, v8, vcc
	v_pk_mov_b32 v[2:3], v[14:15], v[14:15] op_sel:[0,1]
	v_pk_mov_b32 v[4:5], v[16:17], v[16:17] op_sel:[0,1]
	;; [unrolled: 1-line block ×16, first 2 shown]
.LBB72_85:
	s_or_b64 exec, exec, s[14:15]
	v_pk_mov_b32 v[0:1], s[28:29], s[28:29] op_sel:[0,1]
	flat_load_dword v0, v[0:1] offset:8
	s_waitcnt vmcnt(0) lgkmcnt(0)
	v_add_u32_e32 v0, -1, v0
	v_cmp_ne_u32_e32 vcc, 2, v0
	s_and_saveexec_b64 s[14:15], vcc
	s_cbranch_execz .LBB72_87
; %bb.86:
	v_cmp_eq_u32_e32 vcc, 1, v0
	v_cndmask_b32_e32 v1, v2, v4, vcc
	v_cmp_eq_u32_e64 s[0:1], 2, v0
	v_cndmask_b32_e32 v20, v3, v5, vcc
	v_cndmask_b32_e64 v1, v1, v6, s[0:1]
	v_cmp_eq_u32_e64 s[2:3], 3, v0
	v_cndmask_b32_e64 v20, v20, v7, s[0:1]
	v_cndmask_b32_e64 v1, v1, v8, s[2:3]
	v_cmp_eq_u32_e64 s[4:5], 4, v0
	v_cndmask_b32_e64 v20, v20, v9, s[2:3]
	;; [unrolled: 3-line block ×6, first 2 shown]
	v_cndmask_b32_e64 v1, v1, v18, s[12:13]
	v_cndmask_b32_e64 v20, v20, v19, s[12:13]
	;; [unrolled: 1-line block ×4, first 2 shown]
	v_cndmask_b32_e32 v19, v5, v7, vcc
	v_cndmask_b32_e32 v18, v4, v6, vcc
	v_cmp_eq_u32_e32 vcc, 0, v0
	v_cndmask_b32_e64 v21, v20, v7, s[0:1]
	v_cndmask_b32_e64 v20, v1, v6, s[0:1]
	;; [unrolled: 1-line block ×12, first 2 shown]
	v_cndmask_b32_e32 v17, v3, v7, vcc
	v_cndmask_b32_e32 v16, v2, v6, vcc
	v_pk_mov_b32 v[2:3], v[16:17], v[16:17] op_sel:[0,1]
	v_pk_mov_b32 v[4:5], v[18:19], v[18:19] op_sel:[0,1]
	;; [unrolled: 1-line block ×16, first 2 shown]
.LBB72_87:
	s_or_b64 exec, exec, s[14:15]
	v_pk_mov_b32 v[0:1], s[28:29], s[28:29] op_sel:[0,1]
	flat_load_dword v0, v[0:1] offset:4
	s_waitcnt vmcnt(0) lgkmcnt(0)
	v_add_u32_e32 v0, -1, v0
	v_cmp_ne_u32_e32 vcc, 1, v0
	s_and_saveexec_b64 s[14:15], vcc
	s_cbranch_execz .LBB72_89
; %bb.88:
	v_cmp_eq_u32_e32 vcc, 1, v0
	v_cndmask_b32_e32 v1, v2, v4, vcc
	v_cmp_eq_u32_e64 s[0:1], 2, v0
	v_cndmask_b32_e32 v20, v3, v5, vcc
	v_cndmask_b32_e64 v1, v1, v6, s[0:1]
	v_cmp_eq_u32_e64 s[2:3], 3, v0
	v_cndmask_b32_e64 v20, v20, v7, s[0:1]
	v_cndmask_b32_e64 v1, v1, v8, s[2:3]
	v_cmp_eq_u32_e64 s[4:5], 4, v0
	v_cndmask_b32_e64 v20, v20, v9, s[2:3]
	v_cndmask_b32_e64 v1, v1, v10, s[4:5]
	v_cmp_eq_u32_e64 s[6:7], 5, v0
	v_cndmask_b32_e64 v20, v20, v11, s[4:5]
	v_cndmask_b32_e64 v1, v1, v12, s[6:7]
	v_cmp_eq_u32_e64 s[8:9], 6, v0
	v_cndmask_b32_e64 v20, v20, v13, s[6:7]
	v_cndmask_b32_e64 v1, v1, v14, s[8:9]
	v_cmp_eq_u32_e64 s[10:11], 7, v0
	v_cndmask_b32_e64 v20, v20, v15, s[8:9]
	v_cndmask_b32_e64 v1, v1, v16, s[10:11]
	v_cmp_eq_u32_e64 s[12:13], 8, v0
	v_cndmask_b32_e64 v20, v20, v17, s[10:11]
	v_cndmask_b32_e64 v1, v1, v18, s[12:13]
	v_cndmask_b32_e64 v20, v20, v19, s[12:13]
	v_cndmask_b32_e32 v21, v20, v5, vcc
	v_cndmask_b32_e32 v20, v1, v4, vcc
	v_cmp_eq_u32_e32 vcc, 0, v0
	v_cndmask_b32_e64 v35, v19, v5, s[12:13]
	v_cndmask_b32_e64 v34, v18, v4, s[12:13]
	;; [unrolled: 1-line block ×14, first 2 shown]
	v_cndmask_b32_e32 v19, v3, v5, vcc
	v_cndmask_b32_e32 v18, v2, v4, vcc
	v_pk_mov_b32 v[2:3], v[18:19], v[18:19] op_sel:[0,1]
	v_pk_mov_b32 v[4:5], v[20:21], v[20:21] op_sel:[0,1]
	;; [unrolled: 1-line block ×16, first 2 shown]
.LBB72_89:
	s_or_b64 exec, exec, s[14:15]
	v_pk_mov_b32 v[0:1], s[28:29], s[28:29] op_sel:[0,1]
	flat_load_dword v0, v[0:1]
	s_waitcnt vmcnt(0) lgkmcnt(0)
	v_add_u32_e32 v0, -1, v0
	v_cmp_ne_u32_e32 vcc, 0, v0
	s_and_saveexec_b64 s[16:17], vcc
	s_cbranch_execz .LBB72_91
; %bb.90:
	v_cmp_eq_u32_e32 vcc, 1, v0
	v_cndmask_b32_e32 v1, v2, v4, vcc
	v_cmp_eq_u32_e64 s[0:1], 2, v0
	v_cndmask_b32_e32 v20, v3, v5, vcc
	v_cndmask_b32_e64 v1, v1, v6, s[0:1]
	v_cmp_eq_u32_e64 s[2:3], 3, v0
	v_cndmask_b32_e64 v20, v20, v7, s[0:1]
	v_cndmask_b32_e64 v1, v1, v8, s[2:3]
	v_cmp_eq_u32_e64 s[4:5], 4, v0
	v_cndmask_b32_e64 v20, v20, v9, s[2:3]
	v_cndmask_b32_e64 v1, v1, v10, s[4:5]
	v_cmp_eq_u32_e64 s[6:7], 5, v0
	v_cndmask_b32_e64 v20, v20, v11, s[4:5]
	v_cndmask_b32_e64 v1, v1, v12, s[6:7]
	v_cmp_eq_u32_e64 s[8:9], 6, v0
	v_cndmask_b32_e64 v20, v20, v13, s[6:7]
	v_cndmask_b32_e64 v1, v1, v14, s[8:9]
	v_cmp_eq_u32_e64 s[10:11], 7, v0
	v_cndmask_b32_e64 v20, v20, v15, s[8:9]
	v_cndmask_b32_e64 v1, v1, v16, s[10:11]
	v_cmp_eq_u32_e64 s[12:13], 8, v0
	v_cndmask_b32_e64 v20, v20, v17, s[10:11]
	v_cndmask_b32_e64 v1, v1, v18, s[12:13]
	v_cndmask_b32_e64 v20, v20, v19, s[12:13]
	v_cmp_eq_u32_e64 s[14:15], 0, v0
	v_cndmask_b32_e64 v21, v20, v3, s[14:15]
	v_cndmask_b32_e64 v20, v1, v2, s[14:15]
	v_cndmask_b32_e64 v33, v15, v3, s[8:9]
	v_cndmask_b32_e64 v32, v14, v2, s[8:9]
	v_cndmask_b32_e64 v31, v13, v3, s[6:7]
	v_cndmask_b32_e64 v30, v12, v2, s[6:7]
	v_cndmask_b32_e64 v29, v11, v3, s[4:5]
	v_cndmask_b32_e64 v28, v10, v2, s[4:5]
	v_cndmask_b32_e64 v27, v9, v3, s[2:3]
	v_cndmask_b32_e64 v26, v8, v2, s[2:3]
	v_cndmask_b32_e64 v25, v7, v3, s[0:1]
	v_cndmask_b32_e64 v24, v6, v2, s[0:1]
	v_cndmask_b32_e32 v23, v5, v3, vcc
	v_cndmask_b32_e32 v22, v4, v2, vcc
	v_cndmask_b32_e64 v37, v19, v3, s[12:13]
	v_cndmask_b32_e64 v36, v18, v2, s[12:13]
	;; [unrolled: 1-line block ×4, first 2 shown]
	v_pk_mov_b32 v[2:3], v[20:21], v[20:21] op_sel:[0,1]
	v_pk_mov_b32 v[4:5], v[22:23], v[22:23] op_sel:[0,1]
	;; [unrolled: 1-line block ×16, first 2 shown]
.LBB72_91:
	s_or_b64 exec, exec, s[16:17]
.LBB72_92:
	global_store_dwordx2 v[52:53], v[2:3], off
	global_store_dwordx2 v[54:55], v[4:5], off
	;; [unrolled: 1-line block ×9, first 2 shown]
	s_endpgm
	.section	.rodata,"a",@progbits
	.p2align	6, 0x0
	.amdhsa_kernel _ZN9rocsolver6v33100L18getri_kernel_smallILi9EdPKPdEEvT1_iilPiilS6_bb
		.amdhsa_group_segment_fixed_size 152
		.amdhsa_private_segment_fixed_size 0
		.amdhsa_kernarg_size 60
		.amdhsa_user_sgpr_count 6
		.amdhsa_user_sgpr_private_segment_buffer 1
		.amdhsa_user_sgpr_dispatch_ptr 0
		.amdhsa_user_sgpr_queue_ptr 0
		.amdhsa_user_sgpr_kernarg_segment_ptr 1
		.amdhsa_user_sgpr_dispatch_id 0
		.amdhsa_user_sgpr_flat_scratch_init 0
		.amdhsa_user_sgpr_kernarg_preload_length 0
		.amdhsa_user_sgpr_kernarg_preload_offset 0
		.amdhsa_user_sgpr_private_segment_size 0
		.amdhsa_uses_dynamic_stack 0
		.amdhsa_system_sgpr_private_segment_wavefront_offset 0
		.amdhsa_system_sgpr_workgroup_id_x 1
		.amdhsa_system_sgpr_workgroup_id_y 0
		.amdhsa_system_sgpr_workgroup_id_z 0
		.amdhsa_system_sgpr_workgroup_info 0
		.amdhsa_system_vgpr_workitem_id 0
		.amdhsa_next_free_vgpr 70
		.amdhsa_next_free_sgpr 40
		.amdhsa_accum_offset 72
		.amdhsa_reserve_vcc 1
		.amdhsa_reserve_flat_scratch 0
		.amdhsa_float_round_mode_32 0
		.amdhsa_float_round_mode_16_64 0
		.amdhsa_float_denorm_mode_32 3
		.amdhsa_float_denorm_mode_16_64 3
		.amdhsa_dx10_clamp 1
		.amdhsa_ieee_mode 1
		.amdhsa_fp16_overflow 0
		.amdhsa_tg_split 0
		.amdhsa_exception_fp_ieee_invalid_op 0
		.amdhsa_exception_fp_denorm_src 0
		.amdhsa_exception_fp_ieee_div_zero 0
		.amdhsa_exception_fp_ieee_overflow 0
		.amdhsa_exception_fp_ieee_underflow 0
		.amdhsa_exception_fp_ieee_inexact 0
		.amdhsa_exception_int_div_zero 0
	.end_amdhsa_kernel
	.section	.text._ZN9rocsolver6v33100L18getri_kernel_smallILi9EdPKPdEEvT1_iilPiilS6_bb,"axG",@progbits,_ZN9rocsolver6v33100L18getri_kernel_smallILi9EdPKPdEEvT1_iilPiilS6_bb,comdat
.Lfunc_end72:
	.size	_ZN9rocsolver6v33100L18getri_kernel_smallILi9EdPKPdEEvT1_iilPiilS6_bb, .Lfunc_end72-_ZN9rocsolver6v33100L18getri_kernel_smallILi9EdPKPdEEvT1_iilPiilS6_bb
                                        ; -- End function
	.section	.AMDGPU.csdata,"",@progbits
; Kernel info:
; codeLenInByte = 11068
; NumSgprs: 44
; NumVgprs: 70
; NumAgprs: 0
; TotalNumVgprs: 70
; ScratchSize: 0
; MemoryBound: 0
; FloatMode: 240
; IeeeMode: 1
; LDSByteSize: 152 bytes/workgroup (compile time only)
; SGPRBlocks: 5
; VGPRBlocks: 8
; NumSGPRsForWavesPerEU: 44
; NumVGPRsForWavesPerEU: 70
; AccumOffset: 72
; Occupancy: 7
; WaveLimiterHint : 1
; COMPUTE_PGM_RSRC2:SCRATCH_EN: 0
; COMPUTE_PGM_RSRC2:USER_SGPR: 6
; COMPUTE_PGM_RSRC2:TRAP_HANDLER: 0
; COMPUTE_PGM_RSRC2:TGID_X_EN: 1
; COMPUTE_PGM_RSRC2:TGID_Y_EN: 0
; COMPUTE_PGM_RSRC2:TGID_Z_EN: 0
; COMPUTE_PGM_RSRC2:TIDIG_COMP_CNT: 0
; COMPUTE_PGM_RSRC3_GFX90A:ACCUM_OFFSET: 17
; COMPUTE_PGM_RSRC3_GFX90A:TG_SPLIT: 0
	.section	.text._ZN9rocsolver6v33100L18getri_kernel_smallILi10EdPKPdEEvT1_iilPiilS6_bb,"axG",@progbits,_ZN9rocsolver6v33100L18getri_kernel_smallILi10EdPKPdEEvT1_iilPiilS6_bb,comdat
	.globl	_ZN9rocsolver6v33100L18getri_kernel_smallILi10EdPKPdEEvT1_iilPiilS6_bb ; -- Begin function _ZN9rocsolver6v33100L18getri_kernel_smallILi10EdPKPdEEvT1_iilPiilS6_bb
	.p2align	8
	.type	_ZN9rocsolver6v33100L18getri_kernel_smallILi10EdPKPdEEvT1_iilPiilS6_bb,@function
_ZN9rocsolver6v33100L18getri_kernel_smallILi10EdPKPdEEvT1_iilPiilS6_bb: ; @_ZN9rocsolver6v33100L18getri_kernel_smallILi10EdPKPdEEvT1_iilPiilS6_bb
; %bb.0:
	v_cmp_gt_u32_e32 vcc, 10, v0
	s_and_saveexec_b64 s[0:1], vcc
	s_cbranch_execz .LBB73_16
; %bb.1:
	s_load_dword s8, s[4:5], 0x38
	s_load_dwordx2 s[0:1], s[4:5], 0x0
	s_load_dwordx4 s[24:27], s[4:5], 0x28
                                        ; implicit-def: $sgpr28_sgpr29
	s_waitcnt lgkmcnt(0)
	s_bitcmp1_b32 s8, 8
	s_cselect_b64 s[30:31], -1, 0
	s_ashr_i32 s7, s6, 31
	s_lshl_b64 s[2:3], s[6:7], 3
	s_add_u32 s0, s0, s2
	s_addc_u32 s1, s1, s3
	s_load_dwordx2 s[2:3], s[0:1], 0x0
	s_bfe_u32 s0, s8, 0x10008
	s_cmp_eq_u32 s0, 0
	s_cbranch_scc1 .LBB73_3
; %bb.2:
	s_load_dword s0, s[4:5], 0x20
	s_load_dwordx2 s[10:11], s[4:5], 0x18
	s_mul_i32 s1, s6, s25
	s_mul_hi_u32 s9, s6, s24
	s_add_i32 s9, s9, s1
	s_mul_i32 s12, s7, s24
	s_add_i32 s13, s9, s12
	s_mul_i32 s12, s6, s24
	s_waitcnt lgkmcnt(0)
	s_ashr_i32 s1, s0, 31
	s_lshl_b64 s[12:13], s[12:13], 2
	s_add_u32 s9, s10, s12
	s_addc_u32 s10, s11, s13
	s_lshl_b64 s[0:1], s[0:1], 2
	s_add_u32 s28, s9, s0
	s_addc_u32 s29, s10, s1
.LBB73_3:
	s_load_dwordx2 s[0:1], s[4:5], 0x8
	v_lshlrev_b32_e32 v24, 3, v0
	s_waitcnt lgkmcnt(0)
	s_ashr_i32 s5, s0, 31
	s_mov_b32 s4, s0
	s_lshl_b64 s[4:5], s[4:5], 3
	s_add_u32 s2, s2, s4
	s_addc_u32 s3, s3, s5
	v_mov_b32_e32 v1, s3
	v_add_co_u32_e32 v52, vcc, s2, v24
	s_ashr_i32 s5, s1, 31
	s_mov_b32 s4, s1
	s_add_i32 s0, s1, s1
	v_addc_co_u32_e32 v53, vcc, 0, v1, vcc
	s_lshl_b64 s[4:5], s[4:5], 3
	v_add_u32_e32 v2, s0, v0
	v_mov_b32_e32 v1, s5
	v_add_co_u32_e32 v54, vcc, s4, v52
	v_ashrrev_i32_e32 v3, 31, v2
	v_addc_co_u32_e32 v55, vcc, v53, v1, vcc
	v_lshlrev_b64 v[4:5], 3, v[2:3]
	v_add_u32_e32 v2, s1, v2
	v_mov_b32_e32 v1, s3
	v_add_co_u32_e32 v56, vcc, s2, v4
	v_ashrrev_i32_e32 v3, 31, v2
	v_addc_co_u32_e32 v57, vcc, v1, v5, vcc
	v_lshlrev_b64 v[4:5], 3, v[2:3]
	v_add_u32_e32 v2, s1, v2
	v_add_co_u32_e32 v58, vcc, s2, v4
	v_ashrrev_i32_e32 v3, 31, v2
	v_addc_co_u32_e32 v59, vcc, v1, v5, vcc
	v_lshlrev_b64 v[4:5], 3, v[2:3]
	v_add_u32_e32 v2, s1, v2
	;; [unrolled: 5-line block ×6, first 2 shown]
	v_add_co_u32_e32 v68, vcc, s2, v12
	v_ashrrev_i32_e32 v3, 31, v2
	global_load_dwordx2 v[4:5], v[54:55], off
	global_load_dwordx2 v[6:7], v[56:57], off
	;; [unrolled: 1-line block ×4, first 2 shown]
	v_addc_co_u32_e32 v69, vcc, v1, v13, vcc
	global_load_dwordx2 v[12:13], v[62:63], off
	global_load_dwordx2 v[14:15], v[64:65], off
	;; [unrolled: 1-line block ×4, first 2 shown]
	v_lshlrev_b64 v[2:3], 3, v[2:3]
	v_add_co_u32_e32 v70, vcc, s2, v2
	v_addc_co_u32_e32 v71, vcc, v1, v3, vcc
	global_load_dwordx2 v[2:3], v24, s[2:3]
	global_load_dwordx2 v[20:21], v[70:71], off
	v_mov_b32_e32 v1, 0
	s_bitcmp0_b32 s8, 0
	s_mov_b64 s[0:1], -1
	s_cbranch_scc1 .LBB73_14
; %bb.4:
	v_cmp_eq_u32_e64 s[0:1], 0, v0
	s_and_saveexec_b64 s[2:3], s[0:1]
	s_cbranch_execz .LBB73_6
; %bb.5:
	v_mov_b32_e32 v22, 0
	ds_write_b32 v22, v22 offset:160
.LBB73_6:
	s_or_b64 exec, exec, s[2:3]
	v_cmp_eq_u32_e32 vcc, 1, v0
	s_waitcnt vmcnt(1)
	v_cndmask_b32_e32 v22, v3, v5, vcc
	v_cmp_eq_u32_e64 s[2:3], 2, v0
	v_cndmask_b32_e64 v22, v22, v7, s[2:3]
	v_cmp_eq_u32_e64 s[4:5], 3, v0
	v_cndmask_b32_e64 v22, v22, v9, s[4:5]
	;; [unrolled: 2-line block ×7, first 2 shown]
	v_cmp_eq_u32_e64 s[18:19], 9, v0
	s_waitcnt vmcnt(0)
	v_cndmask_b32_e64 v23, v22, v21, s[18:19]
	v_cndmask_b32_e32 v22, v2, v4, vcc
	v_cndmask_b32_e64 v22, v22, v6, s[2:3]
	v_cndmask_b32_e64 v22, v22, v8, s[4:5]
	v_cndmask_b32_e64 v22, v22, v10, s[8:9]
	v_cndmask_b32_e64 v22, v22, v12, s[10:11]
	v_cndmask_b32_e64 v22, v22, v14, s[12:13]
	v_cndmask_b32_e64 v22, v22, v16, s[14:15]
	v_cndmask_b32_e64 v22, v22, v18, s[16:17]
	v_cndmask_b32_e64 v22, v22, v20, s[18:19]
	v_cmp_eq_f64_e32 vcc, 0, v[22:23]
	s_waitcnt lgkmcnt(0)
	; wave barrier
	s_waitcnt lgkmcnt(0)
	s_and_saveexec_b64 s[4:5], vcc
	s_cbranch_execz .LBB73_10
; %bb.7:
	v_mov_b32_e32 v25, 0
	ds_read_b32 v27, v25 offset:160
	v_add_u32_e32 v26, 1, v0
	s_waitcnt lgkmcnt(0)
	v_readfirstlane_b32 s2, v27
	s_cmp_eq_u32 s2, 0
	s_cselect_b64 s[8:9], -1, 0
	v_cmp_gt_i32_e32 vcc, s2, v26
	s_or_b64 s[8:9], s[8:9], vcc
	s_and_b64 exec, exec, s[8:9]
	s_cbranch_execz .LBB73_10
; %bb.8:
	s_mov_b64 s[8:9], 0
	v_mov_b32_e32 v27, s2
.LBB73_9:                               ; =>This Inner Loop Header: Depth=1
	ds_cmpst_rtn_b32 v27, v25, v27, v26 offset:160
	s_waitcnt lgkmcnt(0)
	v_cmp_ne_u32_e32 vcc, 0, v27
	v_cmp_le_i32_e64 s[2:3], v27, v26
	s_and_b64 s[2:3], vcc, s[2:3]
	s_and_b64 s[2:3], exec, s[2:3]
	s_or_b64 s[8:9], s[2:3], s[8:9]
	s_andn2_b64 exec, exec, s[8:9]
	s_cbranch_execnz .LBB73_9
.LBB73_10:
	s_or_b64 exec, exec, s[4:5]
	v_mov_b32_e32 v26, 0
	s_waitcnt lgkmcnt(0)
	; wave barrier
	ds_read_b32 v25, v26 offset:160
	s_and_saveexec_b64 s[2:3], s[0:1]
	s_cbranch_execz .LBB73_12
; %bb.11:
	s_lshl_b64 s[4:5], s[6:7], 2
	s_add_u32 s4, s26, s4
	s_addc_u32 s5, s27, s5
	s_waitcnt lgkmcnt(0)
	global_store_dword v26, v25, s[4:5]
.LBB73_12:
	s_or_b64 exec, exec, s[2:3]
	s_waitcnt lgkmcnt(0)
	v_cmp_ne_u32_e32 vcc, 0, v25
	s_cbranch_vccz .LBB73_17
; %bb.13:
	s_mov_b64 s[0:1], 0
                                        ; implicit-def: $vgpr2_vgpr3_vgpr4_vgpr5_vgpr6_vgpr7_vgpr8_vgpr9_vgpr10_vgpr11_vgpr12_vgpr13_vgpr14_vgpr15_vgpr16_vgpr17_vgpr18_vgpr19_vgpr20_vgpr21_vgpr22_vgpr23_vgpr24_vgpr25_vgpr26_vgpr27_vgpr28_vgpr29_vgpr30_vgpr31_vgpr32_vgpr33
.LBB73_14:
	s_and_b64 vcc, exec, s[0:1]
	s_cbranch_vccz .LBB73_16
.LBB73_15:
	s_lshl_b64 s[0:1], s[6:7], 2
	s_add_u32 s0, s26, s0
	s_addc_u32 s1, s27, s1
	v_mov_b32_e32 v1, 0
	global_load_dword v1, v1, s[0:1]
	s_waitcnt vmcnt(0)
	v_cmp_ne_u32_e32 vcc, 0, v1
	s_cbranch_vccz .LBB73_62
.LBB73_16:
	s_endpgm
.LBB73_17:
	v_div_scale_f64 v[26:27], s[2:3], v[22:23], v[22:23], 1.0
	v_rcp_f64_e32 v[28:29], v[26:27]
	v_div_scale_f64 v[30:31], vcc, 1.0, v[22:23], 1.0
	v_fma_f64 v[32:33], -v[26:27], v[28:29], 1.0
	v_fmac_f64_e32 v[28:29], v[28:29], v[32:33]
	v_fma_f64 v[32:33], -v[26:27], v[28:29], 1.0
	v_fmac_f64_e32 v[28:29], v[28:29], v[32:33]
	v_mul_f64 v[32:33], v[30:31], v[28:29]
	v_fma_f64 v[26:27], -v[26:27], v[32:33], v[30:31]
	v_div_fmas_f64 v[26:27], v[26:27], v[28:29], v[32:33]
	v_div_fixup_f64 v[22:23], v[26:27], v[22:23], 1.0
	v_cmp_eq_u32_e32 vcc, 9, v0
	v_cndmask_b32_e32 v21, v21, v23, vcc
	v_cndmask_b32_e32 v20, v20, v22, vcc
	v_cmp_eq_u32_e32 vcc, 8, v0
	v_cndmask_b32_e32 v19, v19, v23, vcc
	v_cndmask_b32_e32 v18, v18, v22, vcc
	v_cmp_eq_u32_e32 vcc, 7, v0
	v_cndmask_b32_e32 v17, v17, v23, vcc
	v_cndmask_b32_e32 v16, v16, v22, vcc
	v_cmp_eq_u32_e32 vcc, 6, v0
	v_cndmask_b32_e32 v15, v15, v23, vcc
	v_cndmask_b32_e32 v14, v14, v22, vcc
	v_cmp_eq_u32_e32 vcc, 5, v0
	v_cndmask_b32_e32 v13, v13, v23, vcc
	v_cndmask_b32_e32 v12, v12, v22, vcc
	v_cmp_eq_u32_e32 vcc, 4, v0
	v_cndmask_b32_e32 v11, v11, v23, vcc
	v_cndmask_b32_e32 v10, v10, v22, vcc
	v_cmp_eq_u32_e32 vcc, 3, v0
	v_cndmask_b32_e32 v9, v9, v23, vcc
	v_cndmask_b32_e32 v8, v8, v22, vcc
	v_cmp_eq_u32_e32 vcc, 2, v0
	v_cndmask_b32_e32 v7, v7, v23, vcc
	v_cndmask_b32_e32 v6, v6, v22, vcc
	v_cmp_eq_u32_e32 vcc, 1, v0
	v_cndmask_b32_e32 v5, v5, v23, vcc
	v_cndmask_b32_e32 v4, v4, v22, vcc
	v_cmp_eq_u32_e32 vcc, 0, v0
	v_cndmask_b32_e32 v3, v3, v23, vcc
	v_cndmask_b32_e32 v2, v2, v22, vcc
	v_xor_b32_e32 v29, 0x80000000, v23
	v_mov_b32_e32 v28, v22
	v_add_u32_e32 v26, 0x50, v24
	ds_write2_b64 v24, v[28:29], v[4:5] offset1:10
	s_waitcnt lgkmcnt(0)
	; wave barrier
	s_waitcnt lgkmcnt(0)
	s_and_saveexec_b64 s[2:3], s[0:1]
	s_cbranch_execz .LBB73_19
; %bb.18:
	v_mov_b32_e32 v24, 0
	ds_read_b64 v[4:5], v26
	ds_read_b64 v[24:25], v24 offset:8
	s_waitcnt lgkmcnt(1)
	v_fma_f64 v[4:5], v[22:23], v[4:5], 0
	s_waitcnt lgkmcnt(0)
	v_mul_f64 v[4:5], v[4:5], v[24:25]
.LBB73_19:
	s_or_b64 exec, exec, s[2:3]
	v_cmp_gt_u32_e32 vcc, 2, v0
	s_waitcnt lgkmcnt(0)
	; wave barrier
	ds_write_b64 v26, v[6:7]
	s_waitcnt lgkmcnt(0)
	; wave barrier
	s_waitcnt lgkmcnt(0)
	s_and_saveexec_b64 s[22:23], vcc
	s_cbranch_execz .LBB73_21
; %bb.20:
	v_cmp_eq_u32_e64 s[2:3], 1, v0
	v_cndmask_b32_e64 v22, v3, v5, s[2:3]
	v_cmp_eq_u32_e64 s[4:5], 2, v0
	v_cndmask_b32_e64 v7, v22, v7, s[4:5]
	v_cndmask_b32_e64 v22, v2, v4, s[2:3]
	v_cmp_eq_u32_e64 s[8:9], 3, v0
	v_cndmask_b32_e64 v6, v22, v6, s[4:5]
	;; [unrolled: 3-line block ×5, first 2 shown]
	ds_read_b64 v[28:29], v26
	v_mov_b32_e32 v22, 0
	v_cndmask_b32_e64 v7, v7, v15, s[14:15]
	v_cmp_eq_u32_e64 s[16:17], 7, v0
	v_cndmask_b32_e64 v6, v6, v14, s[14:15]
	ds_read2_b64 v[22:25], v22 offset0:2 offset1:11
	v_cndmask_b32_e64 v7, v7, v17, s[16:17]
	v_cmp_eq_u32_e64 s[18:19], 8, v0
	v_cndmask_b32_e64 v6, v6, v16, s[16:17]
	v_cndmask_b32_e64 v7, v7, v19, s[18:19]
	v_cmp_eq_u32_e64 s[20:21], 9, v0
	v_cndmask_b32_e64 v6, v6, v18, s[18:19]
	v_cndmask_b32_e64 v7, v7, v21, s[20:21]
	;; [unrolled: 1-line block ×3, first 2 shown]
	s_waitcnt lgkmcnt(1)
	v_fma_f64 v[6:7], v[6:7], v[28:29], 0
	s_waitcnt lgkmcnt(0)
	v_fma_f64 v[24:25], v[4:5], v[24:25], v[6:7]
	v_cndmask_b32_e64 v7, v7, v25, s[0:1]
	v_cndmask_b32_e64 v6, v6, v24, s[0:1]
	v_mul_f64 v[6:7], v[6:7], v[22:23]
.LBB73_21:
	s_or_b64 exec, exec, s[22:23]
	v_cmp_gt_u32_e64 s[2:3], 3, v0
	s_waitcnt lgkmcnt(0)
	; wave barrier
	ds_write_b64 v26, v[8:9]
	s_waitcnt lgkmcnt(0)
	; wave barrier
	s_waitcnt lgkmcnt(0)
	s_and_saveexec_b64 s[10:11], s[2:3]
	s_cbranch_execz .LBB73_25
; %bb.22:
	v_mov_b32_e32 v22, 0x50
	v_lshl_add_u32 v27, v0, 3, v22
	s_mov_b64 s[12:13], 0
	v_pk_mov_b32 v[22:23], 0, 0
	v_pk_mov_b32 v[24:25], v[0:1], v[0:1] op_sel:[0,1]
.LBB73_23:                              ; =>This Inner Loop Header: Depth=1
	v_cmp_eq_u32_e64 s[2:3], 1, v24
	v_cndmask_b32_e64 v30, v3, v5, s[2:3]
	v_cmp_eq_u32_e64 s[4:5], 2, v24
	v_cndmask_b32_e64 v30, v30, v7, s[4:5]
	v_cndmask_b32_e64 v31, v2, v4, s[2:3]
	v_cmp_eq_u32_e64 s[2:3], 3, v24
	v_cndmask_b32_e64 v30, v30, v9, s[2:3]
	v_cndmask_b32_e64 v31, v31, v6, s[4:5]
	v_cmp_eq_u32_e64 s[4:5], 4, v24
	v_cndmask_b32_e64 v30, v30, v11, s[4:5]
	v_cndmask_b32_e64 v31, v31, v8, s[2:3]
	v_cmp_eq_u32_e64 s[2:3], 5, v24
	v_cndmask_b32_e64 v30, v30, v13, s[2:3]
	v_cndmask_b32_e64 v31, v31, v10, s[4:5]
	v_cmp_eq_u32_e64 s[4:5], 6, v24
	ds_read_b64 v[28:29], v27
	v_cndmask_b32_e64 v30, v30, v15, s[4:5]
	v_cndmask_b32_e64 v31, v31, v12, s[2:3]
	v_cmp_eq_u32_e64 s[2:3], 7, v24
	v_cndmask_b32_e64 v30, v30, v17, s[2:3]
	v_cndmask_b32_e64 v31, v31, v14, s[4:5]
	v_cmp_eq_u32_e64 s[4:5], 8, v24
	v_cndmask_b32_e64 v30, v30, v19, s[4:5]
	v_cmp_eq_u32_e64 s[8:9], 9, v24
	v_cndmask_b32_e64 v32, v31, v16, s[2:3]
	v_add_co_u32_e64 v24, s[2:3], 1, v24
	v_addc_co_u32_e64 v25, s[2:3], 0, v25, s[2:3]
	v_cndmask_b32_e64 v31, v30, v21, s[8:9]
	v_cndmask_b32_e64 v30, v32, v18, s[4:5]
	v_add_u32_e32 v32, -1, v24
	v_cndmask_b32_e64 v30, v30, v20, s[8:9]
	v_cmp_lt_u32_e64 s[2:3], 1, v32
	v_add_u32_e32 v27, 8, v27
	s_or_b64 s[12:13], s[2:3], s[12:13]
	s_waitcnt lgkmcnt(0)
	v_fmac_f64_e32 v[22:23], v[30:31], v[28:29]
	s_andn2_b64 exec, exec, s[12:13]
	s_cbranch_execnz .LBB73_23
; %bb.24:
	s_or_b64 exec, exec, s[12:13]
	v_mov_b32_e32 v8, 0
	ds_read_b64 v[8:9], v8 offset:24
	s_waitcnt lgkmcnt(0)
	v_mul_f64 v[8:9], v[22:23], v[8:9]
.LBB73_25:
	s_or_b64 exec, exec, s[10:11]
	v_cmp_gt_u32_e64 s[2:3], 4, v0
	s_waitcnt lgkmcnt(0)
	; wave barrier
	ds_write_b64 v26, v[10:11]
	s_waitcnt lgkmcnt(0)
	; wave barrier
	s_waitcnt lgkmcnt(0)
	s_and_saveexec_b64 s[12:13], s[2:3]
	s_cbranch_execz .LBB73_29
; %bb.26:
	v_mov_b32_e32 v22, 0x50
	v_lshl_add_u32 v27, v0, 3, v22
	s_mov_b64 s[14:15], 0
	v_pk_mov_b32 v[22:23], 0, 0
	v_pk_mov_b32 v[24:25], v[0:1], v[0:1] op_sel:[0,1]
.LBB73_27:                              ; =>This Inner Loop Header: Depth=1
	v_cmp_eq_u32_e64 s[4:5], 1, v24
	v_cndmask_b32_e64 v30, v3, v5, s[4:5]
	v_cmp_eq_u32_e64 s[8:9], 2, v24
	v_cndmask_b32_e64 v30, v30, v7, s[8:9]
	v_cndmask_b32_e64 v31, v2, v4, s[4:5]
	v_cmp_eq_u32_e64 s[4:5], 3, v24
	v_cndmask_b32_e64 v30, v30, v9, s[4:5]
	v_cndmask_b32_e64 v31, v31, v6, s[8:9]
	v_cmp_eq_u32_e64 s[8:9], 4, v24
	v_cndmask_b32_e64 v30, v30, v11, s[8:9]
	v_cndmask_b32_e64 v31, v31, v8, s[4:5]
	v_cmp_eq_u32_e64 s[4:5], 5, v24
	v_cndmask_b32_e64 v30, v30, v13, s[4:5]
	v_cndmask_b32_e64 v31, v31, v10, s[8:9]
	v_cmp_eq_u32_e64 s[8:9], 6, v24
	ds_read_b64 v[28:29], v27
	v_cndmask_b32_e64 v30, v30, v15, s[8:9]
	v_cndmask_b32_e64 v31, v31, v12, s[4:5]
	v_cmp_eq_u32_e64 s[4:5], 7, v24
	v_cndmask_b32_e64 v30, v30, v17, s[4:5]
	v_cndmask_b32_e64 v31, v31, v14, s[8:9]
	v_cmp_eq_u32_e64 s[8:9], 8, v24
	v_cndmask_b32_e64 v30, v30, v19, s[8:9]
	v_cmp_eq_u32_e64 s[10:11], 9, v24
	v_cndmask_b32_e64 v32, v31, v16, s[4:5]
	v_add_co_u32_e64 v24, s[4:5], 1, v24
	v_addc_co_u32_e64 v25, s[4:5], 0, v25, s[4:5]
	v_cndmask_b32_e64 v31, v30, v21, s[10:11]
	v_cndmask_b32_e64 v30, v32, v18, s[8:9]
	v_add_u32_e32 v32, -1, v24
	v_cndmask_b32_e64 v30, v30, v20, s[10:11]
	v_cmp_lt_u32_e64 s[4:5], 2, v32
	v_add_u32_e32 v27, 8, v27
	s_or_b64 s[14:15], s[4:5], s[14:15]
	s_waitcnt lgkmcnt(0)
	v_fmac_f64_e32 v[22:23], v[30:31], v[28:29]
	s_andn2_b64 exec, exec, s[14:15]
	s_cbranch_execnz .LBB73_27
; %bb.28:
	s_or_b64 exec, exec, s[14:15]
	v_mov_b32_e32 v10, 0
	ds_read_b64 v[10:11], v10 offset:32
	s_waitcnt lgkmcnt(0)
	v_mul_f64 v[10:11], v[22:23], v[10:11]
.LBB73_29:
	;; [unrolled: 62-line block ×5, first 2 shown]
	s_or_b64 exec, exec, s[14:15]
	v_cmp_gt_u32_e64 s[8:9], 8, v0
	s_waitcnt lgkmcnt(0)
	; wave barrier
	ds_write_b64 v26, v[18:19]
	s_waitcnt lgkmcnt(0)
	; wave barrier
	s_waitcnt lgkmcnt(0)
	s_and_saveexec_b64 s[34:35], s[8:9]
	s_cbranch_execz .LBB73_57
; %bb.42:
	v_cmp_eq_u32_e64 s[8:9], 1, v0
	v_cndmask_b32_e64 v22, v3, v5, s[8:9]
	v_cmp_eq_u32_e64 s[10:11], 2, v0
	v_cndmask_b32_e64 v22, v22, v7, s[10:11]
	;; [unrolled: 2-line block ×9, first 2 shown]
	v_cndmask_b32_e64 v22, v2, v4, s[8:9]
	v_cndmask_b32_e64 v22, v22, v6, s[10:11]
	;; [unrolled: 1-line block ×5, first 2 shown]
	ds_read_b64 v[24:25], v26
	v_cndmask_b32_e64 v22, v22, v14, s[18:19]
	v_cndmask_b32_e64 v22, v22, v16, s[20:21]
	;; [unrolled: 1-line block ×4, first 2 shown]
	s_waitcnt lgkmcnt(0)
	v_fma_f64 v[22:23], v[22:23], v[24:25], 0
	v_cmp_ne_u32_e64 s[8:9], 7, v0
	s_and_saveexec_b64 s[36:37], s[8:9]
	s_cbranch_execz .LBB73_56
; %bb.43:
	v_add_u32_e32 v24, 1, v0
	v_cmp_eq_u32_e64 s[8:9], 1, v24
	v_cndmask_b32_e64 v25, v3, v5, s[8:9]
	v_cmp_eq_u32_e64 s[10:11], 2, v24
	v_cmp_eq_u32_e64 s[12:13], 3, v24
	;; [unrolled: 1-line block ×8, first 2 shown]
	v_cndmask_b32_e64 v24, v2, v4, s[8:9]
	v_cndmask_b32_e64 v25, v25, v7, s[10:11]
	;; [unrolled: 1-line block ×9, first 2 shown]
	ds_read_b64 v[28:29], v26 offset:8
	v_cndmask_b32_e64 v25, v25, v15, s[18:19]
	v_cndmask_b32_e64 v24, v24, v14, s[18:19]
	;; [unrolled: 1-line block ×8, first 2 shown]
	s_waitcnt lgkmcnt(0)
	v_fmac_f64_e32 v[22:23], v[24:25], v[28:29]
	s_and_saveexec_b64 s[24:25], s[4:5]
	s_cbranch_execz .LBB73_55
; %bb.44:
	v_add_u32_e32 v24, 2, v0
	v_cmp_eq_u32_e64 s[4:5], 1, v24
	v_cndmask_b32_e64 v25, v3, v5, s[4:5]
	v_cmp_eq_u32_e64 s[8:9], 2, v24
	v_cmp_eq_u32_e64 s[10:11], 3, v24
	;; [unrolled: 1-line block ×8, first 2 shown]
	v_cndmask_b32_e64 v24, v2, v4, s[4:5]
	v_cndmask_b32_e64 v25, v25, v7, s[8:9]
	;; [unrolled: 1-line block ×9, first 2 shown]
	ds_read_b64 v[28:29], v26 offset:16
	v_cndmask_b32_e64 v25, v25, v15, s[16:17]
	v_cndmask_b32_e64 v24, v24, v14, s[16:17]
	;; [unrolled: 1-line block ×8, first 2 shown]
	s_waitcnt lgkmcnt(0)
	v_fmac_f64_e32 v[22:23], v[24:25], v[28:29]
	v_cmp_ne_u32_e64 s[4:5], 5, v0
	s_and_saveexec_b64 s[38:39], s[4:5]
	s_cbranch_execz .LBB73_54
; %bb.45:
	v_add_u32_e32 v24, 3, v0
	v_cmp_eq_u32_e64 s[4:5], 1, v24
	v_cndmask_b32_e64 v25, v3, v5, s[4:5]
	v_cmp_eq_u32_e64 s[8:9], 2, v24
	v_cmp_eq_u32_e64 s[10:11], 3, v24
	;; [unrolled: 1-line block ×8, first 2 shown]
	v_cndmask_b32_e64 v24, v2, v4, s[4:5]
	v_cndmask_b32_e64 v25, v25, v7, s[8:9]
	;; [unrolled: 1-line block ×9, first 2 shown]
	ds_read_b64 v[28:29], v26 offset:24
	v_cndmask_b32_e64 v25, v25, v15, s[16:17]
	v_cndmask_b32_e64 v24, v24, v14, s[16:17]
	;; [unrolled: 1-line block ×8, first 2 shown]
	s_waitcnt lgkmcnt(0)
	v_fmac_f64_e32 v[22:23], v[24:25], v[28:29]
	s_and_saveexec_b64 s[22:23], s[2:3]
	s_cbranch_execz .LBB73_53
; %bb.46:
	v_or_b32_e32 v24, 4, v0
	v_cmp_eq_u32_e64 s[2:3], 1, v24
	v_cndmask_b32_e64 v25, v3, v5, s[2:3]
	v_cmp_eq_u32_e64 s[4:5], 2, v24
	v_cmp_eq_u32_e64 s[8:9], 3, v24
	;; [unrolled: 1-line block ×8, first 2 shown]
	v_cndmask_b32_e64 v24, v2, v4, s[2:3]
	v_cndmask_b32_e64 v25, v25, v7, s[4:5]
	v_cndmask_b32_e64 v24, v24, v6, s[4:5]
	v_cndmask_b32_e64 v25, v25, v9, s[8:9]
	v_cndmask_b32_e64 v24, v24, v8, s[8:9]
	v_cndmask_b32_e64 v25, v25, v11, s[10:11]
	v_cndmask_b32_e64 v24, v24, v10, s[10:11]
	v_cndmask_b32_e64 v25, v25, v13, s[12:13]
	v_cndmask_b32_e64 v24, v24, v12, s[12:13]
	ds_read_b64 v[28:29], v26 offset:32
	v_cndmask_b32_e64 v25, v25, v15, s[14:15]
	v_cndmask_b32_e64 v24, v24, v14, s[14:15]
	;; [unrolled: 1-line block ×8, first 2 shown]
	s_waitcnt lgkmcnt(0)
	v_fmac_f64_e32 v[22:23], v[24:25], v[28:29]
	v_cmp_ne_u32_e64 s[2:3], 3, v0
	s_and_saveexec_b64 s[40:41], s[2:3]
	s_cbranch_execz .LBB73_52
; %bb.47:
	v_add_u32_e32 v24, 5, v0
	v_cmp_eq_u32_e64 s[2:3], 1, v24
	v_cndmask_b32_e64 v25, v3, v5, s[2:3]
	v_cmp_eq_u32_e64 s[4:5], 2, v24
	v_cmp_eq_u32_e64 s[8:9], 3, v24
	;; [unrolled: 1-line block ×8, first 2 shown]
	v_cndmask_b32_e64 v24, v2, v4, s[2:3]
	v_cndmask_b32_e64 v25, v25, v7, s[4:5]
	v_cndmask_b32_e64 v24, v24, v6, s[4:5]
	v_cndmask_b32_e64 v25, v25, v9, s[8:9]
	v_cndmask_b32_e64 v24, v24, v8, s[8:9]
	v_cndmask_b32_e64 v25, v25, v11, s[10:11]
	v_cndmask_b32_e64 v24, v24, v10, s[10:11]
	v_cndmask_b32_e64 v25, v25, v13, s[12:13]
	v_cndmask_b32_e64 v24, v24, v12, s[12:13]
	ds_read_b64 v[28:29], v26 offset:40
	v_cndmask_b32_e64 v25, v25, v15, s[14:15]
	v_cndmask_b32_e64 v24, v24, v14, s[14:15]
	;; [unrolled: 1-line block ×8, first 2 shown]
	s_waitcnt lgkmcnt(0)
	v_fmac_f64_e32 v[22:23], v[24:25], v[28:29]
	s_and_saveexec_b64 s[20:21], vcc
	s_cbranch_execz .LBB73_51
; %bb.48:
	v_or_b32_e32 v24, 6, v0
	v_cmp_eq_u32_e32 vcc, 1, v24
	v_cndmask_b32_e32 v25, v3, v5, vcc
	v_cmp_eq_u32_e64 s[2:3], 2, v24
	v_cndmask_b32_e64 v25, v25, v7, s[2:3]
	v_cmp_eq_u32_e64 s[4:5], 3, v24
	v_cndmask_b32_e64 v25, v25, v9, s[4:5]
	;; [unrolled: 2-line block ×3, first 2 shown]
	v_cmp_eq_u32_e64 s[10:11], 5, v24
	v_cmp_eq_u32_e64 s[12:13], 6, v24
	;; [unrolled: 1-line block ×5, first 2 shown]
	v_cndmask_b32_e32 v24, v2, v4, vcc
	v_cndmask_b32_e64 v25, v25, v13, s[10:11]
	v_cndmask_b32_e64 v24, v24, v6, s[2:3]
	;; [unrolled: 1-line block ×8, first 2 shown]
	ds_read_b64 v[24:25], v26 offset:48
	v_cndmask_b32_e64 v27, v27, v14, s[12:13]
	v_cndmask_b32_e64 v27, v27, v16, s[14:15]
	;; [unrolled: 1-line block ×5, first 2 shown]
	s_waitcnt lgkmcnt(0)
	v_fmac_f64_e32 v[22:23], v[18:19], v[24:25]
	s_and_saveexec_b64 s[2:3], s[0:1]
	s_cbranch_execz .LBB73_50
; %bb.49:
	ds_read_b64 v[18:19], v26 offset:56
	s_waitcnt lgkmcnt(0)
	v_fmac_f64_e32 v[22:23], v[16:17], v[18:19]
.LBB73_50:
	s_or_b64 exec, exec, s[2:3]
.LBB73_51:
	s_or_b64 exec, exec, s[20:21]
.LBB73_52:
	s_or_b64 exec, exec, s[40:41]
.LBB73_53:
	s_or_b64 exec, exec, s[22:23]
.LBB73_54:
	s_or_b64 exec, exec, s[38:39]
.LBB73_55:
	s_or_b64 exec, exec, s[24:25]
.LBB73_56:
	s_or_b64 exec, exec, s[36:37]
	v_mov_b32_e32 v18, 0
	ds_read_b64 v[18:19], v18 offset:64
	s_waitcnt lgkmcnt(0)
	v_mul_f64 v[18:19], v[22:23], v[18:19]
.LBB73_57:
	s_or_b64 exec, exec, s[34:35]
	v_cmp_ne_u32_e32 vcc, 9, v0
	s_waitcnt lgkmcnt(0)
	; wave barrier
	ds_write_b64 v26, v[20:21]
	s_waitcnt lgkmcnt(0)
	; wave barrier
	s_waitcnt lgkmcnt(0)
	s_and_saveexec_b64 s[4:5], vcc
	s_cbranch_execz .LBB73_61
; %bb.58:
	v_mov_b32_e32 v22, 0x50
	v_lshl_add_u32 v26, v0, 3, v22
	s_mov_b64 s[8:9], 0
	v_pk_mov_b32 v[22:23], 0, 0
	v_pk_mov_b32 v[24:25], v[0:1], v[0:1] op_sel:[0,1]
.LBB73_59:                              ; =>This Inner Loop Header: Depth=1
	v_cmp_eq_u32_e32 vcc, 1, v24
	v_cndmask_b32_e32 v1, v3, v5, vcc
	v_cmp_eq_u32_e64 s[0:1], 2, v24
	v_cndmask_b32_e64 v1, v1, v7, s[0:1]
	v_cndmask_b32_e32 v27, v2, v4, vcc
	v_cmp_eq_u32_e32 vcc, 3, v24
	v_cndmask_b32_e32 v1, v1, v9, vcc
	v_cndmask_b32_e64 v27, v27, v6, s[0:1]
	v_cmp_eq_u32_e64 s[0:1], 4, v24
	v_cndmask_b32_e64 v1, v1, v11, s[0:1]
	v_cndmask_b32_e32 v27, v27, v8, vcc
	v_cmp_eq_u32_e32 vcc, 5, v24
	v_cndmask_b32_e32 v1, v1, v13, vcc
	v_cndmask_b32_e64 v27, v27, v10, s[0:1]
	v_cmp_eq_u32_e64 s[0:1], 6, v24
	ds_read_b64 v[28:29], v26
	v_cndmask_b32_e64 v1, v1, v15, s[0:1]
	v_cndmask_b32_e32 v27, v27, v12, vcc
	v_cmp_eq_u32_e32 vcc, 7, v24
	v_cndmask_b32_e32 v1, v1, v17, vcc
	v_cndmask_b32_e64 v27, v27, v14, s[0:1]
	v_cmp_eq_u32_e64 s[0:1], 8, v24
	v_cndmask_b32_e64 v1, v1, v19, s[0:1]
	v_cmp_eq_u32_e64 s[2:3], 9, v24
	v_cndmask_b32_e32 v27, v27, v16, vcc
	v_add_co_u32_e32 v24, vcc, 1, v24
	v_addc_co_u32_e32 v25, vcc, 0, v25, vcc
	v_cndmask_b32_e64 v31, v1, v21, s[2:3]
	v_cndmask_b32_e64 v1, v27, v18, s[0:1]
	v_add_u32_e32 v27, -1, v24
	v_cndmask_b32_e64 v30, v1, v20, s[2:3]
	v_cmp_lt_u32_e32 vcc, 7, v27
	v_add_u32_e32 v26, 8, v26
	s_or_b64 s[8:9], vcc, s[8:9]
	s_waitcnt lgkmcnt(0)
	v_fmac_f64_e32 v[22:23], v[30:31], v[28:29]
	s_andn2_b64 exec, exec, s[8:9]
	s_cbranch_execnz .LBB73_59
; %bb.60:
	s_or_b64 exec, exec, s[8:9]
	v_mov_b32_e32 v1, 0
	ds_read_b64 v[20:21], v1 offset:72
	s_waitcnt lgkmcnt(0)
	v_mul_f64 v[20:21], v[22:23], v[20:21]
.LBB73_61:
	s_or_b64 exec, exec, s[4:5]
	s_waitcnt lgkmcnt(0)
	; wave barrier
	s_cbranch_execnz .LBB73_15
	s_branch .LBB73_16
.LBB73_62:
	v_mov_b32_e32 v1, 0x50
	v_lshl_add_u32 v1, v0, 3, v1
	v_cmp_eq_u32_e32 vcc, 9, v0
	s_and_saveexec_b64 s[0:1], vcc
	s_cbranch_execz .LBB73_64
; %bb.63:
	ds_write_b64 v1, v[18:19]
	v_mov_b32_e32 v18, 0
	v_mov_b32_e32 v19, v18
.LBB73_64:
	s_or_b64 exec, exec, s[0:1]
	v_mov_b32_e32 v36, 0
	s_waitcnt lgkmcnt(0)
	; wave barrier
	s_waitcnt lgkmcnt(0)
	ds_read_b64 v[22:23], v36 offset:152
	v_cmp_lt_u32_e32 vcc, 7, v0
	s_waitcnt lgkmcnt(0)
	v_fma_f64 v[22:23], v[20:21], v[22:23], 0
	v_add_f64 v[18:19], v[18:19], -v[22:23]
	s_and_saveexec_b64 s[0:1], vcc
	s_cbranch_execz .LBB73_66
; %bb.65:
	v_mov_b32_e32 v22, v2
	v_mov_b32_e32 v23, v3
	;; [unrolled: 1-line block ×19, first 2 shown]
	ds_write_b64 v1, v[16:17]
	v_pk_mov_b32 v[2:3], v[22:23], v[22:23] op_sel:[0,1]
	v_pk_mov_b32 v[4:5], v[24:25], v[24:25] op_sel:[0,1]
	;; [unrolled: 1-line block ×16, first 2 shown]
.LBB73_66:
	s_or_b64 exec, exec, s[0:1]
	s_waitcnt lgkmcnt(0)
	; wave barrier
	s_waitcnt lgkmcnt(0)
	ds_read_b128 v[22:25], v36 offset:144
	v_cmp_lt_u32_e32 vcc, 6, v0
	s_waitcnt lgkmcnt(0)
	v_fma_f64 v[22:23], v[18:19], v[22:23], 0
	v_fmac_f64_e32 v[22:23], v[20:21], v[24:25]
	v_add_f64 v[16:17], v[16:17], -v[22:23]
	s_and_saveexec_b64 s[0:1], vcc
	s_cbranch_execz .LBB73_68
; %bb.67:
	v_mov_b32_e32 v34, 0
	v_mov_b32_e32 v22, v2
	;; [unrolled: 1-line block ×20, first 2 shown]
	ds_write_b64 v1, v[14:15]
	v_pk_mov_b32 v[2:3], v[22:23], v[22:23] op_sel:[0,1]
	v_pk_mov_b32 v[4:5], v[24:25], v[24:25] op_sel:[0,1]
	;; [unrolled: 1-line block ×16, first 2 shown]
.LBB73_68:
	s_or_b64 exec, exec, s[0:1]
	v_mov_b32_e32 v34, 0
	s_waitcnt lgkmcnt(0)
	; wave barrier
	s_waitcnt lgkmcnt(0)
	ds_read2_b64 v[22:25], v34 offset0:17 offset1:18
	ds_read_b64 v[26:27], v34 offset:152
	v_cmp_lt_u32_e32 vcc, 5, v0
	s_waitcnt lgkmcnt(1)
	v_fma_f64 v[22:23], v[16:17], v[22:23], 0
	v_fmac_f64_e32 v[22:23], v[18:19], v[24:25]
	s_waitcnt lgkmcnt(0)
	v_fmac_f64_e32 v[22:23], v[20:21], v[26:27]
	v_add_f64 v[14:15], v[14:15], -v[22:23]
	s_and_saveexec_b64 s[0:1], vcc
	s_cbranch_execz .LBB73_70
; %bb.69:
	v_mov_b32_e32 v24, v2
	v_mov_b32_e32 v25, v3
	v_mov_b32_e32 v26, v4
	v_mov_b32_e32 v27, v5
	v_mov_b32_e32 v28, v6
	v_mov_b32_e32 v29, v7
	v_mov_b32_e32 v30, v8
	v_mov_b32_e32 v31, v9
	v_mov_b32_e32 v32, v10
	v_mov_b32_e32 v33, v11
	v_mov_b32_e32 v35, v34
	v_mov_b32_e32 v36, v14
	v_mov_b32_e32 v37, v15
	v_mov_b32_e32 v38, v16
	v_mov_b32_e32 v39, v17
	v_mov_b32_e32 v40, v18
	v_mov_b32_e32 v41, v19
	v_mov_b32_e32 v42, v20
	v_mov_b32_e32 v43, v21
	ds_write_b64 v1, v[12:13]
	v_pk_mov_b32 v[2:3], v[24:25], v[24:25] op_sel:[0,1]
	v_pk_mov_b32 v[4:5], v[26:27], v[26:27] op_sel:[0,1]
	;; [unrolled: 1-line block ×16, first 2 shown]
.LBB73_70:
	s_or_b64 exec, exec, s[0:1]
	s_waitcnt lgkmcnt(0)
	; wave barrier
	s_waitcnt lgkmcnt(0)
	ds_read_b128 v[22:25], v34 offset:128
	ds_read_b128 v[26:29], v34 offset:144
	v_cmp_lt_u32_e32 vcc, 4, v0
	s_waitcnt lgkmcnt(1)
	v_fma_f64 v[22:23], v[14:15], v[22:23], 0
	v_fmac_f64_e32 v[22:23], v[16:17], v[24:25]
	s_waitcnt lgkmcnt(0)
	v_fmac_f64_e32 v[22:23], v[18:19], v[26:27]
	v_fmac_f64_e32 v[22:23], v[20:21], v[28:29]
	v_add_f64 v[12:13], v[12:13], -v[22:23]
	s_and_saveexec_b64 s[0:1], vcc
	s_cbranch_execz .LBB73_72
; %bb.71:
	v_mov_b32_e32 v30, 0
	v_mov_b32_e32 v22, v2
	;; [unrolled: 1-line block ×20, first 2 shown]
	ds_write_b64 v1, v[10:11]
	v_pk_mov_b32 v[2:3], v[22:23], v[22:23] op_sel:[0,1]
	v_pk_mov_b32 v[4:5], v[24:25], v[24:25] op_sel:[0,1]
	;; [unrolled: 1-line block ×16, first 2 shown]
.LBB73_72:
	s_or_b64 exec, exec, s[0:1]
	v_mov_b32_e32 v34, 0
	s_waitcnt lgkmcnt(0)
	; wave barrier
	s_waitcnt lgkmcnt(0)
	ds_read2_b64 v[22:25], v34 offset0:15 offset1:16
	ds_read2_b64 v[26:29], v34 offset0:17 offset1:18
	v_cmp_lt_u32_e32 vcc, 3, v0
	s_waitcnt lgkmcnt(1)
	v_fma_f64 v[22:23], v[12:13], v[22:23], 0
	v_fmac_f64_e32 v[22:23], v[14:15], v[24:25]
	ds_read_b64 v[24:25], v34 offset:152
	s_waitcnt lgkmcnt(1)
	v_fmac_f64_e32 v[22:23], v[16:17], v[26:27]
	v_fmac_f64_e32 v[22:23], v[18:19], v[28:29]
	s_waitcnt lgkmcnt(0)
	v_fmac_f64_e32 v[22:23], v[20:21], v[24:25]
	v_add_f64 v[10:11], v[10:11], -v[22:23]
	s_and_saveexec_b64 s[0:1], vcc
	s_cbranch_execz .LBB73_74
; %bb.73:
	v_mov_b32_e32 v28, v2
	v_mov_b32_e32 v29, v3
	;; [unrolled: 1-line block ×19, first 2 shown]
	ds_write_b64 v1, v[8:9]
	v_pk_mov_b32 v[2:3], v[28:29], v[28:29] op_sel:[0,1]
	v_pk_mov_b32 v[4:5], v[30:31], v[30:31] op_sel:[0,1]
	;; [unrolled: 1-line block ×16, first 2 shown]
.LBB73_74:
	s_or_b64 exec, exec, s[0:1]
	s_waitcnt lgkmcnt(0)
	; wave barrier
	s_waitcnt lgkmcnt(0)
	ds_read_b128 v[22:25], v34 offset:112
	ds_read_b128 v[26:29], v34 offset:128
	;; [unrolled: 1-line block ×3, first 2 shown]
	v_cmp_lt_u32_e32 vcc, 2, v0
	s_waitcnt lgkmcnt(2)
	v_fma_f64 v[22:23], v[10:11], v[22:23], 0
	v_fmac_f64_e32 v[22:23], v[12:13], v[24:25]
	s_waitcnt lgkmcnt(1)
	v_fmac_f64_e32 v[22:23], v[14:15], v[26:27]
	v_fmac_f64_e32 v[22:23], v[16:17], v[28:29]
	s_waitcnt lgkmcnt(0)
	v_fmac_f64_e32 v[22:23], v[18:19], v[30:31]
	v_fmac_f64_e32 v[22:23], v[20:21], v[32:33]
	v_add_f64 v[8:9], v[8:9], -v[22:23]
	s_and_saveexec_b64 s[0:1], vcc
	s_cbranch_execz .LBB73_76
; %bb.75:
	v_mov_b32_e32 v26, 0
	v_mov_b32_e32 v22, v2
	;; [unrolled: 1-line block ×20, first 2 shown]
	ds_write_b64 v1, v[6:7]
	v_pk_mov_b32 v[2:3], v[22:23], v[22:23] op_sel:[0,1]
	v_pk_mov_b32 v[4:5], v[24:25], v[24:25] op_sel:[0,1]
	;; [unrolled: 1-line block ×16, first 2 shown]
.LBB73_76:
	s_or_b64 exec, exec, s[0:1]
	v_mov_b32_e32 v34, 0
	s_waitcnt lgkmcnt(0)
	; wave barrier
	s_waitcnt lgkmcnt(0)
	ds_read2_b64 v[22:25], v34 offset0:13 offset1:14
	ds_read2_b64 v[26:29], v34 offset0:15 offset1:16
	v_cmp_lt_u32_e32 vcc, 1, v0
	s_waitcnt lgkmcnt(1)
	v_fma_f64 v[30:31], v[8:9], v[22:23], 0
	v_fmac_f64_e32 v[30:31], v[10:11], v[24:25]
	ds_read2_b64 v[22:25], v34 offset0:17 offset1:18
	s_waitcnt lgkmcnt(1)
	v_fmac_f64_e32 v[30:31], v[12:13], v[26:27]
	ds_read_b64 v[26:27], v34 offset:152
	v_fmac_f64_e32 v[30:31], v[14:15], v[28:29]
	s_waitcnt lgkmcnt(1)
	v_fmac_f64_e32 v[30:31], v[16:17], v[22:23]
	v_fmac_f64_e32 v[30:31], v[18:19], v[24:25]
	s_waitcnt lgkmcnt(0)
	v_fmac_f64_e32 v[30:31], v[20:21], v[26:27]
	v_add_f64 v[6:7], v[6:7], -v[30:31]
	s_and_saveexec_b64 s[0:1], vcc
	s_cbranch_execz .LBB73_78
; %bb.77:
	v_mov_b32_e32 v32, v2
	v_mov_b32_e32 v33, v3
	;; [unrolled: 1-line block ×19, first 2 shown]
	ds_write_b64 v1, v[4:5]
	v_pk_mov_b32 v[2:3], v[32:33], v[32:33] op_sel:[0,1]
	v_pk_mov_b32 v[4:5], v[34:35], v[34:35] op_sel:[0,1]
	;; [unrolled: 1-line block ×16, first 2 shown]
.LBB73_78:
	s_or_b64 exec, exec, s[0:1]
	s_waitcnt lgkmcnt(0)
	; wave barrier
	s_waitcnt lgkmcnt(0)
	ds_read_b128 v[22:25], v34 offset:96
	ds_read_b128 v[26:29], v34 offset:112
	;; [unrolled: 1-line block ×4, first 2 shown]
	v_cmp_ne_u32_e32 vcc, 0, v0
	s_waitcnt lgkmcnt(3)
	v_fma_f64 v[22:23], v[6:7], v[22:23], 0
	v_fmac_f64_e32 v[22:23], v[8:9], v[24:25]
	s_waitcnt lgkmcnt(2)
	v_fmac_f64_e32 v[22:23], v[10:11], v[26:27]
	v_fmac_f64_e32 v[22:23], v[12:13], v[28:29]
	s_waitcnt lgkmcnt(1)
	v_fmac_f64_e32 v[22:23], v[14:15], v[30:31]
	;; [unrolled: 3-line block ×3, first 2 shown]
	v_fmac_f64_e32 v[22:23], v[20:21], v[36:37]
	v_add_f64 v[4:5], v[4:5], -v[22:23]
	s_and_saveexec_b64 s[0:1], vcc
	s_cbranch_execz .LBB73_80
; %bb.79:
	v_mov_b32_e32 v22, 0
	v_mov_b32_e32 v23, v22
	;; [unrolled: 1-line block ×20, first 2 shown]
	ds_write_b64 v1, v[2:3]
	v_pk_mov_b32 v[2:3], v[22:23], v[22:23] op_sel:[0,1]
	v_pk_mov_b32 v[4:5], v[24:25], v[24:25] op_sel:[0,1]
	;; [unrolled: 1-line block ×16, first 2 shown]
.LBB73_80:
	s_or_b64 exec, exec, s[0:1]
	v_mov_b32_e32 v34, 0
	s_waitcnt lgkmcnt(0)
	; wave barrier
	s_waitcnt lgkmcnt(0)
	ds_read2_b64 v[22:25], v34 offset0:11 offset1:12
	ds_read2_b64 v[26:29], v34 offset0:13 offset1:14
	s_and_b64 vcc, exec, s[30:31]
	ds_read2_b64 v[30:33], v34 offset0:17 offset1:18
	s_waitcnt lgkmcnt(2)
	v_fma_f64 v[0:1], v[4:5], v[22:23], 0
	v_fmac_f64_e32 v[0:1], v[6:7], v[24:25]
	ds_read2_b64 v[22:25], v34 offset0:15 offset1:16
	s_waitcnt lgkmcnt(2)
	v_fmac_f64_e32 v[0:1], v[8:9], v[26:27]
	v_fmac_f64_e32 v[0:1], v[10:11], v[28:29]
	ds_read_b64 v[26:27], v34 offset:152
	s_waitcnt lgkmcnt(1)
	v_fmac_f64_e32 v[0:1], v[12:13], v[22:23]
	v_fmac_f64_e32 v[0:1], v[14:15], v[24:25]
	;; [unrolled: 1-line block ×4, first 2 shown]
	s_waitcnt lgkmcnt(0)
	v_fmac_f64_e32 v[0:1], v[20:21], v[26:27]
	v_add_f64 v[2:3], v[2:3], -v[0:1]
	s_cbranch_vccz .LBB73_100
; %bb.81:
	v_pk_mov_b32 v[0:1], s[28:29], s[28:29] op_sel:[0,1]
	flat_load_dword v0, v[0:1] offset:32
	s_waitcnt vmcnt(0) lgkmcnt(0)
	v_add_u32_e32 v0, -1, v0
	v_cmp_ne_u32_e32 vcc, 8, v0
	s_and_saveexec_b64 s[16:17], vcc
	s_cbranch_execz .LBB73_83
; %bb.82:
	v_cmp_eq_u32_e32 vcc, 1, v0
	v_cndmask_b32_e32 v1, v2, v4, vcc
	v_cmp_eq_u32_e64 s[0:1], 2, v0
	v_cndmask_b32_e32 v22, v3, v5, vcc
	v_cndmask_b32_e64 v1, v1, v6, s[0:1]
	v_cmp_eq_u32_e64 s[2:3], 3, v0
	v_cndmask_b32_e64 v22, v22, v7, s[0:1]
	v_cndmask_b32_e64 v1, v1, v8, s[2:3]
	v_cmp_eq_u32_e64 s[4:5], 4, v0
	v_cndmask_b32_e64 v22, v22, v9, s[2:3]
	;; [unrolled: 3-line block ×7, first 2 shown]
	v_cndmask_b32_e64 v1, v1, v20, s[14:15]
	v_cndmask_b32_e64 v22, v22, v21, s[14:15]
	;; [unrolled: 1-line block ×4, first 2 shown]
	v_cndmask_b32_e32 v21, v5, v19, vcc
	v_cndmask_b32_e32 v20, v4, v18, vcc
	v_cmp_eq_u32_e32 vcc, 0, v0
	v_cndmask_b32_e64 v35, v22, v19, s[12:13]
	v_cndmask_b32_e64 v34, v1, v18, s[12:13]
	;; [unrolled: 1-line block ×14, first 2 shown]
	v_cndmask_b32_e32 v19, v3, v19, vcc
	v_cndmask_b32_e32 v18, v2, v18, vcc
	v_pk_mov_b32 v[2:3], v[18:19], v[18:19] op_sel:[0,1]
	v_pk_mov_b32 v[4:5], v[20:21], v[20:21] op_sel:[0,1]
	;; [unrolled: 1-line block ×16, first 2 shown]
.LBB73_83:
	s_or_b64 exec, exec, s[16:17]
	v_pk_mov_b32 v[0:1], s[28:29], s[28:29] op_sel:[0,1]
	flat_load_dword v0, v[0:1] offset:28
	s_waitcnt vmcnt(0) lgkmcnt(0)
	v_add_u32_e32 v0, -1, v0
	v_cmp_ne_u32_e32 vcc, 7, v0
	s_and_saveexec_b64 s[16:17], vcc
	s_cbranch_execz .LBB73_85
; %bb.84:
	v_cmp_eq_u32_e32 vcc, 1, v0
	v_cndmask_b32_e32 v1, v2, v4, vcc
	v_cmp_eq_u32_e64 s[0:1], 2, v0
	v_cndmask_b32_e32 v22, v3, v5, vcc
	v_cndmask_b32_e64 v1, v1, v6, s[0:1]
	v_cmp_eq_u32_e64 s[2:3], 3, v0
	v_cndmask_b32_e64 v22, v22, v7, s[0:1]
	v_cndmask_b32_e64 v1, v1, v8, s[2:3]
	v_cmp_eq_u32_e64 s[4:5], 4, v0
	v_cndmask_b32_e64 v22, v22, v9, s[2:3]
	;; [unrolled: 3-line block ×7, first 2 shown]
	v_cndmask_b32_e64 v1, v1, v20, s[14:15]
	v_cndmask_b32_e64 v22, v22, v21, s[14:15]
	v_cndmask_b32_e64 v33, v19, v17, s[12:13]
	v_cndmask_b32_e64 v32, v18, v16, s[12:13]
	v_cndmask_b32_e32 v19, v5, v17, vcc
	v_cndmask_b32_e32 v18, v4, v16, vcc
	v_cmp_eq_u32_e32 vcc, 0, v0
	v_cndmask_b32_e64 v31, v22, v17, s[10:11]
	v_cndmask_b32_e64 v30, v1, v16, s[10:11]
	;; [unrolled: 1-line block ×14, first 2 shown]
	v_cndmask_b32_e32 v17, v3, v17, vcc
	v_cndmask_b32_e32 v16, v2, v16, vcc
	v_pk_mov_b32 v[2:3], v[16:17], v[16:17] op_sel:[0,1]
	v_pk_mov_b32 v[4:5], v[18:19], v[18:19] op_sel:[0,1]
	;; [unrolled: 1-line block ×16, first 2 shown]
.LBB73_85:
	s_or_b64 exec, exec, s[16:17]
	v_pk_mov_b32 v[0:1], s[28:29], s[28:29] op_sel:[0,1]
	flat_load_dword v0, v[0:1] offset:24
	s_waitcnt vmcnt(0) lgkmcnt(0)
	v_add_u32_e32 v0, -1, v0
	v_cmp_ne_u32_e32 vcc, 6, v0
	s_and_saveexec_b64 s[16:17], vcc
	s_cbranch_execz .LBB73_87
; %bb.86:
	v_cmp_eq_u32_e32 vcc, 1, v0
	v_cndmask_b32_e32 v1, v2, v4, vcc
	v_cmp_eq_u32_e64 s[0:1], 2, v0
	v_cndmask_b32_e32 v22, v3, v5, vcc
	v_cndmask_b32_e64 v1, v1, v6, s[0:1]
	v_cmp_eq_u32_e64 s[2:3], 3, v0
	v_cndmask_b32_e64 v22, v22, v7, s[0:1]
	v_cndmask_b32_e64 v1, v1, v8, s[2:3]
	v_cmp_eq_u32_e64 s[4:5], 4, v0
	v_cndmask_b32_e64 v22, v22, v9, s[2:3]
	v_cndmask_b32_e64 v1, v1, v10, s[4:5]
	v_cmp_eq_u32_e64 s[6:7], 5, v0
	v_cndmask_b32_e64 v22, v22, v11, s[4:5]
	v_cndmask_b32_e64 v1, v1, v12, s[6:7]
	v_cmp_eq_u32_e64 s[8:9], 6, v0
	v_cndmask_b32_e64 v22, v22, v13, s[6:7]
	v_cndmask_b32_e64 v1, v1, v14, s[8:9]
	v_cmp_eq_u32_e64 s[10:11], 7, v0
	v_cndmask_b32_e64 v22, v22, v15, s[8:9]
	v_cndmask_b32_e64 v1, v1, v16, s[10:11]
	v_cmp_eq_u32_e64 s[12:13], 8, v0
	v_cndmask_b32_e64 v22, v22, v17, s[10:11]
	v_cndmask_b32_e64 v1, v1, v18, s[12:13]
	v_cmp_eq_u32_e64 s[14:15], 9, v0
	v_cndmask_b32_e64 v22, v22, v19, s[12:13]
	v_cndmask_b32_e64 v1, v1, v20, s[14:15]
	v_cndmask_b32_e64 v22, v22, v21, s[14:15]
	;; [unrolled: 1-line block ×4, first 2 shown]
	v_cndmask_b32_e32 v17, v5, v15, vcc
	v_cndmask_b32_e32 v16, v4, v14, vcc
	v_cmp_eq_u32_e32 vcc, 0, v0
	v_cndmask_b32_e64 v27, v22, v15, s[8:9]
	v_cndmask_b32_e64 v26, v1, v14, s[8:9]
	;; [unrolled: 1-line block ×14, first 2 shown]
	v_cndmask_b32_e32 v15, v3, v15, vcc
	v_cndmask_b32_e32 v14, v2, v14, vcc
	v_pk_mov_b32 v[2:3], v[14:15], v[14:15] op_sel:[0,1]
	v_pk_mov_b32 v[4:5], v[16:17], v[16:17] op_sel:[0,1]
	;; [unrolled: 1-line block ×16, first 2 shown]
.LBB73_87:
	s_or_b64 exec, exec, s[16:17]
	v_pk_mov_b32 v[0:1], s[28:29], s[28:29] op_sel:[0,1]
	flat_load_dword v0, v[0:1] offset:20
	s_waitcnt vmcnt(0) lgkmcnt(0)
	v_add_u32_e32 v0, -1, v0
	v_cmp_ne_u32_e32 vcc, 5, v0
	s_and_saveexec_b64 s[16:17], vcc
	s_cbranch_execz .LBB73_89
; %bb.88:
	v_cmp_eq_u32_e32 vcc, 1, v0
	v_cndmask_b32_e32 v1, v2, v4, vcc
	v_cmp_eq_u32_e64 s[0:1], 2, v0
	v_cndmask_b32_e32 v22, v3, v5, vcc
	v_cndmask_b32_e64 v1, v1, v6, s[0:1]
	v_cmp_eq_u32_e64 s[2:3], 3, v0
	v_cndmask_b32_e64 v22, v22, v7, s[0:1]
	v_cndmask_b32_e64 v1, v1, v8, s[2:3]
	v_cmp_eq_u32_e64 s[4:5], 4, v0
	v_cndmask_b32_e64 v22, v22, v9, s[2:3]
	;; [unrolled: 3-line block ×7, first 2 shown]
	v_cndmask_b32_e64 v1, v1, v20, s[14:15]
	v_cndmask_b32_e64 v22, v22, v21, s[14:15]
	;; [unrolled: 1-line block ×4, first 2 shown]
	v_cndmask_b32_e32 v15, v5, v13, vcc
	v_cndmask_b32_e32 v14, v4, v12, vcc
	v_cmp_eq_u32_e32 vcc, 0, v0
	v_cndmask_b32_e64 v23, v22, v13, s[6:7]
	v_cndmask_b32_e64 v22, v1, v12, s[6:7]
	;; [unrolled: 1-line block ×14, first 2 shown]
	v_cndmask_b32_e32 v13, v3, v13, vcc
	v_cndmask_b32_e32 v12, v2, v12, vcc
	v_pk_mov_b32 v[2:3], v[12:13], v[12:13] op_sel:[0,1]
	v_pk_mov_b32 v[4:5], v[14:15], v[14:15] op_sel:[0,1]
	v_pk_mov_b32 v[6:7], v[16:17], v[16:17] op_sel:[0,1]
	v_pk_mov_b32 v[8:9], v[18:19], v[18:19] op_sel:[0,1]
	v_pk_mov_b32 v[10:11], v[20:21], v[20:21] op_sel:[0,1]
	v_pk_mov_b32 v[12:13], v[22:23], v[22:23] op_sel:[0,1]
	v_pk_mov_b32 v[14:15], v[24:25], v[24:25] op_sel:[0,1]
	v_pk_mov_b32 v[16:17], v[26:27], v[26:27] op_sel:[0,1]
	v_pk_mov_b32 v[18:19], v[28:29], v[28:29] op_sel:[0,1]
	v_pk_mov_b32 v[20:21], v[30:31], v[30:31] op_sel:[0,1]
	v_pk_mov_b32 v[22:23], v[32:33], v[32:33] op_sel:[0,1]
	v_pk_mov_b32 v[24:25], v[34:35], v[34:35] op_sel:[0,1]
	v_pk_mov_b32 v[26:27], v[36:37], v[36:37] op_sel:[0,1]
	v_pk_mov_b32 v[28:29], v[38:39], v[38:39] op_sel:[0,1]
	v_pk_mov_b32 v[30:31], v[40:41], v[40:41] op_sel:[0,1]
	v_pk_mov_b32 v[32:33], v[42:43], v[42:43] op_sel:[0,1]
.LBB73_89:
	s_or_b64 exec, exec, s[16:17]
	v_pk_mov_b32 v[0:1], s[28:29], s[28:29] op_sel:[0,1]
	flat_load_dword v0, v[0:1] offset:16
	s_waitcnt vmcnt(0) lgkmcnt(0)
	v_add_u32_e32 v0, -1, v0
	v_cmp_ne_u32_e32 vcc, 4, v0
	s_and_saveexec_b64 s[16:17], vcc
	s_cbranch_execz .LBB73_91
; %bb.90:
	v_cmp_eq_u32_e32 vcc, 1, v0
	v_cndmask_b32_e32 v1, v2, v4, vcc
	v_cmp_eq_u32_e64 s[0:1], 2, v0
	v_cndmask_b32_e32 v22, v3, v5, vcc
	v_cndmask_b32_e64 v1, v1, v6, s[0:1]
	v_cmp_eq_u32_e64 s[2:3], 3, v0
	v_cndmask_b32_e64 v22, v22, v7, s[0:1]
	v_cndmask_b32_e64 v1, v1, v8, s[2:3]
	v_cmp_eq_u32_e64 s[4:5], 4, v0
	v_cndmask_b32_e64 v22, v22, v9, s[2:3]
	;; [unrolled: 3-line block ×7, first 2 shown]
	v_cndmask_b32_e64 v1, v1, v20, s[14:15]
	v_cndmask_b32_e64 v22, v22, v21, s[14:15]
	;; [unrolled: 1-line block ×4, first 2 shown]
	v_cndmask_b32_e32 v17, v5, v11, vcc
	v_cndmask_b32_e32 v16, v4, v10, vcc
	v_cmp_eq_u32_e32 vcc, 0, v0
	v_cndmask_b32_e64 v23, v22, v11, s[4:5]
	v_cndmask_b32_e64 v22, v1, v10, s[4:5]
	;; [unrolled: 1-line block ×14, first 2 shown]
	v_cndmask_b32_e32 v15, v3, v11, vcc
	v_cndmask_b32_e32 v14, v2, v10, vcc
	v_pk_mov_b32 v[2:3], v[14:15], v[14:15] op_sel:[0,1]
	v_pk_mov_b32 v[4:5], v[16:17], v[16:17] op_sel:[0,1]
	;; [unrolled: 1-line block ×16, first 2 shown]
.LBB73_91:
	s_or_b64 exec, exec, s[16:17]
	v_pk_mov_b32 v[0:1], s[28:29], s[28:29] op_sel:[0,1]
	flat_load_dword v0, v[0:1] offset:12
	s_waitcnt vmcnt(0) lgkmcnt(0)
	v_add_u32_e32 v0, -1, v0
	v_cmp_ne_u32_e32 vcc, 3, v0
	s_and_saveexec_b64 s[16:17], vcc
	s_cbranch_execz .LBB73_93
; %bb.92:
	v_cmp_eq_u32_e32 vcc, 1, v0
	v_cndmask_b32_e32 v1, v2, v4, vcc
	v_cmp_eq_u32_e64 s[0:1], 2, v0
	v_cndmask_b32_e32 v22, v3, v5, vcc
	v_cndmask_b32_e64 v1, v1, v6, s[0:1]
	v_cmp_eq_u32_e64 s[2:3], 3, v0
	v_cndmask_b32_e64 v22, v22, v7, s[0:1]
	v_cndmask_b32_e64 v1, v1, v8, s[2:3]
	v_cmp_eq_u32_e64 s[4:5], 4, v0
	v_cndmask_b32_e64 v22, v22, v9, s[2:3]
	;; [unrolled: 3-line block ×7, first 2 shown]
	v_cndmask_b32_e64 v1, v1, v20, s[14:15]
	v_cndmask_b32_e64 v22, v22, v21, s[14:15]
	v_cndmask_b32_e64 v33, v19, v9, s[12:13]
	v_cndmask_b32_e64 v32, v18, v8, s[12:13]
	v_cndmask_b32_e32 v19, v5, v9, vcc
	v_cndmask_b32_e32 v18, v4, v8, vcc
	v_cmp_eq_u32_e32 vcc, 0, v0
	v_cndmask_b32_e64 v23, v22, v9, s[2:3]
	v_cndmask_b32_e64 v22, v1, v8, s[2:3]
	v_cndmask_b32_e64 v35, v21, v9, s[14:15]
	v_cndmask_b32_e64 v34, v20, v8, s[14:15]
	v_cndmask_b32_e64 v31, v17, v9, s[10:11]
	v_cndmask_b32_e64 v30, v16, v8, s[10:11]
	v_cndmask_b32_e64 v29, v15, v9, s[8:9]
	v_cndmask_b32_e64 v28, v14, v8, s[8:9]
	v_cndmask_b32_e64 v27, v13, v9, s[6:7]
	v_cndmask_b32_e64 v26, v12, v8, s[6:7]
	v_cndmask_b32_e64 v25, v11, v9, s[4:5]
	v_cndmask_b32_e64 v24, v10, v8, s[4:5]
	v_cndmask_b32_e64 v21, v7, v9, s[0:1]
	v_cndmask_b32_e64 v20, v6, v8, s[0:1]
	v_cndmask_b32_e32 v17, v3, v9, vcc
	v_cndmask_b32_e32 v16, v2, v8, vcc
	v_pk_mov_b32 v[2:3], v[16:17], v[16:17] op_sel:[0,1]
	v_pk_mov_b32 v[4:5], v[18:19], v[18:19] op_sel:[0,1]
	;; [unrolled: 1-line block ×16, first 2 shown]
.LBB73_93:
	s_or_b64 exec, exec, s[16:17]
	v_pk_mov_b32 v[0:1], s[28:29], s[28:29] op_sel:[0,1]
	flat_load_dword v0, v[0:1] offset:8
	s_waitcnt vmcnt(0) lgkmcnt(0)
	v_add_u32_e32 v0, -1, v0
	v_cmp_ne_u32_e32 vcc, 2, v0
	s_and_saveexec_b64 s[16:17], vcc
	s_cbranch_execz .LBB73_95
; %bb.94:
	v_cmp_eq_u32_e32 vcc, 1, v0
	v_cndmask_b32_e32 v1, v2, v4, vcc
	v_cmp_eq_u32_e64 s[0:1], 2, v0
	v_cndmask_b32_e32 v22, v3, v5, vcc
	v_cndmask_b32_e64 v1, v1, v6, s[0:1]
	v_cmp_eq_u32_e64 s[2:3], 3, v0
	v_cndmask_b32_e64 v22, v22, v7, s[0:1]
	v_cndmask_b32_e64 v1, v1, v8, s[2:3]
	v_cmp_eq_u32_e64 s[4:5], 4, v0
	v_cndmask_b32_e64 v22, v22, v9, s[2:3]
	;; [unrolled: 3-line block ×7, first 2 shown]
	v_cndmask_b32_e64 v1, v1, v20, s[14:15]
	v_cndmask_b32_e64 v22, v22, v21, s[14:15]
	;; [unrolled: 1-line block ×4, first 2 shown]
	v_cndmask_b32_e32 v21, v5, v7, vcc
	v_cndmask_b32_e32 v20, v4, v6, vcc
	v_cmp_eq_u32_e32 vcc, 0, v0
	v_cndmask_b32_e64 v23, v22, v7, s[0:1]
	v_cndmask_b32_e64 v22, v1, v6, s[0:1]
	;; [unrolled: 1-line block ×14, first 2 shown]
	v_cndmask_b32_e32 v19, v3, v7, vcc
	v_cndmask_b32_e32 v18, v2, v6, vcc
	v_pk_mov_b32 v[2:3], v[18:19], v[18:19] op_sel:[0,1]
	v_pk_mov_b32 v[4:5], v[20:21], v[20:21] op_sel:[0,1]
	;; [unrolled: 1-line block ×16, first 2 shown]
.LBB73_95:
	s_or_b64 exec, exec, s[16:17]
	v_pk_mov_b32 v[0:1], s[28:29], s[28:29] op_sel:[0,1]
	flat_load_dword v0, v[0:1] offset:4
	s_waitcnt vmcnt(0) lgkmcnt(0)
	v_add_u32_e32 v0, -1, v0
	v_cmp_ne_u32_e32 vcc, 1, v0
	s_and_saveexec_b64 s[16:17], vcc
	s_cbranch_execz .LBB73_97
; %bb.96:
	v_cmp_eq_u32_e32 vcc, 1, v0
	v_cndmask_b32_e32 v1, v2, v4, vcc
	v_cmp_eq_u32_e64 s[0:1], 2, v0
	v_cndmask_b32_e32 v22, v3, v5, vcc
	v_cndmask_b32_e64 v1, v1, v6, s[0:1]
	v_cmp_eq_u32_e64 s[2:3], 3, v0
	v_cndmask_b32_e64 v22, v22, v7, s[0:1]
	v_cndmask_b32_e64 v1, v1, v8, s[2:3]
	v_cmp_eq_u32_e64 s[4:5], 4, v0
	v_cndmask_b32_e64 v22, v22, v9, s[2:3]
	;; [unrolled: 3-line block ×7, first 2 shown]
	v_cndmask_b32_e64 v1, v1, v20, s[14:15]
	v_cndmask_b32_e64 v22, v22, v21, s[14:15]
	v_cndmask_b32_e32 v23, v22, v5, vcc
	v_cndmask_b32_e32 v22, v1, v4, vcc
	v_cmp_eq_u32_e32 vcc, 0, v0
	v_cndmask_b32_e64 v39, v21, v5, s[14:15]
	v_cndmask_b32_e64 v38, v20, v4, s[14:15]
	;; [unrolled: 1-line block ×12, first 2 shown]
	v_cndmask_b32_e32 v21, v3, v5, vcc
	v_cndmask_b32_e32 v20, v2, v4, vcc
	v_cndmask_b32_e64 v37, v19, v5, s[12:13]
	v_cndmask_b32_e64 v36, v18, v4, s[12:13]
	;; [unrolled: 1-line block ×4, first 2 shown]
	v_pk_mov_b32 v[2:3], v[20:21], v[20:21] op_sel:[0,1]
	v_pk_mov_b32 v[4:5], v[22:23], v[22:23] op_sel:[0,1]
	v_pk_mov_b32 v[6:7], v[24:25], v[24:25] op_sel:[0,1]
	v_pk_mov_b32 v[8:9], v[26:27], v[26:27] op_sel:[0,1]
	v_pk_mov_b32 v[10:11], v[28:29], v[28:29] op_sel:[0,1]
	v_pk_mov_b32 v[12:13], v[30:31], v[30:31] op_sel:[0,1]
	v_pk_mov_b32 v[14:15], v[32:33], v[32:33] op_sel:[0,1]
	v_pk_mov_b32 v[16:17], v[34:35], v[34:35] op_sel:[0,1]
	v_pk_mov_b32 v[18:19], v[36:37], v[36:37] op_sel:[0,1]
	v_pk_mov_b32 v[20:21], v[38:39], v[38:39] op_sel:[0,1]
	v_pk_mov_b32 v[22:23], v[40:41], v[40:41] op_sel:[0,1]
	v_pk_mov_b32 v[24:25], v[42:43], v[42:43] op_sel:[0,1]
	v_pk_mov_b32 v[26:27], v[44:45], v[44:45] op_sel:[0,1]
	v_pk_mov_b32 v[28:29], v[46:47], v[46:47] op_sel:[0,1]
	v_pk_mov_b32 v[30:31], v[48:49], v[48:49] op_sel:[0,1]
	v_pk_mov_b32 v[32:33], v[50:51], v[50:51] op_sel:[0,1]
.LBB73_97:
	s_or_b64 exec, exec, s[16:17]
	v_pk_mov_b32 v[0:1], s[28:29], s[28:29] op_sel:[0,1]
	flat_load_dword v0, v[0:1]
	s_waitcnt vmcnt(0) lgkmcnt(0)
	v_add_u32_e32 v0, -1, v0
	v_cmp_ne_u32_e32 vcc, 0, v0
	s_and_saveexec_b64 s[18:19], vcc
	s_cbranch_execz .LBB73_99
; %bb.98:
	v_cmp_eq_u32_e32 vcc, 1, v0
	v_cndmask_b32_e32 v1, v2, v4, vcc
	v_cmp_eq_u32_e64 s[0:1], 2, v0
	v_cndmask_b32_e32 v22, v3, v5, vcc
	v_cndmask_b32_e64 v1, v1, v6, s[0:1]
	v_cmp_eq_u32_e64 s[2:3], 3, v0
	v_cndmask_b32_e64 v22, v22, v7, s[0:1]
	v_cndmask_b32_e64 v1, v1, v8, s[2:3]
	v_cmp_eq_u32_e64 s[4:5], 4, v0
	v_cndmask_b32_e64 v22, v22, v9, s[2:3]
	;; [unrolled: 3-line block ×7, first 2 shown]
	v_cndmask_b32_e64 v1, v1, v20, s[14:15]
	v_cndmask_b32_e64 v22, v22, v21, s[14:15]
	v_cmp_eq_u32_e64 s[16:17], 0, v0
	v_cndmask_b32_e64 v23, v22, v3, s[16:17]
	v_cndmask_b32_e64 v22, v1, v2, s[16:17]
	;; [unrolled: 1-line block ×10, first 2 shown]
	v_cndmask_b32_e32 v25, v5, v3, vcc
	v_cndmask_b32_e32 v24, v4, v2, vcc
	v_cndmask_b32_e64 v41, v21, v3, s[14:15]
	v_cndmask_b32_e64 v40, v20, v2, s[14:15]
	;; [unrolled: 1-line block ×8, first 2 shown]
	v_pk_mov_b32 v[2:3], v[22:23], v[22:23] op_sel:[0,1]
	v_pk_mov_b32 v[4:5], v[24:25], v[24:25] op_sel:[0,1]
	;; [unrolled: 1-line block ×16, first 2 shown]
.LBB73_99:
	s_or_b64 exec, exec, s[18:19]
.LBB73_100:
	global_store_dwordx2 v[52:53], v[2:3], off
	global_store_dwordx2 v[54:55], v[4:5], off
	;; [unrolled: 1-line block ×10, first 2 shown]
	s_endpgm
	.section	.rodata,"a",@progbits
	.p2align	6, 0x0
	.amdhsa_kernel _ZN9rocsolver6v33100L18getri_kernel_smallILi10EdPKPdEEvT1_iilPiilS6_bb
		.amdhsa_group_segment_fixed_size 168
		.amdhsa_private_segment_fixed_size 0
		.amdhsa_kernarg_size 60
		.amdhsa_user_sgpr_count 6
		.amdhsa_user_sgpr_private_segment_buffer 1
		.amdhsa_user_sgpr_dispatch_ptr 0
		.amdhsa_user_sgpr_queue_ptr 0
		.amdhsa_user_sgpr_kernarg_segment_ptr 1
		.amdhsa_user_sgpr_dispatch_id 0
		.amdhsa_user_sgpr_flat_scratch_init 0
		.amdhsa_user_sgpr_kernarg_preload_length 0
		.amdhsa_user_sgpr_kernarg_preload_offset 0
		.amdhsa_user_sgpr_private_segment_size 0
		.amdhsa_uses_dynamic_stack 0
		.amdhsa_system_sgpr_private_segment_wavefront_offset 0
		.amdhsa_system_sgpr_workgroup_id_x 1
		.amdhsa_system_sgpr_workgroup_id_y 0
		.amdhsa_system_sgpr_workgroup_id_z 0
		.amdhsa_system_sgpr_workgroup_info 0
		.amdhsa_system_vgpr_workitem_id 0
		.amdhsa_next_free_vgpr 72
		.amdhsa_next_free_sgpr 42
		.amdhsa_accum_offset 72
		.amdhsa_reserve_vcc 1
		.amdhsa_reserve_flat_scratch 0
		.amdhsa_float_round_mode_32 0
		.amdhsa_float_round_mode_16_64 0
		.amdhsa_float_denorm_mode_32 3
		.amdhsa_float_denorm_mode_16_64 3
		.amdhsa_dx10_clamp 1
		.amdhsa_ieee_mode 1
		.amdhsa_fp16_overflow 0
		.amdhsa_tg_split 0
		.amdhsa_exception_fp_ieee_invalid_op 0
		.amdhsa_exception_fp_denorm_src 0
		.amdhsa_exception_fp_ieee_div_zero 0
		.amdhsa_exception_fp_ieee_overflow 0
		.amdhsa_exception_fp_ieee_underflow 0
		.amdhsa_exception_fp_ieee_inexact 0
		.amdhsa_exception_int_div_zero 0
	.end_amdhsa_kernel
	.section	.text._ZN9rocsolver6v33100L18getri_kernel_smallILi10EdPKPdEEvT1_iilPiilS6_bb,"axG",@progbits,_ZN9rocsolver6v33100L18getri_kernel_smallILi10EdPKPdEEvT1_iilPiilS6_bb,comdat
.Lfunc_end73:
	.size	_ZN9rocsolver6v33100L18getri_kernel_smallILi10EdPKPdEEvT1_iilPiilS6_bb, .Lfunc_end73-_ZN9rocsolver6v33100L18getri_kernel_smallILi10EdPKPdEEvT1_iilPiilS6_bb
                                        ; -- End function
	.section	.AMDGPU.csdata,"",@progbits
; Kernel info:
; codeLenInByte = 13024
; NumSgprs: 46
; NumVgprs: 72
; NumAgprs: 0
; TotalNumVgprs: 72
; ScratchSize: 0
; MemoryBound: 0
; FloatMode: 240
; IeeeMode: 1
; LDSByteSize: 168 bytes/workgroup (compile time only)
; SGPRBlocks: 5
; VGPRBlocks: 8
; NumSGPRsForWavesPerEU: 46
; NumVGPRsForWavesPerEU: 72
; AccumOffset: 72
; Occupancy: 7
; WaveLimiterHint : 1
; COMPUTE_PGM_RSRC2:SCRATCH_EN: 0
; COMPUTE_PGM_RSRC2:USER_SGPR: 6
; COMPUTE_PGM_RSRC2:TRAP_HANDLER: 0
; COMPUTE_PGM_RSRC2:TGID_X_EN: 1
; COMPUTE_PGM_RSRC2:TGID_Y_EN: 0
; COMPUTE_PGM_RSRC2:TGID_Z_EN: 0
; COMPUTE_PGM_RSRC2:TIDIG_COMP_CNT: 0
; COMPUTE_PGM_RSRC3_GFX90A:ACCUM_OFFSET: 17
; COMPUTE_PGM_RSRC3_GFX90A:TG_SPLIT: 0
	.section	.text._ZN9rocsolver6v33100L18getri_kernel_smallILi11EdPKPdEEvT1_iilPiilS6_bb,"axG",@progbits,_ZN9rocsolver6v33100L18getri_kernel_smallILi11EdPKPdEEvT1_iilPiilS6_bb,comdat
	.globl	_ZN9rocsolver6v33100L18getri_kernel_smallILi11EdPKPdEEvT1_iilPiilS6_bb ; -- Begin function _ZN9rocsolver6v33100L18getri_kernel_smallILi11EdPKPdEEvT1_iilPiilS6_bb
	.p2align	8
	.type	_ZN9rocsolver6v33100L18getri_kernel_smallILi11EdPKPdEEvT1_iilPiilS6_bb,@function
_ZN9rocsolver6v33100L18getri_kernel_smallILi11EdPKPdEEvT1_iilPiilS6_bb: ; @_ZN9rocsolver6v33100L18getri_kernel_smallILi11EdPKPdEEvT1_iilPiilS6_bb
; %bb.0:
	v_cmp_gt_u32_e32 vcc, 11, v0
	s_and_saveexec_b64 s[0:1], vcc
	s_cbranch_execz .LBB74_16
; %bb.1:
	s_load_dword s8, s[4:5], 0x38
	s_load_dwordx2 s[0:1], s[4:5], 0x0
	s_load_dwordx4 s[28:31], s[4:5], 0x28
                                        ; implicit-def: $sgpr34_sgpr35
	s_waitcnt lgkmcnt(0)
	s_bitcmp1_b32 s8, 8
	s_cselect_b64 s[36:37], -1, 0
	s_ashr_i32 s7, s6, 31
	s_lshl_b64 s[2:3], s[6:7], 3
	s_add_u32 s0, s0, s2
	s_addc_u32 s1, s1, s3
	s_load_dwordx2 s[2:3], s[0:1], 0x0
	s_bfe_u32 s0, s8, 0x10008
	s_cmp_eq_u32 s0, 0
	s_cbranch_scc1 .LBB74_3
; %bb.2:
	s_load_dword s0, s[4:5], 0x20
	s_load_dwordx2 s[10:11], s[4:5], 0x18
	s_mul_i32 s1, s6, s29
	s_mul_hi_u32 s9, s6, s28
	s_add_i32 s9, s9, s1
	s_mul_i32 s12, s7, s28
	s_add_i32 s13, s9, s12
	s_mul_i32 s12, s6, s28
	s_waitcnt lgkmcnt(0)
	s_ashr_i32 s1, s0, 31
	s_lshl_b64 s[12:13], s[12:13], 2
	s_add_u32 s9, s10, s12
	s_addc_u32 s10, s11, s13
	s_lshl_b64 s[0:1], s[0:1], 2
	s_add_u32 s34, s9, s0
	s_addc_u32 s35, s10, s1
.LBB74_3:
	s_load_dwordx2 s[0:1], s[4:5], 0x8
	v_lshlrev_b32_e32 v26, 3, v0
	s_waitcnt lgkmcnt(0)
	s_ashr_i32 s5, s0, 31
	s_mov_b32 s4, s0
	s_lshl_b64 s[4:5], s[4:5], 3
	s_add_u32 s2, s2, s4
	s_addc_u32 s3, s3, s5
	v_mov_b32_e32 v1, s3
	v_add_co_u32_e32 v56, vcc, s2, v26
	s_ashr_i32 s5, s1, 31
	s_mov_b32 s4, s1
	s_add_i32 s0, s1, s1
	v_addc_co_u32_e32 v57, vcc, 0, v1, vcc
	s_lshl_b64 s[4:5], s[4:5], 3
	v_add_u32_e32 v2, s0, v0
	v_mov_b32_e32 v1, s5
	v_add_co_u32_e32 v58, vcc, s4, v56
	v_ashrrev_i32_e32 v3, 31, v2
	v_addc_co_u32_e32 v59, vcc, v57, v1, vcc
	v_lshlrev_b64 v[4:5], 3, v[2:3]
	v_add_u32_e32 v2, s1, v2
	v_mov_b32_e32 v1, s3
	v_add_co_u32_e32 v60, vcc, s2, v4
	v_ashrrev_i32_e32 v3, 31, v2
	v_addc_co_u32_e32 v61, vcc, v1, v5, vcc
	v_lshlrev_b64 v[4:5], 3, v[2:3]
	v_add_u32_e32 v2, s1, v2
	v_add_co_u32_e32 v62, vcc, s2, v4
	v_ashrrev_i32_e32 v3, 31, v2
	v_addc_co_u32_e32 v63, vcc, v1, v5, vcc
	v_lshlrev_b64 v[4:5], 3, v[2:3]
	v_add_u32_e32 v2, s1, v2
	;; [unrolled: 5-line block ×7, first 2 shown]
	v_add_co_u32_e32 v74, vcc, s2, v20
	v_ashrrev_i32_e32 v3, 31, v2
	global_load_dwordx2 v[4:5], v[58:59], off
	global_load_dwordx2 v[6:7], v[60:61], off
	;; [unrolled: 1-line block ×8, first 2 shown]
	v_addc_co_u32_e32 v75, vcc, v1, v21, vcc
	v_lshlrev_b64 v[2:3], 3, v[2:3]
	v_add_co_u32_e32 v76, vcc, s2, v2
	global_load_dwordx2 v[20:21], v[74:75], off
	v_addc_co_u32_e32 v77, vcc, v1, v3, vcc
	global_load_dwordx2 v[2:3], v26, s[2:3]
	global_load_dwordx2 v[22:23], v[76:77], off
	v_mov_b32_e32 v1, 0
	s_bitcmp0_b32 s8, 0
	s_mov_b64 s[0:1], -1
	s_cbranch_scc1 .LBB74_14
; %bb.4:
	v_cmp_eq_u32_e64 s[0:1], 0, v0
	s_and_saveexec_b64 s[2:3], s[0:1]
	s_cbranch_execz .LBB74_6
; %bb.5:
	v_mov_b32_e32 v24, 0
	ds_write_b32 v24, v24 offset:88
.LBB74_6:
	s_or_b64 exec, exec, s[2:3]
	v_cmp_eq_u32_e32 vcc, 1, v0
	s_waitcnt vmcnt(1)
	v_cndmask_b32_e32 v24, v3, v5, vcc
	v_cmp_eq_u32_e64 s[2:3], 2, v0
	v_cndmask_b32_e64 v24, v24, v7, s[2:3]
	v_cmp_eq_u32_e64 s[4:5], 3, v0
	v_cndmask_b32_e64 v24, v24, v9, s[4:5]
	;; [unrolled: 2-line block ×8, first 2 shown]
	v_cmp_eq_u32_e64 s[20:21], 10, v0
	s_waitcnt vmcnt(0)
	v_cndmask_b32_e64 v25, v24, v23, s[20:21]
	v_cndmask_b32_e32 v24, v2, v4, vcc
	v_cndmask_b32_e64 v24, v24, v6, s[2:3]
	v_cndmask_b32_e64 v24, v24, v8, s[4:5]
	;; [unrolled: 1-line block ×9, first 2 shown]
	v_cmp_eq_f64_e32 vcc, 0, v[24:25]
	s_waitcnt lgkmcnt(0)
	; wave barrier
	s_waitcnt lgkmcnt(0)
	s_and_saveexec_b64 s[4:5], vcc
	s_cbranch_execz .LBB74_10
; %bb.7:
	v_mov_b32_e32 v27, 0
	ds_read_b32 v29, v27 offset:88
	v_add_u32_e32 v28, 1, v0
	s_waitcnt lgkmcnt(0)
	v_readfirstlane_b32 s2, v29
	s_cmp_eq_u32 s2, 0
	s_cselect_b64 s[8:9], -1, 0
	v_cmp_gt_i32_e32 vcc, s2, v28
	s_or_b64 s[8:9], s[8:9], vcc
	s_and_b64 exec, exec, s[8:9]
	s_cbranch_execz .LBB74_10
; %bb.8:
	s_mov_b64 s[8:9], 0
	v_mov_b32_e32 v29, s2
.LBB74_9:                               ; =>This Inner Loop Header: Depth=1
	ds_cmpst_rtn_b32 v29, v27, v29, v28 offset:88
	s_waitcnt lgkmcnt(0)
	v_cmp_ne_u32_e32 vcc, 0, v29
	v_cmp_le_i32_e64 s[2:3], v29, v28
	s_and_b64 s[2:3], vcc, s[2:3]
	s_and_b64 s[2:3], exec, s[2:3]
	s_or_b64 s[8:9], s[2:3], s[8:9]
	s_andn2_b64 exec, exec, s[8:9]
	s_cbranch_execnz .LBB74_9
.LBB74_10:
	s_or_b64 exec, exec, s[4:5]
	v_mov_b32_e32 v28, 0
	s_waitcnt lgkmcnt(0)
	; wave barrier
	ds_read_b32 v27, v28 offset:88
	s_and_saveexec_b64 s[2:3], s[0:1]
	s_cbranch_execz .LBB74_12
; %bb.11:
	s_lshl_b64 s[4:5], s[6:7], 2
	s_add_u32 s4, s30, s4
	s_addc_u32 s5, s31, s5
	s_waitcnt lgkmcnt(0)
	global_store_dword v28, v27, s[4:5]
.LBB74_12:
	s_or_b64 exec, exec, s[2:3]
	s_waitcnt lgkmcnt(0)
	v_cmp_ne_u32_e32 vcc, 0, v27
	s_cbranch_vccz .LBB74_17
; %bb.13:
	s_mov_b64 s[0:1], 0
                                        ; implicit-def: $vgpr2_vgpr3_vgpr4_vgpr5_vgpr6_vgpr7_vgpr8_vgpr9_vgpr10_vgpr11_vgpr12_vgpr13_vgpr14_vgpr15_vgpr16_vgpr17_vgpr18_vgpr19_vgpr20_vgpr21_vgpr22_vgpr23_vgpr24_vgpr25_vgpr26_vgpr27_vgpr28_vgpr29_vgpr30_vgpr31_vgpr32_vgpr33
.LBB74_14:
	s_and_b64 vcc, exec, s[0:1]
	s_cbranch_vccz .LBB74_16
.LBB74_15:
	s_lshl_b64 s[0:1], s[6:7], 2
	s_add_u32 s0, s30, s0
	s_addc_u32 s1, s31, s1
	v_mov_b32_e32 v1, 0
	global_load_dword v1, v1, s[0:1]
	s_waitcnt vmcnt(0)
	v_cmp_ne_u32_e32 vcc, 0, v1
	s_cbranch_vccz .LBB74_66
.LBB74_16:
	s_endpgm
.LBB74_17:
	v_div_scale_f64 v[28:29], s[2:3], v[24:25], v[24:25], 1.0
	v_rcp_f64_e32 v[30:31], v[28:29]
	v_div_scale_f64 v[32:33], vcc, 1.0, v[24:25], 1.0
	v_fma_f64 v[34:35], -v[28:29], v[30:31], 1.0
	v_fmac_f64_e32 v[30:31], v[30:31], v[34:35]
	v_fma_f64 v[34:35], -v[28:29], v[30:31], 1.0
	v_fmac_f64_e32 v[30:31], v[30:31], v[34:35]
	v_mul_f64 v[34:35], v[32:33], v[30:31]
	v_fma_f64 v[28:29], -v[28:29], v[34:35], v[32:33]
	v_div_fmas_f64 v[28:29], v[28:29], v[30:31], v[34:35]
	v_div_fixup_f64 v[24:25], v[28:29], v[24:25], 1.0
	v_cmp_eq_u32_e32 vcc, 10, v0
	v_cndmask_b32_e32 v23, v23, v25, vcc
	v_cndmask_b32_e32 v22, v22, v24, vcc
	v_cmp_eq_u32_e32 vcc, 9, v0
	v_cndmask_b32_e32 v21, v21, v25, vcc
	v_cndmask_b32_e32 v20, v20, v24, vcc
	;; [unrolled: 3-line block ×11, first 2 shown]
	v_xor_b32_e32 v31, 0x80000000, v25
	v_mov_b32_e32 v30, v24
	v_add_u32_e32 v28, 0x60, v26
	ds_write2_b64 v26, v[30:31], v[4:5] offset1:12
	s_waitcnt lgkmcnt(0)
	; wave barrier
	s_waitcnt lgkmcnt(0)
	s_and_saveexec_b64 s[2:3], s[0:1]
	s_cbranch_execz .LBB74_19
; %bb.18:
	v_mov_b32_e32 v26, 0
	ds_read_b64 v[4:5], v28
	ds_read_b64 v[26:27], v26 offset:8
	s_waitcnt lgkmcnt(1)
	v_fma_f64 v[4:5], v[24:25], v[4:5], 0
	s_waitcnt lgkmcnt(0)
	v_mul_f64 v[4:5], v[4:5], v[26:27]
.LBB74_19:
	s_or_b64 exec, exec, s[2:3]
	v_cmp_gt_u32_e32 vcc, 2, v0
	s_waitcnt lgkmcnt(0)
	; wave barrier
	ds_write_b64 v28, v[6:7]
	s_waitcnt lgkmcnt(0)
	; wave barrier
	s_waitcnt lgkmcnt(0)
	s_and_saveexec_b64 s[24:25], vcc
	s_cbranch_execz .LBB74_21
; %bb.20:
	v_cmp_eq_u32_e64 s[2:3], 1, v0
	v_cndmask_b32_e64 v24, v3, v5, s[2:3]
	v_cmp_eq_u32_e64 s[4:5], 2, v0
	v_cndmask_b32_e64 v7, v24, v7, s[4:5]
	v_cndmask_b32_e64 v24, v2, v4, s[2:3]
	v_cmp_eq_u32_e64 s[8:9], 3, v0
	v_cndmask_b32_e64 v6, v24, v6, s[4:5]
	;; [unrolled: 3-line block ×6, first 2 shown]
	ds_read_b64 v[30:31], v28
	v_mov_b32_e32 v24, 0
	v_cndmask_b32_e64 v7, v7, v17, s[16:17]
	v_cmp_eq_u32_e64 s[18:19], 8, v0
	v_cndmask_b32_e64 v6, v6, v16, s[16:17]
	ds_read2_b64 v[24:27], v24 offset0:2 offset1:13
	v_cndmask_b32_e64 v7, v7, v19, s[18:19]
	v_cmp_eq_u32_e64 s[20:21], 9, v0
	v_cndmask_b32_e64 v6, v6, v18, s[18:19]
	v_cndmask_b32_e64 v7, v7, v21, s[20:21]
	v_cmp_eq_u32_e64 s[22:23], 10, v0
	v_cndmask_b32_e64 v6, v6, v20, s[20:21]
	v_cndmask_b32_e64 v7, v7, v23, s[22:23]
	;; [unrolled: 1-line block ×3, first 2 shown]
	s_waitcnt lgkmcnt(1)
	v_fma_f64 v[6:7], v[6:7], v[30:31], 0
	s_waitcnt lgkmcnt(0)
	v_fma_f64 v[26:27], v[4:5], v[26:27], v[6:7]
	v_cndmask_b32_e64 v7, v7, v27, s[0:1]
	v_cndmask_b32_e64 v6, v6, v26, s[0:1]
	v_mul_f64 v[6:7], v[6:7], v[24:25]
.LBB74_21:
	s_or_b64 exec, exec, s[24:25]
	v_cmp_gt_u32_e64 s[2:3], 3, v0
	s_waitcnt lgkmcnt(0)
	; wave barrier
	ds_write_b64 v28, v[8:9]
	s_waitcnt lgkmcnt(0)
	; wave barrier
	s_waitcnt lgkmcnt(0)
	s_and_saveexec_b64 s[10:11], s[2:3]
	s_cbranch_execz .LBB74_25
; %bb.22:
	v_mov_b32_e32 v24, 0x60
	v_lshl_add_u32 v29, v0, 3, v24
	s_mov_b64 s[12:13], 0
	v_pk_mov_b32 v[24:25], 0, 0
	v_pk_mov_b32 v[26:27], v[0:1], v[0:1] op_sel:[0,1]
.LBB74_23:                              ; =>This Inner Loop Header: Depth=1
	v_cmp_eq_u32_e64 s[2:3], 1, v26
	v_cndmask_b32_e64 v32, v3, v5, s[2:3]
	v_cmp_eq_u32_e64 s[4:5], 2, v26
	v_cndmask_b32_e64 v32, v32, v7, s[4:5]
	v_cndmask_b32_e64 v33, v2, v4, s[2:3]
	v_cmp_eq_u32_e64 s[2:3], 3, v26
	v_cndmask_b32_e64 v32, v32, v9, s[2:3]
	;; [unrolled: 3-line block ×5, first 2 shown]
	v_cndmask_b32_e64 v33, v33, v12, s[2:3]
	v_cmp_eq_u32_e64 s[2:3], 7, v26
	ds_read_b64 v[30:31], v29
	v_cndmask_b32_e64 v32, v32, v17, s[2:3]
	v_cndmask_b32_e64 v33, v33, v14, s[4:5]
	v_cmp_eq_u32_e64 s[4:5], 8, v26
	v_cndmask_b32_e64 v32, v32, v19, s[4:5]
	v_cndmask_b32_e64 v33, v33, v16, s[2:3]
	v_cmp_eq_u32_e64 s[2:3], 9, v26
	v_cndmask_b32_e64 v32, v32, v21, s[2:3]
	v_cmp_eq_u32_e64 s[8:9], 10, v26
	v_cndmask_b32_e64 v34, v33, v18, s[4:5]
	v_add_co_u32_e64 v26, s[4:5], 1, v26
	v_cndmask_b32_e64 v33, v32, v23, s[8:9]
	v_cndmask_b32_e64 v32, v34, v20, s[2:3]
	v_add_u32_e32 v34, -1, v26
	v_cndmask_b32_e64 v32, v32, v22, s[8:9]
	v_cmp_lt_u32_e64 s[2:3], 1, v34
	v_add_u32_e32 v29, 8, v29
	v_addc_co_u32_e64 v27, s[4:5], 0, v27, s[4:5]
	s_or_b64 s[12:13], s[2:3], s[12:13]
	s_waitcnt lgkmcnt(0)
	v_fmac_f64_e32 v[24:25], v[32:33], v[30:31]
	s_andn2_b64 exec, exec, s[12:13]
	s_cbranch_execnz .LBB74_23
; %bb.24:
	s_or_b64 exec, exec, s[12:13]
	v_mov_b32_e32 v8, 0
	ds_read_b64 v[8:9], v8 offset:24
	s_waitcnt lgkmcnt(0)
	v_mul_f64 v[8:9], v[24:25], v[8:9]
.LBB74_25:
	s_or_b64 exec, exec, s[10:11]
	v_cmp_gt_u32_e64 s[2:3], 4, v0
	s_waitcnt lgkmcnt(0)
	; wave barrier
	ds_write_b64 v28, v[10:11]
	s_waitcnt lgkmcnt(0)
	; wave barrier
	s_waitcnt lgkmcnt(0)
	s_and_saveexec_b64 s[12:13], s[2:3]
	s_cbranch_execz .LBB74_29
; %bb.26:
	v_mov_b32_e32 v24, 0x60
	v_lshl_add_u32 v29, v0, 3, v24
	s_mov_b64 s[14:15], 0
	v_pk_mov_b32 v[24:25], 0, 0
	v_pk_mov_b32 v[26:27], v[0:1], v[0:1] op_sel:[0,1]
.LBB74_27:                              ; =>This Inner Loop Header: Depth=1
	v_cmp_eq_u32_e64 s[4:5], 1, v26
	v_cndmask_b32_e64 v32, v3, v5, s[4:5]
	v_cmp_eq_u32_e64 s[8:9], 2, v26
	v_cndmask_b32_e64 v32, v32, v7, s[8:9]
	v_cndmask_b32_e64 v33, v2, v4, s[4:5]
	v_cmp_eq_u32_e64 s[4:5], 3, v26
	v_cndmask_b32_e64 v32, v32, v9, s[4:5]
	;; [unrolled: 3-line block ×5, first 2 shown]
	v_cndmask_b32_e64 v33, v33, v12, s[4:5]
	v_cmp_eq_u32_e64 s[4:5], 7, v26
	ds_read_b64 v[30:31], v29
	v_cndmask_b32_e64 v32, v32, v17, s[4:5]
	v_cndmask_b32_e64 v33, v33, v14, s[8:9]
	v_cmp_eq_u32_e64 s[8:9], 8, v26
	v_cndmask_b32_e64 v32, v32, v19, s[8:9]
	v_cndmask_b32_e64 v33, v33, v16, s[4:5]
	v_cmp_eq_u32_e64 s[4:5], 9, v26
	v_cndmask_b32_e64 v32, v32, v21, s[4:5]
	v_cmp_eq_u32_e64 s[10:11], 10, v26
	v_cndmask_b32_e64 v34, v33, v18, s[8:9]
	v_add_co_u32_e64 v26, s[8:9], 1, v26
	v_cndmask_b32_e64 v33, v32, v23, s[10:11]
	v_cndmask_b32_e64 v32, v34, v20, s[4:5]
	v_add_u32_e32 v34, -1, v26
	v_cndmask_b32_e64 v32, v32, v22, s[10:11]
	v_cmp_lt_u32_e64 s[4:5], 2, v34
	v_add_u32_e32 v29, 8, v29
	v_addc_co_u32_e64 v27, s[8:9], 0, v27, s[8:9]
	s_or_b64 s[14:15], s[4:5], s[14:15]
	s_waitcnt lgkmcnt(0)
	v_fmac_f64_e32 v[24:25], v[32:33], v[30:31]
	s_andn2_b64 exec, exec, s[14:15]
	s_cbranch_execnz .LBB74_27
; %bb.28:
	s_or_b64 exec, exec, s[14:15]
	v_mov_b32_e32 v10, 0
	ds_read_b64 v[10:11], v10 offset:32
	s_waitcnt lgkmcnt(0)
	v_mul_f64 v[10:11], v[24:25], v[10:11]
.LBB74_29:
	s_or_b64 exec, exec, s[12:13]
	v_cmp_gt_u32_e64 s[4:5], 5, v0
	s_waitcnt lgkmcnt(0)
	; wave barrier
	ds_write_b64 v28, v[12:13]
	s_waitcnt lgkmcnt(0)
	; wave barrier
	s_waitcnt lgkmcnt(0)
	s_and_saveexec_b64 s[12:13], s[4:5]
	s_cbranch_execz .LBB74_33
; %bb.30:
	v_mov_b32_e32 v24, 0x60
	v_lshl_add_u32 v29, v0, 3, v24
	s_mov_b64 s[14:15], 0
	v_pk_mov_b32 v[24:25], 0, 0
	v_pk_mov_b32 v[26:27], v[0:1], v[0:1] op_sel:[0,1]
.LBB74_31:                              ; =>This Inner Loop Header: Depth=1
	v_cmp_eq_u32_e64 s[4:5], 1, v26
	v_cndmask_b32_e64 v32, v3, v5, s[4:5]
	v_cmp_eq_u32_e64 s[8:9], 2, v26
	v_cndmask_b32_e64 v32, v32, v7, s[8:9]
	v_cndmask_b32_e64 v33, v2, v4, s[4:5]
	v_cmp_eq_u32_e64 s[4:5], 3, v26
	v_cndmask_b32_e64 v32, v32, v9, s[4:5]
	;; [unrolled: 3-line block ×5, first 2 shown]
	v_cndmask_b32_e64 v33, v33, v12, s[4:5]
	v_cmp_eq_u32_e64 s[4:5], 7, v26
	ds_read_b64 v[30:31], v29
	v_cndmask_b32_e64 v32, v32, v17, s[4:5]
	v_cndmask_b32_e64 v33, v33, v14, s[8:9]
	v_cmp_eq_u32_e64 s[8:9], 8, v26
	v_cndmask_b32_e64 v32, v32, v19, s[8:9]
	v_cndmask_b32_e64 v33, v33, v16, s[4:5]
	v_cmp_eq_u32_e64 s[4:5], 9, v26
	v_cndmask_b32_e64 v32, v32, v21, s[4:5]
	v_cmp_eq_u32_e64 s[10:11], 10, v26
	v_cndmask_b32_e64 v34, v33, v18, s[8:9]
	v_add_co_u32_e64 v26, s[8:9], 1, v26
	v_cndmask_b32_e64 v33, v32, v23, s[10:11]
	v_cndmask_b32_e64 v32, v34, v20, s[4:5]
	v_add_u32_e32 v34, -1, v26
	v_cndmask_b32_e64 v32, v32, v22, s[10:11]
	v_cmp_lt_u32_e64 s[4:5], 3, v34
	v_add_u32_e32 v29, 8, v29
	v_addc_co_u32_e64 v27, s[8:9], 0, v27, s[8:9]
	s_or_b64 s[14:15], s[4:5], s[14:15]
	s_waitcnt lgkmcnt(0)
	v_fmac_f64_e32 v[24:25], v[32:33], v[30:31]
	s_andn2_b64 exec, exec, s[14:15]
	s_cbranch_execnz .LBB74_31
; %bb.32:
	s_or_b64 exec, exec, s[14:15]
	v_mov_b32_e32 v12, 0
	ds_read_b64 v[12:13], v12 offset:40
	s_waitcnt lgkmcnt(0)
	v_mul_f64 v[12:13], v[24:25], v[12:13]
.LBB74_33:
	s_or_b64 exec, exec, s[12:13]
	v_cmp_gt_u32_e64 s[4:5], 6, v0
	s_waitcnt lgkmcnt(0)
	; wave barrier
	ds_write_b64 v28, v[14:15]
	s_waitcnt lgkmcnt(0)
	; wave barrier
	s_waitcnt lgkmcnt(0)
	s_and_saveexec_b64 s[14:15], s[4:5]
	s_cbranch_execz .LBB74_37
; %bb.34:
	v_mov_b32_e32 v24, 0x60
	v_lshl_add_u32 v29, v0, 3, v24
	s_mov_b64 s[16:17], 0
	v_pk_mov_b32 v[24:25], 0, 0
	v_pk_mov_b32 v[26:27], v[0:1], v[0:1] op_sel:[0,1]
.LBB74_35:                              ; =>This Inner Loop Header: Depth=1
	v_cmp_eq_u32_e64 s[8:9], 1, v26
	v_cndmask_b32_e64 v32, v3, v5, s[8:9]
	v_cmp_eq_u32_e64 s[10:11], 2, v26
	v_cndmask_b32_e64 v32, v32, v7, s[10:11]
	v_cndmask_b32_e64 v33, v2, v4, s[8:9]
	v_cmp_eq_u32_e64 s[8:9], 3, v26
	v_cndmask_b32_e64 v32, v32, v9, s[8:9]
	;; [unrolled: 3-line block ×5, first 2 shown]
	v_cndmask_b32_e64 v33, v33, v12, s[8:9]
	v_cmp_eq_u32_e64 s[8:9], 7, v26
	ds_read_b64 v[30:31], v29
	v_cndmask_b32_e64 v32, v32, v17, s[8:9]
	v_cndmask_b32_e64 v33, v33, v14, s[10:11]
	v_cmp_eq_u32_e64 s[10:11], 8, v26
	v_cndmask_b32_e64 v32, v32, v19, s[10:11]
	v_cndmask_b32_e64 v33, v33, v16, s[8:9]
	v_cmp_eq_u32_e64 s[8:9], 9, v26
	v_cndmask_b32_e64 v32, v32, v21, s[8:9]
	v_cmp_eq_u32_e64 s[12:13], 10, v26
	v_cndmask_b32_e64 v34, v33, v18, s[10:11]
	v_add_co_u32_e64 v26, s[10:11], 1, v26
	v_cndmask_b32_e64 v33, v32, v23, s[12:13]
	v_cndmask_b32_e64 v32, v34, v20, s[8:9]
	v_add_u32_e32 v34, -1, v26
	v_cndmask_b32_e64 v32, v32, v22, s[12:13]
	v_cmp_lt_u32_e64 s[8:9], 4, v34
	v_add_u32_e32 v29, 8, v29
	v_addc_co_u32_e64 v27, s[10:11], 0, v27, s[10:11]
	s_or_b64 s[16:17], s[8:9], s[16:17]
	s_waitcnt lgkmcnt(0)
	v_fmac_f64_e32 v[24:25], v[32:33], v[30:31]
	s_andn2_b64 exec, exec, s[16:17]
	s_cbranch_execnz .LBB74_35
; %bb.36:
	s_or_b64 exec, exec, s[16:17]
	v_mov_b32_e32 v14, 0
	ds_read_b64 v[14:15], v14 offset:48
	s_waitcnt lgkmcnt(0)
	v_mul_f64 v[14:15], v[24:25], v[14:15]
.LBB74_37:
	s_or_b64 exec, exec, s[14:15]
	v_cmp_gt_u32_e64 s[8:9], 7, v0
	s_waitcnt lgkmcnt(0)
	; wave barrier
	ds_write_b64 v28, v[16:17]
	s_waitcnt lgkmcnt(0)
	; wave barrier
	s_waitcnt lgkmcnt(0)
	s_and_saveexec_b64 s[14:15], s[8:9]
	s_cbranch_execz .LBB74_41
; %bb.38:
	v_mov_b32_e32 v24, 0x60
	v_lshl_add_u32 v29, v0, 3, v24
	s_mov_b64 s[16:17], 0
	v_pk_mov_b32 v[24:25], 0, 0
	v_pk_mov_b32 v[26:27], v[0:1], v[0:1] op_sel:[0,1]
.LBB74_39:                              ; =>This Inner Loop Header: Depth=1
	v_cmp_eq_u32_e64 s[8:9], 1, v26
	v_cndmask_b32_e64 v32, v3, v5, s[8:9]
	v_cmp_eq_u32_e64 s[10:11], 2, v26
	v_cndmask_b32_e64 v32, v32, v7, s[10:11]
	v_cndmask_b32_e64 v33, v2, v4, s[8:9]
	v_cmp_eq_u32_e64 s[8:9], 3, v26
	v_cndmask_b32_e64 v32, v32, v9, s[8:9]
	;; [unrolled: 3-line block ×5, first 2 shown]
	v_cndmask_b32_e64 v33, v33, v12, s[8:9]
	v_cmp_eq_u32_e64 s[8:9], 7, v26
	ds_read_b64 v[30:31], v29
	v_cndmask_b32_e64 v32, v32, v17, s[8:9]
	v_cndmask_b32_e64 v33, v33, v14, s[10:11]
	v_cmp_eq_u32_e64 s[10:11], 8, v26
	v_cndmask_b32_e64 v32, v32, v19, s[10:11]
	v_cndmask_b32_e64 v33, v33, v16, s[8:9]
	v_cmp_eq_u32_e64 s[8:9], 9, v26
	v_cndmask_b32_e64 v32, v32, v21, s[8:9]
	v_cmp_eq_u32_e64 s[12:13], 10, v26
	v_cndmask_b32_e64 v34, v33, v18, s[10:11]
	v_add_co_u32_e64 v26, s[10:11], 1, v26
	v_cndmask_b32_e64 v33, v32, v23, s[12:13]
	v_cndmask_b32_e64 v32, v34, v20, s[8:9]
	v_add_u32_e32 v34, -1, v26
	v_cndmask_b32_e64 v32, v32, v22, s[12:13]
	v_cmp_lt_u32_e64 s[8:9], 5, v34
	v_add_u32_e32 v29, 8, v29
	v_addc_co_u32_e64 v27, s[10:11], 0, v27, s[10:11]
	s_or_b64 s[16:17], s[8:9], s[16:17]
	s_waitcnt lgkmcnt(0)
	v_fmac_f64_e32 v[24:25], v[32:33], v[30:31]
	s_andn2_b64 exec, exec, s[16:17]
	s_cbranch_execnz .LBB74_39
; %bb.40:
	s_or_b64 exec, exec, s[16:17]
	v_mov_b32_e32 v16, 0
	ds_read_b64 v[16:17], v16 offset:56
	s_waitcnt lgkmcnt(0)
	v_mul_f64 v[16:17], v[24:25], v[16:17]
.LBB74_41:
	s_or_b64 exec, exec, s[14:15]
	v_cmp_gt_u32_e64 s[8:9], 8, v0
	s_waitcnt lgkmcnt(0)
	; wave barrier
	ds_write_b64 v28, v[18:19]
	s_waitcnt lgkmcnt(0)
	; wave barrier
	s_waitcnt lgkmcnt(0)
	s_and_saveexec_b64 s[28:29], s[8:9]
	s_cbranch_execz .LBB74_57
; %bb.42:
	v_cmp_eq_u32_e64 s[8:9], 1, v0
	v_cndmask_b32_e64 v24, v3, v5, s[8:9]
	v_cmp_eq_u32_e64 s[10:11], 2, v0
	v_cndmask_b32_e64 v24, v24, v7, s[10:11]
	;; [unrolled: 2-line block ×10, first 2 shown]
	v_cndmask_b32_e64 v24, v2, v4, s[8:9]
	v_cndmask_b32_e64 v24, v24, v6, s[10:11]
	;; [unrolled: 1-line block ×6, first 2 shown]
	ds_read_b64 v[26:27], v28
	v_cndmask_b32_e64 v24, v24, v16, s[20:21]
	v_cndmask_b32_e64 v24, v24, v18, s[22:23]
	;; [unrolled: 1-line block ×4, first 2 shown]
	s_waitcnt lgkmcnt(0)
	v_fma_f64 v[24:25], v[24:25], v[26:27], 0
	v_cmp_ne_u32_e64 s[8:9], 7, v0
	s_and_saveexec_b64 s[38:39], s[8:9]
	s_cbranch_execz .LBB74_56
; %bb.43:
	v_add_u32_e32 v26, 1, v0
	v_cmp_eq_u32_e64 s[8:9], 1, v26
	v_cndmask_b32_e64 v27, v3, v5, s[8:9]
	v_cmp_eq_u32_e64 s[10:11], 2, v26
	v_cmp_eq_u32_e64 s[12:13], 3, v26
	;; [unrolled: 1-line block ×9, first 2 shown]
	v_cndmask_b32_e64 v26, v2, v4, s[8:9]
	v_cndmask_b32_e64 v27, v27, v7, s[10:11]
	;; [unrolled: 1-line block ×11, first 2 shown]
	ds_read_b64 v[30:31], v28 offset:8
	v_cndmask_b32_e64 v27, v27, v17, s[20:21]
	v_cndmask_b32_e64 v26, v26, v16, s[20:21]
	;; [unrolled: 1-line block ×8, first 2 shown]
	s_waitcnt lgkmcnt(0)
	v_fmac_f64_e32 v[24:25], v[26:27], v[30:31]
	s_and_saveexec_b64 s[26:27], s[4:5]
	s_cbranch_execz .LBB74_55
; %bb.44:
	v_add_u32_e32 v26, 2, v0
	v_cmp_eq_u32_e64 s[4:5], 1, v26
	v_cndmask_b32_e64 v27, v3, v5, s[4:5]
	v_cmp_eq_u32_e64 s[8:9], 2, v26
	v_cmp_eq_u32_e64 s[10:11], 3, v26
	;; [unrolled: 1-line block ×9, first 2 shown]
	v_cndmask_b32_e64 v26, v2, v4, s[4:5]
	v_cndmask_b32_e64 v27, v27, v7, s[8:9]
	;; [unrolled: 1-line block ×11, first 2 shown]
	ds_read_b64 v[30:31], v28 offset:16
	v_cndmask_b32_e64 v27, v27, v17, s[18:19]
	v_cndmask_b32_e64 v26, v26, v16, s[18:19]
	;; [unrolled: 1-line block ×8, first 2 shown]
	s_waitcnt lgkmcnt(0)
	v_fmac_f64_e32 v[24:25], v[26:27], v[30:31]
	v_cmp_ne_u32_e64 s[4:5], 5, v0
	s_and_saveexec_b64 s[40:41], s[4:5]
	s_cbranch_execz .LBB74_54
; %bb.45:
	v_add_u32_e32 v26, 3, v0
	v_cmp_eq_u32_e64 s[4:5], 1, v26
	v_cndmask_b32_e64 v27, v3, v5, s[4:5]
	v_cmp_eq_u32_e64 s[8:9], 2, v26
	v_cmp_eq_u32_e64 s[10:11], 3, v26
	;; [unrolled: 1-line block ×9, first 2 shown]
	v_cndmask_b32_e64 v26, v2, v4, s[4:5]
	v_cndmask_b32_e64 v27, v27, v7, s[8:9]
	;; [unrolled: 1-line block ×11, first 2 shown]
	ds_read_b64 v[30:31], v28 offset:24
	v_cndmask_b32_e64 v27, v27, v17, s[18:19]
	v_cndmask_b32_e64 v26, v26, v16, s[18:19]
	;; [unrolled: 1-line block ×8, first 2 shown]
	s_waitcnt lgkmcnt(0)
	v_fmac_f64_e32 v[24:25], v[26:27], v[30:31]
	s_and_saveexec_b64 s[24:25], s[2:3]
	s_cbranch_execz .LBB74_53
; %bb.46:
	v_or_b32_e32 v26, 4, v0
	v_cmp_eq_u32_e64 s[2:3], 1, v26
	v_cndmask_b32_e64 v27, v3, v5, s[2:3]
	v_cmp_eq_u32_e64 s[4:5], 2, v26
	v_cmp_eq_u32_e64 s[8:9], 3, v26
	;; [unrolled: 1-line block ×9, first 2 shown]
	v_cndmask_b32_e64 v26, v2, v4, s[2:3]
	v_cndmask_b32_e64 v27, v27, v7, s[4:5]
	;; [unrolled: 1-line block ×11, first 2 shown]
	ds_read_b64 v[30:31], v28 offset:32
	v_cndmask_b32_e64 v27, v27, v17, s[16:17]
	v_cndmask_b32_e64 v26, v26, v16, s[16:17]
	v_cndmask_b32_e64 v27, v27, v19, s[18:19]
	v_cndmask_b32_e64 v26, v26, v18, s[18:19]
	v_cndmask_b32_e64 v27, v27, v21, s[20:21]
	v_cndmask_b32_e64 v26, v26, v20, s[20:21]
	v_cndmask_b32_e64 v27, v27, v23, s[22:23]
	v_cndmask_b32_e64 v26, v26, v22, s[22:23]
	s_waitcnt lgkmcnt(0)
	v_fmac_f64_e32 v[24:25], v[26:27], v[30:31]
	v_cmp_ne_u32_e64 s[2:3], 3, v0
	s_and_saveexec_b64 s[42:43], s[2:3]
	s_cbranch_execz .LBB74_52
; %bb.47:
	v_add_u32_e32 v26, 5, v0
	v_cmp_eq_u32_e64 s[2:3], 1, v26
	v_cndmask_b32_e64 v27, v3, v5, s[2:3]
	v_cmp_eq_u32_e64 s[4:5], 2, v26
	v_cmp_eq_u32_e64 s[8:9], 3, v26
	;; [unrolled: 1-line block ×9, first 2 shown]
	v_cndmask_b32_e64 v26, v2, v4, s[2:3]
	v_cndmask_b32_e64 v27, v27, v7, s[4:5]
	;; [unrolled: 1-line block ×11, first 2 shown]
	ds_read_b64 v[30:31], v28 offset:40
	v_cndmask_b32_e64 v27, v27, v17, s[16:17]
	v_cndmask_b32_e64 v26, v26, v16, s[16:17]
	;; [unrolled: 1-line block ×8, first 2 shown]
	s_waitcnt lgkmcnt(0)
	v_fmac_f64_e32 v[24:25], v[26:27], v[30:31]
	s_and_saveexec_b64 s[22:23], vcc
	s_cbranch_execz .LBB74_51
; %bb.48:
	v_or_b32_e32 v26, 6, v0
	v_cmp_eq_u32_e32 vcc, 1, v26
	v_cndmask_b32_e32 v27, v3, v5, vcc
	v_cmp_eq_u32_e64 s[2:3], 2, v26
	v_cndmask_b32_e64 v27, v27, v7, s[2:3]
	v_cmp_eq_u32_e64 s[4:5], 3, v26
	v_cndmask_b32_e64 v27, v27, v9, s[4:5]
	v_cmp_eq_u32_e64 s[8:9], 4, v26
	v_cmp_eq_u32_e64 s[10:11], 5, v26
	;; [unrolled: 1-line block ×7, first 2 shown]
	v_cndmask_b32_e32 v26, v2, v4, vcc
	v_cndmask_b32_e64 v27, v27, v11, s[8:9]
	v_cndmask_b32_e64 v26, v26, v6, s[2:3]
	;; [unrolled: 1-line block ×10, first 2 shown]
	ds_read_b64 v[26:27], v28 offset:48
	v_cndmask_b32_e64 v29, v29, v16, s[14:15]
	v_cndmask_b32_e64 v18, v29, v18, s[16:17]
	;; [unrolled: 1-line block ×6, first 2 shown]
	s_waitcnt lgkmcnt(0)
	v_fmac_f64_e32 v[24:25], v[18:19], v[26:27]
	s_and_saveexec_b64 s[2:3], s[0:1]
	s_cbranch_execz .LBB74_50
; %bb.49:
	ds_read_b64 v[18:19], v28 offset:56
	s_waitcnt lgkmcnt(0)
	v_fmac_f64_e32 v[24:25], v[16:17], v[18:19]
.LBB74_50:
	s_or_b64 exec, exec, s[2:3]
.LBB74_51:
	s_or_b64 exec, exec, s[22:23]
.LBB74_52:
	s_or_b64 exec, exec, s[42:43]
.LBB74_53:
	s_or_b64 exec, exec, s[24:25]
.LBB74_54:
	s_or_b64 exec, exec, s[40:41]
.LBB74_55:
	s_or_b64 exec, exec, s[26:27]
.LBB74_56:
	s_or_b64 exec, exec, s[38:39]
	v_mov_b32_e32 v18, 0
	ds_read_b64 v[18:19], v18 offset:64
	s_waitcnt lgkmcnt(0)
	v_mul_f64 v[18:19], v[24:25], v[18:19]
.LBB74_57:
	s_or_b64 exec, exec, s[28:29]
	v_cmp_gt_u32_e32 vcc, 9, v0
	s_waitcnt lgkmcnt(0)
	; wave barrier
	ds_write_b64 v28, v[20:21]
	s_waitcnt lgkmcnt(0)
	; wave barrier
	s_waitcnt lgkmcnt(0)
	s_and_saveexec_b64 s[4:5], vcc
	s_cbranch_execz .LBB74_61
; %bb.58:
	v_mov_b32_e32 v24, 0x60
	v_lshl_add_u32 v29, v0, 3, v24
	s_mov_b64 s[8:9], 0
	v_pk_mov_b32 v[24:25], 0, 0
	v_pk_mov_b32 v[26:27], v[0:1], v[0:1] op_sel:[0,1]
.LBB74_59:                              ; =>This Inner Loop Header: Depth=1
	v_cmp_eq_u32_e32 vcc, 1, v26
	v_cndmask_b32_e32 v32, v3, v5, vcc
	v_cmp_eq_u32_e64 s[0:1], 2, v26
	v_cndmask_b32_e64 v32, v32, v7, s[0:1]
	v_cndmask_b32_e32 v33, v2, v4, vcc
	v_cmp_eq_u32_e32 vcc, 3, v26
	v_cndmask_b32_e32 v32, v32, v9, vcc
	v_cndmask_b32_e64 v33, v33, v6, s[0:1]
	v_cmp_eq_u32_e64 s[0:1], 4, v26
	v_cndmask_b32_e64 v32, v32, v11, s[0:1]
	v_cndmask_b32_e32 v33, v33, v8, vcc
	v_cmp_eq_u32_e32 vcc, 5, v26
	v_cndmask_b32_e32 v32, v32, v13, vcc
	v_cndmask_b32_e64 v33, v33, v10, s[0:1]
	v_cmp_eq_u32_e64 s[0:1], 6, v26
	v_cndmask_b32_e64 v32, v32, v15, s[0:1]
	v_cndmask_b32_e32 v33, v33, v12, vcc
	v_cmp_eq_u32_e32 vcc, 7, v26
	ds_read_b64 v[30:31], v29
	v_cndmask_b32_e32 v32, v32, v17, vcc
	v_cndmask_b32_e64 v33, v33, v14, s[0:1]
	v_cmp_eq_u32_e64 s[0:1], 8, v26
	v_cndmask_b32_e64 v32, v32, v19, s[0:1]
	v_cndmask_b32_e32 v33, v33, v16, vcc
	v_cmp_eq_u32_e32 vcc, 9, v26
	v_cndmask_b32_e32 v32, v32, v21, vcc
	v_cmp_eq_u32_e64 s[2:3], 10, v26
	v_cndmask_b32_e64 v34, v33, v18, s[0:1]
	v_add_co_u32_e64 v26, s[0:1], 1, v26
	v_cndmask_b32_e64 v33, v32, v23, s[2:3]
	v_cndmask_b32_e32 v32, v34, v20, vcc
	v_add_u32_e32 v34, -1, v26
	v_cndmask_b32_e64 v32, v32, v22, s[2:3]
	v_cmp_lt_u32_e32 vcc, 7, v34
	v_add_u32_e32 v29, 8, v29
	v_addc_co_u32_e64 v27, s[0:1], 0, v27, s[0:1]
	s_or_b64 s[8:9], vcc, s[8:9]
	s_waitcnt lgkmcnt(0)
	v_fmac_f64_e32 v[24:25], v[32:33], v[30:31]
	s_andn2_b64 exec, exec, s[8:9]
	s_cbranch_execnz .LBB74_59
; %bb.60:
	s_or_b64 exec, exec, s[8:9]
	v_mov_b32_e32 v20, 0
	ds_read_b64 v[20:21], v20 offset:72
	s_waitcnt lgkmcnt(0)
	v_mul_f64 v[20:21], v[24:25], v[20:21]
.LBB74_61:
	s_or_b64 exec, exec, s[4:5]
	v_cmp_ne_u32_e32 vcc, 10, v0
	s_waitcnt lgkmcnt(0)
	; wave barrier
	ds_write_b64 v28, v[22:23]
	s_waitcnt lgkmcnt(0)
	; wave barrier
	s_waitcnt lgkmcnt(0)
	s_and_saveexec_b64 s[4:5], vcc
	s_cbranch_execz .LBB74_65
; %bb.62:
	v_mov_b32_e32 v24, 0x60
	v_lshl_add_u32 v28, v0, 3, v24
	s_mov_b64 s[8:9], 0
	v_pk_mov_b32 v[24:25], 0, 0
	v_pk_mov_b32 v[26:27], v[0:1], v[0:1] op_sel:[0,1]
.LBB74_63:                              ; =>This Inner Loop Header: Depth=1
	v_cmp_eq_u32_e32 vcc, 1, v26
	v_cndmask_b32_e32 v1, v3, v5, vcc
	v_cmp_eq_u32_e64 s[0:1], 2, v26
	v_cndmask_b32_e64 v1, v1, v7, s[0:1]
	v_cndmask_b32_e32 v29, v2, v4, vcc
	v_cmp_eq_u32_e32 vcc, 3, v26
	v_cndmask_b32_e32 v1, v1, v9, vcc
	v_cndmask_b32_e64 v29, v29, v6, s[0:1]
	v_cmp_eq_u32_e64 s[0:1], 4, v26
	v_cndmask_b32_e64 v1, v1, v11, s[0:1]
	v_cndmask_b32_e32 v29, v29, v8, vcc
	v_cmp_eq_u32_e32 vcc, 5, v26
	v_cndmask_b32_e32 v1, v1, v13, vcc
	v_cndmask_b32_e64 v29, v29, v10, s[0:1]
	v_cmp_eq_u32_e64 s[0:1], 6, v26
	v_cndmask_b32_e64 v1, v1, v15, s[0:1]
	v_cndmask_b32_e32 v29, v29, v12, vcc
	v_cmp_eq_u32_e32 vcc, 7, v26
	ds_read_b64 v[30:31], v28
	v_cndmask_b32_e32 v1, v1, v17, vcc
	v_cndmask_b32_e64 v29, v29, v14, s[0:1]
	v_cmp_eq_u32_e64 s[0:1], 8, v26
	v_cndmask_b32_e64 v1, v1, v19, s[0:1]
	v_cndmask_b32_e32 v29, v29, v16, vcc
	v_cmp_eq_u32_e32 vcc, 9, v26
	v_cndmask_b32_e32 v1, v1, v21, vcc
	v_cmp_eq_u32_e64 s[2:3], 10, v26
	v_cndmask_b32_e64 v29, v29, v18, s[0:1]
	v_add_co_u32_e64 v26, s[0:1], 1, v26
	v_cndmask_b32_e64 v33, v1, v23, s[2:3]
	v_cndmask_b32_e32 v1, v29, v20, vcc
	v_add_u32_e32 v29, -1, v26
	v_cndmask_b32_e64 v32, v1, v22, s[2:3]
	v_cmp_lt_u32_e32 vcc, 8, v29
	v_add_u32_e32 v28, 8, v28
	v_addc_co_u32_e64 v27, s[0:1], 0, v27, s[0:1]
	s_or_b64 s[8:9], vcc, s[8:9]
	s_waitcnt lgkmcnt(0)
	v_fmac_f64_e32 v[24:25], v[32:33], v[30:31]
	s_andn2_b64 exec, exec, s[8:9]
	s_cbranch_execnz .LBB74_63
; %bb.64:
	s_or_b64 exec, exec, s[8:9]
	v_mov_b32_e32 v1, 0
	ds_read_b64 v[22:23], v1 offset:80
	s_waitcnt lgkmcnt(0)
	v_mul_f64 v[22:23], v[24:25], v[22:23]
.LBB74_65:
	s_or_b64 exec, exec, s[4:5]
	s_waitcnt lgkmcnt(0)
	; wave barrier
	s_cbranch_execnz .LBB74_15
	s_branch .LBB74_16
.LBB74_66:
	v_mov_b32_e32 v1, 0x60
	v_lshl_add_u32 v1, v0, 3, v1
	v_cmp_eq_u32_e32 vcc, 10, v0
	s_and_saveexec_b64 s[0:1], vcc
	s_cbranch_execz .LBB74_68
; %bb.67:
	ds_write_b64 v1, v[20:21]
	v_mov_b32_e32 v20, 0
	v_mov_b32_e32 v21, v20
.LBB74_68:
	s_or_b64 exec, exec, s[0:1]
	v_mov_b32_e32 v40, 0
	s_waitcnt lgkmcnt(0)
	; wave barrier
	s_waitcnt lgkmcnt(0)
	ds_read_b64 v[24:25], v40 offset:176
	v_cmp_lt_u32_e32 vcc, 8, v0
	s_waitcnt lgkmcnt(0)
	v_fma_f64 v[24:25], v[22:23], v[24:25], 0
	v_add_f64 v[20:21], v[20:21], -v[24:25]
	s_and_saveexec_b64 s[0:1], vcc
	s_cbranch_execz .LBB74_70
; %bb.69:
	v_mov_b32_e32 v24, v2
	v_mov_b32_e32 v25, v3
	;; [unrolled: 1-line block ×21, first 2 shown]
	ds_write_b64 v1, v[18:19]
	v_pk_mov_b32 v[2:3], v[24:25], v[24:25] op_sel:[0,1]
	v_pk_mov_b32 v[4:5], v[26:27], v[26:27] op_sel:[0,1]
	;; [unrolled: 1-line block ×16, first 2 shown]
.LBB74_70:
	s_or_b64 exec, exec, s[0:1]
	s_waitcnt lgkmcnt(0)
	; wave barrier
	s_waitcnt lgkmcnt(0)
	ds_read2_b64 v[24:27], v40 offset0:21 offset1:22
	v_cmp_lt_u32_e32 vcc, 7, v0
	s_waitcnt lgkmcnt(0)
	v_fma_f64 v[24:25], v[20:21], v[24:25], 0
	v_fmac_f64_e32 v[24:25], v[22:23], v[26:27]
	v_add_f64 v[18:19], v[18:19], -v[24:25]
	s_and_saveexec_b64 s[0:1], vcc
	s_cbranch_execz .LBB74_72
; %bb.71:
	v_mov_b32_e32 v38, 0
	v_mov_b32_e32 v24, v2
	;; [unrolled: 1-line block ×22, first 2 shown]
	ds_write_b64 v1, v[16:17]
	v_pk_mov_b32 v[2:3], v[24:25], v[24:25] op_sel:[0,1]
	v_pk_mov_b32 v[4:5], v[26:27], v[26:27] op_sel:[0,1]
	;; [unrolled: 1-line block ×16, first 2 shown]
.LBB74_72:
	s_or_b64 exec, exec, s[0:1]
	v_mov_b32_e32 v36, 0
	s_waitcnt lgkmcnt(0)
	; wave barrier
	s_waitcnt lgkmcnt(0)
	ds_read_b128 v[24:27], v36 offset:160
	ds_read_b64 v[28:29], v36 offset:176
	v_cmp_lt_u32_e32 vcc, 6, v0
	s_waitcnt lgkmcnt(1)
	v_fma_f64 v[24:25], v[18:19], v[24:25], 0
	v_fmac_f64_e32 v[24:25], v[20:21], v[26:27]
	s_waitcnt lgkmcnt(0)
	v_fmac_f64_e32 v[24:25], v[22:23], v[28:29]
	v_add_f64 v[16:17], v[16:17], -v[24:25]
	s_and_saveexec_b64 s[0:1], vcc
	s_cbranch_execz .LBB74_74
; %bb.73:
	v_mov_b32_e32 v24, v2
	v_mov_b32_e32 v25, v3
	;; [unrolled: 1-line block ×21, first 2 shown]
	ds_write_b64 v1, v[14:15]
	v_pk_mov_b32 v[2:3], v[24:25], v[24:25] op_sel:[0,1]
	v_pk_mov_b32 v[4:5], v[26:27], v[26:27] op_sel:[0,1]
	;; [unrolled: 1-line block ×16, first 2 shown]
.LBB74_74:
	s_or_b64 exec, exec, s[0:1]
	s_waitcnt lgkmcnt(0)
	; wave barrier
	s_waitcnt lgkmcnt(0)
	ds_read2_b64 v[24:27], v36 offset0:19 offset1:20
	ds_read2_b64 v[28:31], v36 offset0:21 offset1:22
	v_cmp_lt_u32_e32 vcc, 5, v0
	s_waitcnt lgkmcnt(1)
	v_fma_f64 v[24:25], v[16:17], v[24:25], 0
	v_fmac_f64_e32 v[24:25], v[18:19], v[26:27]
	s_waitcnt lgkmcnt(0)
	v_fmac_f64_e32 v[24:25], v[20:21], v[28:29]
	v_fmac_f64_e32 v[24:25], v[22:23], v[30:31]
	v_add_f64 v[14:15], v[14:15], -v[24:25]
	s_and_saveexec_b64 s[0:1], vcc
	s_cbranch_execz .LBB74_76
; %bb.75:
	v_mov_b32_e32 v34, 0
	v_mov_b32_e32 v24, v2
	;; [unrolled: 1-line block ×22, first 2 shown]
	ds_write_b64 v1, v[12:13]
	v_pk_mov_b32 v[2:3], v[24:25], v[24:25] op_sel:[0,1]
	v_pk_mov_b32 v[4:5], v[26:27], v[26:27] op_sel:[0,1]
	;; [unrolled: 1-line block ×16, first 2 shown]
.LBB74_76:
	s_or_b64 exec, exec, s[0:1]
	v_mov_b32_e32 v34, 0
	s_waitcnt lgkmcnt(0)
	; wave barrier
	s_waitcnt lgkmcnt(0)
	ds_read_b128 v[24:27], v34 offset:144
	ds_read_b128 v[28:31], v34 offset:160
	v_cmp_lt_u32_e32 vcc, 4, v0
	s_waitcnt lgkmcnt(1)
	v_fma_f64 v[24:25], v[14:15], v[24:25], 0
	v_fmac_f64_e32 v[24:25], v[16:17], v[26:27]
	ds_read_b64 v[26:27], v34 offset:176
	s_waitcnt lgkmcnt(1)
	v_fmac_f64_e32 v[24:25], v[18:19], v[28:29]
	v_fmac_f64_e32 v[24:25], v[20:21], v[30:31]
	s_waitcnt lgkmcnt(0)
	v_fmac_f64_e32 v[24:25], v[22:23], v[26:27]
	v_add_f64 v[12:13], v[12:13], -v[24:25]
	s_and_saveexec_b64 s[0:1], vcc
	s_cbranch_execz .LBB74_78
; %bb.77:
	v_mov_b32_e32 v26, v2
	v_mov_b32_e32 v27, v3
	v_mov_b32_e32 v28, v4
	v_mov_b32_e32 v29, v5
	v_mov_b32_e32 v30, v6
	v_mov_b32_e32 v31, v7
	v_mov_b32_e32 v32, v8
	v_mov_b32_e32 v33, v9
	v_mov_b32_e32 v35, v34
	v_mov_b32_e32 v36, v12
	v_mov_b32_e32 v37, v13
	v_mov_b32_e32 v38, v14
	v_mov_b32_e32 v39, v15
	v_mov_b32_e32 v40, v16
	v_mov_b32_e32 v41, v17
	v_mov_b32_e32 v42, v18
	v_mov_b32_e32 v43, v19
	v_mov_b32_e32 v44, v20
	v_mov_b32_e32 v45, v21
	v_mov_b32_e32 v46, v22
	v_mov_b32_e32 v47, v23
	ds_write_b64 v1, v[10:11]
	v_pk_mov_b32 v[2:3], v[26:27], v[26:27] op_sel:[0,1]
	v_pk_mov_b32 v[4:5], v[28:29], v[28:29] op_sel:[0,1]
	;; [unrolled: 1-line block ×16, first 2 shown]
.LBB74_78:
	s_or_b64 exec, exec, s[0:1]
	s_waitcnt lgkmcnt(0)
	; wave barrier
	s_waitcnt lgkmcnt(0)
	ds_read2_b64 v[24:27], v34 offset0:17 offset1:18
	ds_read2_b64 v[28:31], v34 offset0:19 offset1:20
	;; [unrolled: 1-line block ×3, first 2 shown]
	v_cmp_lt_u32_e32 vcc, 3, v0
	s_waitcnt lgkmcnt(2)
	v_fma_f64 v[24:25], v[12:13], v[24:25], 0
	v_fmac_f64_e32 v[24:25], v[14:15], v[26:27]
	s_waitcnt lgkmcnt(1)
	v_fmac_f64_e32 v[24:25], v[16:17], v[28:29]
	v_fmac_f64_e32 v[24:25], v[18:19], v[30:31]
	s_waitcnt lgkmcnt(0)
	v_fmac_f64_e32 v[24:25], v[20:21], v[32:33]
	v_fmac_f64_e32 v[24:25], v[22:23], v[34:35]
	v_add_f64 v[10:11], v[10:11], -v[24:25]
	s_and_saveexec_b64 s[0:1], vcc
	s_cbranch_execz .LBB74_80
; %bb.79:
	v_mov_b32_e32 v30, 0
	v_mov_b32_e32 v24, v2
	;; [unrolled: 1-line block ×22, first 2 shown]
	ds_write_b64 v1, v[8:9]
	v_pk_mov_b32 v[2:3], v[24:25], v[24:25] op_sel:[0,1]
	v_pk_mov_b32 v[4:5], v[26:27], v[26:27] op_sel:[0,1]
	;; [unrolled: 1-line block ×16, first 2 shown]
.LBB74_80:
	s_or_b64 exec, exec, s[0:1]
	v_mov_b32_e32 v34, 0
	s_waitcnt lgkmcnt(0)
	; wave barrier
	s_waitcnt lgkmcnt(0)
	ds_read_b128 v[24:27], v34 offset:128
	ds_read_b128 v[28:31], v34 offset:144
	v_cmp_lt_u32_e32 vcc, 2, v0
	s_waitcnt lgkmcnt(1)
	v_fma_f64 v[32:33], v[10:11], v[24:25], 0
	v_fmac_f64_e32 v[32:33], v[12:13], v[26:27]
	ds_read_b128 v[24:27], v34 offset:160
	s_waitcnt lgkmcnt(1)
	v_fmac_f64_e32 v[32:33], v[14:15], v[28:29]
	ds_read_b64 v[28:29], v34 offset:176
	v_fmac_f64_e32 v[32:33], v[16:17], v[30:31]
	s_waitcnt lgkmcnt(1)
	v_fmac_f64_e32 v[32:33], v[18:19], v[24:25]
	v_fmac_f64_e32 v[32:33], v[20:21], v[26:27]
	s_waitcnt lgkmcnt(0)
	v_fmac_f64_e32 v[32:33], v[22:23], v[28:29]
	v_add_f64 v[8:9], v[8:9], -v[32:33]
	s_and_saveexec_b64 s[0:1], vcc
	s_cbranch_execz .LBB74_82
; %bb.81:
	v_mov_b32_e32 v30, v2
	v_mov_b32_e32 v31, v3
	;; [unrolled: 1-line block ×21, first 2 shown]
	ds_write_b64 v1, v[6:7]
	v_pk_mov_b32 v[2:3], v[30:31], v[30:31] op_sel:[0,1]
	v_pk_mov_b32 v[4:5], v[32:33], v[32:33] op_sel:[0,1]
	v_pk_mov_b32 v[6:7], v[34:35], v[34:35] op_sel:[0,1]
	v_pk_mov_b32 v[8:9], v[36:37], v[36:37] op_sel:[0,1]
	v_pk_mov_b32 v[10:11], v[38:39], v[38:39] op_sel:[0,1]
	v_pk_mov_b32 v[12:13], v[40:41], v[40:41] op_sel:[0,1]
	v_pk_mov_b32 v[14:15], v[42:43], v[42:43] op_sel:[0,1]
	v_pk_mov_b32 v[16:17], v[44:45], v[44:45] op_sel:[0,1]
	v_pk_mov_b32 v[18:19], v[46:47], v[46:47] op_sel:[0,1]
	v_pk_mov_b32 v[20:21], v[48:49], v[48:49] op_sel:[0,1]
	v_pk_mov_b32 v[22:23], v[50:51], v[50:51] op_sel:[0,1]
	v_pk_mov_b32 v[24:25], v[52:53], v[52:53] op_sel:[0,1]
	v_pk_mov_b32 v[26:27], v[54:55], v[54:55] op_sel:[0,1]
	v_pk_mov_b32 v[28:29], v[56:57], v[56:57] op_sel:[0,1]
	v_pk_mov_b32 v[30:31], v[58:59], v[58:59] op_sel:[0,1]
	v_pk_mov_b32 v[32:33], v[60:61], v[60:61] op_sel:[0,1]
.LBB74_82:
	s_or_b64 exec, exec, s[0:1]
	s_waitcnt lgkmcnt(0)
	; wave barrier
	s_waitcnt lgkmcnt(0)
	ds_read2_b64 v[24:27], v34 offset0:15 offset1:16
	ds_read2_b64 v[28:31], v34 offset0:17 offset1:18
	v_cmp_lt_u32_e32 vcc, 1, v0
	s_waitcnt lgkmcnt(1)
	v_fma_f64 v[36:37], v[8:9], v[24:25], 0
	v_fmac_f64_e32 v[36:37], v[10:11], v[26:27]
	ds_read2_b64 v[24:27], v34 offset0:19 offset1:20
	ds_read2_b64 v[32:35], v34 offset0:21 offset1:22
	s_waitcnt lgkmcnt(2)
	v_fmac_f64_e32 v[36:37], v[12:13], v[28:29]
	v_fmac_f64_e32 v[36:37], v[14:15], v[30:31]
	s_waitcnt lgkmcnt(1)
	v_fmac_f64_e32 v[36:37], v[16:17], v[24:25]
	v_fmac_f64_e32 v[36:37], v[18:19], v[26:27]
	;; [unrolled: 3-line block ×3, first 2 shown]
	v_add_f64 v[6:7], v[6:7], -v[36:37]
	s_and_saveexec_b64 s[0:1], vcc
	s_cbranch_execz .LBB74_84
; %bb.83:
	v_mov_b32_e32 v26, 0
	v_mov_b32_e32 v24, v2
	;; [unrolled: 1-line block ×22, first 2 shown]
	ds_write_b64 v1, v[4:5]
	v_pk_mov_b32 v[2:3], v[24:25], v[24:25] op_sel:[0,1]
	v_pk_mov_b32 v[4:5], v[26:27], v[26:27] op_sel:[0,1]
	;; [unrolled: 1-line block ×16, first 2 shown]
.LBB74_84:
	s_or_b64 exec, exec, s[0:1]
	v_mov_b32_e32 v34, 0
	s_waitcnt lgkmcnt(0)
	; wave barrier
	s_waitcnt lgkmcnt(0)
	ds_read_b128 v[24:27], v34 offset:112
	ds_read_b128 v[28:31], v34 offset:128
	v_cmp_ne_u32_e32 vcc, 0, v0
	s_waitcnt lgkmcnt(1)
	v_fma_f64 v[32:33], v[6:7], v[24:25], 0
	v_fmac_f64_e32 v[32:33], v[8:9], v[26:27]
	ds_read_b128 v[24:27], v34 offset:144
	s_waitcnt lgkmcnt(1)
	v_fmac_f64_e32 v[32:33], v[10:11], v[28:29]
	v_fmac_f64_e32 v[32:33], v[12:13], v[30:31]
	ds_read_b128 v[28:31], v34 offset:160
	s_waitcnt lgkmcnt(1)
	v_fmac_f64_e32 v[32:33], v[14:15], v[24:25]
	ds_read_b64 v[24:25], v34 offset:176
	v_fmac_f64_e32 v[32:33], v[16:17], v[26:27]
	s_waitcnt lgkmcnt(1)
	v_fmac_f64_e32 v[32:33], v[18:19], v[28:29]
	v_fmac_f64_e32 v[32:33], v[20:21], v[30:31]
	s_waitcnt lgkmcnt(0)
	v_fmac_f64_e32 v[32:33], v[22:23], v[24:25]
	v_add_f64 v[4:5], v[4:5], -v[32:33]
	s_and_saveexec_b64 s[0:1], vcc
	s_cbranch_execz .LBB74_86
; %bb.85:
	v_mov_b32_e32 v35, v34
	v_mov_b32_e32 v36, v4
	;; [unrolled: 1-line block ×21, first 2 shown]
	ds_write_b64 v1, v[2:3]
	v_pk_mov_b32 v[2:3], v[34:35], v[34:35] op_sel:[0,1]
	v_pk_mov_b32 v[4:5], v[36:37], v[36:37] op_sel:[0,1]
	;; [unrolled: 1-line block ×16, first 2 shown]
.LBB74_86:
	s_or_b64 exec, exec, s[0:1]
	s_waitcnt lgkmcnt(0)
	; wave barrier
	s_waitcnt lgkmcnt(0)
	ds_read2_b64 v[24:27], v34 offset0:13 offset1:14
	ds_read2_b64 v[28:31], v34 offset0:15 offset1:16
	s_and_b64 vcc, exec, s[36:37]
	s_waitcnt lgkmcnt(1)
	v_fma_f64 v[0:1], v[4:5], v[24:25], 0
	v_fmac_f64_e32 v[0:1], v[6:7], v[26:27]
	ds_read2_b64 v[24:27], v34 offset0:17 offset1:18
	s_waitcnt lgkmcnt(1)
	v_fmac_f64_e32 v[0:1], v[8:9], v[28:29]
	v_fmac_f64_e32 v[0:1], v[10:11], v[30:31]
	ds_read2_b64 v[28:31], v34 offset0:19 offset1:20
	ds_read2_b64 v[32:35], v34 offset0:21 offset1:22
	s_waitcnt lgkmcnt(2)
	v_fmac_f64_e32 v[0:1], v[12:13], v[24:25]
	v_fmac_f64_e32 v[0:1], v[14:15], v[26:27]
	s_waitcnt lgkmcnt(1)
	v_fmac_f64_e32 v[0:1], v[16:17], v[28:29]
	v_fmac_f64_e32 v[0:1], v[18:19], v[30:31]
	;; [unrolled: 3-line block ×3, first 2 shown]
	v_add_f64 v[2:3], v[2:3], -v[0:1]
	s_cbranch_vccz .LBB74_108
; %bb.87:
	v_pk_mov_b32 v[0:1], s[34:35], s[34:35] op_sel:[0,1]
	flat_load_dword v0, v[0:1] offset:36
	s_waitcnt vmcnt(0) lgkmcnt(0)
	v_add_u32_e32 v0, -1, v0
	v_cmp_ne_u32_e32 vcc, 9, v0
	s_and_saveexec_b64 s[18:19], vcc
	s_cbranch_execz .LBB74_89
; %bb.88:
	v_cmp_eq_u32_e32 vcc, 1, v0
	v_cndmask_b32_e32 v1, v2, v4, vcc
	v_cmp_eq_u32_e64 s[0:1], 2, v0
	v_cndmask_b32_e32 v24, v3, v5, vcc
	v_cndmask_b32_e64 v1, v1, v6, s[0:1]
	v_cmp_eq_u32_e64 s[2:3], 3, v0
	v_cndmask_b32_e64 v24, v24, v7, s[0:1]
	v_cndmask_b32_e64 v1, v1, v8, s[2:3]
	v_cmp_eq_u32_e64 s[4:5], 4, v0
	v_cndmask_b32_e64 v24, v24, v9, s[2:3]
	;; [unrolled: 3-line block ×8, first 2 shown]
	v_cndmask_b32_e64 v1, v1, v22, s[16:17]
	v_cndmask_b32_e64 v24, v24, v23, s[16:17]
	;; [unrolled: 1-line block ×4, first 2 shown]
	v_cndmask_b32_e32 v23, v5, v21, vcc
	v_cndmask_b32_e32 v22, v4, v20, vcc
	v_cmp_eq_u32_e32 vcc, 0, v0
	v_cndmask_b32_e64 v39, v24, v21, s[14:15]
	v_cndmask_b32_e64 v38, v1, v20, s[14:15]
	;; [unrolled: 1-line block ×16, first 2 shown]
	v_cndmask_b32_e32 v21, v3, v21, vcc
	v_cndmask_b32_e32 v20, v2, v20, vcc
	v_pk_mov_b32 v[2:3], v[20:21], v[20:21] op_sel:[0,1]
	v_pk_mov_b32 v[4:5], v[22:23], v[22:23] op_sel:[0,1]
	;; [unrolled: 1-line block ×16, first 2 shown]
.LBB74_89:
	s_or_b64 exec, exec, s[18:19]
	v_pk_mov_b32 v[0:1], s[34:35], s[34:35] op_sel:[0,1]
	flat_load_dword v0, v[0:1] offset:32
	s_waitcnt vmcnt(0) lgkmcnt(0)
	v_add_u32_e32 v0, -1, v0
	v_cmp_ne_u32_e32 vcc, 8, v0
	s_and_saveexec_b64 s[18:19], vcc
	s_cbranch_execz .LBB74_91
; %bb.90:
	v_cmp_eq_u32_e32 vcc, 1, v0
	v_cndmask_b32_e32 v1, v2, v4, vcc
	v_cmp_eq_u32_e64 s[0:1], 2, v0
	v_cndmask_b32_e32 v24, v3, v5, vcc
	v_cndmask_b32_e64 v1, v1, v6, s[0:1]
	v_cmp_eq_u32_e64 s[2:3], 3, v0
	v_cndmask_b32_e64 v24, v24, v7, s[0:1]
	v_cndmask_b32_e64 v1, v1, v8, s[2:3]
	v_cmp_eq_u32_e64 s[4:5], 4, v0
	v_cndmask_b32_e64 v24, v24, v9, s[2:3]
	;; [unrolled: 3-line block ×8, first 2 shown]
	v_cndmask_b32_e64 v1, v1, v22, s[16:17]
	v_cndmask_b32_e64 v24, v24, v23, s[16:17]
	;; [unrolled: 1-line block ×4, first 2 shown]
	v_cndmask_b32_e32 v21, v5, v19, vcc
	v_cndmask_b32_e32 v20, v4, v18, vcc
	v_cmp_eq_u32_e32 vcc, 0, v0
	v_cndmask_b32_e64 v35, v24, v19, s[12:13]
	v_cndmask_b32_e64 v34, v1, v18, s[12:13]
	;; [unrolled: 1-line block ×16, first 2 shown]
	v_cndmask_b32_e32 v19, v3, v19, vcc
	v_cndmask_b32_e32 v18, v2, v18, vcc
	v_pk_mov_b32 v[2:3], v[18:19], v[18:19] op_sel:[0,1]
	v_pk_mov_b32 v[4:5], v[20:21], v[20:21] op_sel:[0,1]
	;; [unrolled: 1-line block ×16, first 2 shown]
.LBB74_91:
	s_or_b64 exec, exec, s[18:19]
	v_pk_mov_b32 v[0:1], s[34:35], s[34:35] op_sel:[0,1]
	flat_load_dword v0, v[0:1] offset:28
	s_waitcnt vmcnt(0) lgkmcnt(0)
	v_add_u32_e32 v0, -1, v0
	v_cmp_ne_u32_e32 vcc, 7, v0
	s_and_saveexec_b64 s[18:19], vcc
	s_cbranch_execz .LBB74_93
; %bb.92:
	v_cmp_eq_u32_e32 vcc, 1, v0
	v_cndmask_b32_e32 v1, v2, v4, vcc
	v_cmp_eq_u32_e64 s[0:1], 2, v0
	v_cndmask_b32_e32 v24, v3, v5, vcc
	v_cndmask_b32_e64 v1, v1, v6, s[0:1]
	v_cmp_eq_u32_e64 s[2:3], 3, v0
	v_cndmask_b32_e64 v24, v24, v7, s[0:1]
	v_cndmask_b32_e64 v1, v1, v8, s[2:3]
	v_cmp_eq_u32_e64 s[4:5], 4, v0
	v_cndmask_b32_e64 v24, v24, v9, s[2:3]
	v_cndmask_b32_e64 v1, v1, v10, s[4:5]
	v_cmp_eq_u32_e64 s[6:7], 5, v0
	v_cndmask_b32_e64 v24, v24, v11, s[4:5]
	v_cndmask_b32_e64 v1, v1, v12, s[6:7]
	v_cmp_eq_u32_e64 s[8:9], 6, v0
	v_cndmask_b32_e64 v24, v24, v13, s[6:7]
	v_cndmask_b32_e64 v1, v1, v14, s[8:9]
	v_cmp_eq_u32_e64 s[10:11], 7, v0
	v_cndmask_b32_e64 v24, v24, v15, s[8:9]
	v_cndmask_b32_e64 v1, v1, v16, s[10:11]
	v_cmp_eq_u32_e64 s[12:13], 8, v0
	v_cndmask_b32_e64 v24, v24, v17, s[10:11]
	v_cndmask_b32_e64 v1, v1, v18, s[12:13]
	v_cmp_eq_u32_e64 s[14:15], 9, v0
	v_cndmask_b32_e64 v24, v24, v19, s[12:13]
	v_cndmask_b32_e64 v1, v1, v20, s[14:15]
	v_cmp_eq_u32_e64 s[16:17], 10, v0
	v_cndmask_b32_e64 v24, v24, v21, s[14:15]
	v_cndmask_b32_e64 v1, v1, v22, s[16:17]
	v_cndmask_b32_e64 v24, v24, v23, s[16:17]
	;; [unrolled: 1-line block ×4, first 2 shown]
	v_cndmask_b32_e32 v19, v5, v17, vcc
	v_cndmask_b32_e32 v18, v4, v16, vcc
	v_cmp_eq_u32_e32 vcc, 0, v0
	v_cndmask_b32_e64 v31, v24, v17, s[10:11]
	v_cndmask_b32_e64 v30, v1, v16, s[10:11]
	;; [unrolled: 1-line block ×16, first 2 shown]
	v_cndmask_b32_e32 v17, v3, v17, vcc
	v_cndmask_b32_e32 v16, v2, v16, vcc
	v_pk_mov_b32 v[2:3], v[16:17], v[16:17] op_sel:[0,1]
	v_pk_mov_b32 v[4:5], v[18:19], v[18:19] op_sel:[0,1]
	;; [unrolled: 1-line block ×16, first 2 shown]
.LBB74_93:
	s_or_b64 exec, exec, s[18:19]
	v_pk_mov_b32 v[0:1], s[34:35], s[34:35] op_sel:[0,1]
	flat_load_dword v0, v[0:1] offset:24
	s_waitcnt vmcnt(0) lgkmcnt(0)
	v_add_u32_e32 v0, -1, v0
	v_cmp_ne_u32_e32 vcc, 6, v0
	s_and_saveexec_b64 s[18:19], vcc
	s_cbranch_execz .LBB74_95
; %bb.94:
	v_cmp_eq_u32_e32 vcc, 1, v0
	v_cndmask_b32_e32 v1, v2, v4, vcc
	v_cmp_eq_u32_e64 s[0:1], 2, v0
	v_cndmask_b32_e32 v24, v3, v5, vcc
	v_cndmask_b32_e64 v1, v1, v6, s[0:1]
	v_cmp_eq_u32_e64 s[2:3], 3, v0
	v_cndmask_b32_e64 v24, v24, v7, s[0:1]
	v_cndmask_b32_e64 v1, v1, v8, s[2:3]
	v_cmp_eq_u32_e64 s[4:5], 4, v0
	v_cndmask_b32_e64 v24, v24, v9, s[2:3]
	v_cndmask_b32_e64 v1, v1, v10, s[4:5]
	v_cmp_eq_u32_e64 s[6:7], 5, v0
	v_cndmask_b32_e64 v24, v24, v11, s[4:5]
	v_cndmask_b32_e64 v1, v1, v12, s[6:7]
	v_cmp_eq_u32_e64 s[8:9], 6, v0
	v_cndmask_b32_e64 v24, v24, v13, s[6:7]
	v_cndmask_b32_e64 v1, v1, v14, s[8:9]
	v_cmp_eq_u32_e64 s[10:11], 7, v0
	v_cndmask_b32_e64 v24, v24, v15, s[8:9]
	v_cndmask_b32_e64 v1, v1, v16, s[10:11]
	v_cmp_eq_u32_e64 s[12:13], 8, v0
	v_cndmask_b32_e64 v24, v24, v17, s[10:11]
	v_cndmask_b32_e64 v1, v1, v18, s[12:13]
	v_cmp_eq_u32_e64 s[14:15], 9, v0
	v_cndmask_b32_e64 v24, v24, v19, s[12:13]
	v_cndmask_b32_e64 v1, v1, v20, s[14:15]
	v_cmp_eq_u32_e64 s[16:17], 10, v0
	v_cndmask_b32_e64 v24, v24, v21, s[14:15]
	v_cndmask_b32_e64 v1, v1, v22, s[16:17]
	v_cndmask_b32_e64 v24, v24, v23, s[16:17]
	;; [unrolled: 1-line block ×4, first 2 shown]
	v_cndmask_b32_e32 v17, v5, v15, vcc
	v_cndmask_b32_e32 v16, v4, v14, vcc
	v_cmp_eq_u32_e32 vcc, 0, v0
	v_cndmask_b32_e64 v27, v24, v15, s[8:9]
	v_cndmask_b32_e64 v26, v1, v14, s[8:9]
	;; [unrolled: 1-line block ×16, first 2 shown]
	v_cndmask_b32_e32 v15, v3, v15, vcc
	v_cndmask_b32_e32 v14, v2, v14, vcc
	v_pk_mov_b32 v[2:3], v[14:15], v[14:15] op_sel:[0,1]
	v_pk_mov_b32 v[4:5], v[16:17], v[16:17] op_sel:[0,1]
	;; [unrolled: 1-line block ×16, first 2 shown]
.LBB74_95:
	s_or_b64 exec, exec, s[18:19]
	v_pk_mov_b32 v[0:1], s[34:35], s[34:35] op_sel:[0,1]
	flat_load_dword v0, v[0:1] offset:20
	s_waitcnt vmcnt(0) lgkmcnt(0)
	v_add_u32_e32 v0, -1, v0
	v_cmp_ne_u32_e32 vcc, 5, v0
	s_and_saveexec_b64 s[18:19], vcc
	s_cbranch_execz .LBB74_97
; %bb.96:
	v_cmp_eq_u32_e32 vcc, 1, v0
	v_cndmask_b32_e32 v1, v2, v4, vcc
	v_cmp_eq_u32_e64 s[0:1], 2, v0
	v_cndmask_b32_e32 v24, v3, v5, vcc
	v_cndmask_b32_e64 v1, v1, v6, s[0:1]
	v_cmp_eq_u32_e64 s[2:3], 3, v0
	v_cndmask_b32_e64 v24, v24, v7, s[0:1]
	v_cndmask_b32_e64 v1, v1, v8, s[2:3]
	v_cmp_eq_u32_e64 s[4:5], 4, v0
	v_cndmask_b32_e64 v24, v24, v9, s[2:3]
	;; [unrolled: 3-line block ×8, first 2 shown]
	v_cndmask_b32_e64 v1, v1, v22, s[16:17]
	v_cndmask_b32_e64 v24, v24, v23, s[16:17]
	;; [unrolled: 1-line block ×4, first 2 shown]
	v_cndmask_b32_e32 v17, v5, v13, vcc
	v_cndmask_b32_e32 v16, v4, v12, vcc
	v_cmp_eq_u32_e32 vcc, 0, v0
	v_cndmask_b32_e64 v25, v24, v13, s[6:7]
	v_cndmask_b32_e64 v24, v1, v12, s[6:7]
	v_cndmask_b32_e64 v35, v23, v13, s[16:17]
	v_cndmask_b32_e64 v34, v22, v12, s[16:17]
	v_cndmask_b32_e64 v33, v21, v13, s[14:15]
	v_cndmask_b32_e64 v32, v20, v12, s[14:15]
	v_cndmask_b32_e64 v31, v19, v13, s[12:13]
	v_cndmask_b32_e64 v30, v18, v12, s[12:13]
	v_cndmask_b32_e64 v27, v15, v13, s[8:9]
	v_cndmask_b32_e64 v26, v14, v12, s[8:9]
	v_cndmask_b32_e64 v23, v11, v13, s[4:5]
	v_cndmask_b32_e64 v22, v10, v12, s[4:5]
	v_cndmask_b32_e64 v21, v9, v13, s[2:3]
	v_cndmask_b32_e64 v20, v8, v12, s[2:3]
	v_cndmask_b32_e64 v19, v7, v13, s[0:1]
	v_cndmask_b32_e64 v18, v6, v12, s[0:1]
	v_cndmask_b32_e32 v15, v3, v13, vcc
	v_cndmask_b32_e32 v14, v2, v12, vcc
	v_pk_mov_b32 v[2:3], v[14:15], v[14:15] op_sel:[0,1]
	v_pk_mov_b32 v[4:5], v[16:17], v[16:17] op_sel:[0,1]
	;; [unrolled: 1-line block ×16, first 2 shown]
.LBB74_97:
	s_or_b64 exec, exec, s[18:19]
	v_pk_mov_b32 v[0:1], s[34:35], s[34:35] op_sel:[0,1]
	flat_load_dword v0, v[0:1] offset:16
	s_waitcnt vmcnt(0) lgkmcnt(0)
	v_add_u32_e32 v0, -1, v0
	v_cmp_ne_u32_e32 vcc, 4, v0
	s_and_saveexec_b64 s[18:19], vcc
	s_cbranch_execz .LBB74_99
; %bb.98:
	v_cmp_eq_u32_e32 vcc, 1, v0
	v_cndmask_b32_e32 v1, v2, v4, vcc
	v_cmp_eq_u32_e64 s[0:1], 2, v0
	v_cndmask_b32_e32 v24, v3, v5, vcc
	v_cndmask_b32_e64 v1, v1, v6, s[0:1]
	v_cmp_eq_u32_e64 s[2:3], 3, v0
	v_cndmask_b32_e64 v24, v24, v7, s[0:1]
	v_cndmask_b32_e64 v1, v1, v8, s[2:3]
	v_cmp_eq_u32_e64 s[4:5], 4, v0
	v_cndmask_b32_e64 v24, v24, v9, s[2:3]
	;; [unrolled: 3-line block ×8, first 2 shown]
	v_cndmask_b32_e64 v1, v1, v22, s[16:17]
	v_cndmask_b32_e64 v24, v24, v23, s[16:17]
	;; [unrolled: 1-line block ×4, first 2 shown]
	v_cndmask_b32_e32 v19, v5, v11, vcc
	v_cndmask_b32_e32 v18, v4, v10, vcc
	v_cmp_eq_u32_e32 vcc, 0, v0
	v_cndmask_b32_e64 v25, v24, v11, s[4:5]
	v_cndmask_b32_e64 v24, v1, v10, s[4:5]
	v_cndmask_b32_e64 v37, v23, v11, s[16:17]
	v_cndmask_b32_e64 v36, v22, v10, s[16:17]
	v_cndmask_b32_e64 v35, v21, v11, s[14:15]
	v_cndmask_b32_e64 v34, v20, v10, s[14:15]
	v_cndmask_b32_e64 v31, v17, v11, s[10:11]
	v_cndmask_b32_e64 v30, v16, v10, s[10:11]
	v_cndmask_b32_e64 v29, v15, v11, s[8:9]
	v_cndmask_b32_e64 v28, v14, v10, s[8:9]
	v_cndmask_b32_e64 v27, v13, v11, s[6:7]
	v_cndmask_b32_e64 v26, v12, v10, s[6:7]
	v_cndmask_b32_e64 v23, v9, v11, s[2:3]
	v_cndmask_b32_e64 v22, v8, v10, s[2:3]
	v_cndmask_b32_e64 v21, v7, v11, s[0:1]
	v_cndmask_b32_e64 v20, v6, v10, s[0:1]
	v_cndmask_b32_e32 v17, v3, v11, vcc
	v_cndmask_b32_e32 v16, v2, v10, vcc
	v_pk_mov_b32 v[2:3], v[16:17], v[16:17] op_sel:[0,1]
	v_pk_mov_b32 v[4:5], v[18:19], v[18:19] op_sel:[0,1]
	;; [unrolled: 1-line block ×16, first 2 shown]
.LBB74_99:
	s_or_b64 exec, exec, s[18:19]
	v_pk_mov_b32 v[0:1], s[34:35], s[34:35] op_sel:[0,1]
	flat_load_dword v0, v[0:1] offset:12
	s_waitcnt vmcnt(0) lgkmcnt(0)
	v_add_u32_e32 v0, -1, v0
	v_cmp_ne_u32_e32 vcc, 3, v0
	s_and_saveexec_b64 s[18:19], vcc
	s_cbranch_execz .LBB74_101
; %bb.100:
	v_cmp_eq_u32_e32 vcc, 1, v0
	v_cndmask_b32_e32 v1, v2, v4, vcc
	v_cmp_eq_u32_e64 s[0:1], 2, v0
	v_cndmask_b32_e32 v24, v3, v5, vcc
	v_cndmask_b32_e64 v1, v1, v6, s[0:1]
	v_cmp_eq_u32_e64 s[2:3], 3, v0
	v_cndmask_b32_e64 v24, v24, v7, s[0:1]
	v_cndmask_b32_e64 v1, v1, v8, s[2:3]
	v_cmp_eq_u32_e64 s[4:5], 4, v0
	v_cndmask_b32_e64 v24, v24, v9, s[2:3]
	;; [unrolled: 3-line block ×8, first 2 shown]
	v_cndmask_b32_e64 v1, v1, v22, s[16:17]
	v_cndmask_b32_e64 v24, v24, v23, s[16:17]
	;; [unrolled: 1-line block ×4, first 2 shown]
	v_cndmask_b32_e32 v21, v5, v9, vcc
	v_cndmask_b32_e32 v20, v4, v8, vcc
	v_cmp_eq_u32_e32 vcc, 0, v0
	v_cndmask_b32_e64 v25, v24, v9, s[2:3]
	v_cndmask_b32_e64 v24, v1, v8, s[2:3]
	;; [unrolled: 1-line block ×16, first 2 shown]
	v_cndmask_b32_e32 v19, v3, v9, vcc
	v_cndmask_b32_e32 v18, v2, v8, vcc
	v_pk_mov_b32 v[2:3], v[18:19], v[18:19] op_sel:[0,1]
	v_pk_mov_b32 v[4:5], v[20:21], v[20:21] op_sel:[0,1]
	;; [unrolled: 1-line block ×16, first 2 shown]
.LBB74_101:
	s_or_b64 exec, exec, s[18:19]
	v_pk_mov_b32 v[0:1], s[34:35], s[34:35] op_sel:[0,1]
	flat_load_dword v0, v[0:1] offset:8
	s_waitcnt vmcnt(0) lgkmcnt(0)
	v_add_u32_e32 v0, -1, v0
	v_cmp_ne_u32_e32 vcc, 2, v0
	s_and_saveexec_b64 s[18:19], vcc
	s_cbranch_execz .LBB74_103
; %bb.102:
	v_cmp_eq_u32_e32 vcc, 1, v0
	v_cndmask_b32_e32 v1, v2, v4, vcc
	v_cmp_eq_u32_e64 s[0:1], 2, v0
	v_cndmask_b32_e32 v24, v3, v5, vcc
	v_cndmask_b32_e64 v1, v1, v6, s[0:1]
	v_cmp_eq_u32_e64 s[2:3], 3, v0
	v_cndmask_b32_e64 v24, v24, v7, s[0:1]
	v_cndmask_b32_e64 v1, v1, v8, s[2:3]
	v_cmp_eq_u32_e64 s[4:5], 4, v0
	v_cndmask_b32_e64 v24, v24, v9, s[2:3]
	;; [unrolled: 3-line block ×8, first 2 shown]
	v_cndmask_b32_e64 v1, v1, v22, s[16:17]
	v_cndmask_b32_e64 v24, v24, v23, s[16:17]
	;; [unrolled: 1-line block ×4, first 2 shown]
	v_cndmask_b32_e32 v23, v5, v7, vcc
	v_cndmask_b32_e32 v22, v4, v6, vcc
	v_cmp_eq_u32_e32 vcc, 0, v0
	v_cndmask_b32_e64 v25, v24, v7, s[0:1]
	v_cndmask_b32_e64 v24, v1, v6, s[0:1]
	;; [unrolled: 1-line block ×12, first 2 shown]
	v_cndmask_b32_e32 v21, v3, v7, vcc
	v_cndmask_b32_e32 v20, v2, v6, vcc
	v_cndmask_b32_e64 v37, v19, v7, s[12:13]
	v_cndmask_b32_e64 v36, v18, v6, s[12:13]
	;; [unrolled: 1-line block ×4, first 2 shown]
	v_pk_mov_b32 v[2:3], v[20:21], v[20:21] op_sel:[0,1]
	v_pk_mov_b32 v[4:5], v[22:23], v[22:23] op_sel:[0,1]
	;; [unrolled: 1-line block ×16, first 2 shown]
.LBB74_103:
	s_or_b64 exec, exec, s[18:19]
	v_pk_mov_b32 v[0:1], s[34:35], s[34:35] op_sel:[0,1]
	flat_load_dword v0, v[0:1] offset:4
	s_waitcnt vmcnt(0) lgkmcnt(0)
	v_add_u32_e32 v0, -1, v0
	v_cmp_ne_u32_e32 vcc, 1, v0
	s_and_saveexec_b64 s[18:19], vcc
	s_cbranch_execz .LBB74_105
; %bb.104:
	v_cmp_eq_u32_e32 vcc, 1, v0
	v_cndmask_b32_e32 v1, v2, v4, vcc
	v_cmp_eq_u32_e64 s[0:1], 2, v0
	v_cndmask_b32_e32 v24, v3, v5, vcc
	v_cndmask_b32_e64 v1, v1, v6, s[0:1]
	v_cmp_eq_u32_e64 s[2:3], 3, v0
	v_cndmask_b32_e64 v24, v24, v7, s[0:1]
	v_cndmask_b32_e64 v1, v1, v8, s[2:3]
	v_cmp_eq_u32_e64 s[4:5], 4, v0
	v_cndmask_b32_e64 v24, v24, v9, s[2:3]
	;; [unrolled: 3-line block ×8, first 2 shown]
	v_cndmask_b32_e64 v1, v1, v22, s[16:17]
	v_cndmask_b32_e64 v24, v24, v23, s[16:17]
	v_cndmask_b32_e32 v25, v24, v5, vcc
	v_cndmask_b32_e32 v24, v1, v4, vcc
	v_cmp_eq_u32_e32 vcc, 0, v0
	v_cndmask_b32_e64 v43, v23, v5, s[16:17]
	v_cndmask_b32_e64 v42, v22, v4, s[16:17]
	;; [unrolled: 1-line block ×10, first 2 shown]
	v_cndmask_b32_e32 v23, v3, v5, vcc
	v_cndmask_b32_e32 v22, v2, v4, vcc
	v_cndmask_b32_e64 v41, v21, v5, s[14:15]
	v_cndmask_b32_e64 v40, v20, v4, s[14:15]
	;; [unrolled: 1-line block ×8, first 2 shown]
	v_pk_mov_b32 v[2:3], v[22:23], v[22:23] op_sel:[0,1]
	v_pk_mov_b32 v[4:5], v[24:25], v[24:25] op_sel:[0,1]
	;; [unrolled: 1-line block ×16, first 2 shown]
.LBB74_105:
	s_or_b64 exec, exec, s[18:19]
	v_pk_mov_b32 v[0:1], s[34:35], s[34:35] op_sel:[0,1]
	flat_load_dword v0, v[0:1]
	s_waitcnt vmcnt(0) lgkmcnt(0)
	v_add_u32_e32 v0, -1, v0
	v_cmp_ne_u32_e32 vcc, 0, v0
	s_and_saveexec_b64 s[20:21], vcc
	s_cbranch_execz .LBB74_107
; %bb.106:
	v_cmp_eq_u32_e32 vcc, 1, v0
	v_cndmask_b32_e32 v1, v2, v4, vcc
	v_cmp_eq_u32_e64 s[0:1], 2, v0
	v_cndmask_b32_e32 v24, v3, v5, vcc
	v_cndmask_b32_e64 v1, v1, v6, s[0:1]
	v_cmp_eq_u32_e64 s[2:3], 3, v0
	v_cndmask_b32_e64 v24, v24, v7, s[0:1]
	v_cndmask_b32_e64 v1, v1, v8, s[2:3]
	v_cmp_eq_u32_e64 s[4:5], 4, v0
	v_cndmask_b32_e64 v24, v24, v9, s[2:3]
	;; [unrolled: 3-line block ×8, first 2 shown]
	v_cndmask_b32_e64 v1, v1, v22, s[16:17]
	v_cndmask_b32_e64 v24, v24, v23, s[16:17]
	v_cmp_eq_u32_e64 s[18:19], 0, v0
	v_cndmask_b32_e64 v25, v24, v3, s[18:19]
	v_cndmask_b32_e64 v24, v1, v2, s[18:19]
	;; [unrolled: 1-line block ×8, first 2 shown]
	v_cndmask_b32_e32 v27, v5, v3, vcc
	v_cndmask_b32_e32 v26, v4, v2, vcc
	v_cndmask_b32_e64 v45, v23, v3, s[16:17]
	v_cndmask_b32_e64 v44, v22, v2, s[16:17]
	;; [unrolled: 1-line block ×12, first 2 shown]
	v_pk_mov_b32 v[2:3], v[24:25], v[24:25] op_sel:[0,1]
	v_pk_mov_b32 v[4:5], v[26:27], v[26:27] op_sel:[0,1]
	;; [unrolled: 1-line block ×16, first 2 shown]
.LBB74_107:
	s_or_b64 exec, exec, s[20:21]
.LBB74_108:
	v_mov_b32_e32 v1, v3
	v_mov_b32_e32 v0, v2
	global_store_dwordx2 v[56:57], v[0:1], off
	v_mov_b32_e32 v1, v5
	v_mov_b32_e32 v0, v4
	global_store_dwordx2 v[58:59], v[0:1], off
	;; [unrolled: 3-line block ×11, first 2 shown]
	s_endpgm
	.section	.rodata,"a",@progbits
	.p2align	6, 0x0
	.amdhsa_kernel _ZN9rocsolver6v33100L18getri_kernel_smallILi11EdPKPdEEvT1_iilPiilS6_bb
		.amdhsa_group_segment_fixed_size 184
		.amdhsa_private_segment_fixed_size 0
		.amdhsa_kernarg_size 60
		.amdhsa_user_sgpr_count 6
		.amdhsa_user_sgpr_private_segment_buffer 1
		.amdhsa_user_sgpr_dispatch_ptr 0
		.amdhsa_user_sgpr_queue_ptr 0
		.amdhsa_user_sgpr_kernarg_segment_ptr 1
		.amdhsa_user_sgpr_dispatch_id 0
		.amdhsa_user_sgpr_flat_scratch_init 0
		.amdhsa_user_sgpr_kernarg_preload_length 0
		.amdhsa_user_sgpr_kernarg_preload_offset 0
		.amdhsa_user_sgpr_private_segment_size 0
		.amdhsa_uses_dynamic_stack 0
		.amdhsa_system_sgpr_private_segment_wavefront_offset 0
		.amdhsa_system_sgpr_workgroup_id_x 1
		.amdhsa_system_sgpr_workgroup_id_y 0
		.amdhsa_system_sgpr_workgroup_id_z 0
		.amdhsa_system_sgpr_workgroup_info 0
		.amdhsa_system_vgpr_workitem_id 0
		.amdhsa_next_free_vgpr 78
		.amdhsa_next_free_sgpr 44
		.amdhsa_accum_offset 80
		.amdhsa_reserve_vcc 1
		.amdhsa_reserve_flat_scratch 0
		.amdhsa_float_round_mode_32 0
		.amdhsa_float_round_mode_16_64 0
		.amdhsa_float_denorm_mode_32 3
		.amdhsa_float_denorm_mode_16_64 3
		.amdhsa_dx10_clamp 1
		.amdhsa_ieee_mode 1
		.amdhsa_fp16_overflow 0
		.amdhsa_tg_split 0
		.amdhsa_exception_fp_ieee_invalid_op 0
		.amdhsa_exception_fp_denorm_src 0
		.amdhsa_exception_fp_ieee_div_zero 0
		.amdhsa_exception_fp_ieee_overflow 0
		.amdhsa_exception_fp_ieee_underflow 0
		.amdhsa_exception_fp_ieee_inexact 0
		.amdhsa_exception_int_div_zero 0
	.end_amdhsa_kernel
	.section	.text._ZN9rocsolver6v33100L18getri_kernel_smallILi11EdPKPdEEvT1_iilPiilS6_bb,"axG",@progbits,_ZN9rocsolver6v33100L18getri_kernel_smallILi11EdPKPdEEvT1_iilPiilS6_bb,comdat
.Lfunc_end74:
	.size	_ZN9rocsolver6v33100L18getri_kernel_smallILi11EdPKPdEEvT1_iilPiilS6_bb, .Lfunc_end74-_ZN9rocsolver6v33100L18getri_kernel_smallILi11EdPKPdEEvT1_iilPiilS6_bb
                                        ; -- End function
	.section	.AMDGPU.csdata,"",@progbits
; Kernel info:
; codeLenInByte = 15200
; NumSgprs: 48
; NumVgprs: 78
; NumAgprs: 0
; TotalNumVgprs: 78
; ScratchSize: 0
; MemoryBound: 0
; FloatMode: 240
; IeeeMode: 1
; LDSByteSize: 184 bytes/workgroup (compile time only)
; SGPRBlocks: 5
; VGPRBlocks: 9
; NumSGPRsForWavesPerEU: 48
; NumVGPRsForWavesPerEU: 78
; AccumOffset: 80
; Occupancy: 6
; WaveLimiterHint : 1
; COMPUTE_PGM_RSRC2:SCRATCH_EN: 0
; COMPUTE_PGM_RSRC2:USER_SGPR: 6
; COMPUTE_PGM_RSRC2:TRAP_HANDLER: 0
; COMPUTE_PGM_RSRC2:TGID_X_EN: 1
; COMPUTE_PGM_RSRC2:TGID_Y_EN: 0
; COMPUTE_PGM_RSRC2:TGID_Z_EN: 0
; COMPUTE_PGM_RSRC2:TIDIG_COMP_CNT: 0
; COMPUTE_PGM_RSRC3_GFX90A:ACCUM_OFFSET: 19
; COMPUTE_PGM_RSRC3_GFX90A:TG_SPLIT: 0
	.section	.text._ZN9rocsolver6v33100L18getri_kernel_smallILi12EdPKPdEEvT1_iilPiilS6_bb,"axG",@progbits,_ZN9rocsolver6v33100L18getri_kernel_smallILi12EdPKPdEEvT1_iilPiilS6_bb,comdat
	.globl	_ZN9rocsolver6v33100L18getri_kernel_smallILi12EdPKPdEEvT1_iilPiilS6_bb ; -- Begin function _ZN9rocsolver6v33100L18getri_kernel_smallILi12EdPKPdEEvT1_iilPiilS6_bb
	.p2align	8
	.type	_ZN9rocsolver6v33100L18getri_kernel_smallILi12EdPKPdEEvT1_iilPiilS6_bb,@function
_ZN9rocsolver6v33100L18getri_kernel_smallILi12EdPKPdEEvT1_iilPiilS6_bb: ; @_ZN9rocsolver6v33100L18getri_kernel_smallILi12EdPKPdEEvT1_iilPiilS6_bb
; %bb.0:
	v_cmp_gt_u32_e32 vcc, 12, v0
	s_and_saveexec_b64 s[0:1], vcc
	s_cbranch_execz .LBB75_16
; %bb.1:
	s_load_dword s8, s[4:5], 0x38
	s_load_dwordx2 s[0:1], s[4:5], 0x0
	s_load_dwordx4 s[28:31], s[4:5], 0x28
                                        ; implicit-def: $sgpr34_sgpr35
	s_waitcnt lgkmcnt(0)
	s_bitcmp1_b32 s8, 8
	s_cselect_b64 s[36:37], -1, 0
	s_ashr_i32 s7, s6, 31
	s_lshl_b64 s[2:3], s[6:7], 3
	s_add_u32 s0, s0, s2
	s_addc_u32 s1, s1, s3
	s_load_dwordx2 s[0:1], s[0:1], 0x0
	s_bfe_u32 s2, s8, 0x10008
	s_cmp_eq_u32 s2, 0
	s_cbranch_scc1 .LBB75_3
; %bb.2:
	s_load_dword s2, s[4:5], 0x20
	s_load_dwordx2 s[10:11], s[4:5], 0x18
	s_mul_i32 s3, s6, s29
	s_mul_hi_u32 s9, s6, s28
	s_add_i32 s9, s9, s3
	s_mul_i32 s12, s7, s28
	s_add_i32 s13, s9, s12
	s_mul_i32 s12, s6, s28
	s_waitcnt lgkmcnt(0)
	s_ashr_i32 s3, s2, 31
	s_lshl_b64 s[12:13], s[12:13], 2
	s_add_u32 s9, s10, s12
	s_addc_u32 s10, s11, s13
	s_lshl_b64 s[2:3], s[2:3], 2
	s_add_u32 s34, s9, s2
	s_addc_u32 s35, s10, s3
.LBB75_3:
	s_load_dwordx2 s[2:3], s[4:5], 0x8
	v_lshlrev_b32_e32 v28, 3, v0
	s_waitcnt lgkmcnt(0)
	s_ashr_i32 s5, s2, 31
	s_mov_b32 s4, s2
	s_lshl_b64 s[4:5], s[4:5], 3
	s_add_u32 s0, s0, s4
	s_addc_u32 s1, s1, s5
	v_mov_b32_e32 v1, s1
	v_add_co_u32_e32 v56, vcc, s0, v28
	s_ashr_i32 s5, s3, 31
	s_mov_b32 s4, s3
	s_add_i32 s2, s3, s3
	v_addc_co_u32_e32 v57, vcc, 0, v1, vcc
	s_lshl_b64 s[4:5], s[4:5], 3
	v_add_u32_e32 v2, s2, v0
	v_mov_b32_e32 v1, s5
	v_add_co_u32_e32 v58, vcc, s4, v56
	v_ashrrev_i32_e32 v3, 31, v2
	v_addc_co_u32_e32 v59, vcc, v57, v1, vcc
	v_lshlrev_b64 v[4:5], 3, v[2:3]
	v_add_u32_e32 v2, s3, v2
	v_mov_b32_e32 v1, s1
	v_add_co_u32_e32 v60, vcc, s0, v4
	v_ashrrev_i32_e32 v3, 31, v2
	v_addc_co_u32_e32 v61, vcc, v1, v5, vcc
	v_lshlrev_b64 v[4:5], 3, v[2:3]
	v_add_u32_e32 v2, s3, v2
	v_add_co_u32_e32 v62, vcc, s0, v4
	v_ashrrev_i32_e32 v3, 31, v2
	v_addc_co_u32_e32 v63, vcc, v1, v5, vcc
	v_lshlrev_b64 v[4:5], 3, v[2:3]
	v_add_u32_e32 v2, s3, v2
	;; [unrolled: 5-line block ×8, first 2 shown]
	v_add_co_u32_e32 v76, vcc, s0, v4
	v_ashrrev_i32_e32 v3, 31, v2
	v_addc_co_u32_e32 v77, vcc, v1, v5, vcc
	v_lshlrev_b64 v[2:3], 3, v[2:3]
	v_add_co_u32_e32 v78, vcc, s0, v2
	v_addc_co_u32_e32 v79, vcc, v1, v3, vcc
	global_load_dwordx2 v[4:5], v[58:59], off
	global_load_dwordx2 v[6:7], v[60:61], off
	;; [unrolled: 1-line block ×10, first 2 shown]
	global_load_dwordx2 v[2:3], v28, s[0:1]
	global_load_dwordx2 v[24:25], v[78:79], off
	v_mov_b32_e32 v1, 0
	s_bitcmp0_b32 s8, 0
	s_mov_b64 s[0:1], -1
	s_cbranch_scc1 .LBB75_14
; %bb.4:
	v_cmp_eq_u32_e64 s[0:1], 0, v0
	s_and_saveexec_b64 s[2:3], s[0:1]
	s_cbranch_execz .LBB75_6
; %bb.5:
	v_mov_b32_e32 v26, 0
	ds_write_b32 v26, v26 offset:192
.LBB75_6:
	s_or_b64 exec, exec, s[2:3]
	v_cmp_eq_u32_e32 vcc, 1, v0
	s_waitcnt vmcnt(1)
	v_cndmask_b32_e32 v26, v3, v5, vcc
	v_cmp_eq_u32_e64 s[2:3], 2, v0
	v_cndmask_b32_e64 v26, v26, v7, s[2:3]
	v_cmp_eq_u32_e64 s[4:5], 3, v0
	v_cndmask_b32_e64 v26, v26, v9, s[4:5]
	;; [unrolled: 2-line block ×9, first 2 shown]
	v_cmp_eq_u32_e64 s[22:23], 11, v0
	s_waitcnt vmcnt(0)
	v_cndmask_b32_e64 v27, v26, v25, s[22:23]
	v_cndmask_b32_e32 v26, v2, v4, vcc
	v_cndmask_b32_e64 v26, v26, v6, s[2:3]
	v_cndmask_b32_e64 v26, v26, v8, s[4:5]
	;; [unrolled: 1-line block ×10, first 2 shown]
	v_cmp_eq_f64_e32 vcc, 0, v[26:27]
	s_waitcnt lgkmcnt(0)
	; wave barrier
	s_waitcnt lgkmcnt(0)
	s_and_saveexec_b64 s[4:5], vcc
	s_cbranch_execz .LBB75_10
; %bb.7:
	v_mov_b32_e32 v29, 0
	ds_read_b32 v31, v29 offset:192
	v_add_u32_e32 v30, 1, v0
	s_waitcnt lgkmcnt(0)
	v_readfirstlane_b32 s2, v31
	s_cmp_eq_u32 s2, 0
	s_cselect_b64 s[8:9], -1, 0
	v_cmp_gt_i32_e32 vcc, s2, v30
	s_or_b64 s[8:9], s[8:9], vcc
	s_and_b64 exec, exec, s[8:9]
	s_cbranch_execz .LBB75_10
; %bb.8:
	s_mov_b64 s[8:9], 0
	v_mov_b32_e32 v31, s2
.LBB75_9:                               ; =>This Inner Loop Header: Depth=1
	ds_cmpst_rtn_b32 v31, v29, v31, v30 offset:192
	s_waitcnt lgkmcnt(0)
	v_cmp_ne_u32_e32 vcc, 0, v31
	v_cmp_le_i32_e64 s[2:3], v31, v30
	s_and_b64 s[2:3], vcc, s[2:3]
	s_and_b64 s[2:3], exec, s[2:3]
	s_or_b64 s[8:9], s[2:3], s[8:9]
	s_andn2_b64 exec, exec, s[8:9]
	s_cbranch_execnz .LBB75_9
.LBB75_10:
	s_or_b64 exec, exec, s[4:5]
	v_mov_b32_e32 v30, 0
	s_waitcnt lgkmcnt(0)
	; wave barrier
	ds_read_b32 v29, v30 offset:192
	s_and_saveexec_b64 s[2:3], s[0:1]
	s_cbranch_execz .LBB75_12
; %bb.11:
	s_lshl_b64 s[4:5], s[6:7], 2
	s_add_u32 s4, s30, s4
	s_addc_u32 s5, s31, s5
	s_waitcnt lgkmcnt(0)
	global_store_dword v30, v29, s[4:5]
.LBB75_12:
	s_or_b64 exec, exec, s[2:3]
	s_waitcnt lgkmcnt(0)
	v_cmp_ne_u32_e32 vcc, 0, v29
	s_cbranch_vccz .LBB75_17
; %bb.13:
	s_mov_b64 s[0:1], 0
                                        ; implicit-def: $vgpr2_vgpr3_vgpr4_vgpr5_vgpr6_vgpr7_vgpr8_vgpr9_vgpr10_vgpr11_vgpr12_vgpr13_vgpr14_vgpr15_vgpr16_vgpr17_vgpr18_vgpr19_vgpr20_vgpr21_vgpr22_vgpr23_vgpr24_vgpr25_vgpr26_vgpr27_vgpr28_vgpr29_vgpr30_vgpr31_vgpr32_vgpr33
.LBB75_14:
	s_and_b64 vcc, exec, s[0:1]
	s_cbranch_vccz .LBB75_16
.LBB75_15:
	s_lshl_b64 s[0:1], s[6:7], 2
	s_add_u32 s0, s30, s0
	s_addc_u32 s1, s31, s1
	v_mov_b32_e32 v1, 0
	global_load_dword v1, v1, s[0:1]
	s_waitcnt vmcnt(0)
	v_cmp_ne_u32_e32 vcc, 0, v1
	s_cbranch_vccz .LBB75_70
.LBB75_16:
	s_endpgm
.LBB75_17:
	v_div_scale_f64 v[30:31], s[2:3], v[26:27], v[26:27], 1.0
	v_rcp_f64_e32 v[32:33], v[30:31]
	v_div_scale_f64 v[34:35], vcc, 1.0, v[26:27], 1.0
	v_fma_f64 v[36:37], -v[30:31], v[32:33], 1.0
	v_fmac_f64_e32 v[32:33], v[32:33], v[36:37]
	v_fma_f64 v[36:37], -v[30:31], v[32:33], 1.0
	v_fmac_f64_e32 v[32:33], v[32:33], v[36:37]
	v_mul_f64 v[36:37], v[34:35], v[32:33]
	v_fma_f64 v[30:31], -v[30:31], v[36:37], v[34:35]
	v_div_fmas_f64 v[30:31], v[30:31], v[32:33], v[36:37]
	v_div_fixup_f64 v[26:27], v[30:31], v[26:27], 1.0
	v_cmp_eq_u32_e32 vcc, 11, v0
	v_cndmask_b32_e32 v25, v25, v27, vcc
	v_cndmask_b32_e32 v24, v24, v26, vcc
	v_cmp_eq_u32_e32 vcc, 10, v0
	v_cndmask_b32_e32 v23, v23, v27, vcc
	v_cndmask_b32_e32 v22, v22, v26, vcc
	v_cmp_eq_u32_e32 vcc, 9, v0
	v_cndmask_b32_e32 v21, v21, v27, vcc
	v_cndmask_b32_e32 v20, v20, v26, vcc
	v_cmp_eq_u32_e32 vcc, 8, v0
	v_cndmask_b32_e32 v19, v19, v27, vcc
	v_cndmask_b32_e32 v18, v18, v26, vcc
	v_cmp_eq_u32_e32 vcc, 7, v0
	v_cndmask_b32_e32 v17, v17, v27, vcc
	v_cndmask_b32_e32 v16, v16, v26, vcc
	v_cmp_eq_u32_e32 vcc, 6, v0
	v_cndmask_b32_e32 v15, v15, v27, vcc
	v_cndmask_b32_e32 v14, v14, v26, vcc
	v_cmp_eq_u32_e32 vcc, 5, v0
	v_cndmask_b32_e32 v13, v13, v27, vcc
	v_cndmask_b32_e32 v12, v12, v26, vcc
	v_cmp_eq_u32_e32 vcc, 4, v0
	v_cndmask_b32_e32 v11, v11, v27, vcc
	v_cndmask_b32_e32 v10, v10, v26, vcc
	v_cmp_eq_u32_e32 vcc, 3, v0
	v_cndmask_b32_e32 v9, v9, v27, vcc
	v_cndmask_b32_e32 v8, v8, v26, vcc
	v_cmp_eq_u32_e32 vcc, 2, v0
	v_cndmask_b32_e32 v7, v7, v27, vcc
	v_cndmask_b32_e32 v6, v6, v26, vcc
	v_cmp_eq_u32_e32 vcc, 1, v0
	v_cndmask_b32_e32 v5, v5, v27, vcc
	v_cndmask_b32_e32 v4, v4, v26, vcc
	v_cmp_eq_u32_e32 vcc, 0, v0
	v_cndmask_b32_e32 v3, v3, v27, vcc
	v_cndmask_b32_e32 v2, v2, v26, vcc
	v_xor_b32_e32 v33, 0x80000000, v27
	v_mov_b32_e32 v32, v26
	v_add_u32_e32 v30, 0x60, v28
	ds_write2_b64 v28, v[32:33], v[4:5] offset1:12
	s_waitcnt lgkmcnt(0)
	; wave barrier
	s_waitcnt lgkmcnt(0)
	s_and_saveexec_b64 s[2:3], s[0:1]
	s_cbranch_execz .LBB75_19
; %bb.18:
	v_mov_b32_e32 v28, 0
	ds_read_b64 v[4:5], v30
	ds_read_b64 v[28:29], v28 offset:8
	s_waitcnt lgkmcnt(1)
	v_fma_f64 v[4:5], v[26:27], v[4:5], 0
	s_waitcnt lgkmcnt(0)
	v_mul_f64 v[4:5], v[4:5], v[28:29]
.LBB75_19:
	s_or_b64 exec, exec, s[2:3]
	v_cmp_gt_u32_e32 vcc, 2, v0
	s_waitcnt lgkmcnt(0)
	; wave barrier
	ds_write_b64 v30, v[6:7]
	s_waitcnt lgkmcnt(0)
	; wave barrier
	s_waitcnt lgkmcnt(0)
	s_and_saveexec_b64 s[26:27], vcc
	s_cbranch_execz .LBB75_21
; %bb.20:
	v_cmp_eq_u32_e64 s[2:3], 1, v0
	v_cndmask_b32_e64 v26, v3, v5, s[2:3]
	v_cmp_eq_u32_e64 s[4:5], 2, v0
	v_cndmask_b32_e64 v7, v26, v7, s[4:5]
	v_cndmask_b32_e64 v26, v2, v4, s[2:3]
	v_cmp_eq_u32_e64 s[8:9], 3, v0
	v_cndmask_b32_e64 v6, v26, v6, s[4:5]
	;; [unrolled: 3-line block ×7, first 2 shown]
	ds_read_b64 v[32:33], v30
	v_mov_b32_e32 v26, 0
	v_cndmask_b32_e64 v7, v7, v19, s[18:19]
	v_cmp_eq_u32_e64 s[20:21], 9, v0
	v_cndmask_b32_e64 v6, v6, v18, s[18:19]
	ds_read2_b64 v[26:29], v26 offset0:2 offset1:13
	v_cndmask_b32_e64 v7, v7, v21, s[20:21]
	v_cmp_eq_u32_e64 s[22:23], 10, v0
	v_cndmask_b32_e64 v6, v6, v20, s[20:21]
	v_cndmask_b32_e64 v7, v7, v23, s[22:23]
	v_cmp_eq_u32_e64 s[24:25], 11, v0
	v_cndmask_b32_e64 v6, v6, v22, s[22:23]
	v_cndmask_b32_e64 v7, v7, v25, s[24:25]
	v_cndmask_b32_e64 v6, v6, v24, s[24:25]
	s_waitcnt lgkmcnt(1)
	v_fma_f64 v[6:7], v[6:7], v[32:33], 0
	s_waitcnt lgkmcnt(0)
	v_fma_f64 v[28:29], v[4:5], v[28:29], v[6:7]
	v_cndmask_b32_e64 v7, v7, v29, s[0:1]
	v_cndmask_b32_e64 v6, v6, v28, s[0:1]
	v_mul_f64 v[6:7], v[6:7], v[26:27]
.LBB75_21:
	s_or_b64 exec, exec, s[26:27]
	v_cmp_gt_u32_e64 s[2:3], 3, v0
	s_waitcnt lgkmcnt(0)
	; wave barrier
	ds_write_b64 v30, v[8:9]
	s_waitcnt lgkmcnt(0)
	; wave barrier
	s_waitcnt lgkmcnt(0)
	s_and_saveexec_b64 s[10:11], s[2:3]
	s_cbranch_execz .LBB75_25
; %bb.22:
	v_mov_b32_e32 v26, 0x60
	v_lshl_add_u32 v31, v0, 3, v26
	s_mov_b64 s[12:13], 0
	v_pk_mov_b32 v[26:27], 0, 0
	v_pk_mov_b32 v[28:29], v[0:1], v[0:1] op_sel:[0,1]
.LBB75_23:                              ; =>This Inner Loop Header: Depth=1
	v_cmp_eq_u32_e64 s[2:3], 1, v28
	v_cndmask_b32_e64 v34, v3, v5, s[2:3]
	v_cmp_eq_u32_e64 s[4:5], 2, v28
	v_cndmask_b32_e64 v34, v34, v7, s[4:5]
	v_cndmask_b32_e64 v35, v2, v4, s[2:3]
	v_cmp_eq_u32_e64 s[2:3], 3, v28
	v_cndmask_b32_e64 v34, v34, v9, s[2:3]
	;; [unrolled: 3-line block ×6, first 2 shown]
	v_cndmask_b32_e64 v35, v35, v14, s[4:5]
	v_cmp_eq_u32_e64 s[4:5], 8, v28
	ds_read_b64 v[32:33], v31
	v_cndmask_b32_e64 v34, v34, v19, s[4:5]
	v_cndmask_b32_e64 v35, v35, v16, s[2:3]
	v_cmp_eq_u32_e64 s[2:3], 9, v28
	v_cndmask_b32_e64 v34, v34, v21, s[2:3]
	v_cndmask_b32_e64 v35, v35, v18, s[4:5]
	v_cmp_eq_u32_e64 s[4:5], 10, v28
	v_cndmask_b32_e64 v34, v34, v23, s[4:5]
	v_cmp_eq_u32_e64 s[8:9], 11, v28
	v_cndmask_b32_e64 v36, v35, v20, s[2:3]
	v_add_co_u32_e64 v28, s[2:3], 1, v28
	v_addc_co_u32_e64 v29, s[2:3], 0, v29, s[2:3]
	v_cndmask_b32_e64 v35, v34, v25, s[8:9]
	v_cndmask_b32_e64 v34, v36, v22, s[4:5]
	v_add_u32_e32 v36, -1, v28
	v_cndmask_b32_e64 v34, v34, v24, s[8:9]
	v_cmp_lt_u32_e64 s[2:3], 1, v36
	v_add_u32_e32 v31, 8, v31
	s_or_b64 s[12:13], s[2:3], s[12:13]
	s_waitcnt lgkmcnt(0)
	v_fmac_f64_e32 v[26:27], v[34:35], v[32:33]
	s_andn2_b64 exec, exec, s[12:13]
	s_cbranch_execnz .LBB75_23
; %bb.24:
	s_or_b64 exec, exec, s[12:13]
	v_mov_b32_e32 v8, 0
	ds_read_b64 v[8:9], v8 offset:24
	s_waitcnt lgkmcnt(0)
	v_mul_f64 v[8:9], v[26:27], v[8:9]
.LBB75_25:
	s_or_b64 exec, exec, s[10:11]
	v_cmp_gt_u32_e64 s[2:3], 4, v0
	s_waitcnt lgkmcnt(0)
	; wave barrier
	ds_write_b64 v30, v[10:11]
	s_waitcnt lgkmcnt(0)
	; wave barrier
	s_waitcnt lgkmcnt(0)
	s_and_saveexec_b64 s[12:13], s[2:3]
	s_cbranch_execz .LBB75_29
; %bb.26:
	v_mov_b32_e32 v26, 0x60
	v_lshl_add_u32 v31, v0, 3, v26
	s_mov_b64 s[14:15], 0
	v_pk_mov_b32 v[26:27], 0, 0
	v_pk_mov_b32 v[28:29], v[0:1], v[0:1] op_sel:[0,1]
.LBB75_27:                              ; =>This Inner Loop Header: Depth=1
	v_cmp_eq_u32_e64 s[4:5], 1, v28
	v_cndmask_b32_e64 v34, v3, v5, s[4:5]
	v_cmp_eq_u32_e64 s[8:9], 2, v28
	v_cndmask_b32_e64 v34, v34, v7, s[8:9]
	v_cndmask_b32_e64 v35, v2, v4, s[4:5]
	v_cmp_eq_u32_e64 s[4:5], 3, v28
	v_cndmask_b32_e64 v34, v34, v9, s[4:5]
	;; [unrolled: 3-line block ×6, first 2 shown]
	v_cndmask_b32_e64 v35, v35, v14, s[8:9]
	v_cmp_eq_u32_e64 s[8:9], 8, v28
	ds_read_b64 v[32:33], v31
	v_cndmask_b32_e64 v34, v34, v19, s[8:9]
	v_cndmask_b32_e64 v35, v35, v16, s[4:5]
	v_cmp_eq_u32_e64 s[4:5], 9, v28
	v_cndmask_b32_e64 v34, v34, v21, s[4:5]
	v_cndmask_b32_e64 v35, v35, v18, s[8:9]
	v_cmp_eq_u32_e64 s[8:9], 10, v28
	v_cndmask_b32_e64 v34, v34, v23, s[8:9]
	v_cmp_eq_u32_e64 s[10:11], 11, v28
	v_cndmask_b32_e64 v36, v35, v20, s[4:5]
	v_add_co_u32_e64 v28, s[4:5], 1, v28
	v_addc_co_u32_e64 v29, s[4:5], 0, v29, s[4:5]
	v_cndmask_b32_e64 v35, v34, v25, s[10:11]
	v_cndmask_b32_e64 v34, v36, v22, s[8:9]
	v_add_u32_e32 v36, -1, v28
	v_cndmask_b32_e64 v34, v34, v24, s[10:11]
	v_cmp_lt_u32_e64 s[4:5], 2, v36
	v_add_u32_e32 v31, 8, v31
	s_or_b64 s[14:15], s[4:5], s[14:15]
	s_waitcnt lgkmcnt(0)
	v_fmac_f64_e32 v[26:27], v[34:35], v[32:33]
	s_andn2_b64 exec, exec, s[14:15]
	s_cbranch_execnz .LBB75_27
; %bb.28:
	s_or_b64 exec, exec, s[14:15]
	v_mov_b32_e32 v10, 0
	ds_read_b64 v[10:11], v10 offset:32
	s_waitcnt lgkmcnt(0)
	v_mul_f64 v[10:11], v[26:27], v[10:11]
.LBB75_29:
	s_or_b64 exec, exec, s[12:13]
	v_cmp_gt_u32_e64 s[4:5], 5, v0
	s_waitcnt lgkmcnt(0)
	; wave barrier
	ds_write_b64 v30, v[12:13]
	s_waitcnt lgkmcnt(0)
	; wave barrier
	s_waitcnt lgkmcnt(0)
	s_and_saveexec_b64 s[12:13], s[4:5]
	s_cbranch_execz .LBB75_33
; %bb.30:
	v_mov_b32_e32 v26, 0x60
	v_lshl_add_u32 v31, v0, 3, v26
	s_mov_b64 s[14:15], 0
	v_pk_mov_b32 v[26:27], 0, 0
	v_pk_mov_b32 v[28:29], v[0:1], v[0:1] op_sel:[0,1]
.LBB75_31:                              ; =>This Inner Loop Header: Depth=1
	v_cmp_eq_u32_e64 s[4:5], 1, v28
	v_cndmask_b32_e64 v34, v3, v5, s[4:5]
	v_cmp_eq_u32_e64 s[8:9], 2, v28
	v_cndmask_b32_e64 v34, v34, v7, s[8:9]
	v_cndmask_b32_e64 v35, v2, v4, s[4:5]
	v_cmp_eq_u32_e64 s[4:5], 3, v28
	v_cndmask_b32_e64 v34, v34, v9, s[4:5]
	;; [unrolled: 3-line block ×6, first 2 shown]
	v_cndmask_b32_e64 v35, v35, v14, s[8:9]
	v_cmp_eq_u32_e64 s[8:9], 8, v28
	ds_read_b64 v[32:33], v31
	v_cndmask_b32_e64 v34, v34, v19, s[8:9]
	v_cndmask_b32_e64 v35, v35, v16, s[4:5]
	v_cmp_eq_u32_e64 s[4:5], 9, v28
	v_cndmask_b32_e64 v34, v34, v21, s[4:5]
	v_cndmask_b32_e64 v35, v35, v18, s[8:9]
	v_cmp_eq_u32_e64 s[8:9], 10, v28
	v_cndmask_b32_e64 v34, v34, v23, s[8:9]
	v_cmp_eq_u32_e64 s[10:11], 11, v28
	v_cndmask_b32_e64 v36, v35, v20, s[4:5]
	v_add_co_u32_e64 v28, s[4:5], 1, v28
	v_addc_co_u32_e64 v29, s[4:5], 0, v29, s[4:5]
	v_cndmask_b32_e64 v35, v34, v25, s[10:11]
	v_cndmask_b32_e64 v34, v36, v22, s[8:9]
	v_add_u32_e32 v36, -1, v28
	v_cndmask_b32_e64 v34, v34, v24, s[10:11]
	v_cmp_lt_u32_e64 s[4:5], 3, v36
	v_add_u32_e32 v31, 8, v31
	s_or_b64 s[14:15], s[4:5], s[14:15]
	s_waitcnt lgkmcnt(0)
	v_fmac_f64_e32 v[26:27], v[34:35], v[32:33]
	s_andn2_b64 exec, exec, s[14:15]
	s_cbranch_execnz .LBB75_31
; %bb.32:
	s_or_b64 exec, exec, s[14:15]
	v_mov_b32_e32 v12, 0
	ds_read_b64 v[12:13], v12 offset:40
	s_waitcnt lgkmcnt(0)
	v_mul_f64 v[12:13], v[26:27], v[12:13]
.LBB75_33:
	s_or_b64 exec, exec, s[12:13]
	v_cmp_gt_u32_e64 s[4:5], 6, v0
	s_waitcnt lgkmcnt(0)
	; wave barrier
	ds_write_b64 v30, v[14:15]
	s_waitcnt lgkmcnt(0)
	; wave barrier
	s_waitcnt lgkmcnt(0)
	s_and_saveexec_b64 s[14:15], s[4:5]
	s_cbranch_execz .LBB75_37
; %bb.34:
	v_mov_b32_e32 v26, 0x60
	v_lshl_add_u32 v31, v0, 3, v26
	s_mov_b64 s[16:17], 0
	v_pk_mov_b32 v[26:27], 0, 0
	v_pk_mov_b32 v[28:29], v[0:1], v[0:1] op_sel:[0,1]
.LBB75_35:                              ; =>This Inner Loop Header: Depth=1
	v_cmp_eq_u32_e64 s[8:9], 1, v28
	v_cndmask_b32_e64 v34, v3, v5, s[8:9]
	v_cmp_eq_u32_e64 s[10:11], 2, v28
	v_cndmask_b32_e64 v34, v34, v7, s[10:11]
	v_cndmask_b32_e64 v35, v2, v4, s[8:9]
	v_cmp_eq_u32_e64 s[8:9], 3, v28
	v_cndmask_b32_e64 v34, v34, v9, s[8:9]
	;; [unrolled: 3-line block ×6, first 2 shown]
	v_cndmask_b32_e64 v35, v35, v14, s[10:11]
	v_cmp_eq_u32_e64 s[10:11], 8, v28
	ds_read_b64 v[32:33], v31
	v_cndmask_b32_e64 v34, v34, v19, s[10:11]
	v_cndmask_b32_e64 v35, v35, v16, s[8:9]
	v_cmp_eq_u32_e64 s[8:9], 9, v28
	v_cndmask_b32_e64 v34, v34, v21, s[8:9]
	v_cndmask_b32_e64 v35, v35, v18, s[10:11]
	v_cmp_eq_u32_e64 s[10:11], 10, v28
	v_cndmask_b32_e64 v34, v34, v23, s[10:11]
	v_cmp_eq_u32_e64 s[12:13], 11, v28
	v_cndmask_b32_e64 v36, v35, v20, s[8:9]
	v_add_co_u32_e64 v28, s[8:9], 1, v28
	v_addc_co_u32_e64 v29, s[8:9], 0, v29, s[8:9]
	v_cndmask_b32_e64 v35, v34, v25, s[12:13]
	v_cndmask_b32_e64 v34, v36, v22, s[10:11]
	v_add_u32_e32 v36, -1, v28
	v_cndmask_b32_e64 v34, v34, v24, s[12:13]
	v_cmp_lt_u32_e64 s[8:9], 4, v36
	v_add_u32_e32 v31, 8, v31
	s_or_b64 s[16:17], s[8:9], s[16:17]
	s_waitcnt lgkmcnt(0)
	v_fmac_f64_e32 v[26:27], v[34:35], v[32:33]
	s_andn2_b64 exec, exec, s[16:17]
	s_cbranch_execnz .LBB75_35
; %bb.36:
	s_or_b64 exec, exec, s[16:17]
	v_mov_b32_e32 v14, 0
	ds_read_b64 v[14:15], v14 offset:48
	s_waitcnt lgkmcnt(0)
	v_mul_f64 v[14:15], v[26:27], v[14:15]
.LBB75_37:
	s_or_b64 exec, exec, s[14:15]
	v_cmp_gt_u32_e64 s[8:9], 7, v0
	s_waitcnt lgkmcnt(0)
	; wave barrier
	ds_write_b64 v30, v[16:17]
	s_waitcnt lgkmcnt(0)
	; wave barrier
	s_waitcnt lgkmcnt(0)
	s_and_saveexec_b64 s[14:15], s[8:9]
	s_cbranch_execz .LBB75_41
; %bb.38:
	v_mov_b32_e32 v26, 0x60
	v_lshl_add_u32 v31, v0, 3, v26
	s_mov_b64 s[16:17], 0
	v_pk_mov_b32 v[26:27], 0, 0
	v_pk_mov_b32 v[28:29], v[0:1], v[0:1] op_sel:[0,1]
.LBB75_39:                              ; =>This Inner Loop Header: Depth=1
	v_cmp_eq_u32_e64 s[8:9], 1, v28
	v_cndmask_b32_e64 v34, v3, v5, s[8:9]
	v_cmp_eq_u32_e64 s[10:11], 2, v28
	v_cndmask_b32_e64 v34, v34, v7, s[10:11]
	v_cndmask_b32_e64 v35, v2, v4, s[8:9]
	v_cmp_eq_u32_e64 s[8:9], 3, v28
	v_cndmask_b32_e64 v34, v34, v9, s[8:9]
	;; [unrolled: 3-line block ×6, first 2 shown]
	v_cndmask_b32_e64 v35, v35, v14, s[10:11]
	v_cmp_eq_u32_e64 s[10:11], 8, v28
	ds_read_b64 v[32:33], v31
	v_cndmask_b32_e64 v34, v34, v19, s[10:11]
	v_cndmask_b32_e64 v35, v35, v16, s[8:9]
	v_cmp_eq_u32_e64 s[8:9], 9, v28
	v_cndmask_b32_e64 v34, v34, v21, s[8:9]
	v_cndmask_b32_e64 v35, v35, v18, s[10:11]
	v_cmp_eq_u32_e64 s[10:11], 10, v28
	v_cndmask_b32_e64 v34, v34, v23, s[10:11]
	v_cmp_eq_u32_e64 s[12:13], 11, v28
	v_cndmask_b32_e64 v36, v35, v20, s[8:9]
	v_add_co_u32_e64 v28, s[8:9], 1, v28
	v_addc_co_u32_e64 v29, s[8:9], 0, v29, s[8:9]
	v_cndmask_b32_e64 v35, v34, v25, s[12:13]
	v_cndmask_b32_e64 v34, v36, v22, s[10:11]
	v_add_u32_e32 v36, -1, v28
	v_cndmask_b32_e64 v34, v34, v24, s[12:13]
	v_cmp_lt_u32_e64 s[8:9], 5, v36
	v_add_u32_e32 v31, 8, v31
	s_or_b64 s[16:17], s[8:9], s[16:17]
	s_waitcnt lgkmcnt(0)
	v_fmac_f64_e32 v[26:27], v[34:35], v[32:33]
	s_andn2_b64 exec, exec, s[16:17]
	s_cbranch_execnz .LBB75_39
; %bb.40:
	s_or_b64 exec, exec, s[16:17]
	v_mov_b32_e32 v16, 0
	ds_read_b64 v[16:17], v16 offset:56
	s_waitcnt lgkmcnt(0)
	v_mul_f64 v[16:17], v[26:27], v[16:17]
.LBB75_41:
	s_or_b64 exec, exec, s[14:15]
	v_cmp_gt_u32_e64 s[8:9], 8, v0
	s_waitcnt lgkmcnt(0)
	; wave barrier
	ds_write_b64 v30, v[18:19]
	s_waitcnt lgkmcnt(0)
	; wave barrier
	s_waitcnt lgkmcnt(0)
	s_and_saveexec_b64 s[38:39], s[8:9]
	s_cbranch_execz .LBB75_57
; %bb.42:
	v_cmp_eq_u32_e64 s[8:9], 1, v0
	v_cndmask_b32_e64 v26, v3, v5, s[8:9]
	v_cmp_eq_u32_e64 s[10:11], 2, v0
	v_cndmask_b32_e64 v26, v26, v7, s[10:11]
	;; [unrolled: 2-line block ×11, first 2 shown]
	v_cndmask_b32_e64 v26, v2, v4, s[8:9]
	v_cndmask_b32_e64 v26, v26, v6, s[10:11]
	;; [unrolled: 1-line block ×7, first 2 shown]
	ds_read_b64 v[28:29], v30
	v_cndmask_b32_e64 v26, v26, v18, s[22:23]
	v_cndmask_b32_e64 v26, v26, v20, s[24:25]
	;; [unrolled: 1-line block ×4, first 2 shown]
	s_waitcnt lgkmcnt(0)
	v_fma_f64 v[26:27], v[26:27], v[28:29], 0
	v_cmp_ne_u32_e64 s[8:9], 7, v0
	s_and_saveexec_b64 s[40:41], s[8:9]
	s_cbranch_execz .LBB75_56
; %bb.43:
	v_add_u32_e32 v28, 1, v0
	v_cmp_eq_u32_e64 s[8:9], 1, v28
	v_cndmask_b32_e64 v29, v3, v5, s[8:9]
	v_cmp_eq_u32_e64 s[10:11], 2, v28
	v_cmp_eq_u32_e64 s[12:13], 3, v28
	;; [unrolled: 1-line block ×10, first 2 shown]
	v_cndmask_b32_e64 v28, v2, v4, s[8:9]
	v_cndmask_b32_e64 v29, v29, v7, s[10:11]
	;; [unrolled: 1-line block ×13, first 2 shown]
	ds_read_b64 v[32:33], v30 offset:8
	v_cndmask_b32_e64 v29, v29, v19, s[22:23]
	v_cndmask_b32_e64 v28, v28, v18, s[22:23]
	;; [unrolled: 1-line block ×8, first 2 shown]
	s_waitcnt lgkmcnt(0)
	v_fmac_f64_e32 v[26:27], v[28:29], v[32:33]
	s_and_saveexec_b64 s[28:29], s[4:5]
	s_cbranch_execz .LBB75_55
; %bb.44:
	v_add_u32_e32 v28, 2, v0
	v_cmp_eq_u32_e64 s[4:5], 1, v28
	v_cndmask_b32_e64 v29, v3, v5, s[4:5]
	v_cmp_eq_u32_e64 s[8:9], 2, v28
	v_cmp_eq_u32_e64 s[10:11], 3, v28
	;; [unrolled: 1-line block ×10, first 2 shown]
	v_cndmask_b32_e64 v28, v2, v4, s[4:5]
	v_cndmask_b32_e64 v29, v29, v7, s[8:9]
	;; [unrolled: 1-line block ×13, first 2 shown]
	ds_read_b64 v[32:33], v30 offset:16
	v_cndmask_b32_e64 v29, v29, v19, s[20:21]
	v_cndmask_b32_e64 v28, v28, v18, s[20:21]
	v_cndmask_b32_e64 v29, v29, v21, s[22:23]
	v_cndmask_b32_e64 v28, v28, v20, s[22:23]
	v_cndmask_b32_e64 v29, v29, v23, s[24:25]
	v_cndmask_b32_e64 v28, v28, v22, s[24:25]
	v_cndmask_b32_e64 v29, v29, v25, s[26:27]
	v_cndmask_b32_e64 v28, v28, v24, s[26:27]
	s_waitcnt lgkmcnt(0)
	v_fmac_f64_e32 v[26:27], v[28:29], v[32:33]
	v_cmp_ne_u32_e64 s[4:5], 5, v0
	s_and_saveexec_b64 s[42:43], s[4:5]
	s_cbranch_execz .LBB75_54
; %bb.45:
	v_add_u32_e32 v28, 3, v0
	v_cmp_eq_u32_e64 s[4:5], 1, v28
	v_cndmask_b32_e64 v29, v3, v5, s[4:5]
	v_cmp_eq_u32_e64 s[8:9], 2, v28
	v_cmp_eq_u32_e64 s[10:11], 3, v28
	v_cmp_eq_u32_e64 s[12:13], 4, v28
	v_cmp_eq_u32_e64 s[14:15], 5, v28
	v_cmp_eq_u32_e64 s[16:17], 6, v28
	v_cmp_eq_u32_e64 s[18:19], 7, v28
	v_cmp_eq_u32_e64 s[20:21], 8, v28
	v_cmp_eq_u32_e64 s[22:23], 9, v28
	v_cmp_eq_u32_e64 s[24:25], 10, v28
	v_cmp_eq_u32_e64 s[26:27], 11, v28
	v_cndmask_b32_e64 v28, v2, v4, s[4:5]
	v_cndmask_b32_e64 v29, v29, v7, s[8:9]
	;; [unrolled: 1-line block ×13, first 2 shown]
	ds_read_b64 v[32:33], v30 offset:24
	v_cndmask_b32_e64 v29, v29, v19, s[20:21]
	v_cndmask_b32_e64 v28, v28, v18, s[20:21]
	;; [unrolled: 1-line block ×8, first 2 shown]
	s_waitcnt lgkmcnt(0)
	v_fmac_f64_e32 v[26:27], v[28:29], v[32:33]
	s_and_saveexec_b64 s[26:27], s[2:3]
	s_cbranch_execz .LBB75_53
; %bb.46:
	v_or_b32_e32 v28, 4, v0
	v_cmp_eq_u32_e64 s[2:3], 1, v28
	v_cndmask_b32_e64 v29, v3, v5, s[2:3]
	v_cmp_eq_u32_e64 s[4:5], 2, v28
	v_cmp_eq_u32_e64 s[8:9], 3, v28
	;; [unrolled: 1-line block ×10, first 2 shown]
	v_cndmask_b32_e64 v28, v2, v4, s[2:3]
	v_cndmask_b32_e64 v29, v29, v7, s[4:5]
	;; [unrolled: 1-line block ×13, first 2 shown]
	ds_read_b64 v[32:33], v30 offset:32
	v_cndmask_b32_e64 v29, v29, v19, s[18:19]
	v_cndmask_b32_e64 v28, v28, v18, s[18:19]
	;; [unrolled: 1-line block ×8, first 2 shown]
	s_waitcnt lgkmcnt(0)
	v_fmac_f64_e32 v[26:27], v[28:29], v[32:33]
	v_cmp_ne_u32_e64 s[2:3], 3, v0
	s_and_saveexec_b64 s[44:45], s[2:3]
	s_cbranch_execz .LBB75_52
; %bb.47:
	v_add_u32_e32 v28, 5, v0
	v_cmp_eq_u32_e64 s[2:3], 1, v28
	v_cndmask_b32_e64 v29, v3, v5, s[2:3]
	v_cmp_eq_u32_e64 s[4:5], 2, v28
	v_cmp_eq_u32_e64 s[8:9], 3, v28
	v_cmp_eq_u32_e64 s[10:11], 4, v28
	v_cmp_eq_u32_e64 s[12:13], 5, v28
	v_cmp_eq_u32_e64 s[14:15], 6, v28
	v_cmp_eq_u32_e64 s[16:17], 7, v28
	v_cmp_eq_u32_e64 s[18:19], 8, v28
	v_cmp_eq_u32_e64 s[20:21], 9, v28
	v_cmp_eq_u32_e64 s[22:23], 10, v28
	v_cmp_eq_u32_e64 s[24:25], 11, v28
	v_cndmask_b32_e64 v28, v2, v4, s[2:3]
	v_cndmask_b32_e64 v29, v29, v7, s[4:5]
	v_cndmask_b32_e64 v28, v28, v6, s[4:5]
	v_cndmask_b32_e64 v29, v29, v9, s[8:9]
	v_cndmask_b32_e64 v28, v28, v8, s[8:9]
	v_cndmask_b32_e64 v29, v29, v11, s[10:11]
	v_cndmask_b32_e64 v28, v28, v10, s[10:11]
	v_cndmask_b32_e64 v29, v29, v13, s[12:13]
	v_cndmask_b32_e64 v28, v28, v12, s[12:13]
	v_cndmask_b32_e64 v29, v29, v15, s[14:15]
	v_cndmask_b32_e64 v28, v28, v14, s[14:15]
	v_cndmask_b32_e64 v29, v29, v17, s[16:17]
	v_cndmask_b32_e64 v28, v28, v16, s[16:17]
	ds_read_b64 v[32:33], v30 offset:40
	v_cndmask_b32_e64 v29, v29, v19, s[18:19]
	v_cndmask_b32_e64 v28, v28, v18, s[18:19]
	;; [unrolled: 1-line block ×8, first 2 shown]
	s_waitcnt lgkmcnt(0)
	v_fmac_f64_e32 v[26:27], v[28:29], v[32:33]
	s_and_saveexec_b64 s[24:25], vcc
	s_cbranch_execz .LBB75_51
; %bb.48:
	v_or_b32_e32 v28, 6, v0
	v_cmp_eq_u32_e32 vcc, 1, v28
	v_cndmask_b32_e32 v29, v3, v5, vcc
	v_cmp_eq_u32_e64 s[2:3], 2, v28
	v_cndmask_b32_e64 v29, v29, v7, s[2:3]
	v_cmp_eq_u32_e64 s[4:5], 3, v28
	v_cmp_eq_u32_e64 s[8:9], 4, v28
	;; [unrolled: 1-line block ×9, first 2 shown]
	v_cndmask_b32_e32 v28, v2, v4, vcc
	v_cndmask_b32_e64 v29, v29, v9, s[4:5]
	v_cndmask_b32_e64 v28, v28, v6, s[2:3]
	v_cndmask_b32_e64 v29, v29, v11, s[8:9]
	v_cndmask_b32_e64 v28, v28, v8, s[4:5]
	v_cndmask_b32_e64 v29, v29, v13, s[10:11]
	v_cndmask_b32_e64 v28, v28, v10, s[8:9]
	v_cndmask_b32_e64 v29, v29, v15, s[12:13]
	v_cndmask_b32_e64 v28, v28, v12, s[10:11]
	v_cndmask_b32_e64 v29, v29, v17, s[14:15]
	v_cndmask_b32_e64 v28, v28, v14, s[12:13]
	v_cndmask_b32_e64 v19, v29, v19, s[16:17]
	v_cndmask_b32_e64 v31, v28, v16, s[14:15]
	ds_read_b64 v[28:29], v30 offset:48
	v_cndmask_b32_e64 v18, v31, v18, s[16:17]
	v_cndmask_b32_e64 v19, v19, v21, s[18:19]
	;; [unrolled: 1-line block ×7, first 2 shown]
	s_waitcnt lgkmcnt(0)
	v_fmac_f64_e32 v[26:27], v[18:19], v[28:29]
	s_and_saveexec_b64 s[2:3], s[0:1]
	s_cbranch_execz .LBB75_50
; %bb.49:
	ds_read_b64 v[18:19], v30 offset:56
	s_waitcnt lgkmcnt(0)
	v_fmac_f64_e32 v[26:27], v[16:17], v[18:19]
.LBB75_50:
	s_or_b64 exec, exec, s[2:3]
.LBB75_51:
	s_or_b64 exec, exec, s[24:25]
.LBB75_52:
	s_or_b64 exec, exec, s[44:45]
.LBB75_53:
	s_or_b64 exec, exec, s[26:27]
.LBB75_54:
	s_or_b64 exec, exec, s[42:43]
.LBB75_55:
	s_or_b64 exec, exec, s[28:29]
.LBB75_56:
	s_or_b64 exec, exec, s[40:41]
	v_mov_b32_e32 v18, 0
	ds_read_b64 v[18:19], v18 offset:64
	s_waitcnt lgkmcnt(0)
	v_mul_f64 v[18:19], v[26:27], v[18:19]
.LBB75_57:
	s_or_b64 exec, exec, s[38:39]
	v_cmp_gt_u32_e32 vcc, 9, v0
	s_waitcnt lgkmcnt(0)
	; wave barrier
	ds_write_b64 v30, v[20:21]
	s_waitcnt lgkmcnt(0)
	; wave barrier
	s_waitcnt lgkmcnt(0)
	s_and_saveexec_b64 s[4:5], vcc
	s_cbranch_execz .LBB75_61
; %bb.58:
	v_mov_b32_e32 v26, 0x60
	v_lshl_add_u32 v31, v0, 3, v26
	s_mov_b64 s[8:9], 0
	v_pk_mov_b32 v[26:27], 0, 0
	v_pk_mov_b32 v[28:29], v[0:1], v[0:1] op_sel:[0,1]
.LBB75_59:                              ; =>This Inner Loop Header: Depth=1
	v_cmp_eq_u32_e32 vcc, 1, v28
	v_cndmask_b32_e32 v34, v3, v5, vcc
	v_cmp_eq_u32_e64 s[0:1], 2, v28
	v_cndmask_b32_e64 v34, v34, v7, s[0:1]
	v_cndmask_b32_e32 v35, v2, v4, vcc
	v_cmp_eq_u32_e32 vcc, 3, v28
	v_cndmask_b32_e32 v34, v34, v9, vcc
	v_cndmask_b32_e64 v35, v35, v6, s[0:1]
	v_cmp_eq_u32_e64 s[0:1], 4, v28
	v_cndmask_b32_e64 v34, v34, v11, s[0:1]
	v_cndmask_b32_e32 v35, v35, v8, vcc
	v_cmp_eq_u32_e32 vcc, 5, v28
	v_cndmask_b32_e32 v34, v34, v13, vcc
	v_cndmask_b32_e64 v35, v35, v10, s[0:1]
	;; [unrolled: 6-line block ×3, first 2 shown]
	v_cmp_eq_u32_e64 s[0:1], 8, v28
	ds_read_b64 v[32:33], v31
	v_cndmask_b32_e64 v34, v34, v19, s[0:1]
	v_cndmask_b32_e32 v35, v35, v16, vcc
	v_cmp_eq_u32_e32 vcc, 9, v28
	v_cndmask_b32_e32 v34, v34, v21, vcc
	v_cndmask_b32_e64 v35, v35, v18, s[0:1]
	v_cmp_eq_u32_e64 s[0:1], 10, v28
	v_cndmask_b32_e64 v34, v34, v23, s[0:1]
	v_cmp_eq_u32_e64 s[2:3], 11, v28
	v_cndmask_b32_e32 v36, v35, v20, vcc
	v_add_co_u32_e32 v28, vcc, 1, v28
	v_addc_co_u32_e32 v29, vcc, 0, v29, vcc
	v_cndmask_b32_e64 v35, v34, v25, s[2:3]
	v_cndmask_b32_e64 v34, v36, v22, s[0:1]
	v_add_u32_e32 v36, -1, v28
	v_cndmask_b32_e64 v34, v34, v24, s[2:3]
	v_cmp_lt_u32_e32 vcc, 7, v36
	v_add_u32_e32 v31, 8, v31
	s_or_b64 s[8:9], vcc, s[8:9]
	s_waitcnt lgkmcnt(0)
	v_fmac_f64_e32 v[26:27], v[34:35], v[32:33]
	s_andn2_b64 exec, exec, s[8:9]
	s_cbranch_execnz .LBB75_59
; %bb.60:
	s_or_b64 exec, exec, s[8:9]
	v_mov_b32_e32 v20, 0
	ds_read_b64 v[20:21], v20 offset:72
	s_waitcnt lgkmcnt(0)
	v_mul_f64 v[20:21], v[26:27], v[20:21]
.LBB75_61:
	s_or_b64 exec, exec, s[4:5]
	v_cmp_gt_u32_e32 vcc, 10, v0
	s_waitcnt lgkmcnt(0)
	; wave barrier
	ds_write_b64 v30, v[22:23]
	s_waitcnt lgkmcnt(0)
	; wave barrier
	s_waitcnt lgkmcnt(0)
	s_and_saveexec_b64 s[4:5], vcc
	s_cbranch_execz .LBB75_65
; %bb.62:
	v_mov_b32_e32 v26, 0x60
	v_lshl_add_u32 v31, v0, 3, v26
	s_mov_b64 s[8:9], 0
	v_pk_mov_b32 v[26:27], 0, 0
	v_pk_mov_b32 v[28:29], v[0:1], v[0:1] op_sel:[0,1]
.LBB75_63:                              ; =>This Inner Loop Header: Depth=1
	v_cmp_eq_u32_e32 vcc, 1, v28
	v_cndmask_b32_e32 v34, v3, v5, vcc
	v_cmp_eq_u32_e64 s[0:1], 2, v28
	v_cndmask_b32_e64 v34, v34, v7, s[0:1]
	v_cndmask_b32_e32 v35, v2, v4, vcc
	v_cmp_eq_u32_e32 vcc, 3, v28
	v_cndmask_b32_e32 v34, v34, v9, vcc
	v_cndmask_b32_e64 v35, v35, v6, s[0:1]
	v_cmp_eq_u32_e64 s[0:1], 4, v28
	v_cndmask_b32_e64 v34, v34, v11, s[0:1]
	v_cndmask_b32_e32 v35, v35, v8, vcc
	v_cmp_eq_u32_e32 vcc, 5, v28
	v_cndmask_b32_e32 v34, v34, v13, vcc
	v_cndmask_b32_e64 v35, v35, v10, s[0:1]
	;; [unrolled: 6-line block ×3, first 2 shown]
	v_cmp_eq_u32_e64 s[0:1], 8, v28
	ds_read_b64 v[32:33], v31
	v_cndmask_b32_e64 v34, v34, v19, s[0:1]
	v_cndmask_b32_e32 v35, v35, v16, vcc
	v_cmp_eq_u32_e32 vcc, 9, v28
	v_cndmask_b32_e32 v34, v34, v21, vcc
	v_cndmask_b32_e64 v35, v35, v18, s[0:1]
	v_cmp_eq_u32_e64 s[0:1], 10, v28
	v_cndmask_b32_e64 v34, v34, v23, s[0:1]
	v_cmp_eq_u32_e64 s[2:3], 11, v28
	v_cndmask_b32_e32 v36, v35, v20, vcc
	v_add_co_u32_e32 v28, vcc, 1, v28
	v_addc_co_u32_e32 v29, vcc, 0, v29, vcc
	v_cndmask_b32_e64 v35, v34, v25, s[2:3]
	v_cndmask_b32_e64 v34, v36, v22, s[0:1]
	v_add_u32_e32 v36, -1, v28
	v_cndmask_b32_e64 v34, v34, v24, s[2:3]
	v_cmp_lt_u32_e32 vcc, 8, v36
	v_add_u32_e32 v31, 8, v31
	s_or_b64 s[8:9], vcc, s[8:9]
	s_waitcnt lgkmcnt(0)
	v_fmac_f64_e32 v[26:27], v[34:35], v[32:33]
	s_andn2_b64 exec, exec, s[8:9]
	s_cbranch_execnz .LBB75_63
; %bb.64:
	s_or_b64 exec, exec, s[8:9]
	v_mov_b32_e32 v22, 0
	ds_read_b64 v[22:23], v22 offset:80
	s_waitcnt lgkmcnt(0)
	v_mul_f64 v[22:23], v[26:27], v[22:23]
.LBB75_65:
	s_or_b64 exec, exec, s[4:5]
	v_cmp_ne_u32_e32 vcc, 11, v0
	s_waitcnt lgkmcnt(0)
	; wave barrier
	ds_write_b64 v30, v[24:25]
	s_waitcnt lgkmcnt(0)
	; wave barrier
	s_waitcnt lgkmcnt(0)
	s_and_saveexec_b64 s[4:5], vcc
	s_cbranch_execz .LBB75_69
; %bb.66:
	v_mov_b32_e32 v26, 0x60
	v_lshl_add_u32 v30, v0, 3, v26
	s_mov_b64 s[8:9], 0
	v_pk_mov_b32 v[26:27], 0, 0
	v_pk_mov_b32 v[28:29], v[0:1], v[0:1] op_sel:[0,1]
.LBB75_67:                              ; =>This Inner Loop Header: Depth=1
	v_cmp_eq_u32_e32 vcc, 1, v28
	v_cndmask_b32_e32 v1, v3, v5, vcc
	v_cmp_eq_u32_e64 s[0:1], 2, v28
	v_cndmask_b32_e64 v1, v1, v7, s[0:1]
	v_cndmask_b32_e32 v31, v2, v4, vcc
	v_cmp_eq_u32_e32 vcc, 3, v28
	v_cndmask_b32_e32 v1, v1, v9, vcc
	v_cndmask_b32_e64 v31, v31, v6, s[0:1]
	v_cmp_eq_u32_e64 s[0:1], 4, v28
	v_cndmask_b32_e64 v1, v1, v11, s[0:1]
	v_cndmask_b32_e32 v31, v31, v8, vcc
	v_cmp_eq_u32_e32 vcc, 5, v28
	v_cndmask_b32_e32 v1, v1, v13, vcc
	v_cndmask_b32_e64 v31, v31, v10, s[0:1]
	;; [unrolled: 6-line block ×3, first 2 shown]
	v_cmp_eq_u32_e64 s[0:1], 8, v28
	ds_read_b64 v[32:33], v30
	v_cndmask_b32_e64 v1, v1, v19, s[0:1]
	v_cndmask_b32_e32 v31, v31, v16, vcc
	v_cmp_eq_u32_e32 vcc, 9, v28
	v_cndmask_b32_e32 v1, v1, v21, vcc
	v_cndmask_b32_e64 v31, v31, v18, s[0:1]
	v_cmp_eq_u32_e64 s[0:1], 10, v28
	v_cndmask_b32_e64 v1, v1, v23, s[0:1]
	v_cmp_eq_u32_e64 s[2:3], 11, v28
	v_cndmask_b32_e32 v31, v31, v20, vcc
	v_add_co_u32_e32 v28, vcc, 1, v28
	v_addc_co_u32_e32 v29, vcc, 0, v29, vcc
	v_cndmask_b32_e64 v35, v1, v25, s[2:3]
	v_cndmask_b32_e64 v1, v31, v22, s[0:1]
	v_add_u32_e32 v31, -1, v28
	v_cndmask_b32_e64 v34, v1, v24, s[2:3]
	v_cmp_lt_u32_e32 vcc, 9, v31
	v_add_u32_e32 v30, 8, v30
	s_or_b64 s[8:9], vcc, s[8:9]
	s_waitcnt lgkmcnt(0)
	v_fmac_f64_e32 v[26:27], v[34:35], v[32:33]
	s_andn2_b64 exec, exec, s[8:9]
	s_cbranch_execnz .LBB75_67
; %bb.68:
	s_or_b64 exec, exec, s[8:9]
	v_mov_b32_e32 v1, 0
	ds_read_b64 v[24:25], v1 offset:88
	s_waitcnt lgkmcnt(0)
	v_mul_f64 v[24:25], v[26:27], v[24:25]
.LBB75_69:
	s_or_b64 exec, exec, s[4:5]
	s_waitcnt lgkmcnt(0)
	; wave barrier
	s_cbranch_execnz .LBB75_15
	s_branch .LBB75_16
.LBB75_70:
	v_mov_b32_e32 v1, 0x60
	v_lshl_add_u32 v1, v0, 3, v1
	v_cmp_eq_u32_e32 vcc, 11, v0
	s_and_saveexec_b64 s[0:1], vcc
	s_cbranch_execz .LBB75_72
; %bb.71:
	ds_write_b64 v1, v[22:23]
	v_mov_b32_e32 v22, 0
	v_mov_b32_e32 v23, v22
.LBB75_72:
	s_or_b64 exec, exec, s[0:1]
	v_mov_b32_e32 v44, 0
	s_waitcnt lgkmcnt(0)
	; wave barrier
	s_waitcnt lgkmcnt(0)
	ds_read_b64 v[26:27], v44 offset:184
	v_cmp_lt_u32_e32 vcc, 9, v0
	s_waitcnt lgkmcnt(0)
	v_fma_f64 v[26:27], v[24:25], v[26:27], 0
	v_add_f64 v[22:23], v[22:23], -v[26:27]
	s_and_saveexec_b64 s[0:1], vcc
	s_cbranch_execz .LBB75_74
; %bb.73:
	v_mov_b32_e32 v26, v2
	v_mov_b32_e32 v27, v3
	;; [unrolled: 1-line block ×23, first 2 shown]
	ds_write_b64 v1, v[20:21]
	v_pk_mov_b32 v[2:3], v[26:27], v[26:27] op_sel:[0,1]
	v_pk_mov_b32 v[4:5], v[28:29], v[28:29] op_sel:[0,1]
	v_pk_mov_b32 v[6:7], v[30:31], v[30:31] op_sel:[0,1]
	v_pk_mov_b32 v[8:9], v[32:33], v[32:33] op_sel:[0,1]
	v_pk_mov_b32 v[10:11], v[34:35], v[34:35] op_sel:[0,1]
	v_pk_mov_b32 v[12:13], v[36:37], v[36:37] op_sel:[0,1]
	v_pk_mov_b32 v[14:15], v[38:39], v[38:39] op_sel:[0,1]
	v_pk_mov_b32 v[16:17], v[40:41], v[40:41] op_sel:[0,1]
	v_pk_mov_b32 v[18:19], v[42:43], v[42:43] op_sel:[0,1]
	v_pk_mov_b32 v[20:21], v[44:45], v[44:45] op_sel:[0,1]
	v_pk_mov_b32 v[22:23], v[46:47], v[46:47] op_sel:[0,1]
	v_pk_mov_b32 v[24:25], v[48:49], v[48:49] op_sel:[0,1]
	v_pk_mov_b32 v[26:27], v[50:51], v[50:51] op_sel:[0,1]
	v_pk_mov_b32 v[28:29], v[52:53], v[52:53] op_sel:[0,1]
	v_pk_mov_b32 v[30:31], v[54:55], v[54:55] op_sel:[0,1]
	v_pk_mov_b32 v[32:33], v[56:57], v[56:57] op_sel:[0,1]
.LBB75_74:
	s_or_b64 exec, exec, s[0:1]
	s_waitcnt lgkmcnt(0)
	; wave barrier
	s_waitcnt lgkmcnt(0)
	ds_read_b128 v[26:29], v44 offset:176
	v_cmp_lt_u32_e32 vcc, 8, v0
	s_waitcnt lgkmcnt(0)
	v_fma_f64 v[26:27], v[22:23], v[26:27], 0
	v_fmac_f64_e32 v[26:27], v[24:25], v[28:29]
	v_add_f64 v[20:21], v[20:21], -v[26:27]
	s_and_saveexec_b64 s[0:1], vcc
	s_cbranch_execz .LBB75_76
; %bb.75:
	v_mov_b32_e32 v42, 0
	v_mov_b32_e32 v26, v2
	;; [unrolled: 1-line block ×24, first 2 shown]
	ds_write_b64 v1, v[18:19]
	v_pk_mov_b32 v[2:3], v[26:27], v[26:27] op_sel:[0,1]
	v_pk_mov_b32 v[4:5], v[28:29], v[28:29] op_sel:[0,1]
	;; [unrolled: 1-line block ×16, first 2 shown]
.LBB75_76:
	s_or_b64 exec, exec, s[0:1]
	v_mov_b32_e32 v40, 0
	s_waitcnt lgkmcnt(0)
	; wave barrier
	s_waitcnt lgkmcnt(0)
	ds_read2_b64 v[26:29], v40 offset0:21 offset1:22
	ds_read_b64 v[30:31], v40 offset:184
	v_cmp_lt_u32_e32 vcc, 7, v0
	s_waitcnt lgkmcnt(1)
	v_fma_f64 v[26:27], v[20:21], v[26:27], 0
	v_fmac_f64_e32 v[26:27], v[22:23], v[28:29]
	s_waitcnt lgkmcnt(0)
	v_fmac_f64_e32 v[26:27], v[24:25], v[30:31]
	v_add_f64 v[18:19], v[18:19], -v[26:27]
	s_and_saveexec_b64 s[0:1], vcc
	s_cbranch_execz .LBB75_78
; %bb.77:
	v_mov_b32_e32 v26, v2
	v_mov_b32_e32 v27, v3
	;; [unrolled: 1-line block ×23, first 2 shown]
	ds_write_b64 v1, v[16:17]
	v_pk_mov_b32 v[2:3], v[26:27], v[26:27] op_sel:[0,1]
	v_pk_mov_b32 v[4:5], v[28:29], v[28:29] op_sel:[0,1]
	;; [unrolled: 1-line block ×16, first 2 shown]
.LBB75_78:
	s_or_b64 exec, exec, s[0:1]
	s_waitcnt lgkmcnt(0)
	; wave barrier
	s_waitcnt lgkmcnt(0)
	ds_read_b128 v[26:29], v40 offset:160
	ds_read_b128 v[30:33], v40 offset:176
	v_cmp_lt_u32_e32 vcc, 6, v0
	s_waitcnt lgkmcnt(1)
	v_fma_f64 v[26:27], v[18:19], v[26:27], 0
	v_fmac_f64_e32 v[26:27], v[20:21], v[28:29]
	s_waitcnt lgkmcnt(0)
	v_fmac_f64_e32 v[26:27], v[22:23], v[30:31]
	v_fmac_f64_e32 v[26:27], v[24:25], v[32:33]
	v_add_f64 v[16:17], v[16:17], -v[26:27]
	s_and_saveexec_b64 s[0:1], vcc
	s_cbranch_execz .LBB75_80
; %bb.79:
	v_mov_b32_e32 v38, 0
	v_mov_b32_e32 v26, v2
	;; [unrolled: 1-line block ×24, first 2 shown]
	ds_write_b64 v1, v[14:15]
	v_pk_mov_b32 v[2:3], v[26:27], v[26:27] op_sel:[0,1]
	v_pk_mov_b32 v[4:5], v[28:29], v[28:29] op_sel:[0,1]
	;; [unrolled: 1-line block ×16, first 2 shown]
.LBB75_80:
	s_or_b64 exec, exec, s[0:1]
	v_mov_b32_e32 v36, 0
	s_waitcnt lgkmcnt(0)
	; wave barrier
	s_waitcnt lgkmcnt(0)
	ds_read2_b64 v[26:29], v36 offset0:19 offset1:20
	ds_read2_b64 v[30:33], v36 offset0:21 offset1:22
	ds_read_b64 v[34:35], v36 offset:184
	v_cmp_lt_u32_e32 vcc, 5, v0
	s_waitcnt lgkmcnt(2)
	v_fma_f64 v[26:27], v[16:17], v[26:27], 0
	v_fmac_f64_e32 v[26:27], v[18:19], v[28:29]
	s_waitcnt lgkmcnt(1)
	v_fmac_f64_e32 v[26:27], v[20:21], v[30:31]
	v_fmac_f64_e32 v[26:27], v[22:23], v[32:33]
	s_waitcnt lgkmcnt(0)
	v_fmac_f64_e32 v[26:27], v[24:25], v[34:35]
	v_add_f64 v[14:15], v[14:15], -v[26:27]
	s_and_saveexec_b64 s[0:1], vcc
	s_cbranch_execz .LBB75_82
; %bb.81:
	v_mov_b32_e32 v26, v2
	v_mov_b32_e32 v27, v3
	;; [unrolled: 1-line block ×23, first 2 shown]
	ds_write_b64 v1, v[12:13]
	v_pk_mov_b32 v[2:3], v[26:27], v[26:27] op_sel:[0,1]
	v_pk_mov_b32 v[4:5], v[28:29], v[28:29] op_sel:[0,1]
	;; [unrolled: 1-line block ×16, first 2 shown]
.LBB75_82:
	s_or_b64 exec, exec, s[0:1]
	s_waitcnt lgkmcnt(0)
	; wave barrier
	s_waitcnt lgkmcnt(0)
	ds_read_b128 v[26:29], v36 offset:144
	ds_read_b128 v[30:33], v36 offset:160
	;; [unrolled: 1-line block ×3, first 2 shown]
	v_cmp_lt_u32_e32 vcc, 4, v0
	s_waitcnt lgkmcnt(2)
	v_fma_f64 v[26:27], v[14:15], v[26:27], 0
	v_fmac_f64_e32 v[26:27], v[16:17], v[28:29]
	s_waitcnt lgkmcnt(1)
	v_fmac_f64_e32 v[26:27], v[18:19], v[30:31]
	v_fmac_f64_e32 v[26:27], v[20:21], v[32:33]
	s_waitcnt lgkmcnt(0)
	v_fmac_f64_e32 v[26:27], v[22:23], v[34:35]
	v_fmac_f64_e32 v[26:27], v[24:25], v[36:37]
	v_add_f64 v[12:13], v[12:13], -v[26:27]
	s_and_saveexec_b64 s[0:1], vcc
	s_cbranch_execz .LBB75_84
; %bb.83:
	v_mov_b32_e32 v34, 0
	v_mov_b32_e32 v26, v2
	;; [unrolled: 1-line block ×24, first 2 shown]
	ds_write_b64 v1, v[10:11]
	v_pk_mov_b32 v[2:3], v[26:27], v[26:27] op_sel:[0,1]
	v_pk_mov_b32 v[4:5], v[28:29], v[28:29] op_sel:[0,1]
	;; [unrolled: 1-line block ×16, first 2 shown]
.LBB75_84:
	s_or_b64 exec, exec, s[0:1]
	v_mov_b32_e32 v34, 0
	s_waitcnt lgkmcnt(0)
	; wave barrier
	s_waitcnt lgkmcnt(0)
	ds_read2_b64 v[26:29], v34 offset0:17 offset1:18
	ds_read2_b64 v[30:33], v34 offset0:19 offset1:20
	;; [unrolled: 1-line block ×3, first 2 shown]
	v_cmp_lt_u32_e32 vcc, 3, v0
	s_waitcnt lgkmcnt(2)
	v_fma_f64 v[26:27], v[12:13], v[26:27], 0
	v_fmac_f64_e32 v[26:27], v[14:15], v[28:29]
	ds_read_b64 v[28:29], v34 offset:184
	s_waitcnt lgkmcnt(2)
	v_fmac_f64_e32 v[26:27], v[16:17], v[30:31]
	v_fmac_f64_e32 v[26:27], v[18:19], v[32:33]
	s_waitcnt lgkmcnt(1)
	v_fmac_f64_e32 v[26:27], v[20:21], v[36:37]
	v_fmac_f64_e32 v[26:27], v[22:23], v[38:39]
	s_waitcnt lgkmcnt(0)
	v_fmac_f64_e32 v[26:27], v[24:25], v[28:29]
	v_add_f64 v[10:11], v[10:11], -v[26:27]
	s_and_saveexec_b64 s[0:1], vcc
	s_cbranch_execz .LBB75_86
; %bb.85:
	v_mov_b32_e32 v28, v2
	v_mov_b32_e32 v29, v3
	v_mov_b32_e32 v30, v4
	v_mov_b32_e32 v31, v5
	v_mov_b32_e32 v32, v6
	v_mov_b32_e32 v33, v7
	v_mov_b32_e32 v35, v34
	v_mov_b32_e32 v36, v10
	v_mov_b32_e32 v37, v11
	v_mov_b32_e32 v38, v12
	v_mov_b32_e32 v39, v13
	v_mov_b32_e32 v40, v14
	v_mov_b32_e32 v41, v15
	v_mov_b32_e32 v42, v16
	v_mov_b32_e32 v43, v17
	v_mov_b32_e32 v44, v18
	v_mov_b32_e32 v45, v19
	v_mov_b32_e32 v46, v20
	v_mov_b32_e32 v47, v21
	v_mov_b32_e32 v48, v22
	v_mov_b32_e32 v49, v23
	v_mov_b32_e32 v50, v24
	v_mov_b32_e32 v51, v25
	ds_write_b64 v1, v[8:9]
	v_pk_mov_b32 v[2:3], v[28:29], v[28:29] op_sel:[0,1]
	v_pk_mov_b32 v[4:5], v[30:31], v[30:31] op_sel:[0,1]
	;; [unrolled: 1-line block ×16, first 2 shown]
.LBB75_86:
	s_or_b64 exec, exec, s[0:1]
	s_waitcnt lgkmcnt(0)
	; wave barrier
	s_waitcnt lgkmcnt(0)
	ds_read_b128 v[26:29], v34 offset:128
	ds_read_b128 v[30:33], v34 offset:144
	;; [unrolled: 1-line block ×4, first 2 shown]
	v_cmp_lt_u32_e32 vcc, 2, v0
	s_waitcnt lgkmcnt(3)
	v_fma_f64 v[26:27], v[10:11], v[26:27], 0
	v_fmac_f64_e32 v[26:27], v[12:13], v[28:29]
	s_waitcnt lgkmcnt(2)
	v_fmac_f64_e32 v[26:27], v[14:15], v[30:31]
	v_fmac_f64_e32 v[26:27], v[16:17], v[32:33]
	s_waitcnt lgkmcnt(1)
	v_fmac_f64_e32 v[26:27], v[18:19], v[36:37]
	v_fmac_f64_e32 v[26:27], v[20:21], v[38:39]
	s_waitcnt lgkmcnt(0)
	v_fmac_f64_e32 v[26:27], v[22:23], v[40:41]
	v_fmac_f64_e32 v[26:27], v[24:25], v[42:43]
	v_add_f64 v[8:9], v[8:9], -v[26:27]
	s_and_saveexec_b64 s[0:1], vcc
	s_cbranch_execz .LBB75_88
; %bb.87:
	v_mov_b32_e32 v30, 0
	v_mov_b32_e32 v26, v2
	;; [unrolled: 1-line block ×24, first 2 shown]
	ds_write_b64 v1, v[6:7]
	v_pk_mov_b32 v[2:3], v[26:27], v[26:27] op_sel:[0,1]
	v_pk_mov_b32 v[4:5], v[28:29], v[28:29] op_sel:[0,1]
	;; [unrolled: 1-line block ×16, first 2 shown]
.LBB75_88:
	s_or_b64 exec, exec, s[0:1]
	v_mov_b32_e32 v34, 0
	s_waitcnt lgkmcnt(0)
	; wave barrier
	s_waitcnt lgkmcnt(0)
	ds_read2_b64 v[26:29], v34 offset0:15 offset1:16
	ds_read2_b64 v[30:33], v34 offset0:17 offset1:18
	v_cmp_lt_u32_e32 vcc, 1, v0
	ds_read2_b64 v[36:39], v34 offset0:21 offset1:22
	s_waitcnt lgkmcnt(2)
	v_fma_f64 v[40:41], v[8:9], v[26:27], 0
	v_fmac_f64_e32 v[40:41], v[10:11], v[28:29]
	ds_read2_b64 v[26:29], v34 offset0:19 offset1:20
	s_waitcnt lgkmcnt(2)
	v_fmac_f64_e32 v[40:41], v[12:13], v[30:31]
	v_fmac_f64_e32 v[40:41], v[14:15], v[32:33]
	ds_read_b64 v[30:31], v34 offset:184
	s_waitcnt lgkmcnt(1)
	v_fmac_f64_e32 v[40:41], v[16:17], v[26:27]
	v_fmac_f64_e32 v[40:41], v[18:19], v[28:29]
	;; [unrolled: 1-line block ×4, first 2 shown]
	s_waitcnt lgkmcnt(0)
	v_fmac_f64_e32 v[40:41], v[24:25], v[30:31]
	v_add_f64 v[6:7], v[6:7], -v[40:41]
	s_and_saveexec_b64 s[0:1], vcc
	s_cbranch_execz .LBB75_90
; %bb.89:
	v_mov_b32_e32 v32, v2
	v_mov_b32_e32 v33, v3
	;; [unrolled: 1-line block ×25, first 2 shown]
	ds_write_b64 v1, v[2:3]
	v_pk_mov_b32 v[2:3], v[32:33], v[32:33] op_sel:[0,1]
	v_pk_mov_b32 v[4:5], v[34:35], v[34:35] op_sel:[0,1]
	;; [unrolled: 1-line block ×16, first 2 shown]
.LBB75_90:
	s_or_b64 exec, exec, s[0:1]
	s_waitcnt lgkmcnt(0)
	; wave barrier
	s_waitcnt lgkmcnt(0)
	ds_read_b128 v[26:29], v34 offset:112
	ds_read_b128 v[30:33], v34 offset:128
	;; [unrolled: 1-line block ×4, first 2 shown]
	v_cmp_ne_u32_e32 vcc, 0, v0
	s_waitcnt lgkmcnt(3)
	v_fma_f64 v[44:45], v[6:7], v[26:27], 0
	v_fmac_f64_e32 v[44:45], v[8:9], v[28:29]
	s_waitcnt lgkmcnt(2)
	v_fmac_f64_e32 v[44:45], v[10:11], v[30:31]
	v_fmac_f64_e32 v[44:45], v[12:13], v[32:33]
	ds_read_b128 v[26:29], v34 offset:176
	s_waitcnt lgkmcnt(2)
	v_fmac_f64_e32 v[44:45], v[14:15], v[36:37]
	v_fmac_f64_e32 v[44:45], v[16:17], v[38:39]
	s_waitcnt lgkmcnt(1)
	v_fmac_f64_e32 v[44:45], v[18:19], v[40:41]
	v_fmac_f64_e32 v[44:45], v[20:21], v[42:43]
	;; [unrolled: 3-line block ×3, first 2 shown]
	v_add_f64 v[4:5], v[4:5], -v[44:45]
	s_and_saveexec_b64 s[0:1], vcc
	s_cbranch_execz .LBB75_92
; %bb.91:
	v_mov_b32_e32 v26, 0
	v_mov_b32_e32 v29, v5
	;; [unrolled: 1-line block ×24, first 2 shown]
	ds_write_b64 v1, v[2:3]
	v_pk_mov_b32 v[2:3], v[26:27], v[26:27] op_sel:[0,1]
	v_pk_mov_b32 v[4:5], v[28:29], v[28:29] op_sel:[0,1]
	;; [unrolled: 1-line block ×16, first 2 shown]
.LBB75_92:
	s_or_b64 exec, exec, s[0:1]
	v_mov_b32_e32 v38, 0
	s_waitcnt lgkmcnt(0)
	; wave barrier
	s_waitcnt lgkmcnt(0)
	ds_read2_b64 v[26:29], v38 offset0:13 offset1:14
	ds_read2_b64 v[30:33], v38 offset0:15 offset1:16
	;; [unrolled: 1-line block ×3, first 2 shown]
	s_and_b64 vcc, exec, s[36:37]
	s_waitcnt lgkmcnt(2)
	v_fma_f64 v[0:1], v[4:5], v[26:27], 0
	v_fmac_f64_e32 v[0:1], v[6:7], v[28:29]
	ds_read2_b64 v[26:29], v38 offset0:19 offset1:20
	s_waitcnt lgkmcnt(2)
	v_fmac_f64_e32 v[0:1], v[8:9], v[30:31]
	v_fmac_f64_e32 v[0:1], v[10:11], v[32:33]
	ds_read2_b64 v[30:33], v38 offset0:21 offset1:22
	s_waitcnt lgkmcnt(2)
	v_fmac_f64_e32 v[0:1], v[12:13], v[34:35]
	ds_read_b64 v[34:35], v38 offset:184
	v_fmac_f64_e32 v[0:1], v[14:15], v[36:37]
	s_waitcnt lgkmcnt(2)
	v_fmac_f64_e32 v[0:1], v[16:17], v[26:27]
	v_fmac_f64_e32 v[0:1], v[18:19], v[28:29]
	s_waitcnt lgkmcnt(1)
	v_fmac_f64_e32 v[0:1], v[20:21], v[30:31]
	;; [unrolled: 3-line block ×3, first 2 shown]
	v_add_f64 v[2:3], v[2:3], -v[0:1]
	s_cbranch_vccz .LBB75_116
; %bb.93:
	v_pk_mov_b32 v[0:1], s[34:35], s[34:35] op_sel:[0,1]
	flat_load_dword v0, v[0:1] offset:40
	s_waitcnt vmcnt(0) lgkmcnt(0)
	v_add_u32_e32 v0, -1, v0
	v_cmp_ne_u32_e32 vcc, 10, v0
	s_and_saveexec_b64 s[20:21], vcc
	s_cbranch_execz .LBB75_95
; %bb.94:
	v_cmp_eq_u32_e32 vcc, 1, v0
	v_cndmask_b32_e32 v1, v2, v4, vcc
	v_cmp_eq_u32_e64 s[0:1], 2, v0
	v_cndmask_b32_e32 v26, v3, v5, vcc
	v_cndmask_b32_e64 v1, v1, v6, s[0:1]
	v_cmp_eq_u32_e64 s[2:3], 3, v0
	v_cndmask_b32_e64 v26, v26, v7, s[0:1]
	v_cndmask_b32_e64 v1, v1, v8, s[2:3]
	v_cmp_eq_u32_e64 s[4:5], 4, v0
	v_cndmask_b32_e64 v26, v26, v9, s[2:3]
	;; [unrolled: 3-line block ×9, first 2 shown]
	v_cndmask_b32_e64 v1, v1, v24, s[18:19]
	v_cndmask_b32_e64 v26, v26, v25, s[18:19]
	;; [unrolled: 1-line block ×4, first 2 shown]
	v_cndmask_b32_e32 v25, v5, v23, vcc
	v_cndmask_b32_e32 v24, v4, v22, vcc
	v_cmp_eq_u32_e32 vcc, 0, v0
	v_cndmask_b32_e64 v43, v26, v23, s[16:17]
	v_cndmask_b32_e64 v42, v1, v22, s[16:17]
	;; [unrolled: 1-line block ×18, first 2 shown]
	v_cndmask_b32_e32 v23, v3, v23, vcc
	v_cndmask_b32_e32 v22, v2, v22, vcc
	v_pk_mov_b32 v[2:3], v[22:23], v[22:23] op_sel:[0,1]
	v_pk_mov_b32 v[4:5], v[24:25], v[24:25] op_sel:[0,1]
	;; [unrolled: 1-line block ×16, first 2 shown]
.LBB75_95:
	s_or_b64 exec, exec, s[20:21]
	v_pk_mov_b32 v[0:1], s[34:35], s[34:35] op_sel:[0,1]
	flat_load_dword v0, v[0:1] offset:36
	s_waitcnt vmcnt(0) lgkmcnt(0)
	v_add_u32_e32 v0, -1, v0
	v_cmp_ne_u32_e32 vcc, 9, v0
	s_and_saveexec_b64 s[20:21], vcc
	s_cbranch_execz .LBB75_97
; %bb.96:
	v_cmp_eq_u32_e32 vcc, 1, v0
	v_cndmask_b32_e32 v1, v2, v4, vcc
	v_cmp_eq_u32_e64 s[0:1], 2, v0
	v_cndmask_b32_e32 v26, v3, v5, vcc
	v_cndmask_b32_e64 v1, v1, v6, s[0:1]
	v_cmp_eq_u32_e64 s[2:3], 3, v0
	v_cndmask_b32_e64 v26, v26, v7, s[0:1]
	v_cndmask_b32_e64 v1, v1, v8, s[2:3]
	v_cmp_eq_u32_e64 s[4:5], 4, v0
	v_cndmask_b32_e64 v26, v26, v9, s[2:3]
	;; [unrolled: 3-line block ×9, first 2 shown]
	v_cndmask_b32_e64 v1, v1, v24, s[18:19]
	v_cndmask_b32_e64 v26, v26, v25, s[18:19]
	;; [unrolled: 1-line block ×4, first 2 shown]
	v_cndmask_b32_e32 v23, v5, v21, vcc
	v_cndmask_b32_e32 v22, v4, v20, vcc
	v_cmp_eq_u32_e32 vcc, 0, v0
	v_cndmask_b32_e64 v39, v26, v21, s[14:15]
	v_cndmask_b32_e64 v38, v1, v20, s[14:15]
	;; [unrolled: 1-line block ×18, first 2 shown]
	v_cndmask_b32_e32 v21, v3, v21, vcc
	v_cndmask_b32_e32 v20, v2, v20, vcc
	v_pk_mov_b32 v[2:3], v[20:21], v[20:21] op_sel:[0,1]
	v_pk_mov_b32 v[4:5], v[22:23], v[22:23] op_sel:[0,1]
	v_pk_mov_b32 v[6:7], v[24:25], v[24:25] op_sel:[0,1]
	v_pk_mov_b32 v[8:9], v[26:27], v[26:27] op_sel:[0,1]
	v_pk_mov_b32 v[10:11], v[28:29], v[28:29] op_sel:[0,1]
	v_pk_mov_b32 v[12:13], v[30:31], v[30:31] op_sel:[0,1]
	v_pk_mov_b32 v[14:15], v[32:33], v[32:33] op_sel:[0,1]
	v_pk_mov_b32 v[16:17], v[34:35], v[34:35] op_sel:[0,1]
	v_pk_mov_b32 v[18:19], v[36:37], v[36:37] op_sel:[0,1]
	v_pk_mov_b32 v[20:21], v[38:39], v[38:39] op_sel:[0,1]
	v_pk_mov_b32 v[22:23], v[40:41], v[40:41] op_sel:[0,1]
	v_pk_mov_b32 v[24:25], v[42:43], v[42:43] op_sel:[0,1]
	v_pk_mov_b32 v[26:27], v[44:45], v[44:45] op_sel:[0,1]
	v_pk_mov_b32 v[28:29], v[46:47], v[46:47] op_sel:[0,1]
	v_pk_mov_b32 v[30:31], v[48:49], v[48:49] op_sel:[0,1]
	v_pk_mov_b32 v[32:33], v[50:51], v[50:51] op_sel:[0,1]
.LBB75_97:
	s_or_b64 exec, exec, s[20:21]
	v_pk_mov_b32 v[0:1], s[34:35], s[34:35] op_sel:[0,1]
	flat_load_dword v0, v[0:1] offset:32
	s_waitcnt vmcnt(0) lgkmcnt(0)
	v_add_u32_e32 v0, -1, v0
	v_cmp_ne_u32_e32 vcc, 8, v0
	s_and_saveexec_b64 s[20:21], vcc
	s_cbranch_execz .LBB75_99
; %bb.98:
	v_cmp_eq_u32_e32 vcc, 1, v0
	v_cndmask_b32_e32 v1, v2, v4, vcc
	v_cmp_eq_u32_e64 s[0:1], 2, v0
	v_cndmask_b32_e32 v26, v3, v5, vcc
	v_cndmask_b32_e64 v1, v1, v6, s[0:1]
	v_cmp_eq_u32_e64 s[2:3], 3, v0
	v_cndmask_b32_e64 v26, v26, v7, s[0:1]
	v_cndmask_b32_e64 v1, v1, v8, s[2:3]
	v_cmp_eq_u32_e64 s[4:5], 4, v0
	v_cndmask_b32_e64 v26, v26, v9, s[2:3]
	;; [unrolled: 3-line block ×9, first 2 shown]
	v_cndmask_b32_e64 v1, v1, v24, s[18:19]
	v_cndmask_b32_e64 v26, v26, v25, s[18:19]
	;; [unrolled: 1-line block ×4, first 2 shown]
	v_cndmask_b32_e32 v21, v5, v19, vcc
	v_cndmask_b32_e32 v20, v4, v18, vcc
	v_cmp_eq_u32_e32 vcc, 0, v0
	v_cndmask_b32_e64 v35, v26, v19, s[12:13]
	v_cndmask_b32_e64 v34, v1, v18, s[12:13]
	;; [unrolled: 1-line block ×18, first 2 shown]
	v_cndmask_b32_e32 v19, v3, v19, vcc
	v_cndmask_b32_e32 v18, v2, v18, vcc
	v_pk_mov_b32 v[2:3], v[18:19], v[18:19] op_sel:[0,1]
	v_pk_mov_b32 v[4:5], v[20:21], v[20:21] op_sel:[0,1]
	;; [unrolled: 1-line block ×16, first 2 shown]
.LBB75_99:
	s_or_b64 exec, exec, s[20:21]
	v_pk_mov_b32 v[0:1], s[34:35], s[34:35] op_sel:[0,1]
	flat_load_dword v0, v[0:1] offset:28
	s_waitcnt vmcnt(0) lgkmcnt(0)
	v_add_u32_e32 v0, -1, v0
	v_cmp_ne_u32_e32 vcc, 7, v0
	s_and_saveexec_b64 s[20:21], vcc
	s_cbranch_execz .LBB75_101
; %bb.100:
	v_cmp_eq_u32_e32 vcc, 1, v0
	v_cndmask_b32_e32 v1, v2, v4, vcc
	v_cmp_eq_u32_e64 s[0:1], 2, v0
	v_cndmask_b32_e32 v26, v3, v5, vcc
	v_cndmask_b32_e64 v1, v1, v6, s[0:1]
	v_cmp_eq_u32_e64 s[2:3], 3, v0
	v_cndmask_b32_e64 v26, v26, v7, s[0:1]
	v_cndmask_b32_e64 v1, v1, v8, s[2:3]
	v_cmp_eq_u32_e64 s[4:5], 4, v0
	v_cndmask_b32_e64 v26, v26, v9, s[2:3]
	;; [unrolled: 3-line block ×9, first 2 shown]
	v_cndmask_b32_e64 v1, v1, v24, s[18:19]
	v_cndmask_b32_e64 v26, v26, v25, s[18:19]
	v_cndmask_b32_e64 v33, v19, v17, s[12:13]
	v_cndmask_b32_e64 v32, v18, v16, s[12:13]
	v_cndmask_b32_e32 v19, v5, v17, vcc
	v_cndmask_b32_e32 v18, v4, v16, vcc
	v_cmp_eq_u32_e32 vcc, 0, v0
	v_cndmask_b32_e64 v31, v26, v17, s[10:11]
	v_cndmask_b32_e64 v30, v1, v16, s[10:11]
	;; [unrolled: 1-line block ×18, first 2 shown]
	v_cndmask_b32_e32 v17, v3, v17, vcc
	v_cndmask_b32_e32 v16, v2, v16, vcc
	v_pk_mov_b32 v[2:3], v[16:17], v[16:17] op_sel:[0,1]
	v_pk_mov_b32 v[4:5], v[18:19], v[18:19] op_sel:[0,1]
	;; [unrolled: 1-line block ×16, first 2 shown]
.LBB75_101:
	s_or_b64 exec, exec, s[20:21]
	v_pk_mov_b32 v[0:1], s[34:35], s[34:35] op_sel:[0,1]
	flat_load_dword v0, v[0:1] offset:24
	s_waitcnt vmcnt(0) lgkmcnt(0)
	v_add_u32_e32 v0, -1, v0
	v_cmp_ne_u32_e32 vcc, 6, v0
	s_and_saveexec_b64 s[20:21], vcc
	s_cbranch_execz .LBB75_103
; %bb.102:
	v_cmp_eq_u32_e32 vcc, 1, v0
	v_cndmask_b32_e32 v1, v2, v4, vcc
	v_cmp_eq_u32_e64 s[0:1], 2, v0
	v_cndmask_b32_e32 v26, v3, v5, vcc
	v_cndmask_b32_e64 v1, v1, v6, s[0:1]
	v_cmp_eq_u32_e64 s[2:3], 3, v0
	v_cndmask_b32_e64 v26, v26, v7, s[0:1]
	v_cndmask_b32_e64 v1, v1, v8, s[2:3]
	v_cmp_eq_u32_e64 s[4:5], 4, v0
	v_cndmask_b32_e64 v26, v26, v9, s[2:3]
	;; [unrolled: 3-line block ×9, first 2 shown]
	v_cndmask_b32_e64 v1, v1, v24, s[18:19]
	v_cndmask_b32_e64 v26, v26, v25, s[18:19]
	v_cndmask_b32_e64 v29, v17, v15, s[10:11]
	v_cndmask_b32_e64 v28, v16, v14, s[10:11]
	v_cndmask_b32_e32 v17, v5, v15, vcc
	v_cndmask_b32_e32 v16, v4, v14, vcc
	v_cmp_eq_u32_e32 vcc, 0, v0
	v_cndmask_b32_e64 v27, v26, v15, s[8:9]
	v_cndmask_b32_e64 v26, v1, v14, s[8:9]
	;; [unrolled: 1-line block ×18, first 2 shown]
	v_cndmask_b32_e32 v15, v3, v15, vcc
	v_cndmask_b32_e32 v14, v2, v14, vcc
	v_pk_mov_b32 v[2:3], v[14:15], v[14:15] op_sel:[0,1]
	v_pk_mov_b32 v[4:5], v[16:17], v[16:17] op_sel:[0,1]
	;; [unrolled: 1-line block ×16, first 2 shown]
.LBB75_103:
	s_or_b64 exec, exec, s[20:21]
	v_pk_mov_b32 v[0:1], s[34:35], s[34:35] op_sel:[0,1]
	flat_load_dword v0, v[0:1] offset:20
	s_waitcnt vmcnt(0) lgkmcnt(0)
	v_add_u32_e32 v0, -1, v0
	v_cmp_ne_u32_e32 vcc, 5, v0
	s_and_saveexec_b64 s[20:21], vcc
	s_cbranch_execz .LBB75_105
; %bb.104:
	v_cmp_eq_u32_e32 vcc, 1, v0
	v_cndmask_b32_e32 v1, v2, v4, vcc
	v_cmp_eq_u32_e64 s[0:1], 2, v0
	v_cndmask_b32_e32 v26, v3, v5, vcc
	v_cndmask_b32_e64 v1, v1, v6, s[0:1]
	v_cmp_eq_u32_e64 s[2:3], 3, v0
	v_cndmask_b32_e64 v26, v26, v7, s[0:1]
	v_cndmask_b32_e64 v1, v1, v8, s[2:3]
	v_cmp_eq_u32_e64 s[4:5], 4, v0
	v_cndmask_b32_e64 v26, v26, v9, s[2:3]
	v_cndmask_b32_e64 v1, v1, v10, s[4:5]
	v_cmp_eq_u32_e64 s[6:7], 5, v0
	v_cndmask_b32_e64 v26, v26, v11, s[4:5]
	v_cndmask_b32_e64 v1, v1, v12, s[6:7]
	v_cmp_eq_u32_e64 s[8:9], 6, v0
	v_cndmask_b32_e64 v26, v26, v13, s[6:7]
	v_cndmask_b32_e64 v1, v1, v14, s[8:9]
	v_cmp_eq_u32_e64 s[10:11], 7, v0
	v_cndmask_b32_e64 v26, v26, v15, s[8:9]
	v_cndmask_b32_e64 v1, v1, v16, s[10:11]
	v_cmp_eq_u32_e64 s[12:13], 8, v0
	v_cndmask_b32_e64 v26, v26, v17, s[10:11]
	v_cndmask_b32_e64 v1, v1, v18, s[12:13]
	v_cmp_eq_u32_e64 s[14:15], 9, v0
	v_cndmask_b32_e64 v26, v26, v19, s[12:13]
	v_cndmask_b32_e64 v1, v1, v20, s[14:15]
	v_cmp_eq_u32_e64 s[16:17], 10, v0
	v_cndmask_b32_e64 v26, v26, v21, s[14:15]
	v_cndmask_b32_e64 v1, v1, v22, s[16:17]
	v_cmp_eq_u32_e64 s[18:19], 11, v0
	v_cndmask_b32_e64 v26, v26, v23, s[16:17]
	v_cndmask_b32_e64 v1, v1, v24, s[18:19]
	v_cndmask_b32_e64 v26, v26, v25, s[18:19]
	;; [unrolled: 1-line block ×4, first 2 shown]
	v_cndmask_b32_e32 v19, v5, v13, vcc
	v_cndmask_b32_e32 v18, v4, v12, vcc
	v_cmp_eq_u32_e32 vcc, 0, v0
	v_cndmask_b32_e64 v27, v26, v13, s[6:7]
	v_cndmask_b32_e64 v26, v1, v12, s[6:7]
	;; [unrolled: 1-line block ×18, first 2 shown]
	v_cndmask_b32_e32 v17, v3, v13, vcc
	v_cndmask_b32_e32 v16, v2, v12, vcc
	v_pk_mov_b32 v[2:3], v[16:17], v[16:17] op_sel:[0,1]
	v_pk_mov_b32 v[4:5], v[18:19], v[18:19] op_sel:[0,1]
	;; [unrolled: 1-line block ×16, first 2 shown]
.LBB75_105:
	s_or_b64 exec, exec, s[20:21]
	v_pk_mov_b32 v[0:1], s[34:35], s[34:35] op_sel:[0,1]
	flat_load_dword v0, v[0:1] offset:16
	s_waitcnt vmcnt(0) lgkmcnt(0)
	v_add_u32_e32 v0, -1, v0
	v_cmp_ne_u32_e32 vcc, 4, v0
	s_and_saveexec_b64 s[20:21], vcc
	s_cbranch_execz .LBB75_107
; %bb.106:
	v_cmp_eq_u32_e32 vcc, 1, v0
	v_cndmask_b32_e32 v1, v2, v4, vcc
	v_cmp_eq_u32_e64 s[0:1], 2, v0
	v_cndmask_b32_e32 v26, v3, v5, vcc
	v_cndmask_b32_e64 v1, v1, v6, s[0:1]
	v_cmp_eq_u32_e64 s[2:3], 3, v0
	v_cndmask_b32_e64 v26, v26, v7, s[0:1]
	v_cndmask_b32_e64 v1, v1, v8, s[2:3]
	v_cmp_eq_u32_e64 s[4:5], 4, v0
	v_cndmask_b32_e64 v26, v26, v9, s[2:3]
	;; [unrolled: 3-line block ×9, first 2 shown]
	v_cndmask_b32_e64 v1, v1, v24, s[18:19]
	v_cndmask_b32_e64 v26, v26, v25, s[18:19]
	;; [unrolled: 1-line block ×4, first 2 shown]
	v_cndmask_b32_e32 v21, v5, v11, vcc
	v_cndmask_b32_e32 v20, v4, v10, vcc
	v_cmp_eq_u32_e32 vcc, 0, v0
	v_cndmask_b32_e64 v27, v26, v11, s[4:5]
	v_cndmask_b32_e64 v26, v1, v10, s[4:5]
	;; [unrolled: 1-line block ×18, first 2 shown]
	v_cndmask_b32_e32 v19, v3, v11, vcc
	v_cndmask_b32_e32 v18, v2, v10, vcc
	v_pk_mov_b32 v[2:3], v[18:19], v[18:19] op_sel:[0,1]
	v_pk_mov_b32 v[4:5], v[20:21], v[20:21] op_sel:[0,1]
	;; [unrolled: 1-line block ×16, first 2 shown]
.LBB75_107:
	s_or_b64 exec, exec, s[20:21]
	v_pk_mov_b32 v[0:1], s[34:35], s[34:35] op_sel:[0,1]
	flat_load_dword v0, v[0:1] offset:12
	s_waitcnt vmcnt(0) lgkmcnt(0)
	v_add_u32_e32 v0, -1, v0
	v_cmp_ne_u32_e32 vcc, 3, v0
	s_and_saveexec_b64 s[20:21], vcc
	s_cbranch_execz .LBB75_109
; %bb.108:
	v_cmp_eq_u32_e32 vcc, 1, v0
	v_cndmask_b32_e32 v1, v2, v4, vcc
	v_cmp_eq_u32_e64 s[0:1], 2, v0
	v_cndmask_b32_e32 v26, v3, v5, vcc
	v_cndmask_b32_e64 v1, v1, v6, s[0:1]
	v_cmp_eq_u32_e64 s[2:3], 3, v0
	v_cndmask_b32_e64 v26, v26, v7, s[0:1]
	v_cndmask_b32_e64 v1, v1, v8, s[2:3]
	v_cmp_eq_u32_e64 s[4:5], 4, v0
	v_cndmask_b32_e64 v26, v26, v9, s[2:3]
	;; [unrolled: 3-line block ×9, first 2 shown]
	v_cndmask_b32_e64 v1, v1, v24, s[18:19]
	v_cndmask_b32_e64 v26, v26, v25, s[18:19]
	;; [unrolled: 1-line block ×4, first 2 shown]
	v_cndmask_b32_e32 v23, v5, v9, vcc
	v_cndmask_b32_e32 v22, v4, v8, vcc
	v_cmp_eq_u32_e32 vcc, 0, v0
	v_cndmask_b32_e64 v27, v26, v9, s[2:3]
	v_cndmask_b32_e64 v26, v1, v8, s[2:3]
	;; [unrolled: 1-line block ×14, first 2 shown]
	v_cndmask_b32_e32 v21, v3, v9, vcc
	v_cndmask_b32_e32 v20, v2, v8, vcc
	v_cndmask_b32_e64 v37, v19, v9, s[12:13]
	v_cndmask_b32_e64 v36, v18, v8, s[12:13]
	;; [unrolled: 1-line block ×4, first 2 shown]
	v_pk_mov_b32 v[2:3], v[20:21], v[20:21] op_sel:[0,1]
	v_pk_mov_b32 v[4:5], v[22:23], v[22:23] op_sel:[0,1]
	;; [unrolled: 1-line block ×16, first 2 shown]
.LBB75_109:
	s_or_b64 exec, exec, s[20:21]
	v_pk_mov_b32 v[0:1], s[34:35], s[34:35] op_sel:[0,1]
	flat_load_dword v0, v[0:1] offset:8
	s_waitcnt vmcnt(0) lgkmcnt(0)
	v_add_u32_e32 v0, -1, v0
	v_cmp_ne_u32_e32 vcc, 2, v0
	s_and_saveexec_b64 s[20:21], vcc
	s_cbranch_execz .LBB75_111
; %bb.110:
	v_cmp_eq_u32_e32 vcc, 1, v0
	v_cndmask_b32_e32 v1, v2, v4, vcc
	v_cmp_eq_u32_e64 s[0:1], 2, v0
	v_cndmask_b32_e32 v26, v3, v5, vcc
	v_cndmask_b32_e64 v1, v1, v6, s[0:1]
	v_cmp_eq_u32_e64 s[2:3], 3, v0
	v_cndmask_b32_e64 v26, v26, v7, s[0:1]
	v_cndmask_b32_e64 v1, v1, v8, s[2:3]
	v_cmp_eq_u32_e64 s[4:5], 4, v0
	v_cndmask_b32_e64 v26, v26, v9, s[2:3]
	;; [unrolled: 3-line block ×9, first 2 shown]
	v_cndmask_b32_e64 v1, v1, v24, s[18:19]
	v_cndmask_b32_e64 v26, v26, v25, s[18:19]
	;; [unrolled: 1-line block ×4, first 2 shown]
	v_cndmask_b32_e32 v25, v5, v7, vcc
	v_cndmask_b32_e32 v24, v4, v6, vcc
	v_cmp_eq_u32_e32 vcc, 0, v0
	v_cndmask_b32_e64 v27, v26, v7, s[0:1]
	v_cndmask_b32_e64 v26, v1, v6, s[0:1]
	;; [unrolled: 1-line block ×10, first 2 shown]
	v_cndmask_b32_e32 v23, v3, v7, vcc
	v_cndmask_b32_e32 v22, v2, v6, vcc
	v_cndmask_b32_e64 v41, v21, v7, s[14:15]
	v_cndmask_b32_e64 v40, v20, v6, s[14:15]
	;; [unrolled: 1-line block ×8, first 2 shown]
	v_pk_mov_b32 v[2:3], v[22:23], v[22:23] op_sel:[0,1]
	v_pk_mov_b32 v[4:5], v[24:25], v[24:25] op_sel:[0,1]
	v_pk_mov_b32 v[6:7], v[26:27], v[26:27] op_sel:[0,1]
	v_pk_mov_b32 v[8:9], v[28:29], v[28:29] op_sel:[0,1]
	v_pk_mov_b32 v[10:11], v[30:31], v[30:31] op_sel:[0,1]
	v_pk_mov_b32 v[12:13], v[32:33], v[32:33] op_sel:[0,1]
	v_pk_mov_b32 v[14:15], v[34:35], v[34:35] op_sel:[0,1]
	v_pk_mov_b32 v[16:17], v[36:37], v[36:37] op_sel:[0,1]
	v_pk_mov_b32 v[18:19], v[38:39], v[38:39] op_sel:[0,1]
	v_pk_mov_b32 v[20:21], v[40:41], v[40:41] op_sel:[0,1]
	v_pk_mov_b32 v[22:23], v[42:43], v[42:43] op_sel:[0,1]
	v_pk_mov_b32 v[24:25], v[44:45], v[44:45] op_sel:[0,1]
	v_pk_mov_b32 v[26:27], v[46:47], v[46:47] op_sel:[0,1]
	v_pk_mov_b32 v[28:29], v[48:49], v[48:49] op_sel:[0,1]
	v_pk_mov_b32 v[30:31], v[50:51], v[50:51] op_sel:[0,1]
	v_pk_mov_b32 v[32:33], v[52:53], v[52:53] op_sel:[0,1]
.LBB75_111:
	s_or_b64 exec, exec, s[20:21]
	v_pk_mov_b32 v[0:1], s[34:35], s[34:35] op_sel:[0,1]
	flat_load_dword v0, v[0:1] offset:4
	s_waitcnt vmcnt(0) lgkmcnt(0)
	v_add_u32_e32 v0, -1, v0
	v_cmp_ne_u32_e32 vcc, 1, v0
	s_and_saveexec_b64 s[20:21], vcc
	s_cbranch_execz .LBB75_113
; %bb.112:
	v_cmp_eq_u32_e32 vcc, 1, v0
	v_cndmask_b32_e32 v1, v2, v4, vcc
	v_cmp_eq_u32_e64 s[0:1], 2, v0
	v_cndmask_b32_e32 v26, v3, v5, vcc
	v_cndmask_b32_e64 v1, v1, v6, s[0:1]
	v_cmp_eq_u32_e64 s[2:3], 3, v0
	v_cndmask_b32_e64 v26, v26, v7, s[0:1]
	v_cndmask_b32_e64 v1, v1, v8, s[2:3]
	v_cmp_eq_u32_e64 s[4:5], 4, v0
	v_cndmask_b32_e64 v26, v26, v9, s[2:3]
	;; [unrolled: 3-line block ×9, first 2 shown]
	v_cndmask_b32_e64 v1, v1, v24, s[18:19]
	v_cndmask_b32_e64 v26, v26, v25, s[18:19]
	v_cndmask_b32_e32 v27, v26, v5, vcc
	v_cndmask_b32_e32 v26, v1, v4, vcc
	v_cmp_eq_u32_e32 vcc, 0, v0
	v_cndmask_b32_e64 v47, v25, v5, s[18:19]
	v_cndmask_b32_e64 v46, v24, v4, s[18:19]
	;; [unrolled: 1-line block ×8, first 2 shown]
	v_cndmask_b32_e32 v25, v3, v5, vcc
	v_cndmask_b32_e32 v24, v2, v4, vcc
	v_cndmask_b32_e64 v45, v23, v5, s[16:17]
	v_cndmask_b32_e64 v44, v22, v4, s[16:17]
	;; [unrolled: 1-line block ×12, first 2 shown]
	v_pk_mov_b32 v[2:3], v[24:25], v[24:25] op_sel:[0,1]
	v_pk_mov_b32 v[4:5], v[26:27], v[26:27] op_sel:[0,1]
	;; [unrolled: 1-line block ×16, first 2 shown]
.LBB75_113:
	s_or_b64 exec, exec, s[20:21]
	v_pk_mov_b32 v[0:1], s[34:35], s[34:35] op_sel:[0,1]
	flat_load_dword v0, v[0:1]
	s_waitcnt vmcnt(0) lgkmcnt(0)
	v_add_u32_e32 v0, -1, v0
	v_cmp_ne_u32_e32 vcc, 0, v0
	s_and_saveexec_b64 s[22:23], vcc
	s_cbranch_execz .LBB75_115
; %bb.114:
	v_cmp_eq_u32_e32 vcc, 1, v0
	v_cndmask_b32_e32 v1, v2, v4, vcc
	v_cmp_eq_u32_e64 s[0:1], 2, v0
	v_cndmask_b32_e32 v26, v3, v5, vcc
	v_cndmask_b32_e64 v1, v1, v6, s[0:1]
	v_cmp_eq_u32_e64 s[2:3], 3, v0
	v_cndmask_b32_e64 v26, v26, v7, s[0:1]
	v_cndmask_b32_e64 v1, v1, v8, s[2:3]
	v_cmp_eq_u32_e64 s[4:5], 4, v0
	v_cndmask_b32_e64 v26, v26, v9, s[2:3]
	;; [unrolled: 3-line block ×9, first 2 shown]
	v_cndmask_b32_e64 v1, v1, v24, s[18:19]
	v_cndmask_b32_e64 v26, v26, v25, s[18:19]
	v_cmp_eq_u32_e64 s[20:21], 0, v0
	v_cndmask_b32_e64 v27, v26, v3, s[20:21]
	v_cndmask_b32_e64 v26, v1, v2, s[20:21]
	v_cndmask_b32_e64 v33, v9, v3, s[2:3]
	v_cndmask_b32_e64 v32, v8, v2, s[2:3]
	v_cndmask_b32_e64 v31, v7, v3, s[0:1]
	v_cndmask_b32_e64 v30, v6, v2, s[0:1]
	v_cndmask_b32_e32 v29, v5, v3, vcc
	v_cndmask_b32_e32 v28, v4, v2, vcc
	v_cndmask_b32_e64 v49, v25, v3, s[18:19]
	v_cndmask_b32_e64 v48, v24, v2, s[18:19]
	;; [unrolled: 1-line block ×16, first 2 shown]
	v_pk_mov_b32 v[2:3], v[26:27], v[26:27] op_sel:[0,1]
	v_pk_mov_b32 v[4:5], v[28:29], v[28:29] op_sel:[0,1]
	;; [unrolled: 1-line block ×16, first 2 shown]
.LBB75_115:
	s_or_b64 exec, exec, s[22:23]
.LBB75_116:
	v_mov_b32_e32 v1, v3
	v_mov_b32_e32 v0, v2
	global_store_dwordx2 v[56:57], v[0:1], off
	v_mov_b32_e32 v1, v5
	v_mov_b32_e32 v0, v4
	global_store_dwordx2 v[58:59], v[0:1], off
	v_mov_b32_e32 v1, v7
	v_mov_b32_e32 v0, v6
	global_store_dwordx2 v[60:61], v[0:1], off
	v_mov_b32_e32 v1, v9
	v_mov_b32_e32 v0, v8
	global_store_dwordx2 v[62:63], v[0:1], off
	v_mov_b32_e32 v1, v11
	v_mov_b32_e32 v0, v10
	global_store_dwordx2 v[64:65], v[0:1], off
	v_mov_b32_e32 v1, v13
	v_mov_b32_e32 v0, v12
	global_store_dwordx2 v[66:67], v[0:1], off
	v_mov_b32_e32 v1, v15
	v_mov_b32_e32 v0, v14
	global_store_dwordx2 v[68:69], v[0:1], off
	v_mov_b32_e32 v1, v17
	v_mov_b32_e32 v0, v16
	global_store_dwordx2 v[70:71], v[0:1], off
	v_mov_b32_e32 v1, v19
	v_mov_b32_e32 v0, v18
	global_store_dwordx2 v[72:73], v[0:1], off
	v_mov_b32_e32 v1, v21
	v_mov_b32_e32 v0, v20
	global_store_dwordx2 v[74:75], v[0:1], off
	v_mov_b32_e32 v1, v23
	v_mov_b32_e32 v0, v22
	global_store_dwordx2 v[76:77], v[0:1], off
	v_mov_b32_e32 v1, v25
	v_mov_b32_e32 v0, v24
	global_store_dwordx2 v[78:79], v[0:1], off
	s_endpgm
	.section	.rodata,"a",@progbits
	.p2align	6, 0x0
	.amdhsa_kernel _ZN9rocsolver6v33100L18getri_kernel_smallILi12EdPKPdEEvT1_iilPiilS6_bb
		.amdhsa_group_segment_fixed_size 200
		.amdhsa_private_segment_fixed_size 0
		.amdhsa_kernarg_size 60
		.amdhsa_user_sgpr_count 6
		.amdhsa_user_sgpr_private_segment_buffer 1
		.amdhsa_user_sgpr_dispatch_ptr 0
		.amdhsa_user_sgpr_queue_ptr 0
		.amdhsa_user_sgpr_kernarg_segment_ptr 1
		.amdhsa_user_sgpr_dispatch_id 0
		.amdhsa_user_sgpr_flat_scratch_init 0
		.amdhsa_user_sgpr_kernarg_preload_length 0
		.amdhsa_user_sgpr_kernarg_preload_offset 0
		.amdhsa_user_sgpr_private_segment_size 0
		.amdhsa_uses_dynamic_stack 0
		.amdhsa_system_sgpr_private_segment_wavefront_offset 0
		.amdhsa_system_sgpr_workgroup_id_x 1
		.amdhsa_system_sgpr_workgroup_id_y 0
		.amdhsa_system_sgpr_workgroup_id_z 0
		.amdhsa_system_sgpr_workgroup_info 0
		.amdhsa_system_vgpr_workitem_id 0
		.amdhsa_next_free_vgpr 80
		.amdhsa_next_free_sgpr 46
		.amdhsa_accum_offset 80
		.amdhsa_reserve_vcc 1
		.amdhsa_reserve_flat_scratch 0
		.amdhsa_float_round_mode_32 0
		.amdhsa_float_round_mode_16_64 0
		.amdhsa_float_denorm_mode_32 3
		.amdhsa_float_denorm_mode_16_64 3
		.amdhsa_dx10_clamp 1
		.amdhsa_ieee_mode 1
		.amdhsa_fp16_overflow 0
		.amdhsa_tg_split 0
		.amdhsa_exception_fp_ieee_invalid_op 0
		.amdhsa_exception_fp_denorm_src 0
		.amdhsa_exception_fp_ieee_div_zero 0
		.amdhsa_exception_fp_ieee_overflow 0
		.amdhsa_exception_fp_ieee_underflow 0
		.amdhsa_exception_fp_ieee_inexact 0
		.amdhsa_exception_int_div_zero 0
	.end_amdhsa_kernel
	.section	.text._ZN9rocsolver6v33100L18getri_kernel_smallILi12EdPKPdEEvT1_iilPiilS6_bb,"axG",@progbits,_ZN9rocsolver6v33100L18getri_kernel_smallILi12EdPKPdEEvT1_iilPiilS6_bb,comdat
.Lfunc_end75:
	.size	_ZN9rocsolver6v33100L18getri_kernel_smallILi12EdPKPdEEvT1_iilPiilS6_bb, .Lfunc_end75-_ZN9rocsolver6v33100L18getri_kernel_smallILi12EdPKPdEEvT1_iilPiilS6_bb
                                        ; -- End function
	.section	.AMDGPU.csdata,"",@progbits
; Kernel info:
; codeLenInByte = 17444
; NumSgprs: 50
; NumVgprs: 80
; NumAgprs: 0
; TotalNumVgprs: 80
; ScratchSize: 0
; MemoryBound: 0
; FloatMode: 240
; IeeeMode: 1
; LDSByteSize: 200 bytes/workgroup (compile time only)
; SGPRBlocks: 6
; VGPRBlocks: 9
; NumSGPRsForWavesPerEU: 50
; NumVGPRsForWavesPerEU: 80
; AccumOffset: 80
; Occupancy: 6
; WaveLimiterHint : 1
; COMPUTE_PGM_RSRC2:SCRATCH_EN: 0
; COMPUTE_PGM_RSRC2:USER_SGPR: 6
; COMPUTE_PGM_RSRC2:TRAP_HANDLER: 0
; COMPUTE_PGM_RSRC2:TGID_X_EN: 1
; COMPUTE_PGM_RSRC2:TGID_Y_EN: 0
; COMPUTE_PGM_RSRC2:TGID_Z_EN: 0
; COMPUTE_PGM_RSRC2:TIDIG_COMP_CNT: 0
; COMPUTE_PGM_RSRC3_GFX90A:ACCUM_OFFSET: 19
; COMPUTE_PGM_RSRC3_GFX90A:TG_SPLIT: 0
	.section	.text._ZN9rocsolver6v33100L18getri_kernel_smallILi13EdPKPdEEvT1_iilPiilS6_bb,"axG",@progbits,_ZN9rocsolver6v33100L18getri_kernel_smallILi13EdPKPdEEvT1_iilPiilS6_bb,comdat
	.globl	_ZN9rocsolver6v33100L18getri_kernel_smallILi13EdPKPdEEvT1_iilPiilS6_bb ; -- Begin function _ZN9rocsolver6v33100L18getri_kernel_smallILi13EdPKPdEEvT1_iilPiilS6_bb
	.p2align	8
	.type	_ZN9rocsolver6v33100L18getri_kernel_smallILi13EdPKPdEEvT1_iilPiilS6_bb,@function
_ZN9rocsolver6v33100L18getri_kernel_smallILi13EdPKPdEEvT1_iilPiilS6_bb: ; @_ZN9rocsolver6v33100L18getri_kernel_smallILi13EdPKPdEEvT1_iilPiilS6_bb
; %bb.0:
	v_cmp_gt_u32_e32 vcc, 13, v0
	s_and_saveexec_b64 s[0:1], vcc
	s_cbranch_execz .LBB76_16
; %bb.1:
	s_load_dword s8, s[4:5], 0x38
	s_load_dwordx2 s[0:1], s[4:5], 0x0
	s_load_dwordx4 s[36:39], s[4:5], 0x28
                                        ; implicit-def: $sgpr34_sgpr35
	s_waitcnt lgkmcnt(0)
	s_bitcmp1_b32 s8, 8
	s_cselect_b64 s[40:41], -1, 0
	s_ashr_i32 s7, s6, 31
	s_lshl_b64 s[2:3], s[6:7], 3
	s_add_u32 s0, s0, s2
	s_addc_u32 s1, s1, s3
	s_load_dwordx2 s[0:1], s[0:1], 0x0
	s_bfe_u32 s2, s8, 0x10008
	s_cmp_eq_u32 s2, 0
	s_cbranch_scc1 .LBB76_3
; %bb.2:
	s_load_dword s2, s[4:5], 0x20
	s_load_dwordx2 s[10:11], s[4:5], 0x18
	s_mul_i32 s3, s6, s37
	s_mul_hi_u32 s9, s6, s36
	s_add_i32 s9, s9, s3
	s_mul_i32 s12, s7, s36
	s_add_i32 s13, s9, s12
	s_mul_i32 s12, s6, s36
	s_waitcnt lgkmcnt(0)
	s_ashr_i32 s3, s2, 31
	s_lshl_b64 s[12:13], s[12:13], 2
	s_add_u32 s9, s10, s12
	s_addc_u32 s10, s11, s13
	s_lshl_b64 s[2:3], s[2:3], 2
	s_add_u32 s34, s9, s2
	s_addc_u32 s35, s10, s3
.LBB76_3:
	s_load_dwordx2 s[2:3], s[4:5], 0x8
	v_lshlrev_b32_e32 v30, 3, v0
	s_waitcnt lgkmcnt(0)
	s_ashr_i32 s5, s2, 31
	s_mov_b32 s4, s2
	s_lshl_b64 s[4:5], s[4:5], 3
	s_add_u32 s0, s0, s4
	s_addc_u32 s1, s1, s5
	v_mov_b32_e32 v1, s1
	v_add_co_u32_e32 v60, vcc, s0, v30
	s_ashr_i32 s5, s3, 31
	s_mov_b32 s4, s3
	s_add_i32 s2, s3, s3
	v_addc_co_u32_e32 v61, vcc, 0, v1, vcc
	s_lshl_b64 s[4:5], s[4:5], 3
	v_add_u32_e32 v2, s2, v0
	v_mov_b32_e32 v1, s5
	v_add_co_u32_e32 v62, vcc, s4, v60
	v_ashrrev_i32_e32 v3, 31, v2
	v_addc_co_u32_e32 v63, vcc, v61, v1, vcc
	v_lshlrev_b64 v[4:5], 3, v[2:3]
	v_add_u32_e32 v2, s3, v2
	v_mov_b32_e32 v1, s1
	v_add_co_u32_e32 v64, vcc, s0, v4
	v_ashrrev_i32_e32 v3, 31, v2
	v_addc_co_u32_e32 v65, vcc, v1, v5, vcc
	v_lshlrev_b64 v[4:5], 3, v[2:3]
	v_add_u32_e32 v2, s3, v2
	v_add_co_u32_e32 v66, vcc, s0, v4
	v_ashrrev_i32_e32 v3, 31, v2
	v_addc_co_u32_e32 v67, vcc, v1, v5, vcc
	v_lshlrev_b64 v[4:5], 3, v[2:3]
	v_add_u32_e32 v2, s3, v2
	;; [unrolled: 5-line block ×9, first 2 shown]
	v_add_co_u32_e32 v82, vcc, s0, v4
	v_ashrrev_i32_e32 v3, 31, v2
	v_addc_co_u32_e32 v83, vcc, v1, v5, vcc
	v_lshlrev_b64 v[2:3], 3, v[2:3]
	v_add_co_u32_e32 v84, vcc, s0, v2
	v_addc_co_u32_e32 v85, vcc, v1, v3, vcc
	global_load_dwordx2 v[2:3], v30, s[0:1]
	global_load_dwordx2 v[4:5], v[62:63], off
	global_load_dwordx2 v[6:7], v[64:65], off
	;; [unrolled: 1-line block ×12, first 2 shown]
	v_mov_b32_e32 v1, 0
	s_bitcmp0_b32 s8, 0
	s_mov_b64 s[0:1], -1
	s_cbranch_scc1 .LBB76_14
; %bb.4:
	v_cmp_eq_u32_e64 s[0:1], 0, v0
	s_and_saveexec_b64 s[2:3], s[0:1]
	s_cbranch_execz .LBB76_6
; %bb.5:
	v_mov_b32_e32 v28, 0
	ds_write_b32 v28, v28 offset:104
.LBB76_6:
	s_or_b64 exec, exec, s[2:3]
	v_cmp_eq_u32_e32 vcc, 1, v0
	s_waitcnt vmcnt(11)
	v_cndmask_b32_e32 v28, v3, v5, vcc
	v_cmp_eq_u32_e64 s[2:3], 2, v0
	s_waitcnt vmcnt(10)
	v_cndmask_b32_e64 v28, v28, v7, s[2:3]
	v_cmp_eq_u32_e64 s[4:5], 3, v0
	s_waitcnt vmcnt(9)
	v_cndmask_b32_e64 v28, v28, v9, s[4:5]
	;; [unrolled: 3-line block ×11, first 2 shown]
	v_cndmask_b32_e32 v28, v2, v4, vcc
	v_cndmask_b32_e64 v28, v28, v6, s[2:3]
	v_cndmask_b32_e64 v28, v28, v8, s[4:5]
	;; [unrolled: 1-line block ×11, first 2 shown]
	v_cmp_eq_f64_e32 vcc, 0, v[28:29]
	s_waitcnt lgkmcnt(0)
	; wave barrier
	s_waitcnt lgkmcnt(0)
	s_and_saveexec_b64 s[4:5], vcc
	s_cbranch_execz .LBB76_10
; %bb.7:
	v_mov_b32_e32 v31, 0
	ds_read_b32 v33, v31 offset:104
	v_add_u32_e32 v32, 1, v0
	s_waitcnt lgkmcnt(0)
	v_readfirstlane_b32 s2, v33
	s_cmp_eq_u32 s2, 0
	s_cselect_b64 s[8:9], -1, 0
	v_cmp_gt_i32_e32 vcc, s2, v32
	s_or_b64 s[8:9], s[8:9], vcc
	s_and_b64 exec, exec, s[8:9]
	s_cbranch_execz .LBB76_10
; %bb.8:
	s_mov_b64 s[8:9], 0
	v_mov_b32_e32 v33, s2
.LBB76_9:                               ; =>This Inner Loop Header: Depth=1
	ds_cmpst_rtn_b32 v33, v31, v33, v32 offset:104
	s_waitcnt lgkmcnt(0)
	v_cmp_ne_u32_e32 vcc, 0, v33
	v_cmp_le_i32_e64 s[2:3], v33, v32
	s_and_b64 s[2:3], vcc, s[2:3]
	s_and_b64 s[2:3], exec, s[2:3]
	s_or_b64 s[8:9], s[2:3], s[8:9]
	s_andn2_b64 exec, exec, s[8:9]
	s_cbranch_execnz .LBB76_9
.LBB76_10:
	s_or_b64 exec, exec, s[4:5]
	v_mov_b32_e32 v32, 0
	s_waitcnt lgkmcnt(0)
	; wave barrier
	ds_read_b32 v31, v32 offset:104
	s_and_saveexec_b64 s[2:3], s[0:1]
	s_cbranch_execz .LBB76_12
; %bb.11:
	s_lshl_b64 s[4:5], s[6:7], 2
	s_add_u32 s4, s38, s4
	s_addc_u32 s5, s39, s5
	s_waitcnt lgkmcnt(0)
	global_store_dword v32, v31, s[4:5]
.LBB76_12:
	s_or_b64 exec, exec, s[2:3]
	s_waitcnt lgkmcnt(0)
	v_cmp_ne_u32_e32 vcc, 0, v31
	s_cbranch_vccz .LBB76_17
; %bb.13:
	s_mov_b64 s[0:1], 0
                                        ; implicit-def: $vgpr2_vgpr3_vgpr4_vgpr5_vgpr6_vgpr7_vgpr8_vgpr9_vgpr10_vgpr11_vgpr12_vgpr13_vgpr14_vgpr15_vgpr16_vgpr17_vgpr18_vgpr19_vgpr20_vgpr21_vgpr22_vgpr23_vgpr24_vgpr25_vgpr26_vgpr27_vgpr28_vgpr29_vgpr30_vgpr31_vgpr32_vgpr33
.LBB76_14:
	s_and_b64 vcc, exec, s[0:1]
	s_cbranch_vccz .LBB76_16
.LBB76_15:
	s_lshl_b64 s[0:1], s[6:7], 2
	s_add_u32 s0, s38, s0
	s_addc_u32 s1, s39, s1
	v_mov_b32_e32 v1, 0
	global_load_dword v1, v1, s[0:1]
	s_waitcnt vmcnt(0)
	v_cmp_ne_u32_e32 vcc, 0, v1
	s_cbranch_vccz .LBB76_74
.LBB76_16:
	s_endpgm
.LBB76_17:
	v_div_scale_f64 v[32:33], s[2:3], v[28:29], v[28:29], 1.0
	v_rcp_f64_e32 v[34:35], v[32:33]
	v_div_scale_f64 v[36:37], vcc, 1.0, v[28:29], 1.0
	v_fma_f64 v[38:39], -v[32:33], v[34:35], 1.0
	v_fmac_f64_e32 v[34:35], v[34:35], v[38:39]
	v_fma_f64 v[38:39], -v[32:33], v[34:35], 1.0
	v_fmac_f64_e32 v[34:35], v[34:35], v[38:39]
	v_mul_f64 v[38:39], v[36:37], v[34:35]
	v_fma_f64 v[32:33], -v[32:33], v[38:39], v[36:37]
	v_div_fmas_f64 v[32:33], v[32:33], v[34:35], v[38:39]
	v_div_fixup_f64 v[28:29], v[32:33], v[28:29], 1.0
	v_cmp_eq_u32_e32 vcc, 12, v0
	v_cndmask_b32_e32 v27, v27, v29, vcc
	v_cndmask_b32_e32 v26, v26, v28, vcc
	v_cmp_eq_u32_e32 vcc, 11, v0
	v_cndmask_b32_e32 v25, v25, v29, vcc
	v_cndmask_b32_e32 v24, v24, v28, vcc
	;; [unrolled: 3-line block ×13, first 2 shown]
	v_xor_b32_e32 v35, 0x80000000, v29
	v_mov_b32_e32 v34, v28
	v_add_u32_e32 v32, 0x70, v30
	ds_write2_b64 v30, v[34:35], v[4:5] offset1:14
	s_waitcnt lgkmcnt(0)
	; wave barrier
	s_waitcnt lgkmcnt(0)
	s_and_saveexec_b64 s[2:3], s[0:1]
	s_cbranch_execz .LBB76_19
; %bb.18:
	v_mov_b32_e32 v30, 0
	ds_read_b64 v[4:5], v32
	ds_read_b64 v[30:31], v30 offset:8
	s_waitcnt lgkmcnt(1)
	v_fma_f64 v[4:5], v[28:29], v[4:5], 0
	s_waitcnt lgkmcnt(0)
	v_mul_f64 v[4:5], v[4:5], v[30:31]
.LBB76_19:
	s_or_b64 exec, exec, s[2:3]
	v_cmp_gt_u32_e32 vcc, 2, v0
	s_waitcnt lgkmcnt(0)
	; wave barrier
	ds_write_b64 v32, v[6:7]
	s_waitcnt lgkmcnt(0)
	; wave barrier
	s_waitcnt lgkmcnt(0)
	s_and_saveexec_b64 s[28:29], vcc
	s_cbranch_execz .LBB76_21
; %bb.20:
	v_cmp_eq_u32_e64 s[2:3], 1, v0
	v_cndmask_b32_e64 v28, v3, v5, s[2:3]
	v_cmp_eq_u32_e64 s[4:5], 2, v0
	v_cndmask_b32_e64 v7, v28, v7, s[4:5]
	v_cndmask_b32_e64 v28, v2, v4, s[2:3]
	v_cmp_eq_u32_e64 s[8:9], 3, v0
	v_cndmask_b32_e64 v6, v28, v6, s[4:5]
	;; [unrolled: 3-line block ×8, first 2 shown]
	ds_read_b64 v[34:35], v32
	v_mov_b32_e32 v28, 0
	v_cndmask_b32_e64 v7, v7, v21, s[20:21]
	v_cmp_eq_u32_e64 s[22:23], 10, v0
	v_cndmask_b32_e64 v6, v6, v20, s[20:21]
	ds_read2_b64 v[28:31], v28 offset0:2 offset1:15
	v_cndmask_b32_e64 v7, v7, v23, s[22:23]
	v_cmp_eq_u32_e64 s[24:25], 11, v0
	v_cndmask_b32_e64 v6, v6, v22, s[22:23]
	v_cndmask_b32_e64 v7, v7, v25, s[24:25]
	v_cmp_eq_u32_e64 s[26:27], 12, v0
	v_cndmask_b32_e64 v6, v6, v24, s[24:25]
	v_cndmask_b32_e64 v7, v7, v27, s[26:27]
	;; [unrolled: 1-line block ×3, first 2 shown]
	s_waitcnt lgkmcnt(1)
	v_fma_f64 v[6:7], v[6:7], v[34:35], 0
	s_waitcnt lgkmcnt(0)
	v_fma_f64 v[30:31], v[4:5], v[30:31], v[6:7]
	v_cndmask_b32_e64 v7, v7, v31, s[0:1]
	v_cndmask_b32_e64 v6, v6, v30, s[0:1]
	v_mul_f64 v[6:7], v[6:7], v[28:29]
.LBB76_21:
	s_or_b64 exec, exec, s[28:29]
	v_cmp_gt_u32_e64 s[2:3], 3, v0
	s_waitcnt lgkmcnt(0)
	; wave barrier
	ds_write_b64 v32, v[8:9]
	s_waitcnt lgkmcnt(0)
	; wave barrier
	s_waitcnt lgkmcnt(0)
	s_and_saveexec_b64 s[10:11], s[2:3]
	s_cbranch_execz .LBB76_25
; %bb.22:
	v_mov_b32_e32 v28, 0x70
	v_lshl_add_u32 v33, v0, 3, v28
	s_mov_b64 s[12:13], 0
	v_pk_mov_b32 v[28:29], 0, 0
	v_pk_mov_b32 v[30:31], v[0:1], v[0:1] op_sel:[0,1]
.LBB76_23:                              ; =>This Inner Loop Header: Depth=1
	v_cmp_eq_u32_e64 s[2:3], 1, v30
	v_cndmask_b32_e64 v36, v3, v5, s[2:3]
	v_cmp_eq_u32_e64 s[4:5], 2, v30
	v_cndmask_b32_e64 v36, v36, v7, s[4:5]
	v_cndmask_b32_e64 v37, v2, v4, s[2:3]
	v_cmp_eq_u32_e64 s[2:3], 3, v30
	v_cndmask_b32_e64 v36, v36, v9, s[2:3]
	;; [unrolled: 3-line block ×7, first 2 shown]
	v_cndmask_b32_e64 v37, v37, v16, s[2:3]
	v_cmp_eq_u32_e64 s[2:3], 9, v30
	ds_read_b64 v[34:35], v33
	v_cndmask_b32_e64 v36, v36, v21, s[2:3]
	v_cndmask_b32_e64 v37, v37, v18, s[4:5]
	v_cmp_eq_u32_e64 s[4:5], 10, v30
	v_cndmask_b32_e64 v36, v36, v23, s[4:5]
	v_cndmask_b32_e64 v37, v37, v20, s[2:3]
	v_cmp_eq_u32_e64 s[2:3], 11, v30
	v_cndmask_b32_e64 v36, v36, v25, s[2:3]
	v_cmp_eq_u32_e64 s[8:9], 12, v30
	v_cndmask_b32_e64 v38, v37, v22, s[4:5]
	v_add_co_u32_e64 v30, s[4:5], 1, v30
	v_cndmask_b32_e64 v37, v36, v27, s[8:9]
	v_cndmask_b32_e64 v36, v38, v24, s[2:3]
	v_add_u32_e32 v38, -1, v30
	v_cndmask_b32_e64 v36, v36, v26, s[8:9]
	v_cmp_lt_u32_e64 s[2:3], 1, v38
	v_add_u32_e32 v33, 8, v33
	v_addc_co_u32_e64 v31, s[4:5], 0, v31, s[4:5]
	s_or_b64 s[12:13], s[2:3], s[12:13]
	s_waitcnt lgkmcnt(0)
	v_fmac_f64_e32 v[28:29], v[36:37], v[34:35]
	s_andn2_b64 exec, exec, s[12:13]
	s_cbranch_execnz .LBB76_23
; %bb.24:
	s_or_b64 exec, exec, s[12:13]
	v_mov_b32_e32 v8, 0
	ds_read_b64 v[8:9], v8 offset:24
	s_waitcnt lgkmcnt(0)
	v_mul_f64 v[8:9], v[28:29], v[8:9]
.LBB76_25:
	s_or_b64 exec, exec, s[10:11]
	v_cmp_gt_u32_e64 s[2:3], 4, v0
	s_waitcnt lgkmcnt(0)
	; wave barrier
	ds_write_b64 v32, v[10:11]
	s_waitcnt lgkmcnt(0)
	; wave barrier
	s_waitcnt lgkmcnt(0)
	s_and_saveexec_b64 s[12:13], s[2:3]
	s_cbranch_execz .LBB76_29
; %bb.26:
	v_mov_b32_e32 v28, 0x70
	v_lshl_add_u32 v33, v0, 3, v28
	s_mov_b64 s[14:15], 0
	v_pk_mov_b32 v[28:29], 0, 0
	v_pk_mov_b32 v[30:31], v[0:1], v[0:1] op_sel:[0,1]
.LBB76_27:                              ; =>This Inner Loop Header: Depth=1
	v_cmp_eq_u32_e64 s[4:5], 1, v30
	v_cndmask_b32_e64 v36, v3, v5, s[4:5]
	v_cmp_eq_u32_e64 s[8:9], 2, v30
	v_cndmask_b32_e64 v36, v36, v7, s[8:9]
	v_cndmask_b32_e64 v37, v2, v4, s[4:5]
	v_cmp_eq_u32_e64 s[4:5], 3, v30
	v_cndmask_b32_e64 v36, v36, v9, s[4:5]
	v_cndmask_b32_e64 v37, v37, v6, s[8:9]
	v_cmp_eq_u32_e64 s[8:9], 4, v30
	v_cndmask_b32_e64 v36, v36, v11, s[8:9]
	v_cndmask_b32_e64 v37, v37, v8, s[4:5]
	v_cmp_eq_u32_e64 s[4:5], 5, v30
	v_cndmask_b32_e64 v36, v36, v13, s[4:5]
	v_cndmask_b32_e64 v37, v37, v10, s[8:9]
	v_cmp_eq_u32_e64 s[8:9], 6, v30
	v_cndmask_b32_e64 v36, v36, v15, s[8:9]
	v_cndmask_b32_e64 v37, v37, v12, s[4:5]
	v_cmp_eq_u32_e64 s[4:5], 7, v30
	v_cndmask_b32_e64 v36, v36, v17, s[4:5]
	v_cndmask_b32_e64 v37, v37, v14, s[8:9]
	v_cmp_eq_u32_e64 s[8:9], 8, v30
	v_cndmask_b32_e64 v36, v36, v19, s[8:9]
	v_cndmask_b32_e64 v37, v37, v16, s[4:5]
	v_cmp_eq_u32_e64 s[4:5], 9, v30
	ds_read_b64 v[34:35], v33
	v_cndmask_b32_e64 v36, v36, v21, s[4:5]
	v_cndmask_b32_e64 v37, v37, v18, s[8:9]
	v_cmp_eq_u32_e64 s[8:9], 10, v30
	v_cndmask_b32_e64 v36, v36, v23, s[8:9]
	v_cndmask_b32_e64 v37, v37, v20, s[4:5]
	v_cmp_eq_u32_e64 s[4:5], 11, v30
	v_cndmask_b32_e64 v36, v36, v25, s[4:5]
	v_cmp_eq_u32_e64 s[10:11], 12, v30
	v_cndmask_b32_e64 v38, v37, v22, s[8:9]
	v_add_co_u32_e64 v30, s[8:9], 1, v30
	v_cndmask_b32_e64 v37, v36, v27, s[10:11]
	v_cndmask_b32_e64 v36, v38, v24, s[4:5]
	v_add_u32_e32 v38, -1, v30
	v_cndmask_b32_e64 v36, v36, v26, s[10:11]
	v_cmp_lt_u32_e64 s[4:5], 2, v38
	v_add_u32_e32 v33, 8, v33
	v_addc_co_u32_e64 v31, s[8:9], 0, v31, s[8:9]
	s_or_b64 s[14:15], s[4:5], s[14:15]
	s_waitcnt lgkmcnt(0)
	v_fmac_f64_e32 v[28:29], v[36:37], v[34:35]
	s_andn2_b64 exec, exec, s[14:15]
	s_cbranch_execnz .LBB76_27
; %bb.28:
	s_or_b64 exec, exec, s[14:15]
	v_mov_b32_e32 v10, 0
	ds_read_b64 v[10:11], v10 offset:32
	s_waitcnt lgkmcnt(0)
	v_mul_f64 v[10:11], v[28:29], v[10:11]
.LBB76_29:
	s_or_b64 exec, exec, s[12:13]
	v_cmp_gt_u32_e64 s[4:5], 5, v0
	s_waitcnt lgkmcnt(0)
	; wave barrier
	ds_write_b64 v32, v[12:13]
	s_waitcnt lgkmcnt(0)
	; wave barrier
	s_waitcnt lgkmcnt(0)
	s_and_saveexec_b64 s[12:13], s[4:5]
	s_cbranch_execz .LBB76_33
; %bb.30:
	v_mov_b32_e32 v28, 0x70
	v_lshl_add_u32 v33, v0, 3, v28
	s_mov_b64 s[14:15], 0
	v_pk_mov_b32 v[28:29], 0, 0
	v_pk_mov_b32 v[30:31], v[0:1], v[0:1] op_sel:[0,1]
.LBB76_31:                              ; =>This Inner Loop Header: Depth=1
	v_cmp_eq_u32_e64 s[4:5], 1, v30
	v_cndmask_b32_e64 v36, v3, v5, s[4:5]
	v_cmp_eq_u32_e64 s[8:9], 2, v30
	v_cndmask_b32_e64 v36, v36, v7, s[8:9]
	v_cndmask_b32_e64 v37, v2, v4, s[4:5]
	v_cmp_eq_u32_e64 s[4:5], 3, v30
	v_cndmask_b32_e64 v36, v36, v9, s[4:5]
	;; [unrolled: 3-line block ×7, first 2 shown]
	v_cndmask_b32_e64 v37, v37, v16, s[4:5]
	v_cmp_eq_u32_e64 s[4:5], 9, v30
	ds_read_b64 v[34:35], v33
	v_cndmask_b32_e64 v36, v36, v21, s[4:5]
	v_cndmask_b32_e64 v37, v37, v18, s[8:9]
	v_cmp_eq_u32_e64 s[8:9], 10, v30
	v_cndmask_b32_e64 v36, v36, v23, s[8:9]
	v_cndmask_b32_e64 v37, v37, v20, s[4:5]
	v_cmp_eq_u32_e64 s[4:5], 11, v30
	v_cndmask_b32_e64 v36, v36, v25, s[4:5]
	v_cmp_eq_u32_e64 s[10:11], 12, v30
	v_cndmask_b32_e64 v38, v37, v22, s[8:9]
	v_add_co_u32_e64 v30, s[8:9], 1, v30
	v_cndmask_b32_e64 v37, v36, v27, s[10:11]
	v_cndmask_b32_e64 v36, v38, v24, s[4:5]
	v_add_u32_e32 v38, -1, v30
	v_cndmask_b32_e64 v36, v36, v26, s[10:11]
	v_cmp_lt_u32_e64 s[4:5], 3, v38
	v_add_u32_e32 v33, 8, v33
	v_addc_co_u32_e64 v31, s[8:9], 0, v31, s[8:9]
	s_or_b64 s[14:15], s[4:5], s[14:15]
	s_waitcnt lgkmcnt(0)
	v_fmac_f64_e32 v[28:29], v[36:37], v[34:35]
	s_andn2_b64 exec, exec, s[14:15]
	s_cbranch_execnz .LBB76_31
; %bb.32:
	s_or_b64 exec, exec, s[14:15]
	v_mov_b32_e32 v12, 0
	ds_read_b64 v[12:13], v12 offset:40
	s_waitcnt lgkmcnt(0)
	v_mul_f64 v[12:13], v[28:29], v[12:13]
.LBB76_33:
	s_or_b64 exec, exec, s[12:13]
	v_cmp_gt_u32_e64 s[4:5], 6, v0
	s_waitcnt lgkmcnt(0)
	; wave barrier
	ds_write_b64 v32, v[14:15]
	s_waitcnt lgkmcnt(0)
	; wave barrier
	s_waitcnt lgkmcnt(0)
	s_and_saveexec_b64 s[14:15], s[4:5]
	s_cbranch_execz .LBB76_37
; %bb.34:
	v_mov_b32_e32 v28, 0x70
	v_lshl_add_u32 v33, v0, 3, v28
	s_mov_b64 s[16:17], 0
	v_pk_mov_b32 v[28:29], 0, 0
	v_pk_mov_b32 v[30:31], v[0:1], v[0:1] op_sel:[0,1]
.LBB76_35:                              ; =>This Inner Loop Header: Depth=1
	v_cmp_eq_u32_e64 s[8:9], 1, v30
	v_cndmask_b32_e64 v36, v3, v5, s[8:9]
	v_cmp_eq_u32_e64 s[10:11], 2, v30
	v_cndmask_b32_e64 v36, v36, v7, s[10:11]
	v_cndmask_b32_e64 v37, v2, v4, s[8:9]
	v_cmp_eq_u32_e64 s[8:9], 3, v30
	v_cndmask_b32_e64 v36, v36, v9, s[8:9]
	;; [unrolled: 3-line block ×7, first 2 shown]
	v_cndmask_b32_e64 v37, v37, v16, s[8:9]
	v_cmp_eq_u32_e64 s[8:9], 9, v30
	ds_read_b64 v[34:35], v33
	v_cndmask_b32_e64 v36, v36, v21, s[8:9]
	v_cndmask_b32_e64 v37, v37, v18, s[10:11]
	v_cmp_eq_u32_e64 s[10:11], 10, v30
	v_cndmask_b32_e64 v36, v36, v23, s[10:11]
	v_cndmask_b32_e64 v37, v37, v20, s[8:9]
	v_cmp_eq_u32_e64 s[8:9], 11, v30
	v_cndmask_b32_e64 v36, v36, v25, s[8:9]
	v_cmp_eq_u32_e64 s[12:13], 12, v30
	v_cndmask_b32_e64 v38, v37, v22, s[10:11]
	v_add_co_u32_e64 v30, s[10:11], 1, v30
	v_cndmask_b32_e64 v37, v36, v27, s[12:13]
	v_cndmask_b32_e64 v36, v38, v24, s[8:9]
	v_add_u32_e32 v38, -1, v30
	v_cndmask_b32_e64 v36, v36, v26, s[12:13]
	v_cmp_lt_u32_e64 s[8:9], 4, v38
	v_add_u32_e32 v33, 8, v33
	v_addc_co_u32_e64 v31, s[10:11], 0, v31, s[10:11]
	s_or_b64 s[16:17], s[8:9], s[16:17]
	s_waitcnt lgkmcnt(0)
	v_fmac_f64_e32 v[28:29], v[36:37], v[34:35]
	s_andn2_b64 exec, exec, s[16:17]
	s_cbranch_execnz .LBB76_35
; %bb.36:
	s_or_b64 exec, exec, s[16:17]
	v_mov_b32_e32 v14, 0
	ds_read_b64 v[14:15], v14 offset:48
	s_waitcnt lgkmcnt(0)
	v_mul_f64 v[14:15], v[28:29], v[14:15]
.LBB76_37:
	s_or_b64 exec, exec, s[14:15]
	v_cmp_gt_u32_e64 s[8:9], 7, v0
	s_waitcnt lgkmcnt(0)
	; wave barrier
	ds_write_b64 v32, v[16:17]
	s_waitcnt lgkmcnt(0)
	; wave barrier
	s_waitcnt lgkmcnt(0)
	s_and_saveexec_b64 s[14:15], s[8:9]
	s_cbranch_execz .LBB76_41
; %bb.38:
	v_mov_b32_e32 v28, 0x70
	v_lshl_add_u32 v33, v0, 3, v28
	s_mov_b64 s[16:17], 0
	v_pk_mov_b32 v[28:29], 0, 0
	v_pk_mov_b32 v[30:31], v[0:1], v[0:1] op_sel:[0,1]
.LBB76_39:                              ; =>This Inner Loop Header: Depth=1
	v_cmp_eq_u32_e64 s[8:9], 1, v30
	v_cndmask_b32_e64 v36, v3, v5, s[8:9]
	v_cmp_eq_u32_e64 s[10:11], 2, v30
	v_cndmask_b32_e64 v36, v36, v7, s[10:11]
	v_cndmask_b32_e64 v37, v2, v4, s[8:9]
	v_cmp_eq_u32_e64 s[8:9], 3, v30
	v_cndmask_b32_e64 v36, v36, v9, s[8:9]
	;; [unrolled: 3-line block ×7, first 2 shown]
	v_cndmask_b32_e64 v37, v37, v16, s[8:9]
	v_cmp_eq_u32_e64 s[8:9], 9, v30
	ds_read_b64 v[34:35], v33
	v_cndmask_b32_e64 v36, v36, v21, s[8:9]
	v_cndmask_b32_e64 v37, v37, v18, s[10:11]
	v_cmp_eq_u32_e64 s[10:11], 10, v30
	v_cndmask_b32_e64 v36, v36, v23, s[10:11]
	v_cndmask_b32_e64 v37, v37, v20, s[8:9]
	v_cmp_eq_u32_e64 s[8:9], 11, v30
	v_cndmask_b32_e64 v36, v36, v25, s[8:9]
	v_cmp_eq_u32_e64 s[12:13], 12, v30
	v_cndmask_b32_e64 v38, v37, v22, s[10:11]
	v_add_co_u32_e64 v30, s[10:11], 1, v30
	v_cndmask_b32_e64 v37, v36, v27, s[12:13]
	v_cndmask_b32_e64 v36, v38, v24, s[8:9]
	v_add_u32_e32 v38, -1, v30
	v_cndmask_b32_e64 v36, v36, v26, s[12:13]
	v_cmp_lt_u32_e64 s[8:9], 5, v38
	v_add_u32_e32 v33, 8, v33
	v_addc_co_u32_e64 v31, s[10:11], 0, v31, s[10:11]
	s_or_b64 s[16:17], s[8:9], s[16:17]
	s_waitcnt lgkmcnt(0)
	v_fmac_f64_e32 v[28:29], v[36:37], v[34:35]
	s_andn2_b64 exec, exec, s[16:17]
	s_cbranch_execnz .LBB76_39
; %bb.40:
	s_or_b64 exec, exec, s[16:17]
	v_mov_b32_e32 v16, 0
	ds_read_b64 v[16:17], v16 offset:56
	s_waitcnt lgkmcnt(0)
	v_mul_f64 v[16:17], v[28:29], v[16:17]
.LBB76_41:
	s_or_b64 exec, exec, s[14:15]
	v_cmp_gt_u32_e64 s[8:9], 8, v0
	s_waitcnt lgkmcnt(0)
	; wave barrier
	ds_write_b64 v32, v[18:19]
	s_waitcnt lgkmcnt(0)
	; wave barrier
	s_waitcnt lgkmcnt(0)
	s_and_saveexec_b64 s[36:37], s[8:9]
	s_cbranch_execz .LBB76_57
; %bb.42:
	v_cmp_eq_u32_e64 s[8:9], 1, v0
	v_cndmask_b32_e64 v28, v3, v5, s[8:9]
	v_cmp_eq_u32_e64 s[10:11], 2, v0
	v_cndmask_b32_e64 v28, v28, v7, s[10:11]
	;; [unrolled: 2-line block ×12, first 2 shown]
	v_cndmask_b32_e64 v28, v2, v4, s[8:9]
	v_cndmask_b32_e64 v28, v28, v6, s[10:11]
	;; [unrolled: 1-line block ×8, first 2 shown]
	ds_read_b64 v[30:31], v32
	v_cndmask_b32_e64 v28, v28, v20, s[24:25]
	v_cndmask_b32_e64 v28, v28, v22, s[26:27]
	;; [unrolled: 1-line block ×4, first 2 shown]
	s_waitcnt lgkmcnt(0)
	v_fma_f64 v[28:29], v[28:29], v[30:31], 0
	v_cmp_ne_u32_e64 s[8:9], 7, v0
	s_and_saveexec_b64 s[42:43], s[8:9]
	s_cbranch_execz .LBB76_56
; %bb.43:
	v_add_u32_e32 v30, 1, v0
	v_cmp_eq_u32_e64 s[8:9], 1, v30
	v_cndmask_b32_e64 v31, v3, v5, s[8:9]
	v_cmp_eq_u32_e64 s[10:11], 2, v30
	v_cmp_eq_u32_e64 s[12:13], 3, v30
	;; [unrolled: 1-line block ×11, first 2 shown]
	v_cndmask_b32_e64 v30, v2, v4, s[8:9]
	v_cndmask_b32_e64 v31, v31, v7, s[10:11]
	;; [unrolled: 1-line block ×15, first 2 shown]
	ds_read_b64 v[34:35], v32 offset:8
	v_cndmask_b32_e64 v31, v31, v21, s[24:25]
	v_cndmask_b32_e64 v30, v30, v20, s[24:25]
	;; [unrolled: 1-line block ×8, first 2 shown]
	s_waitcnt lgkmcnt(0)
	v_fmac_f64_e32 v[28:29], v[30:31], v[34:35]
	s_and_saveexec_b64 s[30:31], s[4:5]
	s_cbranch_execz .LBB76_55
; %bb.44:
	v_add_u32_e32 v30, 2, v0
	v_cmp_eq_u32_e64 s[4:5], 1, v30
	v_cndmask_b32_e64 v31, v3, v5, s[4:5]
	v_cmp_eq_u32_e64 s[8:9], 2, v30
	v_cmp_eq_u32_e64 s[10:11], 3, v30
	;; [unrolled: 1-line block ×11, first 2 shown]
	v_cndmask_b32_e64 v30, v2, v4, s[4:5]
	v_cndmask_b32_e64 v31, v31, v7, s[8:9]
	;; [unrolled: 1-line block ×15, first 2 shown]
	ds_read_b64 v[34:35], v32 offset:16
	v_cndmask_b32_e64 v31, v31, v21, s[22:23]
	v_cndmask_b32_e64 v30, v30, v20, s[22:23]
	v_cndmask_b32_e64 v31, v31, v23, s[24:25]
	v_cndmask_b32_e64 v30, v30, v22, s[24:25]
	v_cndmask_b32_e64 v31, v31, v25, s[26:27]
	v_cndmask_b32_e64 v30, v30, v24, s[26:27]
	v_cndmask_b32_e64 v31, v31, v27, s[28:29]
	v_cndmask_b32_e64 v30, v30, v26, s[28:29]
	s_waitcnt lgkmcnt(0)
	v_fmac_f64_e32 v[28:29], v[30:31], v[34:35]
	v_cmp_ne_u32_e64 s[4:5], 5, v0
	s_and_saveexec_b64 s[44:45], s[4:5]
	s_cbranch_execz .LBB76_54
; %bb.45:
	v_add_u32_e32 v30, 3, v0
	v_cmp_eq_u32_e64 s[4:5], 1, v30
	v_cndmask_b32_e64 v31, v3, v5, s[4:5]
	v_cmp_eq_u32_e64 s[8:9], 2, v30
	v_cmp_eq_u32_e64 s[10:11], 3, v30
	;; [unrolled: 1-line block ×11, first 2 shown]
	v_cndmask_b32_e64 v30, v2, v4, s[4:5]
	v_cndmask_b32_e64 v31, v31, v7, s[8:9]
	;; [unrolled: 1-line block ×15, first 2 shown]
	ds_read_b64 v[34:35], v32 offset:24
	v_cndmask_b32_e64 v31, v31, v21, s[22:23]
	v_cndmask_b32_e64 v30, v30, v20, s[22:23]
	v_cndmask_b32_e64 v31, v31, v23, s[24:25]
	v_cndmask_b32_e64 v30, v30, v22, s[24:25]
	v_cndmask_b32_e64 v31, v31, v25, s[26:27]
	v_cndmask_b32_e64 v30, v30, v24, s[26:27]
	v_cndmask_b32_e64 v31, v31, v27, s[28:29]
	v_cndmask_b32_e64 v30, v30, v26, s[28:29]
	s_waitcnt lgkmcnt(0)
	v_fmac_f64_e32 v[28:29], v[30:31], v[34:35]
	s_and_saveexec_b64 s[28:29], s[2:3]
	s_cbranch_execz .LBB76_53
; %bb.46:
	v_or_b32_e32 v30, 4, v0
	v_cmp_eq_u32_e64 s[2:3], 1, v30
	v_cndmask_b32_e64 v31, v3, v5, s[2:3]
	v_cmp_eq_u32_e64 s[4:5], 2, v30
	v_cmp_eq_u32_e64 s[8:9], 3, v30
	;; [unrolled: 1-line block ×11, first 2 shown]
	v_cndmask_b32_e64 v30, v2, v4, s[2:3]
	v_cndmask_b32_e64 v31, v31, v7, s[4:5]
	v_cndmask_b32_e64 v30, v30, v6, s[4:5]
	v_cndmask_b32_e64 v31, v31, v9, s[8:9]
	v_cndmask_b32_e64 v30, v30, v8, s[8:9]
	v_cndmask_b32_e64 v31, v31, v11, s[10:11]
	v_cndmask_b32_e64 v30, v30, v10, s[10:11]
	v_cndmask_b32_e64 v31, v31, v13, s[12:13]
	v_cndmask_b32_e64 v30, v30, v12, s[12:13]
	v_cndmask_b32_e64 v31, v31, v15, s[14:15]
	v_cndmask_b32_e64 v30, v30, v14, s[14:15]
	v_cndmask_b32_e64 v31, v31, v17, s[16:17]
	v_cndmask_b32_e64 v30, v30, v16, s[16:17]
	v_cndmask_b32_e64 v31, v31, v19, s[18:19]
	v_cndmask_b32_e64 v30, v30, v18, s[18:19]
	ds_read_b64 v[34:35], v32 offset:32
	v_cndmask_b32_e64 v31, v31, v21, s[20:21]
	v_cndmask_b32_e64 v30, v30, v20, s[20:21]
	;; [unrolled: 1-line block ×8, first 2 shown]
	s_waitcnt lgkmcnt(0)
	v_fmac_f64_e32 v[28:29], v[30:31], v[34:35]
	v_cmp_ne_u32_e64 s[2:3], 3, v0
	s_and_saveexec_b64 s[46:47], s[2:3]
	s_cbranch_execz .LBB76_52
; %bb.47:
	v_add_u32_e32 v30, 5, v0
	v_cmp_eq_u32_e64 s[2:3], 1, v30
	v_cndmask_b32_e64 v31, v3, v5, s[2:3]
	v_cmp_eq_u32_e64 s[4:5], 2, v30
	v_cmp_eq_u32_e64 s[8:9], 3, v30
	;; [unrolled: 1-line block ×11, first 2 shown]
	v_cndmask_b32_e64 v30, v2, v4, s[2:3]
	v_cndmask_b32_e64 v31, v31, v7, s[4:5]
	;; [unrolled: 1-line block ×15, first 2 shown]
	ds_read_b64 v[34:35], v32 offset:40
	v_cndmask_b32_e64 v31, v31, v21, s[20:21]
	v_cndmask_b32_e64 v30, v30, v20, s[20:21]
	;; [unrolled: 1-line block ×8, first 2 shown]
	s_waitcnt lgkmcnt(0)
	v_fmac_f64_e32 v[28:29], v[30:31], v[34:35]
	s_and_saveexec_b64 s[26:27], vcc
	s_cbranch_execz .LBB76_51
; %bb.48:
	v_or_b32_e32 v30, 6, v0
	v_cmp_eq_u32_e32 vcc, 1, v30
	v_cndmask_b32_e32 v31, v3, v5, vcc
	v_cmp_eq_u32_e64 s[2:3], 2, v30
	v_cmp_eq_u32_e64 s[4:5], 3, v30
	;; [unrolled: 1-line block ×11, first 2 shown]
	v_cndmask_b32_e32 v30, v2, v4, vcc
	v_cndmask_b32_e64 v31, v31, v7, s[2:3]
	v_cndmask_b32_e64 v30, v30, v6, s[2:3]
	;; [unrolled: 1-line block ×14, first 2 shown]
	ds_read_b64 v[30:31], v32 offset:48
	v_cndmask_b32_e64 v19, v19, v21, s[18:19]
	v_cndmask_b32_e64 v18, v18, v20, s[18:19]
	;; [unrolled: 1-line block ×8, first 2 shown]
	s_waitcnt lgkmcnt(0)
	v_fmac_f64_e32 v[28:29], v[18:19], v[30:31]
	s_and_saveexec_b64 s[2:3], s[0:1]
	s_cbranch_execz .LBB76_50
; %bb.49:
	ds_read_b64 v[18:19], v32 offset:56
	s_waitcnt lgkmcnt(0)
	v_fmac_f64_e32 v[28:29], v[16:17], v[18:19]
.LBB76_50:
	s_or_b64 exec, exec, s[2:3]
.LBB76_51:
	s_or_b64 exec, exec, s[26:27]
.LBB76_52:
	s_or_b64 exec, exec, s[46:47]
.LBB76_53:
	s_or_b64 exec, exec, s[28:29]
.LBB76_54:
	s_or_b64 exec, exec, s[44:45]
.LBB76_55:
	s_or_b64 exec, exec, s[30:31]
.LBB76_56:
	s_or_b64 exec, exec, s[42:43]
	v_mov_b32_e32 v18, 0
	ds_read_b64 v[18:19], v18 offset:64
	s_waitcnt lgkmcnt(0)
	v_mul_f64 v[18:19], v[28:29], v[18:19]
.LBB76_57:
	s_or_b64 exec, exec, s[36:37]
	v_cmp_gt_u32_e32 vcc, 9, v0
	s_waitcnt lgkmcnt(0)
	; wave barrier
	ds_write_b64 v32, v[20:21]
	s_waitcnt lgkmcnt(0)
	; wave barrier
	s_waitcnt lgkmcnt(0)
	s_and_saveexec_b64 s[4:5], vcc
	s_cbranch_execz .LBB76_61
; %bb.58:
	v_mov_b32_e32 v28, 0x70
	v_lshl_add_u32 v33, v0, 3, v28
	s_mov_b64 s[8:9], 0
	v_pk_mov_b32 v[28:29], 0, 0
	v_pk_mov_b32 v[30:31], v[0:1], v[0:1] op_sel:[0,1]
.LBB76_59:                              ; =>This Inner Loop Header: Depth=1
	v_cmp_eq_u32_e32 vcc, 1, v30
	v_cndmask_b32_e32 v36, v3, v5, vcc
	v_cmp_eq_u32_e64 s[0:1], 2, v30
	v_cndmask_b32_e64 v36, v36, v7, s[0:1]
	v_cndmask_b32_e32 v37, v2, v4, vcc
	v_cmp_eq_u32_e32 vcc, 3, v30
	v_cndmask_b32_e32 v36, v36, v9, vcc
	v_cndmask_b32_e64 v37, v37, v6, s[0:1]
	v_cmp_eq_u32_e64 s[0:1], 4, v30
	v_cndmask_b32_e64 v36, v36, v11, s[0:1]
	v_cndmask_b32_e32 v37, v37, v8, vcc
	v_cmp_eq_u32_e32 vcc, 5, v30
	v_cndmask_b32_e32 v36, v36, v13, vcc
	v_cndmask_b32_e64 v37, v37, v10, s[0:1]
	;; [unrolled: 6-line block ×3, first 2 shown]
	v_cmp_eq_u32_e64 s[0:1], 8, v30
	v_cndmask_b32_e64 v36, v36, v19, s[0:1]
	v_cndmask_b32_e32 v37, v37, v16, vcc
	v_cmp_eq_u32_e32 vcc, 9, v30
	ds_read_b64 v[34:35], v33
	v_cndmask_b32_e32 v36, v36, v21, vcc
	v_cndmask_b32_e64 v37, v37, v18, s[0:1]
	v_cmp_eq_u32_e64 s[0:1], 10, v30
	v_cndmask_b32_e64 v36, v36, v23, s[0:1]
	v_cndmask_b32_e32 v37, v37, v20, vcc
	v_cmp_eq_u32_e32 vcc, 11, v30
	v_cndmask_b32_e32 v36, v36, v25, vcc
	v_cmp_eq_u32_e64 s[2:3], 12, v30
	v_cndmask_b32_e64 v38, v37, v22, s[0:1]
	v_add_co_u32_e64 v30, s[0:1], 1, v30
	v_cndmask_b32_e64 v37, v36, v27, s[2:3]
	v_cndmask_b32_e32 v36, v38, v24, vcc
	v_add_u32_e32 v38, -1, v30
	v_cndmask_b32_e64 v36, v36, v26, s[2:3]
	v_cmp_lt_u32_e32 vcc, 7, v38
	v_add_u32_e32 v33, 8, v33
	v_addc_co_u32_e64 v31, s[0:1], 0, v31, s[0:1]
	s_or_b64 s[8:9], vcc, s[8:9]
	s_waitcnt lgkmcnt(0)
	v_fmac_f64_e32 v[28:29], v[36:37], v[34:35]
	s_andn2_b64 exec, exec, s[8:9]
	s_cbranch_execnz .LBB76_59
; %bb.60:
	s_or_b64 exec, exec, s[8:9]
	v_mov_b32_e32 v20, 0
	ds_read_b64 v[20:21], v20 offset:72
	s_waitcnt lgkmcnt(0)
	v_mul_f64 v[20:21], v[28:29], v[20:21]
.LBB76_61:
	s_or_b64 exec, exec, s[4:5]
	v_cmp_gt_u32_e32 vcc, 10, v0
	s_waitcnt lgkmcnt(0)
	; wave barrier
	ds_write_b64 v32, v[22:23]
	s_waitcnt lgkmcnt(0)
	; wave barrier
	s_waitcnt lgkmcnt(0)
	s_and_saveexec_b64 s[4:5], vcc
	s_cbranch_execz .LBB76_65
; %bb.62:
	v_mov_b32_e32 v28, 0x70
	v_lshl_add_u32 v33, v0, 3, v28
	s_mov_b64 s[8:9], 0
	v_pk_mov_b32 v[28:29], 0, 0
	v_pk_mov_b32 v[30:31], v[0:1], v[0:1] op_sel:[0,1]
.LBB76_63:                              ; =>This Inner Loop Header: Depth=1
	v_cmp_eq_u32_e32 vcc, 1, v30
	v_cndmask_b32_e32 v36, v3, v5, vcc
	v_cmp_eq_u32_e64 s[0:1], 2, v30
	v_cndmask_b32_e64 v36, v36, v7, s[0:1]
	v_cndmask_b32_e32 v37, v2, v4, vcc
	v_cmp_eq_u32_e32 vcc, 3, v30
	v_cndmask_b32_e32 v36, v36, v9, vcc
	v_cndmask_b32_e64 v37, v37, v6, s[0:1]
	v_cmp_eq_u32_e64 s[0:1], 4, v30
	v_cndmask_b32_e64 v36, v36, v11, s[0:1]
	v_cndmask_b32_e32 v37, v37, v8, vcc
	v_cmp_eq_u32_e32 vcc, 5, v30
	v_cndmask_b32_e32 v36, v36, v13, vcc
	v_cndmask_b32_e64 v37, v37, v10, s[0:1]
	;; [unrolled: 6-line block ×3, first 2 shown]
	v_cmp_eq_u32_e64 s[0:1], 8, v30
	v_cndmask_b32_e64 v36, v36, v19, s[0:1]
	v_cndmask_b32_e32 v37, v37, v16, vcc
	v_cmp_eq_u32_e32 vcc, 9, v30
	ds_read_b64 v[34:35], v33
	v_cndmask_b32_e32 v36, v36, v21, vcc
	v_cndmask_b32_e64 v37, v37, v18, s[0:1]
	v_cmp_eq_u32_e64 s[0:1], 10, v30
	v_cndmask_b32_e64 v36, v36, v23, s[0:1]
	v_cndmask_b32_e32 v37, v37, v20, vcc
	v_cmp_eq_u32_e32 vcc, 11, v30
	v_cndmask_b32_e32 v36, v36, v25, vcc
	v_cmp_eq_u32_e64 s[2:3], 12, v30
	v_cndmask_b32_e64 v38, v37, v22, s[0:1]
	v_add_co_u32_e64 v30, s[0:1], 1, v30
	v_cndmask_b32_e64 v37, v36, v27, s[2:3]
	v_cndmask_b32_e32 v36, v38, v24, vcc
	v_add_u32_e32 v38, -1, v30
	v_cndmask_b32_e64 v36, v36, v26, s[2:3]
	v_cmp_lt_u32_e32 vcc, 8, v38
	v_add_u32_e32 v33, 8, v33
	v_addc_co_u32_e64 v31, s[0:1], 0, v31, s[0:1]
	s_or_b64 s[8:9], vcc, s[8:9]
	s_waitcnt lgkmcnt(0)
	v_fmac_f64_e32 v[28:29], v[36:37], v[34:35]
	s_andn2_b64 exec, exec, s[8:9]
	s_cbranch_execnz .LBB76_63
; %bb.64:
	s_or_b64 exec, exec, s[8:9]
	v_mov_b32_e32 v22, 0
	ds_read_b64 v[22:23], v22 offset:80
	s_waitcnt lgkmcnt(0)
	v_mul_f64 v[22:23], v[28:29], v[22:23]
.LBB76_65:
	s_or_b64 exec, exec, s[4:5]
	v_cmp_gt_u32_e32 vcc, 11, v0
	s_waitcnt lgkmcnt(0)
	; wave barrier
	ds_write_b64 v32, v[24:25]
	s_waitcnt lgkmcnt(0)
	; wave barrier
	s_waitcnt lgkmcnt(0)
	s_and_saveexec_b64 s[4:5], vcc
	s_cbranch_execz .LBB76_69
; %bb.66:
	v_mov_b32_e32 v28, 0x70
	v_lshl_add_u32 v33, v0, 3, v28
	s_mov_b64 s[8:9], 0
	v_pk_mov_b32 v[28:29], 0, 0
	v_pk_mov_b32 v[30:31], v[0:1], v[0:1] op_sel:[0,1]
.LBB76_67:                              ; =>This Inner Loop Header: Depth=1
	v_cmp_eq_u32_e32 vcc, 1, v30
	v_cndmask_b32_e32 v36, v3, v5, vcc
	v_cmp_eq_u32_e64 s[0:1], 2, v30
	v_cndmask_b32_e64 v36, v36, v7, s[0:1]
	v_cndmask_b32_e32 v37, v2, v4, vcc
	v_cmp_eq_u32_e32 vcc, 3, v30
	v_cndmask_b32_e32 v36, v36, v9, vcc
	v_cndmask_b32_e64 v37, v37, v6, s[0:1]
	v_cmp_eq_u32_e64 s[0:1], 4, v30
	v_cndmask_b32_e64 v36, v36, v11, s[0:1]
	v_cndmask_b32_e32 v37, v37, v8, vcc
	v_cmp_eq_u32_e32 vcc, 5, v30
	v_cndmask_b32_e32 v36, v36, v13, vcc
	v_cndmask_b32_e64 v37, v37, v10, s[0:1]
	;; [unrolled: 6-line block ×3, first 2 shown]
	v_cmp_eq_u32_e64 s[0:1], 8, v30
	v_cndmask_b32_e64 v36, v36, v19, s[0:1]
	v_cndmask_b32_e32 v37, v37, v16, vcc
	v_cmp_eq_u32_e32 vcc, 9, v30
	ds_read_b64 v[34:35], v33
	v_cndmask_b32_e32 v36, v36, v21, vcc
	v_cndmask_b32_e64 v37, v37, v18, s[0:1]
	v_cmp_eq_u32_e64 s[0:1], 10, v30
	v_cndmask_b32_e64 v36, v36, v23, s[0:1]
	v_cndmask_b32_e32 v37, v37, v20, vcc
	v_cmp_eq_u32_e32 vcc, 11, v30
	v_cndmask_b32_e32 v36, v36, v25, vcc
	v_cmp_eq_u32_e64 s[2:3], 12, v30
	v_cndmask_b32_e64 v38, v37, v22, s[0:1]
	v_add_co_u32_e64 v30, s[0:1], 1, v30
	v_cndmask_b32_e64 v37, v36, v27, s[2:3]
	v_cndmask_b32_e32 v36, v38, v24, vcc
	v_add_u32_e32 v38, -1, v30
	v_cndmask_b32_e64 v36, v36, v26, s[2:3]
	v_cmp_lt_u32_e32 vcc, 9, v38
	v_add_u32_e32 v33, 8, v33
	v_addc_co_u32_e64 v31, s[0:1], 0, v31, s[0:1]
	s_or_b64 s[8:9], vcc, s[8:9]
	s_waitcnt lgkmcnt(0)
	v_fmac_f64_e32 v[28:29], v[36:37], v[34:35]
	s_andn2_b64 exec, exec, s[8:9]
	s_cbranch_execnz .LBB76_67
; %bb.68:
	s_or_b64 exec, exec, s[8:9]
	v_mov_b32_e32 v24, 0
	ds_read_b64 v[24:25], v24 offset:88
	s_waitcnt lgkmcnt(0)
	v_mul_f64 v[24:25], v[28:29], v[24:25]
.LBB76_69:
	s_or_b64 exec, exec, s[4:5]
	v_cmp_ne_u32_e32 vcc, 12, v0
	s_waitcnt lgkmcnt(0)
	; wave barrier
	ds_write_b64 v32, v[26:27]
	s_waitcnt lgkmcnt(0)
	; wave barrier
	s_waitcnt lgkmcnt(0)
	s_and_saveexec_b64 s[4:5], vcc
	s_cbranch_execz .LBB76_73
; %bb.70:
	v_mov_b32_e32 v28, 0x70
	v_lshl_add_u32 v32, v0, 3, v28
	s_mov_b64 s[8:9], 0
	v_pk_mov_b32 v[28:29], 0, 0
	v_pk_mov_b32 v[30:31], v[0:1], v[0:1] op_sel:[0,1]
.LBB76_71:                              ; =>This Inner Loop Header: Depth=1
	v_cmp_eq_u32_e32 vcc, 1, v30
	v_cndmask_b32_e32 v1, v3, v5, vcc
	v_cmp_eq_u32_e64 s[0:1], 2, v30
	v_cndmask_b32_e64 v1, v1, v7, s[0:1]
	v_cndmask_b32_e32 v33, v2, v4, vcc
	v_cmp_eq_u32_e32 vcc, 3, v30
	v_cndmask_b32_e32 v1, v1, v9, vcc
	v_cndmask_b32_e64 v33, v33, v6, s[0:1]
	v_cmp_eq_u32_e64 s[0:1], 4, v30
	v_cndmask_b32_e64 v1, v1, v11, s[0:1]
	v_cndmask_b32_e32 v33, v33, v8, vcc
	v_cmp_eq_u32_e32 vcc, 5, v30
	v_cndmask_b32_e32 v1, v1, v13, vcc
	v_cndmask_b32_e64 v33, v33, v10, s[0:1]
	;; [unrolled: 6-line block ×3, first 2 shown]
	v_cmp_eq_u32_e64 s[0:1], 8, v30
	v_cndmask_b32_e64 v1, v1, v19, s[0:1]
	v_cndmask_b32_e32 v33, v33, v16, vcc
	v_cmp_eq_u32_e32 vcc, 9, v30
	ds_read_b64 v[34:35], v32
	v_cndmask_b32_e32 v1, v1, v21, vcc
	v_cndmask_b32_e64 v33, v33, v18, s[0:1]
	v_cmp_eq_u32_e64 s[0:1], 10, v30
	v_cndmask_b32_e64 v1, v1, v23, s[0:1]
	v_cndmask_b32_e32 v33, v33, v20, vcc
	v_cmp_eq_u32_e32 vcc, 11, v30
	v_cndmask_b32_e32 v1, v1, v25, vcc
	v_cmp_eq_u32_e64 s[2:3], 12, v30
	v_cndmask_b32_e64 v33, v33, v22, s[0:1]
	v_add_co_u32_e64 v30, s[0:1], 1, v30
	v_cndmask_b32_e64 v37, v1, v27, s[2:3]
	v_cndmask_b32_e32 v1, v33, v24, vcc
	v_add_u32_e32 v33, -1, v30
	v_cndmask_b32_e64 v36, v1, v26, s[2:3]
	v_cmp_lt_u32_e32 vcc, 10, v33
	v_add_u32_e32 v32, 8, v32
	v_addc_co_u32_e64 v31, s[0:1], 0, v31, s[0:1]
	s_or_b64 s[8:9], vcc, s[8:9]
	s_waitcnt lgkmcnt(0)
	v_fmac_f64_e32 v[28:29], v[36:37], v[34:35]
	s_andn2_b64 exec, exec, s[8:9]
	s_cbranch_execnz .LBB76_71
; %bb.72:
	s_or_b64 exec, exec, s[8:9]
	v_mov_b32_e32 v1, 0
	ds_read_b64 v[26:27], v1 offset:96
	s_waitcnt lgkmcnt(0)
	v_mul_f64 v[26:27], v[28:29], v[26:27]
.LBB76_73:
	s_or_b64 exec, exec, s[4:5]
	s_waitcnt lgkmcnt(0)
	; wave barrier
	s_cbranch_execnz .LBB76_15
	s_branch .LBB76_16
.LBB76_74:
	v_mov_b32_e32 v1, 0x70
	v_lshl_add_u32 v1, v0, 3, v1
	v_cmp_eq_u32_e32 vcc, 12, v0
	s_and_saveexec_b64 s[0:1], vcc
	s_cbranch_execz .LBB76_76
; %bb.75:
	v_mov_b32_e32 v50, 0
	v_mov_b32_e32 v28, v2
	;; [unrolled: 1-line block ×26, first 2 shown]
	ds_write_b64 v1, v[24:25]
	v_pk_mov_b32 v[2:3], v[28:29], v[28:29] op_sel:[0,1]
	v_pk_mov_b32 v[4:5], v[30:31], v[30:31] op_sel:[0,1]
	;; [unrolled: 1-line block ×16, first 2 shown]
.LBB76_76:
	s_or_b64 exec, exec, s[0:1]
	v_mov_b32_e32 v48, 0
	s_waitcnt lgkmcnt(0)
	; wave barrier
	s_waitcnt lgkmcnt(0)
	ds_read_b64 v[28:29], v48 offset:208
	v_cmp_lt_u32_e32 vcc, 10, v0
	s_waitcnt lgkmcnt(0)
	v_fma_f64 v[28:29], v[26:27], v[28:29], 0
	v_add_f64 v[24:25], v[24:25], -v[28:29]
	s_and_saveexec_b64 s[0:1], vcc
	s_cbranch_execz .LBB76_78
; %bb.77:
	v_mov_b32_e32 v28, v2
	v_mov_b32_e32 v29, v3
	;; [unrolled: 1-line block ×25, first 2 shown]
	ds_write_b64 v1, v[22:23]
	v_pk_mov_b32 v[2:3], v[28:29], v[28:29] op_sel:[0,1]
	v_pk_mov_b32 v[4:5], v[30:31], v[30:31] op_sel:[0,1]
	;; [unrolled: 1-line block ×16, first 2 shown]
.LBB76_78:
	s_or_b64 exec, exec, s[0:1]
	s_waitcnt lgkmcnt(0)
	; wave barrier
	s_waitcnt lgkmcnt(0)
	ds_read2_b64 v[28:31], v48 offset0:25 offset1:26
	v_cmp_lt_u32_e32 vcc, 9, v0
	s_waitcnt lgkmcnt(0)
	v_fma_f64 v[28:29], v[24:25], v[28:29], 0
	v_fmac_f64_e32 v[28:29], v[26:27], v[30:31]
	v_add_f64 v[22:23], v[22:23], -v[28:29]
	s_and_saveexec_b64 s[0:1], vcc
	s_cbranch_execz .LBB76_80
; %bb.79:
	v_mov_b32_e32 v46, 0
	v_mov_b32_e32 v28, v2
	;; [unrolled: 1-line block ×26, first 2 shown]
	ds_write_b64 v1, v[20:21]
	v_pk_mov_b32 v[2:3], v[28:29], v[28:29] op_sel:[0,1]
	v_pk_mov_b32 v[4:5], v[30:31], v[30:31] op_sel:[0,1]
	v_pk_mov_b32 v[6:7], v[32:33], v[32:33] op_sel:[0,1]
	v_pk_mov_b32 v[8:9], v[34:35], v[34:35] op_sel:[0,1]
	v_pk_mov_b32 v[10:11], v[36:37], v[36:37] op_sel:[0,1]
	v_pk_mov_b32 v[12:13], v[38:39], v[38:39] op_sel:[0,1]
	v_pk_mov_b32 v[14:15], v[40:41], v[40:41] op_sel:[0,1]
	v_pk_mov_b32 v[16:17], v[42:43], v[42:43] op_sel:[0,1]
	v_pk_mov_b32 v[18:19], v[44:45], v[44:45] op_sel:[0,1]
	v_pk_mov_b32 v[20:21], v[46:47], v[46:47] op_sel:[0,1]
	v_pk_mov_b32 v[22:23], v[48:49], v[48:49] op_sel:[0,1]
	v_pk_mov_b32 v[24:25], v[50:51], v[50:51] op_sel:[0,1]
	v_pk_mov_b32 v[26:27], v[52:53], v[52:53] op_sel:[0,1]
	v_pk_mov_b32 v[28:29], v[54:55], v[54:55] op_sel:[0,1]
	v_pk_mov_b32 v[30:31], v[56:57], v[56:57] op_sel:[0,1]
	v_pk_mov_b32 v[32:33], v[58:59], v[58:59] op_sel:[0,1]
.LBB76_80:
	s_or_b64 exec, exec, s[0:1]
	v_mov_b32_e32 v44, 0
	s_waitcnt lgkmcnt(0)
	; wave barrier
	s_waitcnt lgkmcnt(0)
	ds_read_b128 v[28:31], v44 offset:192
	ds_read_b64 v[32:33], v44 offset:208
	v_cmp_lt_u32_e32 vcc, 8, v0
	s_waitcnt lgkmcnt(1)
	v_fma_f64 v[28:29], v[22:23], v[28:29], 0
	v_fmac_f64_e32 v[28:29], v[24:25], v[30:31]
	s_waitcnt lgkmcnt(0)
	v_fmac_f64_e32 v[28:29], v[26:27], v[32:33]
	v_add_f64 v[20:21], v[20:21], -v[28:29]
	s_and_saveexec_b64 s[0:1], vcc
	s_cbranch_execz .LBB76_82
; %bb.81:
	v_mov_b32_e32 v28, v2
	v_mov_b32_e32 v29, v3
	;; [unrolled: 1-line block ×25, first 2 shown]
	ds_write_b64 v1, v[18:19]
	v_pk_mov_b32 v[2:3], v[28:29], v[28:29] op_sel:[0,1]
	v_pk_mov_b32 v[4:5], v[30:31], v[30:31] op_sel:[0,1]
	;; [unrolled: 1-line block ×16, first 2 shown]
.LBB76_82:
	s_or_b64 exec, exec, s[0:1]
	s_waitcnt lgkmcnt(0)
	; wave barrier
	s_waitcnt lgkmcnt(0)
	ds_read2_b64 v[28:31], v44 offset0:23 offset1:24
	ds_read2_b64 v[32:35], v44 offset0:25 offset1:26
	v_cmp_lt_u32_e32 vcc, 7, v0
	s_waitcnt lgkmcnt(1)
	v_fma_f64 v[28:29], v[20:21], v[28:29], 0
	v_fmac_f64_e32 v[28:29], v[22:23], v[30:31]
	s_waitcnt lgkmcnt(0)
	v_fmac_f64_e32 v[28:29], v[24:25], v[32:33]
	v_fmac_f64_e32 v[28:29], v[26:27], v[34:35]
	v_add_f64 v[18:19], v[18:19], -v[28:29]
	s_and_saveexec_b64 s[0:1], vcc
	s_cbranch_execz .LBB76_84
; %bb.83:
	v_mov_b32_e32 v42, 0
	v_mov_b32_e32 v28, v2
	;; [unrolled: 1-line block ×26, first 2 shown]
	ds_write_b64 v1, v[16:17]
	v_pk_mov_b32 v[2:3], v[28:29], v[28:29] op_sel:[0,1]
	v_pk_mov_b32 v[4:5], v[30:31], v[30:31] op_sel:[0,1]
	;; [unrolled: 1-line block ×16, first 2 shown]
.LBB76_84:
	s_or_b64 exec, exec, s[0:1]
	v_mov_b32_e32 v40, 0
	s_waitcnt lgkmcnt(0)
	; wave barrier
	s_waitcnt lgkmcnt(0)
	ds_read_b128 v[28:31], v40 offset:176
	ds_read_b128 v[32:35], v40 offset:192
	ds_read_b64 v[36:37], v40 offset:208
	v_cmp_lt_u32_e32 vcc, 6, v0
	s_waitcnt lgkmcnt(2)
	v_fma_f64 v[28:29], v[18:19], v[28:29], 0
	v_fmac_f64_e32 v[28:29], v[20:21], v[30:31]
	s_waitcnt lgkmcnt(1)
	v_fmac_f64_e32 v[28:29], v[22:23], v[32:33]
	v_fmac_f64_e32 v[28:29], v[24:25], v[34:35]
	s_waitcnt lgkmcnt(0)
	v_fmac_f64_e32 v[28:29], v[26:27], v[36:37]
	v_add_f64 v[16:17], v[16:17], -v[28:29]
	s_and_saveexec_b64 s[0:1], vcc
	s_cbranch_execz .LBB76_86
; %bb.85:
	v_mov_b32_e32 v28, v2
	v_mov_b32_e32 v29, v3
	v_mov_b32_e32 v30, v4
	v_mov_b32_e32 v31, v5
	v_mov_b32_e32 v32, v6
	v_mov_b32_e32 v33, v7
	v_mov_b32_e32 v34, v8
	v_mov_b32_e32 v35, v9
	v_mov_b32_e32 v36, v10
	v_mov_b32_e32 v37, v11
	v_mov_b32_e32 v38, v12
	v_mov_b32_e32 v39, v13
	v_mov_b32_e32 v41, v40
	v_mov_b32_e32 v42, v16
	v_mov_b32_e32 v43, v17
	v_mov_b32_e32 v44, v18
	v_mov_b32_e32 v45, v19
	v_mov_b32_e32 v46, v20
	v_mov_b32_e32 v47, v21
	v_mov_b32_e32 v48, v22
	v_mov_b32_e32 v49, v23
	v_mov_b32_e32 v50, v24
	v_mov_b32_e32 v51, v25
	v_mov_b32_e32 v52, v26
	v_mov_b32_e32 v53, v27
	ds_write_b64 v1, v[14:15]
	v_pk_mov_b32 v[2:3], v[28:29], v[28:29] op_sel:[0,1]
	v_pk_mov_b32 v[4:5], v[30:31], v[30:31] op_sel:[0,1]
	v_pk_mov_b32 v[6:7], v[32:33], v[32:33] op_sel:[0,1]
	v_pk_mov_b32 v[8:9], v[34:35], v[34:35] op_sel:[0,1]
	v_pk_mov_b32 v[10:11], v[36:37], v[36:37] op_sel:[0,1]
	v_pk_mov_b32 v[12:13], v[38:39], v[38:39] op_sel:[0,1]
	v_pk_mov_b32 v[14:15], v[40:41], v[40:41] op_sel:[0,1]
	v_pk_mov_b32 v[16:17], v[42:43], v[42:43] op_sel:[0,1]
	v_pk_mov_b32 v[18:19], v[44:45], v[44:45] op_sel:[0,1]
	v_pk_mov_b32 v[20:21], v[46:47], v[46:47] op_sel:[0,1]
	v_pk_mov_b32 v[22:23], v[48:49], v[48:49] op_sel:[0,1]
	v_pk_mov_b32 v[24:25], v[50:51], v[50:51] op_sel:[0,1]
	v_pk_mov_b32 v[26:27], v[52:53], v[52:53] op_sel:[0,1]
	v_pk_mov_b32 v[28:29], v[54:55], v[54:55] op_sel:[0,1]
	v_pk_mov_b32 v[30:31], v[56:57], v[56:57] op_sel:[0,1]
	v_pk_mov_b32 v[32:33], v[58:59], v[58:59] op_sel:[0,1]
.LBB76_86:
	s_or_b64 exec, exec, s[0:1]
	s_waitcnt lgkmcnt(0)
	; wave barrier
	s_waitcnt lgkmcnt(0)
	ds_read2_b64 v[28:31], v40 offset0:21 offset1:22
	ds_read2_b64 v[32:35], v40 offset0:23 offset1:24
	;; [unrolled: 1-line block ×3, first 2 shown]
	v_cmp_lt_u32_e32 vcc, 5, v0
	s_waitcnt lgkmcnt(2)
	v_fma_f64 v[28:29], v[16:17], v[28:29], 0
	v_fmac_f64_e32 v[28:29], v[18:19], v[30:31]
	s_waitcnt lgkmcnt(1)
	v_fmac_f64_e32 v[28:29], v[20:21], v[32:33]
	v_fmac_f64_e32 v[28:29], v[22:23], v[34:35]
	s_waitcnt lgkmcnt(0)
	v_fmac_f64_e32 v[28:29], v[24:25], v[36:37]
	v_fmac_f64_e32 v[28:29], v[26:27], v[38:39]
	v_add_f64 v[14:15], v[14:15], -v[28:29]
	s_and_saveexec_b64 s[0:1], vcc
	s_cbranch_execz .LBB76_88
; %bb.87:
	v_mov_b32_e32 v38, 0
	v_mov_b32_e32 v28, v2
	;; [unrolled: 1-line block ×26, first 2 shown]
	ds_write_b64 v1, v[12:13]
	v_pk_mov_b32 v[2:3], v[28:29], v[28:29] op_sel:[0,1]
	v_pk_mov_b32 v[4:5], v[30:31], v[30:31] op_sel:[0,1]
	;; [unrolled: 1-line block ×16, first 2 shown]
.LBB76_88:
	s_or_b64 exec, exec, s[0:1]
	v_mov_b32_e32 v36, 0
	s_waitcnt lgkmcnt(0)
	; wave barrier
	s_waitcnt lgkmcnt(0)
	ds_read_b128 v[28:31], v36 offset:160
	ds_read_b128 v[32:35], v36 offset:176
	;; [unrolled: 1-line block ×3, first 2 shown]
	ds_read_b64 v[42:43], v36 offset:208
	v_cmp_lt_u32_e32 vcc, 4, v0
	s_waitcnt lgkmcnt(3)
	v_fma_f64 v[28:29], v[14:15], v[28:29], 0
	v_fmac_f64_e32 v[28:29], v[16:17], v[30:31]
	s_waitcnt lgkmcnt(2)
	v_fmac_f64_e32 v[28:29], v[18:19], v[32:33]
	v_fmac_f64_e32 v[28:29], v[20:21], v[34:35]
	s_waitcnt lgkmcnt(1)
	v_fmac_f64_e32 v[28:29], v[22:23], v[38:39]
	;; [unrolled: 3-line block ×3, first 2 shown]
	v_add_f64 v[12:13], v[12:13], -v[28:29]
	s_and_saveexec_b64 s[0:1], vcc
	s_cbranch_execz .LBB76_90
; %bb.89:
	v_mov_b32_e32 v28, v2
	v_mov_b32_e32 v29, v3
	;; [unrolled: 1-line block ×25, first 2 shown]
	ds_write_b64 v1, v[10:11]
	v_pk_mov_b32 v[2:3], v[28:29], v[28:29] op_sel:[0,1]
	v_pk_mov_b32 v[4:5], v[30:31], v[30:31] op_sel:[0,1]
	;; [unrolled: 1-line block ×16, first 2 shown]
.LBB76_90:
	s_or_b64 exec, exec, s[0:1]
	s_waitcnt lgkmcnt(0)
	; wave barrier
	s_waitcnt lgkmcnt(0)
	ds_read2_b64 v[28:31], v36 offset0:19 offset1:20
	ds_read2_b64 v[32:35], v36 offset0:21 offset1:22
	;; [unrolled: 1-line block ×3, first 2 shown]
	v_cmp_lt_u32_e32 vcc, 3, v0
	s_waitcnt lgkmcnt(2)
	v_fma_f64 v[42:43], v[12:13], v[28:29], 0
	v_fmac_f64_e32 v[42:43], v[14:15], v[30:31]
	ds_read2_b64 v[28:31], v36 offset0:25 offset1:26
	s_waitcnt lgkmcnt(2)
	v_fmac_f64_e32 v[42:43], v[16:17], v[32:33]
	v_fmac_f64_e32 v[42:43], v[18:19], v[34:35]
	s_waitcnt lgkmcnt(1)
	v_fmac_f64_e32 v[42:43], v[20:21], v[38:39]
	v_fmac_f64_e32 v[42:43], v[22:23], v[40:41]
	;; [unrolled: 3-line block ×3, first 2 shown]
	v_add_f64 v[10:11], v[10:11], -v[42:43]
	s_and_saveexec_b64 s[0:1], vcc
	s_cbranch_execz .LBB76_92
; %bb.91:
	v_mov_b32_e32 v34, 0
	v_mov_b32_e32 v28, v2
	;; [unrolled: 1-line block ×28, first 2 shown]
	ds_write_b64 v1, v[2:3]
	v_pk_mov_b32 v[2:3], v[28:29], v[28:29] op_sel:[0,1]
	v_pk_mov_b32 v[4:5], v[30:31], v[30:31] op_sel:[0,1]
	;; [unrolled: 1-line block ×16, first 2 shown]
.LBB76_92:
	s_or_b64 exec, exec, s[0:1]
	v_mov_b32_e32 v34, 0
	s_waitcnt lgkmcnt(0)
	; wave barrier
	s_waitcnt lgkmcnt(0)
	ds_read_b128 v[28:31], v34 offset:144
	ds_read_b128 v[36:39], v34 offset:160
	;; [unrolled: 1-line block ×4, first 2 shown]
	v_cmp_lt_u32_e32 vcc, 2, v0
	s_waitcnt lgkmcnt(3)
	v_fma_f64 v[28:29], v[10:11], v[28:29], 0
	v_fmac_f64_e32 v[28:29], v[12:13], v[30:31]
	s_waitcnt lgkmcnt(2)
	v_fmac_f64_e32 v[28:29], v[14:15], v[36:37]
	v_fmac_f64_e32 v[28:29], v[16:17], v[38:39]
	ds_read_b64 v[30:31], v34 offset:208
	s_waitcnt lgkmcnt(2)
	v_fmac_f64_e32 v[28:29], v[18:19], v[40:41]
	v_fmac_f64_e32 v[28:29], v[20:21], v[42:43]
	s_waitcnt lgkmcnt(1)
	v_fmac_f64_e32 v[28:29], v[22:23], v[44:45]
	v_fmac_f64_e32 v[28:29], v[24:25], v[46:47]
	s_waitcnt lgkmcnt(0)
	v_fmac_f64_e32 v[28:29], v[26:27], v[30:31]
	v_add_f64 v[8:9], v[8:9], -v[28:29]
	s_and_saveexec_b64 s[0:1], vcc
	s_cbranch_execz .LBB76_94
; %bb.93:
	v_mov_b32_e32 v30, v2
	v_mov_b32_e32 v31, v3
	v_mov_b32_e32 v32, v4
	v_mov_b32_e32 v33, v5
	v_mov_b32_e32 v3, v7
	v_mov_b32_e32 v2, v6
	v_mov_b32_e32 v37, v9
	v_mov_b32_e32 v36, v8
	v_mov_b32_e32 v35, v34
	v_mov_b32_e32 v38, v10
	v_mov_b32_e32 v39, v11
	v_mov_b32_e32 v40, v12
	v_mov_b32_e32 v41, v13
	v_mov_b32_e32 v42, v14
	v_mov_b32_e32 v43, v15
	v_mov_b32_e32 v44, v16
	v_mov_b32_e32 v45, v17
	v_mov_b32_e32 v46, v18
	v_mov_b32_e32 v47, v19
	v_mov_b32_e32 v48, v20
	v_mov_b32_e32 v49, v21
	v_mov_b32_e32 v50, v22
	v_mov_b32_e32 v51, v23
	v_mov_b32_e32 v52, v24
	v_mov_b32_e32 v53, v25
	v_mov_b32_e32 v54, v26
	v_mov_b32_e32 v55, v27
	ds_write_b64 v1, v[2:3]
	v_pk_mov_b32 v[2:3], v[30:31], v[30:31] op_sel:[0,1]
	v_pk_mov_b32 v[4:5], v[32:33], v[32:33] op_sel:[0,1]
	;; [unrolled: 1-line block ×16, first 2 shown]
.LBB76_94:
	s_or_b64 exec, exec, s[0:1]
	s_waitcnt lgkmcnt(0)
	; wave barrier
	s_waitcnt lgkmcnt(0)
	ds_read2_b64 v[28:31], v34 offset0:17 offset1:18
	ds_read2_b64 v[36:39], v34 offset0:19 offset1:20
	v_cmp_lt_u32_e32 vcc, 1, v0
	ds_read2_b64 v[40:43], v34 offset0:23 offset1:24
	s_waitcnt lgkmcnt(2)
	v_fma_f64 v[44:45], v[8:9], v[28:29], 0
	v_fmac_f64_e32 v[44:45], v[10:11], v[30:31]
	ds_read2_b64 v[28:31], v34 offset0:21 offset1:22
	s_waitcnt lgkmcnt(2)
	v_fmac_f64_e32 v[44:45], v[12:13], v[36:37]
	v_fmac_f64_e32 v[44:45], v[14:15], v[38:39]
	ds_read2_b64 v[32:35], v34 offset0:25 offset1:26
	s_waitcnt lgkmcnt(1)
	v_fmac_f64_e32 v[44:45], v[16:17], v[28:29]
	v_fmac_f64_e32 v[44:45], v[18:19], v[30:31]
	;; [unrolled: 1-line block ×4, first 2 shown]
	s_waitcnt lgkmcnt(0)
	v_fmac_f64_e32 v[44:45], v[24:25], v[32:33]
	v_fmac_f64_e32 v[44:45], v[26:27], v[34:35]
	v_add_f64 v[6:7], v[6:7], -v[44:45]
	s_and_saveexec_b64 s[0:1], vcc
	s_cbranch_execz .LBB76_96
; %bb.95:
	v_mov_b32_e32 v30, 0
	v_mov_b32_e32 v33, v7
	;; [unrolled: 1-line block ×28, first 2 shown]
	ds_write_b64 v1, v[2:3]
	v_pk_mov_b32 v[2:3], v[28:29], v[28:29] op_sel:[0,1]
	v_pk_mov_b32 v[4:5], v[30:31], v[30:31] op_sel:[0,1]
	v_pk_mov_b32 v[6:7], v[32:33], v[32:33] op_sel:[0,1]
	v_pk_mov_b32 v[8:9], v[34:35], v[34:35] op_sel:[0,1]
	v_pk_mov_b32 v[10:11], v[36:37], v[36:37] op_sel:[0,1]
	v_pk_mov_b32 v[12:13], v[38:39], v[38:39] op_sel:[0,1]
	v_pk_mov_b32 v[14:15], v[40:41], v[40:41] op_sel:[0,1]
	v_pk_mov_b32 v[16:17], v[42:43], v[42:43] op_sel:[0,1]
	v_pk_mov_b32 v[18:19], v[44:45], v[44:45] op_sel:[0,1]
	v_pk_mov_b32 v[20:21], v[46:47], v[46:47] op_sel:[0,1]
	v_pk_mov_b32 v[22:23], v[48:49], v[48:49] op_sel:[0,1]
	v_pk_mov_b32 v[24:25], v[50:51], v[50:51] op_sel:[0,1]
	v_pk_mov_b32 v[26:27], v[52:53], v[52:53] op_sel:[0,1]
	v_pk_mov_b32 v[28:29], v[54:55], v[54:55] op_sel:[0,1]
	v_pk_mov_b32 v[30:31], v[56:57], v[56:57] op_sel:[0,1]
	v_pk_mov_b32 v[32:33], v[58:59], v[58:59] op_sel:[0,1]
.LBB76_96:
	s_or_b64 exec, exec, s[0:1]
	v_mov_b32_e32 v34, 0
	s_waitcnt lgkmcnt(0)
	; wave barrier
	s_waitcnt lgkmcnt(0)
	ds_read_b128 v[28:31], v34 offset:128
	ds_read_b128 v[36:39], v34 offset:144
	;; [unrolled: 1-line block ×4, first 2 shown]
	v_cmp_ne_u32_e32 vcc, 0, v0
	s_waitcnt lgkmcnt(3)
	v_fma_f64 v[32:33], v[6:7], v[28:29], 0
	v_fmac_f64_e32 v[32:33], v[8:9], v[30:31]
	s_waitcnt lgkmcnt(2)
	v_fmac_f64_e32 v[32:33], v[10:11], v[36:37]
	v_fmac_f64_e32 v[32:33], v[12:13], v[38:39]
	ds_read_b128 v[28:31], v34 offset:192
	ds_read_b64 v[36:37], v34 offset:208
	s_waitcnt lgkmcnt(3)
	v_fmac_f64_e32 v[32:33], v[14:15], v[40:41]
	v_fmac_f64_e32 v[32:33], v[16:17], v[42:43]
	s_waitcnt lgkmcnt(2)
	v_fmac_f64_e32 v[32:33], v[18:19], v[44:45]
	v_fmac_f64_e32 v[32:33], v[20:21], v[46:47]
	s_waitcnt lgkmcnt(1)
	v_fmac_f64_e32 v[32:33], v[22:23], v[28:29]
	v_fmac_f64_e32 v[32:33], v[24:25], v[30:31]
	s_waitcnt lgkmcnt(0)
	v_fmac_f64_e32 v[32:33], v[26:27], v[36:37]
	v_add_f64 v[4:5], v[4:5], -v[32:33]
	s_and_saveexec_b64 s[0:1], vcc
	s_cbranch_execz .LBB76_98
; %bb.97:
	v_mov_b32_e32 v35, v34
	v_mov_b32_e32 v37, v5
	;; [unrolled: 1-line block ×25, first 2 shown]
	ds_write_b64 v1, v[2:3]
	v_pk_mov_b32 v[2:3], v[34:35], v[34:35] op_sel:[0,1]
	v_pk_mov_b32 v[4:5], v[36:37], v[36:37] op_sel:[0,1]
	;; [unrolled: 1-line block ×16, first 2 shown]
.LBB76_98:
	s_or_b64 exec, exec, s[0:1]
	s_waitcnt lgkmcnt(0)
	; wave barrier
	s_waitcnt lgkmcnt(0)
	ds_read2_b64 v[28:31], v34 offset0:15 offset1:16
	ds_read2_b64 v[36:39], v34 offset0:17 offset1:18
	;; [unrolled: 1-line block ×3, first 2 shown]
	s_and_b64 vcc, exec, s[40:41]
	s_waitcnt lgkmcnt(2)
	v_fma_f64 v[0:1], v[4:5], v[28:29], 0
	v_fmac_f64_e32 v[0:1], v[6:7], v[30:31]
	ds_read2_b64 v[28:31], v34 offset0:21 offset1:22
	s_waitcnt lgkmcnt(2)
	v_fmac_f64_e32 v[0:1], v[8:9], v[36:37]
	v_fmac_f64_e32 v[0:1], v[10:11], v[38:39]
	ds_read2_b64 v[36:39], v34 offset0:23 offset1:24
	s_waitcnt lgkmcnt(2)
	v_fmac_f64_e32 v[0:1], v[12:13], v[40:41]
	;; [unrolled: 4-line block ×3, first 2 shown]
	v_fmac_f64_e32 v[0:1], v[18:19], v[30:31]
	s_waitcnt lgkmcnt(1)
	v_fmac_f64_e32 v[0:1], v[20:21], v[36:37]
	v_fmac_f64_e32 v[0:1], v[22:23], v[38:39]
	s_waitcnt lgkmcnt(0)
	v_fmac_f64_e32 v[0:1], v[24:25], v[32:33]
	v_fmac_f64_e32 v[0:1], v[26:27], v[34:35]
	v_add_f64 v[2:3], v[2:3], -v[0:1]
	s_cbranch_vccz .LBB76_124
; %bb.99:
	v_pk_mov_b32 v[0:1], s[34:35], s[34:35] op_sel:[0,1]
	flat_load_dword v0, v[0:1] offset:44
	s_waitcnt vmcnt(0) lgkmcnt(0)
	v_add_u32_e32 v0, -1, v0
	v_cmp_ne_u32_e32 vcc, 11, v0
	s_and_saveexec_b64 s[22:23], vcc
	s_cbranch_execz .LBB76_101
; %bb.100:
	v_cmp_eq_u32_e32 vcc, 1, v0
	v_cndmask_b32_e32 v1, v2, v4, vcc
	v_cmp_eq_u32_e64 s[0:1], 2, v0
	v_cndmask_b32_e32 v28, v3, v5, vcc
	v_cndmask_b32_e64 v1, v1, v6, s[0:1]
	v_cmp_eq_u32_e64 s[2:3], 3, v0
	v_cndmask_b32_e64 v28, v28, v7, s[0:1]
	v_cndmask_b32_e64 v1, v1, v8, s[2:3]
	v_cmp_eq_u32_e64 s[4:5], 4, v0
	v_cndmask_b32_e64 v28, v28, v9, s[2:3]
	;; [unrolled: 3-line block ×10, first 2 shown]
	v_cndmask_b32_e64 v1, v1, v26, s[20:21]
	v_cndmask_b32_e64 v28, v28, v27, s[20:21]
	;; [unrolled: 1-line block ×4, first 2 shown]
	v_cndmask_b32_e32 v27, v5, v25, vcc
	v_cndmask_b32_e32 v26, v4, v24, vcc
	v_cmp_eq_u32_e32 vcc, 0, v0
	v_cndmask_b32_e64 v47, v28, v25, s[18:19]
	v_cndmask_b32_e64 v46, v1, v24, s[18:19]
	;; [unrolled: 1-line block ×20, first 2 shown]
	v_cndmask_b32_e32 v25, v3, v25, vcc
	v_cndmask_b32_e32 v24, v2, v24, vcc
	v_pk_mov_b32 v[2:3], v[24:25], v[24:25] op_sel:[0,1]
	v_pk_mov_b32 v[4:5], v[26:27], v[26:27] op_sel:[0,1]
	;; [unrolled: 1-line block ×16, first 2 shown]
.LBB76_101:
	s_or_b64 exec, exec, s[22:23]
	v_pk_mov_b32 v[0:1], s[34:35], s[34:35] op_sel:[0,1]
	flat_load_dword v0, v[0:1] offset:40
	s_waitcnt vmcnt(0) lgkmcnt(0)
	v_add_u32_e32 v0, -1, v0
	v_cmp_ne_u32_e32 vcc, 10, v0
	s_and_saveexec_b64 s[22:23], vcc
	s_cbranch_execz .LBB76_103
; %bb.102:
	v_cmp_eq_u32_e32 vcc, 1, v0
	v_cndmask_b32_e32 v1, v2, v4, vcc
	v_cmp_eq_u32_e64 s[0:1], 2, v0
	v_cndmask_b32_e32 v28, v3, v5, vcc
	v_cndmask_b32_e64 v1, v1, v6, s[0:1]
	v_cmp_eq_u32_e64 s[2:3], 3, v0
	v_cndmask_b32_e64 v28, v28, v7, s[0:1]
	v_cndmask_b32_e64 v1, v1, v8, s[2:3]
	v_cmp_eq_u32_e64 s[4:5], 4, v0
	v_cndmask_b32_e64 v28, v28, v9, s[2:3]
	;; [unrolled: 3-line block ×10, first 2 shown]
	v_cndmask_b32_e64 v1, v1, v26, s[20:21]
	v_cndmask_b32_e64 v28, v28, v27, s[20:21]
	;; [unrolled: 1-line block ×4, first 2 shown]
	v_cndmask_b32_e32 v25, v5, v23, vcc
	v_cndmask_b32_e32 v24, v4, v22, vcc
	v_cmp_eq_u32_e32 vcc, 0, v0
	v_cndmask_b32_e64 v43, v28, v23, s[16:17]
	v_cndmask_b32_e64 v42, v1, v22, s[16:17]
	;; [unrolled: 1-line block ×20, first 2 shown]
	v_cndmask_b32_e32 v23, v3, v23, vcc
	v_cndmask_b32_e32 v22, v2, v22, vcc
	v_pk_mov_b32 v[2:3], v[22:23], v[22:23] op_sel:[0,1]
	v_pk_mov_b32 v[4:5], v[24:25], v[24:25] op_sel:[0,1]
	;; [unrolled: 1-line block ×16, first 2 shown]
.LBB76_103:
	s_or_b64 exec, exec, s[22:23]
	v_pk_mov_b32 v[0:1], s[34:35], s[34:35] op_sel:[0,1]
	flat_load_dword v0, v[0:1] offset:36
	s_waitcnt vmcnt(0) lgkmcnt(0)
	v_add_u32_e32 v0, -1, v0
	v_cmp_ne_u32_e32 vcc, 9, v0
	s_and_saveexec_b64 s[22:23], vcc
	s_cbranch_execz .LBB76_105
; %bb.104:
	v_cmp_eq_u32_e32 vcc, 1, v0
	v_cndmask_b32_e32 v1, v2, v4, vcc
	v_cmp_eq_u32_e64 s[0:1], 2, v0
	v_cndmask_b32_e32 v28, v3, v5, vcc
	v_cndmask_b32_e64 v1, v1, v6, s[0:1]
	v_cmp_eq_u32_e64 s[2:3], 3, v0
	v_cndmask_b32_e64 v28, v28, v7, s[0:1]
	v_cndmask_b32_e64 v1, v1, v8, s[2:3]
	v_cmp_eq_u32_e64 s[4:5], 4, v0
	v_cndmask_b32_e64 v28, v28, v9, s[2:3]
	v_cndmask_b32_e64 v1, v1, v10, s[4:5]
	v_cmp_eq_u32_e64 s[6:7], 5, v0
	v_cndmask_b32_e64 v28, v28, v11, s[4:5]
	v_cndmask_b32_e64 v1, v1, v12, s[6:7]
	v_cmp_eq_u32_e64 s[8:9], 6, v0
	v_cndmask_b32_e64 v28, v28, v13, s[6:7]
	v_cndmask_b32_e64 v1, v1, v14, s[8:9]
	v_cmp_eq_u32_e64 s[10:11], 7, v0
	v_cndmask_b32_e64 v28, v28, v15, s[8:9]
	v_cndmask_b32_e64 v1, v1, v16, s[10:11]
	v_cmp_eq_u32_e64 s[12:13], 8, v0
	v_cndmask_b32_e64 v28, v28, v17, s[10:11]
	v_cndmask_b32_e64 v1, v1, v18, s[12:13]
	v_cmp_eq_u32_e64 s[14:15], 9, v0
	v_cndmask_b32_e64 v28, v28, v19, s[12:13]
	v_cndmask_b32_e64 v1, v1, v20, s[14:15]
	v_cmp_eq_u32_e64 s[16:17], 10, v0
	v_cndmask_b32_e64 v28, v28, v21, s[14:15]
	v_cndmask_b32_e64 v1, v1, v22, s[16:17]
	v_cmp_eq_u32_e64 s[18:19], 11, v0
	v_cndmask_b32_e64 v28, v28, v23, s[16:17]
	v_cndmask_b32_e64 v1, v1, v24, s[18:19]
	v_cmp_eq_u32_e64 s[20:21], 12, v0
	v_cndmask_b32_e64 v28, v28, v25, s[18:19]
	v_cndmask_b32_e64 v1, v1, v26, s[20:21]
	v_cndmask_b32_e64 v28, v28, v27, s[20:21]
	;; [unrolled: 1-line block ×4, first 2 shown]
	v_cndmask_b32_e32 v23, v5, v21, vcc
	v_cndmask_b32_e32 v22, v4, v20, vcc
	v_cmp_eq_u32_e32 vcc, 0, v0
	v_cndmask_b32_e64 v39, v28, v21, s[14:15]
	v_cndmask_b32_e64 v38, v1, v20, s[14:15]
	;; [unrolled: 1-line block ×20, first 2 shown]
	v_cndmask_b32_e32 v21, v3, v21, vcc
	v_cndmask_b32_e32 v20, v2, v20, vcc
	v_pk_mov_b32 v[2:3], v[20:21], v[20:21] op_sel:[0,1]
	v_pk_mov_b32 v[4:5], v[22:23], v[22:23] op_sel:[0,1]
	;; [unrolled: 1-line block ×16, first 2 shown]
.LBB76_105:
	s_or_b64 exec, exec, s[22:23]
	v_pk_mov_b32 v[0:1], s[34:35], s[34:35] op_sel:[0,1]
	flat_load_dword v0, v[0:1] offset:32
	s_waitcnt vmcnt(0) lgkmcnt(0)
	v_add_u32_e32 v0, -1, v0
	v_cmp_ne_u32_e32 vcc, 8, v0
	s_and_saveexec_b64 s[22:23], vcc
	s_cbranch_execz .LBB76_107
; %bb.106:
	v_cmp_eq_u32_e32 vcc, 1, v0
	v_cndmask_b32_e32 v1, v2, v4, vcc
	v_cmp_eq_u32_e64 s[0:1], 2, v0
	v_cndmask_b32_e32 v28, v3, v5, vcc
	v_cndmask_b32_e64 v1, v1, v6, s[0:1]
	v_cmp_eq_u32_e64 s[2:3], 3, v0
	v_cndmask_b32_e64 v28, v28, v7, s[0:1]
	v_cndmask_b32_e64 v1, v1, v8, s[2:3]
	v_cmp_eq_u32_e64 s[4:5], 4, v0
	v_cndmask_b32_e64 v28, v28, v9, s[2:3]
	;; [unrolled: 3-line block ×10, first 2 shown]
	v_cndmask_b32_e64 v1, v1, v26, s[20:21]
	v_cndmask_b32_e64 v28, v28, v27, s[20:21]
	;; [unrolled: 1-line block ×4, first 2 shown]
	v_cndmask_b32_e32 v21, v5, v19, vcc
	v_cndmask_b32_e32 v20, v4, v18, vcc
	v_cmp_eq_u32_e32 vcc, 0, v0
	v_cndmask_b32_e64 v35, v28, v19, s[12:13]
	v_cndmask_b32_e64 v34, v1, v18, s[12:13]
	;; [unrolled: 1-line block ×20, first 2 shown]
	v_cndmask_b32_e32 v19, v3, v19, vcc
	v_cndmask_b32_e32 v18, v2, v18, vcc
	v_pk_mov_b32 v[2:3], v[18:19], v[18:19] op_sel:[0,1]
	v_pk_mov_b32 v[4:5], v[20:21], v[20:21] op_sel:[0,1]
	;; [unrolled: 1-line block ×16, first 2 shown]
.LBB76_107:
	s_or_b64 exec, exec, s[22:23]
	v_pk_mov_b32 v[0:1], s[34:35], s[34:35] op_sel:[0,1]
	flat_load_dword v0, v[0:1] offset:28
	s_waitcnt vmcnt(0) lgkmcnt(0)
	v_add_u32_e32 v0, -1, v0
	v_cmp_ne_u32_e32 vcc, 7, v0
	s_and_saveexec_b64 s[22:23], vcc
	s_cbranch_execz .LBB76_109
; %bb.108:
	v_cmp_eq_u32_e32 vcc, 1, v0
	v_cndmask_b32_e32 v1, v2, v4, vcc
	v_cmp_eq_u32_e64 s[0:1], 2, v0
	v_cndmask_b32_e32 v28, v3, v5, vcc
	v_cndmask_b32_e64 v1, v1, v6, s[0:1]
	v_cmp_eq_u32_e64 s[2:3], 3, v0
	v_cndmask_b32_e64 v28, v28, v7, s[0:1]
	v_cndmask_b32_e64 v1, v1, v8, s[2:3]
	v_cmp_eq_u32_e64 s[4:5], 4, v0
	v_cndmask_b32_e64 v28, v28, v9, s[2:3]
	v_cndmask_b32_e64 v1, v1, v10, s[4:5]
	v_cmp_eq_u32_e64 s[6:7], 5, v0
	v_cndmask_b32_e64 v28, v28, v11, s[4:5]
	v_cndmask_b32_e64 v1, v1, v12, s[6:7]
	v_cmp_eq_u32_e64 s[8:9], 6, v0
	v_cndmask_b32_e64 v28, v28, v13, s[6:7]
	v_cndmask_b32_e64 v1, v1, v14, s[8:9]
	v_cmp_eq_u32_e64 s[10:11], 7, v0
	v_cndmask_b32_e64 v28, v28, v15, s[8:9]
	v_cndmask_b32_e64 v1, v1, v16, s[10:11]
	v_cmp_eq_u32_e64 s[12:13], 8, v0
	v_cndmask_b32_e64 v28, v28, v17, s[10:11]
	v_cndmask_b32_e64 v1, v1, v18, s[12:13]
	v_cmp_eq_u32_e64 s[14:15], 9, v0
	v_cndmask_b32_e64 v28, v28, v19, s[12:13]
	v_cndmask_b32_e64 v1, v1, v20, s[14:15]
	v_cmp_eq_u32_e64 s[16:17], 10, v0
	v_cndmask_b32_e64 v28, v28, v21, s[14:15]
	v_cndmask_b32_e64 v1, v1, v22, s[16:17]
	v_cmp_eq_u32_e64 s[18:19], 11, v0
	v_cndmask_b32_e64 v28, v28, v23, s[16:17]
	v_cndmask_b32_e64 v1, v1, v24, s[18:19]
	v_cmp_eq_u32_e64 s[20:21], 12, v0
	v_cndmask_b32_e64 v28, v28, v25, s[18:19]
	v_cndmask_b32_e64 v1, v1, v26, s[20:21]
	v_cndmask_b32_e64 v28, v28, v27, s[20:21]
	;; [unrolled: 1-line block ×4, first 2 shown]
	v_cndmask_b32_e32 v19, v5, v17, vcc
	v_cndmask_b32_e32 v18, v4, v16, vcc
	v_cmp_eq_u32_e32 vcc, 0, v0
	v_cndmask_b32_e64 v31, v28, v17, s[10:11]
	v_cndmask_b32_e64 v30, v1, v16, s[10:11]
	;; [unrolled: 1-line block ×20, first 2 shown]
	v_cndmask_b32_e32 v17, v3, v17, vcc
	v_cndmask_b32_e32 v16, v2, v16, vcc
	v_pk_mov_b32 v[2:3], v[16:17], v[16:17] op_sel:[0,1]
	v_pk_mov_b32 v[4:5], v[18:19], v[18:19] op_sel:[0,1]
	;; [unrolled: 1-line block ×16, first 2 shown]
.LBB76_109:
	s_or_b64 exec, exec, s[22:23]
	v_pk_mov_b32 v[0:1], s[34:35], s[34:35] op_sel:[0,1]
	flat_load_dword v0, v[0:1] offset:24
	s_waitcnt vmcnt(0) lgkmcnt(0)
	v_add_u32_e32 v0, -1, v0
	v_cmp_ne_u32_e32 vcc, 6, v0
	s_and_saveexec_b64 s[22:23], vcc
	s_cbranch_execz .LBB76_111
; %bb.110:
	v_cmp_eq_u32_e32 vcc, 1, v0
	v_cndmask_b32_e32 v1, v2, v4, vcc
	v_cmp_eq_u32_e64 s[0:1], 2, v0
	v_cndmask_b32_e32 v28, v3, v5, vcc
	v_cndmask_b32_e64 v1, v1, v6, s[0:1]
	v_cmp_eq_u32_e64 s[2:3], 3, v0
	v_cndmask_b32_e64 v28, v28, v7, s[0:1]
	v_cndmask_b32_e64 v1, v1, v8, s[2:3]
	v_cmp_eq_u32_e64 s[4:5], 4, v0
	v_cndmask_b32_e64 v28, v28, v9, s[2:3]
	v_cndmask_b32_e64 v1, v1, v10, s[4:5]
	v_cmp_eq_u32_e64 s[6:7], 5, v0
	v_cndmask_b32_e64 v28, v28, v11, s[4:5]
	v_cndmask_b32_e64 v1, v1, v12, s[6:7]
	v_cmp_eq_u32_e64 s[8:9], 6, v0
	v_cndmask_b32_e64 v28, v28, v13, s[6:7]
	v_cndmask_b32_e64 v1, v1, v14, s[8:9]
	v_cmp_eq_u32_e64 s[10:11], 7, v0
	v_cndmask_b32_e64 v28, v28, v15, s[8:9]
	v_cndmask_b32_e64 v1, v1, v16, s[10:11]
	v_cmp_eq_u32_e64 s[12:13], 8, v0
	v_cndmask_b32_e64 v28, v28, v17, s[10:11]
	v_cndmask_b32_e64 v1, v1, v18, s[12:13]
	v_cmp_eq_u32_e64 s[14:15], 9, v0
	v_cndmask_b32_e64 v28, v28, v19, s[12:13]
	v_cndmask_b32_e64 v1, v1, v20, s[14:15]
	v_cmp_eq_u32_e64 s[16:17], 10, v0
	v_cndmask_b32_e64 v28, v28, v21, s[14:15]
	v_cndmask_b32_e64 v1, v1, v22, s[16:17]
	v_cmp_eq_u32_e64 s[18:19], 11, v0
	v_cndmask_b32_e64 v28, v28, v23, s[16:17]
	v_cndmask_b32_e64 v1, v1, v24, s[18:19]
	v_cmp_eq_u32_e64 s[20:21], 12, v0
	v_cndmask_b32_e64 v28, v28, v25, s[18:19]
	v_cndmask_b32_e64 v1, v1, v26, s[20:21]
	v_cndmask_b32_e64 v28, v28, v27, s[20:21]
	;; [unrolled: 1-line block ×4, first 2 shown]
	v_cndmask_b32_e32 v19, v5, v15, vcc
	v_cndmask_b32_e32 v18, v4, v14, vcc
	v_cmp_eq_u32_e32 vcc, 0, v0
	v_cndmask_b32_e64 v29, v28, v15, s[8:9]
	v_cndmask_b32_e64 v28, v1, v14, s[8:9]
	;; [unrolled: 1-line block ×20, first 2 shown]
	v_cndmask_b32_e32 v17, v3, v15, vcc
	v_cndmask_b32_e32 v16, v2, v14, vcc
	v_pk_mov_b32 v[2:3], v[16:17], v[16:17] op_sel:[0,1]
	v_pk_mov_b32 v[4:5], v[18:19], v[18:19] op_sel:[0,1]
	;; [unrolled: 1-line block ×16, first 2 shown]
.LBB76_111:
	s_or_b64 exec, exec, s[22:23]
	v_pk_mov_b32 v[0:1], s[34:35], s[34:35] op_sel:[0,1]
	flat_load_dword v0, v[0:1] offset:20
	s_waitcnt vmcnt(0) lgkmcnt(0)
	v_add_u32_e32 v0, -1, v0
	v_cmp_ne_u32_e32 vcc, 5, v0
	s_and_saveexec_b64 s[22:23], vcc
	s_cbranch_execz .LBB76_113
; %bb.112:
	v_cmp_eq_u32_e32 vcc, 1, v0
	v_cndmask_b32_e32 v1, v2, v4, vcc
	v_cmp_eq_u32_e64 s[0:1], 2, v0
	v_cndmask_b32_e32 v28, v3, v5, vcc
	v_cndmask_b32_e64 v1, v1, v6, s[0:1]
	v_cmp_eq_u32_e64 s[2:3], 3, v0
	v_cndmask_b32_e64 v28, v28, v7, s[0:1]
	v_cndmask_b32_e64 v1, v1, v8, s[2:3]
	v_cmp_eq_u32_e64 s[4:5], 4, v0
	v_cndmask_b32_e64 v28, v28, v9, s[2:3]
	;; [unrolled: 3-line block ×10, first 2 shown]
	v_cndmask_b32_e64 v1, v1, v26, s[20:21]
	v_cndmask_b32_e64 v28, v28, v27, s[20:21]
	;; [unrolled: 1-line block ×4, first 2 shown]
	v_cndmask_b32_e32 v21, v5, v13, vcc
	v_cndmask_b32_e32 v20, v4, v12, vcc
	v_cmp_eq_u32_e32 vcc, 0, v0
	v_cndmask_b32_e64 v29, v28, v13, s[6:7]
	v_cndmask_b32_e64 v28, v1, v12, s[6:7]
	;; [unrolled: 1-line block ×20, first 2 shown]
	v_cndmask_b32_e32 v19, v3, v13, vcc
	v_cndmask_b32_e32 v18, v2, v12, vcc
	v_pk_mov_b32 v[2:3], v[18:19], v[18:19] op_sel:[0,1]
	v_pk_mov_b32 v[4:5], v[20:21], v[20:21] op_sel:[0,1]
	;; [unrolled: 1-line block ×16, first 2 shown]
.LBB76_113:
	s_or_b64 exec, exec, s[22:23]
	v_pk_mov_b32 v[0:1], s[34:35], s[34:35] op_sel:[0,1]
	flat_load_dword v0, v[0:1] offset:16
	s_waitcnt vmcnt(0) lgkmcnt(0)
	v_add_u32_e32 v0, -1, v0
	v_cmp_ne_u32_e32 vcc, 4, v0
	s_and_saveexec_b64 s[22:23], vcc
	s_cbranch_execz .LBB76_115
; %bb.114:
	v_cmp_eq_u32_e32 vcc, 1, v0
	v_cndmask_b32_e32 v1, v2, v4, vcc
	v_cmp_eq_u32_e64 s[0:1], 2, v0
	v_cndmask_b32_e32 v28, v3, v5, vcc
	v_cndmask_b32_e64 v1, v1, v6, s[0:1]
	v_cmp_eq_u32_e64 s[2:3], 3, v0
	v_cndmask_b32_e64 v28, v28, v7, s[0:1]
	v_cndmask_b32_e64 v1, v1, v8, s[2:3]
	v_cmp_eq_u32_e64 s[4:5], 4, v0
	v_cndmask_b32_e64 v28, v28, v9, s[2:3]
	;; [unrolled: 3-line block ×10, first 2 shown]
	v_cndmask_b32_e64 v1, v1, v26, s[20:21]
	v_cndmask_b32_e64 v28, v28, v27, s[20:21]
	;; [unrolled: 1-line block ×4, first 2 shown]
	v_cndmask_b32_e32 v23, v5, v11, vcc
	v_cndmask_b32_e32 v22, v4, v10, vcc
	v_cmp_eq_u32_e32 vcc, 0, v0
	v_cndmask_b32_e64 v29, v28, v11, s[4:5]
	v_cndmask_b32_e64 v28, v1, v10, s[4:5]
	;; [unrolled: 1-line block ×16, first 2 shown]
	v_cndmask_b32_e32 v21, v3, v11, vcc
	v_cndmask_b32_e32 v20, v2, v10, vcc
	v_cndmask_b32_e64 v37, v19, v11, s[12:13]
	v_cndmask_b32_e64 v36, v18, v10, s[12:13]
	;; [unrolled: 1-line block ×4, first 2 shown]
	v_pk_mov_b32 v[2:3], v[20:21], v[20:21] op_sel:[0,1]
	v_pk_mov_b32 v[4:5], v[22:23], v[22:23] op_sel:[0,1]
	;; [unrolled: 1-line block ×16, first 2 shown]
.LBB76_115:
	s_or_b64 exec, exec, s[22:23]
	v_pk_mov_b32 v[0:1], s[34:35], s[34:35] op_sel:[0,1]
	flat_load_dword v0, v[0:1] offset:12
	s_waitcnt vmcnt(0) lgkmcnt(0)
	v_add_u32_e32 v0, -1, v0
	v_cmp_ne_u32_e32 vcc, 3, v0
	s_and_saveexec_b64 s[22:23], vcc
	s_cbranch_execz .LBB76_117
; %bb.116:
	v_cmp_eq_u32_e32 vcc, 1, v0
	v_cndmask_b32_e32 v1, v2, v4, vcc
	v_cmp_eq_u32_e64 s[0:1], 2, v0
	v_cndmask_b32_e32 v28, v3, v5, vcc
	v_cndmask_b32_e64 v1, v1, v6, s[0:1]
	v_cmp_eq_u32_e64 s[2:3], 3, v0
	v_cndmask_b32_e64 v28, v28, v7, s[0:1]
	v_cndmask_b32_e64 v1, v1, v8, s[2:3]
	v_cmp_eq_u32_e64 s[4:5], 4, v0
	v_cndmask_b32_e64 v28, v28, v9, s[2:3]
	;; [unrolled: 3-line block ×10, first 2 shown]
	v_cndmask_b32_e64 v1, v1, v26, s[20:21]
	v_cndmask_b32_e64 v28, v28, v27, s[20:21]
	;; [unrolled: 1-line block ×4, first 2 shown]
	v_cndmask_b32_e32 v25, v5, v9, vcc
	v_cndmask_b32_e32 v24, v4, v8, vcc
	v_cmp_eq_u32_e32 vcc, 0, v0
	v_cndmask_b32_e64 v29, v28, v9, s[2:3]
	v_cndmask_b32_e64 v28, v1, v8, s[2:3]
	;; [unrolled: 1-line block ×12, first 2 shown]
	v_cndmask_b32_e32 v23, v3, v9, vcc
	v_cndmask_b32_e32 v22, v2, v8, vcc
	v_cndmask_b32_e64 v41, v21, v9, s[14:15]
	v_cndmask_b32_e64 v40, v20, v8, s[14:15]
	;; [unrolled: 1-line block ×8, first 2 shown]
	v_pk_mov_b32 v[2:3], v[22:23], v[22:23] op_sel:[0,1]
	v_pk_mov_b32 v[4:5], v[24:25], v[24:25] op_sel:[0,1]
	v_pk_mov_b32 v[6:7], v[26:27], v[26:27] op_sel:[0,1]
	v_pk_mov_b32 v[8:9], v[28:29], v[28:29] op_sel:[0,1]
	v_pk_mov_b32 v[10:11], v[30:31], v[30:31] op_sel:[0,1]
	v_pk_mov_b32 v[12:13], v[32:33], v[32:33] op_sel:[0,1]
	v_pk_mov_b32 v[14:15], v[34:35], v[34:35] op_sel:[0,1]
	v_pk_mov_b32 v[16:17], v[36:37], v[36:37] op_sel:[0,1]
	v_pk_mov_b32 v[18:19], v[38:39], v[38:39] op_sel:[0,1]
	v_pk_mov_b32 v[20:21], v[40:41], v[40:41] op_sel:[0,1]
	v_pk_mov_b32 v[22:23], v[42:43], v[42:43] op_sel:[0,1]
	v_pk_mov_b32 v[24:25], v[44:45], v[44:45] op_sel:[0,1]
	v_pk_mov_b32 v[26:27], v[46:47], v[46:47] op_sel:[0,1]
	v_pk_mov_b32 v[28:29], v[48:49], v[48:49] op_sel:[0,1]
	v_pk_mov_b32 v[30:31], v[50:51], v[50:51] op_sel:[0,1]
	v_pk_mov_b32 v[32:33], v[52:53], v[52:53] op_sel:[0,1]
.LBB76_117:
	s_or_b64 exec, exec, s[22:23]
	v_pk_mov_b32 v[0:1], s[34:35], s[34:35] op_sel:[0,1]
	flat_load_dword v0, v[0:1] offset:8
	s_waitcnt vmcnt(0) lgkmcnt(0)
	v_add_u32_e32 v0, -1, v0
	v_cmp_ne_u32_e32 vcc, 2, v0
	s_and_saveexec_b64 s[22:23], vcc
	s_cbranch_execz .LBB76_119
; %bb.118:
	v_cmp_eq_u32_e32 vcc, 1, v0
	v_cndmask_b32_e32 v1, v2, v4, vcc
	v_cmp_eq_u32_e64 s[0:1], 2, v0
	v_cndmask_b32_e32 v28, v3, v5, vcc
	v_cndmask_b32_e64 v1, v1, v6, s[0:1]
	v_cmp_eq_u32_e64 s[2:3], 3, v0
	v_cndmask_b32_e64 v28, v28, v7, s[0:1]
	v_cndmask_b32_e64 v1, v1, v8, s[2:3]
	v_cmp_eq_u32_e64 s[4:5], 4, v0
	v_cndmask_b32_e64 v28, v28, v9, s[2:3]
	;; [unrolled: 3-line block ×10, first 2 shown]
	v_cndmask_b32_e64 v1, v1, v26, s[20:21]
	v_cndmask_b32_e64 v28, v28, v27, s[20:21]
	;; [unrolled: 1-line block ×4, first 2 shown]
	v_cndmask_b32_e32 v27, v5, v7, vcc
	v_cndmask_b32_e32 v26, v4, v6, vcc
	v_cmp_eq_u32_e32 vcc, 0, v0
	v_cndmask_b32_e64 v29, v28, v7, s[0:1]
	v_cndmask_b32_e64 v28, v1, v6, s[0:1]
	v_cndmask_b32_e64 v47, v25, v7, s[18:19]
	v_cndmask_b32_e64 v46, v24, v6, s[18:19]
	v_cndmask_b32_e64 v33, v11, v7, s[4:5]
	v_cndmask_b32_e64 v32, v10, v6, s[4:5]
	v_cndmask_b32_e64 v31, v9, v7, s[2:3]
	v_cndmask_b32_e64 v30, v8, v6, s[2:3]
	v_cndmask_b32_e32 v25, v3, v7, vcc
	v_cndmask_b32_e32 v24, v2, v6, vcc
	v_cndmask_b32_e64 v45, v23, v7, s[16:17]
	v_cndmask_b32_e64 v44, v22, v6, s[16:17]
	;; [unrolled: 1-line block ×12, first 2 shown]
	v_pk_mov_b32 v[2:3], v[24:25], v[24:25] op_sel:[0,1]
	v_pk_mov_b32 v[4:5], v[26:27], v[26:27] op_sel:[0,1]
	;; [unrolled: 1-line block ×16, first 2 shown]
.LBB76_119:
	s_or_b64 exec, exec, s[22:23]
	v_pk_mov_b32 v[0:1], s[34:35], s[34:35] op_sel:[0,1]
	flat_load_dword v0, v[0:1] offset:4
	s_waitcnt vmcnt(0) lgkmcnt(0)
	v_add_u32_e32 v0, -1, v0
	v_cmp_ne_u32_e32 vcc, 1, v0
	s_and_saveexec_b64 s[22:23], vcc
	s_cbranch_execz .LBB76_121
; %bb.120:
	v_cmp_eq_u32_e32 vcc, 1, v0
	v_cndmask_b32_e32 v1, v2, v4, vcc
	v_cmp_eq_u32_e64 s[0:1], 2, v0
	v_cndmask_b32_e32 v28, v3, v5, vcc
	v_cndmask_b32_e64 v1, v1, v6, s[0:1]
	v_cmp_eq_u32_e64 s[2:3], 3, v0
	v_cndmask_b32_e64 v28, v28, v7, s[0:1]
	v_cndmask_b32_e64 v1, v1, v8, s[2:3]
	v_cmp_eq_u32_e64 s[4:5], 4, v0
	v_cndmask_b32_e64 v28, v28, v9, s[2:3]
	;; [unrolled: 3-line block ×10, first 2 shown]
	v_cndmask_b32_e64 v1, v1, v26, s[20:21]
	v_cndmask_b32_e64 v28, v28, v27, s[20:21]
	v_cndmask_b32_e32 v29, v28, v5, vcc
	v_cndmask_b32_e32 v28, v1, v4, vcc
	v_cmp_eq_u32_e32 vcc, 0, v0
	v_cndmask_b32_e64 v51, v27, v5, s[20:21]
	v_cndmask_b32_e64 v50, v26, v4, s[20:21]
	;; [unrolled: 1-line block ×6, first 2 shown]
	v_cndmask_b32_e32 v27, v3, v5, vcc
	v_cndmask_b32_e32 v26, v2, v4, vcc
	v_cndmask_b32_e64 v49, v25, v5, s[18:19]
	v_cndmask_b32_e64 v48, v24, v4, s[18:19]
	;; [unrolled: 1-line block ×16, first 2 shown]
	v_pk_mov_b32 v[2:3], v[26:27], v[26:27] op_sel:[0,1]
	v_pk_mov_b32 v[4:5], v[28:29], v[28:29] op_sel:[0,1]
	v_pk_mov_b32 v[6:7], v[30:31], v[30:31] op_sel:[0,1]
	v_pk_mov_b32 v[8:9], v[32:33], v[32:33] op_sel:[0,1]
	v_pk_mov_b32 v[10:11], v[34:35], v[34:35] op_sel:[0,1]
	v_pk_mov_b32 v[12:13], v[36:37], v[36:37] op_sel:[0,1]
	v_pk_mov_b32 v[14:15], v[38:39], v[38:39] op_sel:[0,1]
	v_pk_mov_b32 v[16:17], v[40:41], v[40:41] op_sel:[0,1]
	v_pk_mov_b32 v[18:19], v[42:43], v[42:43] op_sel:[0,1]
	v_pk_mov_b32 v[20:21], v[44:45], v[44:45] op_sel:[0,1]
	v_pk_mov_b32 v[22:23], v[46:47], v[46:47] op_sel:[0,1]
	v_pk_mov_b32 v[24:25], v[48:49], v[48:49] op_sel:[0,1]
	v_pk_mov_b32 v[26:27], v[50:51], v[50:51] op_sel:[0,1]
	v_pk_mov_b32 v[28:29], v[52:53], v[52:53] op_sel:[0,1]
	v_pk_mov_b32 v[30:31], v[54:55], v[54:55] op_sel:[0,1]
	v_pk_mov_b32 v[32:33], v[56:57], v[56:57] op_sel:[0,1]
.LBB76_121:
	s_or_b64 exec, exec, s[22:23]
	v_pk_mov_b32 v[0:1], s[34:35], s[34:35] op_sel:[0,1]
	flat_load_dword v0, v[0:1]
	s_waitcnt vmcnt(0) lgkmcnt(0)
	v_add_u32_e32 v0, -1, v0
	v_cmp_ne_u32_e32 vcc, 0, v0
	s_and_saveexec_b64 s[24:25], vcc
	s_cbranch_execz .LBB76_123
; %bb.122:
	v_cmp_eq_u32_e32 vcc, 1, v0
	v_cndmask_b32_e32 v1, v2, v4, vcc
	v_cmp_eq_u32_e64 s[0:1], 2, v0
	v_cndmask_b32_e32 v28, v3, v5, vcc
	v_cndmask_b32_e64 v1, v1, v6, s[0:1]
	v_cmp_eq_u32_e64 s[2:3], 3, v0
	v_cndmask_b32_e64 v28, v28, v7, s[0:1]
	v_cndmask_b32_e64 v1, v1, v8, s[2:3]
	v_cmp_eq_u32_e64 s[4:5], 4, v0
	v_cndmask_b32_e64 v28, v28, v9, s[2:3]
	v_cndmask_b32_e64 v1, v1, v10, s[4:5]
	v_cmp_eq_u32_e64 s[6:7], 5, v0
	v_cndmask_b32_e64 v28, v28, v11, s[4:5]
	v_cndmask_b32_e64 v1, v1, v12, s[6:7]
	v_cmp_eq_u32_e64 s[8:9], 6, v0
	v_cndmask_b32_e64 v28, v28, v13, s[6:7]
	v_cndmask_b32_e64 v1, v1, v14, s[8:9]
	v_cmp_eq_u32_e64 s[10:11], 7, v0
	v_cndmask_b32_e64 v28, v28, v15, s[8:9]
	v_cndmask_b32_e64 v1, v1, v16, s[10:11]
	v_cmp_eq_u32_e64 s[12:13], 8, v0
	v_cndmask_b32_e64 v28, v28, v17, s[10:11]
	v_cndmask_b32_e64 v1, v1, v18, s[12:13]
	v_cmp_eq_u32_e64 s[14:15], 9, v0
	v_cndmask_b32_e64 v28, v28, v19, s[12:13]
	v_cndmask_b32_e64 v1, v1, v20, s[14:15]
	v_cmp_eq_u32_e64 s[16:17], 10, v0
	v_cndmask_b32_e64 v28, v28, v21, s[14:15]
	v_cndmask_b32_e64 v1, v1, v22, s[16:17]
	v_cmp_eq_u32_e64 s[18:19], 11, v0
	v_cndmask_b32_e64 v28, v28, v23, s[16:17]
	v_cndmask_b32_e64 v1, v1, v24, s[18:19]
	v_cmp_eq_u32_e64 s[20:21], 12, v0
	v_cndmask_b32_e64 v28, v28, v25, s[18:19]
	v_cndmask_b32_e64 v1, v1, v26, s[20:21]
	v_cndmask_b32_e64 v28, v28, v27, s[20:21]
	v_cmp_eq_u32_e64 s[22:23], 0, v0
	v_cndmask_b32_e64 v29, v28, v3, s[22:23]
	v_cndmask_b32_e64 v28, v1, v2, s[22:23]
	;; [unrolled: 1-line block ×4, first 2 shown]
	v_cndmask_b32_e32 v31, v5, v3, vcc
	v_cndmask_b32_e32 v30, v4, v2, vcc
	v_cndmask_b32_e64 v53, v27, v3, s[20:21]
	v_cndmask_b32_e64 v52, v26, v2, s[20:21]
	v_cndmask_b32_e64 v51, v25, v3, s[18:19]
	v_cndmask_b32_e64 v50, v24, v2, s[18:19]
	v_cndmask_b32_e64 v49, v23, v3, s[16:17]
	v_cndmask_b32_e64 v48, v22, v2, s[16:17]
	v_cndmask_b32_e64 v47, v21, v3, s[14:15]
	v_cndmask_b32_e64 v46, v20, v2, s[14:15]
	v_cndmask_b32_e64 v45, v19, v3, s[12:13]
	v_cndmask_b32_e64 v44, v18, v2, s[12:13]
	v_cndmask_b32_e64 v43, v17, v3, s[10:11]
	v_cndmask_b32_e64 v42, v16, v2, s[10:11]
	v_cndmask_b32_e64 v41, v15, v3, s[8:9]
	v_cndmask_b32_e64 v40, v14, v2, s[8:9]
	v_cndmask_b32_e64 v39, v13, v3, s[6:7]
	v_cndmask_b32_e64 v38, v12, v2, s[6:7]
	v_cndmask_b32_e64 v37, v11, v3, s[4:5]
	v_cndmask_b32_e64 v36, v10, v2, s[4:5]
	v_cndmask_b32_e64 v35, v9, v3, s[2:3]
	v_cndmask_b32_e64 v34, v8, v2, s[2:3]
	v_pk_mov_b32 v[2:3], v[28:29], v[28:29] op_sel:[0,1]
	v_pk_mov_b32 v[4:5], v[30:31], v[30:31] op_sel:[0,1]
	;; [unrolled: 1-line block ×16, first 2 shown]
.LBB76_123:
	s_or_b64 exec, exec, s[24:25]
.LBB76_124:
	v_mov_b32_e32 v1, v3
	v_mov_b32_e32 v0, v2
	global_store_dwordx2 v[60:61], v[0:1], off
	v_mov_b32_e32 v1, v5
	v_mov_b32_e32 v0, v4
	global_store_dwordx2 v[62:63], v[0:1], off
	;; [unrolled: 3-line block ×13, first 2 shown]
	s_endpgm
	.section	.rodata,"a",@progbits
	.p2align	6, 0x0
	.amdhsa_kernel _ZN9rocsolver6v33100L18getri_kernel_smallILi13EdPKPdEEvT1_iilPiilS6_bb
		.amdhsa_group_segment_fixed_size 216
		.amdhsa_private_segment_fixed_size 0
		.amdhsa_kernarg_size 60
		.amdhsa_user_sgpr_count 6
		.amdhsa_user_sgpr_private_segment_buffer 1
		.amdhsa_user_sgpr_dispatch_ptr 0
		.amdhsa_user_sgpr_queue_ptr 0
		.amdhsa_user_sgpr_kernarg_segment_ptr 1
		.amdhsa_user_sgpr_dispatch_id 0
		.amdhsa_user_sgpr_flat_scratch_init 0
		.amdhsa_user_sgpr_kernarg_preload_length 0
		.amdhsa_user_sgpr_kernarg_preload_offset 0
		.amdhsa_user_sgpr_private_segment_size 0
		.amdhsa_uses_dynamic_stack 0
		.amdhsa_system_sgpr_private_segment_wavefront_offset 0
		.amdhsa_system_sgpr_workgroup_id_x 1
		.amdhsa_system_sgpr_workgroup_id_y 0
		.amdhsa_system_sgpr_workgroup_id_z 0
		.amdhsa_system_sgpr_workgroup_info 0
		.amdhsa_system_vgpr_workitem_id 0
		.amdhsa_next_free_vgpr 86
		.amdhsa_next_free_sgpr 48
		.amdhsa_accum_offset 88
		.amdhsa_reserve_vcc 1
		.amdhsa_reserve_flat_scratch 0
		.amdhsa_float_round_mode_32 0
		.amdhsa_float_round_mode_16_64 0
		.amdhsa_float_denorm_mode_32 3
		.amdhsa_float_denorm_mode_16_64 3
		.amdhsa_dx10_clamp 1
		.amdhsa_ieee_mode 1
		.amdhsa_fp16_overflow 0
		.amdhsa_tg_split 0
		.amdhsa_exception_fp_ieee_invalid_op 0
		.amdhsa_exception_fp_denorm_src 0
		.amdhsa_exception_fp_ieee_div_zero 0
		.amdhsa_exception_fp_ieee_overflow 0
		.amdhsa_exception_fp_ieee_underflow 0
		.amdhsa_exception_fp_ieee_inexact 0
		.amdhsa_exception_int_div_zero 0
	.end_amdhsa_kernel
	.section	.text._ZN9rocsolver6v33100L18getri_kernel_smallILi13EdPKPdEEvT1_iilPiilS6_bb,"axG",@progbits,_ZN9rocsolver6v33100L18getri_kernel_smallILi13EdPKPdEEvT1_iilPiilS6_bb,comdat
.Lfunc_end76:
	.size	_ZN9rocsolver6v33100L18getri_kernel_smallILi13EdPKPdEEvT1_iilPiilS6_bb, .Lfunc_end76-_ZN9rocsolver6v33100L18getri_kernel_smallILi13EdPKPdEEvT1_iilPiilS6_bb
                                        ; -- End function
	.section	.AMDGPU.csdata,"",@progbits
; Kernel info:
; codeLenInByte = 20104
; NumSgprs: 52
; NumVgprs: 86
; NumAgprs: 0
; TotalNumVgprs: 86
; ScratchSize: 0
; MemoryBound: 0
; FloatMode: 240
; IeeeMode: 1
; LDSByteSize: 216 bytes/workgroup (compile time only)
; SGPRBlocks: 6
; VGPRBlocks: 10
; NumSGPRsForWavesPerEU: 52
; NumVGPRsForWavesPerEU: 86
; AccumOffset: 88
; Occupancy: 5
; WaveLimiterHint : 1
; COMPUTE_PGM_RSRC2:SCRATCH_EN: 0
; COMPUTE_PGM_RSRC2:USER_SGPR: 6
; COMPUTE_PGM_RSRC2:TRAP_HANDLER: 0
; COMPUTE_PGM_RSRC2:TGID_X_EN: 1
; COMPUTE_PGM_RSRC2:TGID_Y_EN: 0
; COMPUTE_PGM_RSRC2:TGID_Z_EN: 0
; COMPUTE_PGM_RSRC2:TIDIG_COMP_CNT: 0
; COMPUTE_PGM_RSRC3_GFX90A:ACCUM_OFFSET: 21
; COMPUTE_PGM_RSRC3_GFX90A:TG_SPLIT: 0
	.section	.text._ZN9rocsolver6v33100L18getri_kernel_smallILi14EdPKPdEEvT1_iilPiilS6_bb,"axG",@progbits,_ZN9rocsolver6v33100L18getri_kernel_smallILi14EdPKPdEEvT1_iilPiilS6_bb,comdat
	.globl	_ZN9rocsolver6v33100L18getri_kernel_smallILi14EdPKPdEEvT1_iilPiilS6_bb ; -- Begin function _ZN9rocsolver6v33100L18getri_kernel_smallILi14EdPKPdEEvT1_iilPiilS6_bb
	.p2align	8
	.type	_ZN9rocsolver6v33100L18getri_kernel_smallILi14EdPKPdEEvT1_iilPiilS6_bb,@function
_ZN9rocsolver6v33100L18getri_kernel_smallILi14EdPKPdEEvT1_iilPiilS6_bb: ; @_ZN9rocsolver6v33100L18getri_kernel_smallILi14EdPKPdEEvT1_iilPiilS6_bb
; %bb.0:
	v_cmp_gt_u32_e32 vcc, 14, v0
	s_and_saveexec_b64 s[0:1], vcc
	s_cbranch_execz .LBB77_16
; %bb.1:
	s_load_dword s8, s[4:5], 0x38
	s_load_dwordx2 s[0:1], s[4:5], 0x0
	s_load_dwordx4 s[36:39], s[4:5], 0x28
                                        ; implicit-def: $sgpr40_sgpr41
	s_waitcnt lgkmcnt(0)
	s_bitcmp1_b32 s8, 8
	s_cselect_b64 s[42:43], -1, 0
	s_ashr_i32 s7, s6, 31
	s_lshl_b64 s[2:3], s[6:7], 3
	s_add_u32 s0, s0, s2
	s_addc_u32 s1, s1, s3
	s_load_dwordx2 s[0:1], s[0:1], 0x0
	s_bfe_u32 s2, s8, 0x10008
	s_cmp_eq_u32 s2, 0
	s_cbranch_scc1 .LBB77_3
; %bb.2:
	s_load_dword s2, s[4:5], 0x20
	s_load_dwordx2 s[10:11], s[4:5], 0x18
	s_mul_i32 s3, s6, s37
	s_mul_hi_u32 s9, s6, s36
	s_add_i32 s9, s9, s3
	s_mul_i32 s12, s7, s36
	s_add_i32 s13, s9, s12
	s_mul_i32 s12, s6, s36
	s_waitcnt lgkmcnt(0)
	s_ashr_i32 s3, s2, 31
	s_lshl_b64 s[12:13], s[12:13], 2
	s_add_u32 s9, s10, s12
	s_addc_u32 s10, s11, s13
	s_lshl_b64 s[2:3], s[2:3], 2
	s_add_u32 s40, s9, s2
	s_addc_u32 s41, s10, s3
.LBB77_3:
	s_load_dwordx2 s[2:3], s[4:5], 0x8
	v_lshlrev_b32_e32 v32, 3, v0
	s_waitcnt lgkmcnt(0)
	s_ashr_i32 s5, s2, 31
	s_mov_b32 s4, s2
	s_lshl_b64 s[4:5], s[4:5], 3
	s_add_u32 s0, s0, s4
	s_addc_u32 s1, s1, s5
	v_mov_b32_e32 v1, s1
	v_add_co_u32_e32 v60, vcc, s0, v32
	s_ashr_i32 s5, s3, 31
	s_mov_b32 s4, s3
	s_add_i32 s2, s3, s3
	v_addc_co_u32_e32 v61, vcc, 0, v1, vcc
	s_lshl_b64 s[4:5], s[4:5], 3
	v_add_u32_e32 v2, s2, v0
	v_mov_b32_e32 v1, s5
	v_add_co_u32_e32 v62, vcc, s4, v60
	v_ashrrev_i32_e32 v3, 31, v2
	v_addc_co_u32_e32 v63, vcc, v61, v1, vcc
	v_lshlrev_b64 v[4:5], 3, v[2:3]
	v_add_u32_e32 v2, s3, v2
	v_mov_b32_e32 v1, s1
	v_add_co_u32_e32 v64, vcc, s0, v4
	v_ashrrev_i32_e32 v3, 31, v2
	v_addc_co_u32_e32 v65, vcc, v1, v5, vcc
	v_lshlrev_b64 v[4:5], 3, v[2:3]
	v_add_u32_e32 v2, s3, v2
	v_add_co_u32_e32 v66, vcc, s0, v4
	v_ashrrev_i32_e32 v3, 31, v2
	v_addc_co_u32_e32 v67, vcc, v1, v5, vcc
	v_lshlrev_b64 v[4:5], 3, v[2:3]
	v_add_u32_e32 v2, s3, v2
	;; [unrolled: 5-line block ×10, first 2 shown]
	v_add_co_u32_e32 v84, vcc, s0, v4
	v_ashrrev_i32_e32 v3, 31, v2
	v_addc_co_u32_e32 v85, vcc, v1, v5, vcc
	v_lshlrev_b64 v[2:3], 3, v[2:3]
	v_add_co_u32_e32 v86, vcc, s0, v2
	v_addc_co_u32_e32 v87, vcc, v1, v3, vcc
	global_load_dwordx2 v[4:5], v[62:63], off
	global_load_dwordx2 v[6:7], v[64:65], off
	;; [unrolled: 1-line block ×12, first 2 shown]
	global_load_dwordx2 v[2:3], v32, s[0:1]
	global_load_dwordx2 v[28:29], v[86:87], off
	v_mov_b32_e32 v1, 0
	s_bitcmp0_b32 s8, 0
	s_mov_b64 s[0:1], -1
	s_cbranch_scc1 .LBB77_14
; %bb.4:
	v_cmp_eq_u32_e64 s[0:1], 0, v0
	s_and_saveexec_b64 s[2:3], s[0:1]
	s_cbranch_execz .LBB77_6
; %bb.5:
	v_mov_b32_e32 v30, 0
	ds_write_b32 v30, v30 offset:224
.LBB77_6:
	s_or_b64 exec, exec, s[2:3]
	v_cmp_eq_u32_e32 vcc, 1, v0
	s_waitcnt vmcnt(1)
	v_cndmask_b32_e32 v30, v3, v5, vcc
	v_cmp_eq_u32_e64 s[2:3], 2, v0
	v_cndmask_b32_e64 v30, v30, v7, s[2:3]
	v_cmp_eq_u32_e64 s[4:5], 3, v0
	v_cndmask_b32_e64 v30, v30, v9, s[4:5]
	;; [unrolled: 2-line block ×11, first 2 shown]
	v_cmp_eq_u32_e64 s[26:27], 13, v0
	s_waitcnt vmcnt(0)
	v_cndmask_b32_e64 v31, v30, v29, s[26:27]
	v_cndmask_b32_e32 v30, v2, v4, vcc
	v_cndmask_b32_e64 v30, v30, v6, s[2:3]
	v_cndmask_b32_e64 v30, v30, v8, s[4:5]
	v_cndmask_b32_e64 v30, v30, v10, s[8:9]
	v_cndmask_b32_e64 v30, v30, v12, s[10:11]
	v_cndmask_b32_e64 v30, v30, v14, s[12:13]
	v_cndmask_b32_e64 v30, v30, v16, s[14:15]
	v_cndmask_b32_e64 v30, v30, v18, s[16:17]
	v_cndmask_b32_e64 v30, v30, v20, s[18:19]
	v_cndmask_b32_e64 v30, v30, v22, s[20:21]
	v_cndmask_b32_e64 v30, v30, v24, s[22:23]
	v_cndmask_b32_e64 v30, v30, v26, s[24:25]
	v_cndmask_b32_e64 v30, v30, v28, s[26:27]
	v_cmp_eq_f64_e32 vcc, 0, v[30:31]
	s_waitcnt lgkmcnt(0)
	; wave barrier
	s_waitcnt lgkmcnt(0)
	s_and_saveexec_b64 s[4:5], vcc
	s_cbranch_execz .LBB77_10
; %bb.7:
	v_mov_b32_e32 v33, 0
	ds_read_b32 v35, v33 offset:224
	v_add_u32_e32 v34, 1, v0
	s_waitcnt lgkmcnt(0)
	v_readfirstlane_b32 s2, v35
	s_cmp_eq_u32 s2, 0
	s_cselect_b64 s[8:9], -1, 0
	v_cmp_gt_i32_e32 vcc, s2, v34
	s_or_b64 s[8:9], s[8:9], vcc
	s_and_b64 exec, exec, s[8:9]
	s_cbranch_execz .LBB77_10
; %bb.8:
	s_mov_b64 s[8:9], 0
	v_mov_b32_e32 v35, s2
.LBB77_9:                               ; =>This Inner Loop Header: Depth=1
	ds_cmpst_rtn_b32 v35, v33, v35, v34 offset:224
	s_waitcnt lgkmcnt(0)
	v_cmp_ne_u32_e32 vcc, 0, v35
	v_cmp_le_i32_e64 s[2:3], v35, v34
	s_and_b64 s[2:3], vcc, s[2:3]
	s_and_b64 s[2:3], exec, s[2:3]
	s_or_b64 s[8:9], s[2:3], s[8:9]
	s_andn2_b64 exec, exec, s[8:9]
	s_cbranch_execnz .LBB77_9
.LBB77_10:
	s_or_b64 exec, exec, s[4:5]
	v_mov_b32_e32 v34, 0
	s_waitcnt lgkmcnt(0)
	; wave barrier
	ds_read_b32 v33, v34 offset:224
	s_and_saveexec_b64 s[2:3], s[0:1]
	s_cbranch_execz .LBB77_12
; %bb.11:
	s_lshl_b64 s[4:5], s[6:7], 2
	s_add_u32 s4, s38, s4
	s_addc_u32 s5, s39, s5
	s_waitcnt lgkmcnt(0)
	global_store_dword v34, v33, s[4:5]
.LBB77_12:
	s_or_b64 exec, exec, s[2:3]
	s_waitcnt lgkmcnt(0)
	v_cmp_ne_u32_e32 vcc, 0, v33
	s_cbranch_vccz .LBB77_17
; %bb.13:
	s_mov_b64 s[0:1], 0
                                        ; implicit-def: $vgpr2_vgpr3_vgpr4_vgpr5_vgpr6_vgpr7_vgpr8_vgpr9_vgpr10_vgpr11_vgpr12_vgpr13_vgpr14_vgpr15_vgpr16_vgpr17_vgpr18_vgpr19_vgpr20_vgpr21_vgpr22_vgpr23_vgpr24_vgpr25_vgpr26_vgpr27_vgpr28_vgpr29_vgpr30_vgpr31_vgpr32_vgpr33
.LBB77_14:
	s_and_b64 vcc, exec, s[0:1]
	s_cbranch_vccz .LBB77_16
.LBB77_15:
	s_lshl_b64 s[0:1], s[6:7], 2
	s_add_u32 s0, s38, s0
	s_addc_u32 s1, s39, s1
	v_mov_b32_e32 v1, 0
	global_load_dword v1, v1, s[0:1]
	s_waitcnt vmcnt(0)
	v_cmp_ne_u32_e32 vcc, 0, v1
	s_cbranch_vccz .LBB77_78
.LBB77_16:
	s_endpgm
.LBB77_17:
	v_div_scale_f64 v[34:35], s[2:3], v[30:31], v[30:31], 1.0
	v_rcp_f64_e32 v[36:37], v[34:35]
	v_div_scale_f64 v[38:39], vcc, 1.0, v[30:31], 1.0
	v_fma_f64 v[40:41], -v[34:35], v[36:37], 1.0
	v_fmac_f64_e32 v[36:37], v[36:37], v[40:41]
	v_fma_f64 v[40:41], -v[34:35], v[36:37], 1.0
	v_fmac_f64_e32 v[36:37], v[36:37], v[40:41]
	v_mul_f64 v[40:41], v[38:39], v[36:37]
	v_fma_f64 v[34:35], -v[34:35], v[40:41], v[38:39]
	v_div_fmas_f64 v[34:35], v[34:35], v[36:37], v[40:41]
	v_div_fixup_f64 v[30:31], v[34:35], v[30:31], 1.0
	v_cmp_eq_u32_e32 vcc, 13, v0
	v_cndmask_b32_e32 v29, v29, v31, vcc
	v_cndmask_b32_e32 v28, v28, v30, vcc
	v_cmp_eq_u32_e32 vcc, 12, v0
	v_cndmask_b32_e32 v27, v27, v31, vcc
	v_cndmask_b32_e32 v26, v26, v30, vcc
	;; [unrolled: 3-line block ×14, first 2 shown]
	v_xor_b32_e32 v37, 0x80000000, v31
	v_mov_b32_e32 v36, v30
	v_add_u32_e32 v34, 0x70, v32
	ds_write2_b64 v32, v[36:37], v[4:5] offset1:14
	s_waitcnt lgkmcnt(0)
	; wave barrier
	s_waitcnt lgkmcnt(0)
	s_and_saveexec_b64 s[2:3], s[0:1]
	s_cbranch_execz .LBB77_19
; %bb.18:
	v_mov_b32_e32 v32, 0
	ds_read_b64 v[4:5], v34
	ds_read_b64 v[32:33], v32 offset:8
	s_waitcnt lgkmcnt(1)
	v_fma_f64 v[4:5], v[30:31], v[4:5], 0
	s_waitcnt lgkmcnt(0)
	v_mul_f64 v[4:5], v[4:5], v[32:33]
.LBB77_19:
	s_or_b64 exec, exec, s[2:3]
	v_cmp_gt_u32_e32 vcc, 2, v0
	s_waitcnt lgkmcnt(0)
	; wave barrier
	ds_write_b64 v34, v[6:7]
	s_waitcnt lgkmcnt(0)
	; wave barrier
	s_waitcnt lgkmcnt(0)
	s_and_saveexec_b64 s[30:31], vcc
	s_cbranch_execz .LBB77_21
; %bb.20:
	v_cmp_eq_u32_e64 s[2:3], 1, v0
	v_cndmask_b32_e64 v30, v3, v5, s[2:3]
	v_cmp_eq_u32_e64 s[4:5], 2, v0
	v_cndmask_b32_e64 v7, v30, v7, s[4:5]
	v_cndmask_b32_e64 v30, v2, v4, s[2:3]
	v_cmp_eq_u32_e64 s[8:9], 3, v0
	v_cndmask_b32_e64 v6, v30, v6, s[4:5]
	;; [unrolled: 3-line block ×9, first 2 shown]
	ds_read_b64 v[36:37], v34
	v_mov_b32_e32 v30, 0
	v_cndmask_b32_e64 v7, v7, v23, s[22:23]
	v_cmp_eq_u32_e64 s[24:25], 11, v0
	v_cndmask_b32_e64 v6, v6, v22, s[22:23]
	ds_read2_b64 v[30:33], v30 offset0:2 offset1:15
	v_cndmask_b32_e64 v7, v7, v25, s[24:25]
	v_cmp_eq_u32_e64 s[26:27], 12, v0
	v_cndmask_b32_e64 v6, v6, v24, s[24:25]
	v_cndmask_b32_e64 v7, v7, v27, s[26:27]
	v_cmp_eq_u32_e64 s[28:29], 13, v0
	v_cndmask_b32_e64 v6, v6, v26, s[26:27]
	v_cndmask_b32_e64 v7, v7, v29, s[28:29]
	;; [unrolled: 1-line block ×3, first 2 shown]
	s_waitcnt lgkmcnt(1)
	v_fma_f64 v[6:7], v[6:7], v[36:37], 0
	s_waitcnt lgkmcnt(0)
	v_fma_f64 v[32:33], v[4:5], v[32:33], v[6:7]
	v_cndmask_b32_e64 v7, v7, v33, s[0:1]
	v_cndmask_b32_e64 v6, v6, v32, s[0:1]
	v_mul_f64 v[6:7], v[6:7], v[30:31]
.LBB77_21:
	s_or_b64 exec, exec, s[30:31]
	v_cmp_gt_u32_e64 s[2:3], 3, v0
	s_waitcnt lgkmcnt(0)
	; wave barrier
	ds_write_b64 v34, v[8:9]
	s_waitcnt lgkmcnt(0)
	; wave barrier
	s_waitcnt lgkmcnt(0)
	s_and_saveexec_b64 s[10:11], s[2:3]
	s_cbranch_execz .LBB77_25
; %bb.22:
	v_mov_b32_e32 v30, 0x70
	v_lshl_add_u32 v35, v0, 3, v30
	s_mov_b64 s[12:13], 0
	v_pk_mov_b32 v[30:31], 0, 0
	v_pk_mov_b32 v[32:33], v[0:1], v[0:1] op_sel:[0,1]
.LBB77_23:                              ; =>This Inner Loop Header: Depth=1
	v_cmp_eq_u32_e64 s[2:3], 1, v32
	v_cndmask_b32_e64 v38, v3, v5, s[2:3]
	v_cmp_eq_u32_e64 s[4:5], 2, v32
	v_cndmask_b32_e64 v38, v38, v7, s[4:5]
	v_cndmask_b32_e64 v39, v2, v4, s[2:3]
	v_cmp_eq_u32_e64 s[2:3], 3, v32
	v_cndmask_b32_e64 v38, v38, v9, s[2:3]
	;; [unrolled: 3-line block ×8, first 2 shown]
	v_cndmask_b32_e64 v39, v39, v18, s[4:5]
	v_cmp_eq_u32_e64 s[4:5], 10, v32
	ds_read_b64 v[36:37], v35
	v_cndmask_b32_e64 v38, v38, v23, s[4:5]
	v_cndmask_b32_e64 v39, v39, v20, s[2:3]
	v_cmp_eq_u32_e64 s[2:3], 11, v32
	v_cndmask_b32_e64 v38, v38, v25, s[2:3]
	v_cndmask_b32_e64 v39, v39, v22, s[4:5]
	v_cmp_eq_u32_e64 s[4:5], 12, v32
	v_cndmask_b32_e64 v38, v38, v27, s[4:5]
	v_cmp_eq_u32_e64 s[8:9], 13, v32
	v_cndmask_b32_e64 v40, v39, v24, s[2:3]
	v_add_co_u32_e64 v32, s[2:3], 1, v32
	v_addc_co_u32_e64 v33, s[2:3], 0, v33, s[2:3]
	v_cndmask_b32_e64 v39, v38, v29, s[8:9]
	v_cndmask_b32_e64 v38, v40, v26, s[4:5]
	v_add_u32_e32 v40, -1, v32
	v_cndmask_b32_e64 v38, v38, v28, s[8:9]
	v_cmp_lt_u32_e64 s[2:3], 1, v40
	v_add_u32_e32 v35, 8, v35
	s_or_b64 s[12:13], s[2:3], s[12:13]
	s_waitcnt lgkmcnt(0)
	v_fmac_f64_e32 v[30:31], v[38:39], v[36:37]
	s_andn2_b64 exec, exec, s[12:13]
	s_cbranch_execnz .LBB77_23
; %bb.24:
	s_or_b64 exec, exec, s[12:13]
	v_mov_b32_e32 v8, 0
	ds_read_b64 v[8:9], v8 offset:24
	s_waitcnt lgkmcnt(0)
	v_mul_f64 v[8:9], v[30:31], v[8:9]
.LBB77_25:
	s_or_b64 exec, exec, s[10:11]
	v_cmp_gt_u32_e64 s[2:3], 4, v0
	s_waitcnt lgkmcnt(0)
	; wave barrier
	ds_write_b64 v34, v[10:11]
	s_waitcnt lgkmcnt(0)
	; wave barrier
	s_waitcnt lgkmcnt(0)
	s_and_saveexec_b64 s[12:13], s[2:3]
	s_cbranch_execz .LBB77_29
; %bb.26:
	v_mov_b32_e32 v30, 0x70
	v_lshl_add_u32 v35, v0, 3, v30
	s_mov_b64 s[14:15], 0
	v_pk_mov_b32 v[30:31], 0, 0
	v_pk_mov_b32 v[32:33], v[0:1], v[0:1] op_sel:[0,1]
.LBB77_27:                              ; =>This Inner Loop Header: Depth=1
	v_cmp_eq_u32_e64 s[4:5], 1, v32
	v_cndmask_b32_e64 v38, v3, v5, s[4:5]
	v_cmp_eq_u32_e64 s[8:9], 2, v32
	v_cndmask_b32_e64 v38, v38, v7, s[8:9]
	v_cndmask_b32_e64 v39, v2, v4, s[4:5]
	v_cmp_eq_u32_e64 s[4:5], 3, v32
	v_cndmask_b32_e64 v38, v38, v9, s[4:5]
	;; [unrolled: 3-line block ×8, first 2 shown]
	v_cndmask_b32_e64 v39, v39, v18, s[8:9]
	v_cmp_eq_u32_e64 s[8:9], 10, v32
	ds_read_b64 v[36:37], v35
	v_cndmask_b32_e64 v38, v38, v23, s[8:9]
	v_cndmask_b32_e64 v39, v39, v20, s[4:5]
	v_cmp_eq_u32_e64 s[4:5], 11, v32
	v_cndmask_b32_e64 v38, v38, v25, s[4:5]
	v_cndmask_b32_e64 v39, v39, v22, s[8:9]
	v_cmp_eq_u32_e64 s[8:9], 12, v32
	v_cndmask_b32_e64 v38, v38, v27, s[8:9]
	v_cmp_eq_u32_e64 s[10:11], 13, v32
	v_cndmask_b32_e64 v40, v39, v24, s[4:5]
	v_add_co_u32_e64 v32, s[4:5], 1, v32
	v_addc_co_u32_e64 v33, s[4:5], 0, v33, s[4:5]
	v_cndmask_b32_e64 v39, v38, v29, s[10:11]
	v_cndmask_b32_e64 v38, v40, v26, s[8:9]
	v_add_u32_e32 v40, -1, v32
	v_cndmask_b32_e64 v38, v38, v28, s[10:11]
	v_cmp_lt_u32_e64 s[4:5], 2, v40
	v_add_u32_e32 v35, 8, v35
	s_or_b64 s[14:15], s[4:5], s[14:15]
	s_waitcnt lgkmcnt(0)
	v_fmac_f64_e32 v[30:31], v[38:39], v[36:37]
	s_andn2_b64 exec, exec, s[14:15]
	s_cbranch_execnz .LBB77_27
; %bb.28:
	s_or_b64 exec, exec, s[14:15]
	v_mov_b32_e32 v10, 0
	ds_read_b64 v[10:11], v10 offset:32
	s_waitcnt lgkmcnt(0)
	v_mul_f64 v[10:11], v[30:31], v[10:11]
.LBB77_29:
	s_or_b64 exec, exec, s[12:13]
	v_cmp_gt_u32_e64 s[4:5], 5, v0
	s_waitcnt lgkmcnt(0)
	; wave barrier
	ds_write_b64 v34, v[12:13]
	s_waitcnt lgkmcnt(0)
	; wave barrier
	s_waitcnt lgkmcnt(0)
	s_and_saveexec_b64 s[12:13], s[4:5]
	s_cbranch_execz .LBB77_33
; %bb.30:
	v_mov_b32_e32 v30, 0x70
	v_lshl_add_u32 v35, v0, 3, v30
	s_mov_b64 s[14:15], 0
	v_pk_mov_b32 v[30:31], 0, 0
	v_pk_mov_b32 v[32:33], v[0:1], v[0:1] op_sel:[0,1]
.LBB77_31:                              ; =>This Inner Loop Header: Depth=1
	v_cmp_eq_u32_e64 s[4:5], 1, v32
	v_cndmask_b32_e64 v38, v3, v5, s[4:5]
	v_cmp_eq_u32_e64 s[8:9], 2, v32
	v_cndmask_b32_e64 v38, v38, v7, s[8:9]
	v_cndmask_b32_e64 v39, v2, v4, s[4:5]
	v_cmp_eq_u32_e64 s[4:5], 3, v32
	v_cndmask_b32_e64 v38, v38, v9, s[4:5]
	;; [unrolled: 3-line block ×8, first 2 shown]
	v_cndmask_b32_e64 v39, v39, v18, s[8:9]
	v_cmp_eq_u32_e64 s[8:9], 10, v32
	ds_read_b64 v[36:37], v35
	v_cndmask_b32_e64 v38, v38, v23, s[8:9]
	v_cndmask_b32_e64 v39, v39, v20, s[4:5]
	v_cmp_eq_u32_e64 s[4:5], 11, v32
	v_cndmask_b32_e64 v38, v38, v25, s[4:5]
	v_cndmask_b32_e64 v39, v39, v22, s[8:9]
	v_cmp_eq_u32_e64 s[8:9], 12, v32
	v_cndmask_b32_e64 v38, v38, v27, s[8:9]
	v_cmp_eq_u32_e64 s[10:11], 13, v32
	v_cndmask_b32_e64 v40, v39, v24, s[4:5]
	v_add_co_u32_e64 v32, s[4:5], 1, v32
	v_addc_co_u32_e64 v33, s[4:5], 0, v33, s[4:5]
	v_cndmask_b32_e64 v39, v38, v29, s[10:11]
	v_cndmask_b32_e64 v38, v40, v26, s[8:9]
	v_add_u32_e32 v40, -1, v32
	v_cndmask_b32_e64 v38, v38, v28, s[10:11]
	v_cmp_lt_u32_e64 s[4:5], 3, v40
	v_add_u32_e32 v35, 8, v35
	s_or_b64 s[14:15], s[4:5], s[14:15]
	s_waitcnt lgkmcnt(0)
	v_fmac_f64_e32 v[30:31], v[38:39], v[36:37]
	s_andn2_b64 exec, exec, s[14:15]
	s_cbranch_execnz .LBB77_31
; %bb.32:
	s_or_b64 exec, exec, s[14:15]
	v_mov_b32_e32 v12, 0
	ds_read_b64 v[12:13], v12 offset:40
	s_waitcnt lgkmcnt(0)
	v_mul_f64 v[12:13], v[30:31], v[12:13]
.LBB77_33:
	s_or_b64 exec, exec, s[12:13]
	v_cmp_gt_u32_e64 s[4:5], 6, v0
	s_waitcnt lgkmcnt(0)
	; wave barrier
	ds_write_b64 v34, v[14:15]
	s_waitcnt lgkmcnt(0)
	; wave barrier
	s_waitcnt lgkmcnt(0)
	s_and_saveexec_b64 s[14:15], s[4:5]
	s_cbranch_execz .LBB77_37
; %bb.34:
	v_mov_b32_e32 v30, 0x70
	v_lshl_add_u32 v35, v0, 3, v30
	s_mov_b64 s[16:17], 0
	v_pk_mov_b32 v[30:31], 0, 0
	v_pk_mov_b32 v[32:33], v[0:1], v[0:1] op_sel:[0,1]
.LBB77_35:                              ; =>This Inner Loop Header: Depth=1
	v_cmp_eq_u32_e64 s[8:9], 1, v32
	v_cndmask_b32_e64 v38, v3, v5, s[8:9]
	v_cmp_eq_u32_e64 s[10:11], 2, v32
	v_cndmask_b32_e64 v38, v38, v7, s[10:11]
	v_cndmask_b32_e64 v39, v2, v4, s[8:9]
	v_cmp_eq_u32_e64 s[8:9], 3, v32
	v_cndmask_b32_e64 v38, v38, v9, s[8:9]
	;; [unrolled: 3-line block ×8, first 2 shown]
	v_cndmask_b32_e64 v39, v39, v18, s[10:11]
	v_cmp_eq_u32_e64 s[10:11], 10, v32
	ds_read_b64 v[36:37], v35
	v_cndmask_b32_e64 v38, v38, v23, s[10:11]
	v_cndmask_b32_e64 v39, v39, v20, s[8:9]
	v_cmp_eq_u32_e64 s[8:9], 11, v32
	v_cndmask_b32_e64 v38, v38, v25, s[8:9]
	v_cndmask_b32_e64 v39, v39, v22, s[10:11]
	v_cmp_eq_u32_e64 s[10:11], 12, v32
	v_cndmask_b32_e64 v38, v38, v27, s[10:11]
	v_cmp_eq_u32_e64 s[12:13], 13, v32
	v_cndmask_b32_e64 v40, v39, v24, s[8:9]
	v_add_co_u32_e64 v32, s[8:9], 1, v32
	v_addc_co_u32_e64 v33, s[8:9], 0, v33, s[8:9]
	v_cndmask_b32_e64 v39, v38, v29, s[12:13]
	v_cndmask_b32_e64 v38, v40, v26, s[10:11]
	v_add_u32_e32 v40, -1, v32
	v_cndmask_b32_e64 v38, v38, v28, s[12:13]
	v_cmp_lt_u32_e64 s[8:9], 4, v40
	v_add_u32_e32 v35, 8, v35
	s_or_b64 s[16:17], s[8:9], s[16:17]
	s_waitcnt lgkmcnt(0)
	v_fmac_f64_e32 v[30:31], v[38:39], v[36:37]
	s_andn2_b64 exec, exec, s[16:17]
	s_cbranch_execnz .LBB77_35
; %bb.36:
	s_or_b64 exec, exec, s[16:17]
	v_mov_b32_e32 v14, 0
	ds_read_b64 v[14:15], v14 offset:48
	s_waitcnt lgkmcnt(0)
	v_mul_f64 v[14:15], v[30:31], v[14:15]
.LBB77_37:
	s_or_b64 exec, exec, s[14:15]
	v_cmp_gt_u32_e64 s[8:9], 7, v0
	s_waitcnt lgkmcnt(0)
	; wave barrier
	ds_write_b64 v34, v[16:17]
	s_waitcnt lgkmcnt(0)
	; wave barrier
	s_waitcnt lgkmcnt(0)
	s_and_saveexec_b64 s[14:15], s[8:9]
	s_cbranch_execz .LBB77_41
; %bb.38:
	v_mov_b32_e32 v30, 0x70
	v_lshl_add_u32 v35, v0, 3, v30
	s_mov_b64 s[16:17], 0
	v_pk_mov_b32 v[30:31], 0, 0
	v_pk_mov_b32 v[32:33], v[0:1], v[0:1] op_sel:[0,1]
.LBB77_39:                              ; =>This Inner Loop Header: Depth=1
	v_cmp_eq_u32_e64 s[8:9], 1, v32
	v_cndmask_b32_e64 v38, v3, v5, s[8:9]
	v_cmp_eq_u32_e64 s[10:11], 2, v32
	v_cndmask_b32_e64 v38, v38, v7, s[10:11]
	v_cndmask_b32_e64 v39, v2, v4, s[8:9]
	v_cmp_eq_u32_e64 s[8:9], 3, v32
	v_cndmask_b32_e64 v38, v38, v9, s[8:9]
	;; [unrolled: 3-line block ×8, first 2 shown]
	v_cndmask_b32_e64 v39, v39, v18, s[10:11]
	v_cmp_eq_u32_e64 s[10:11], 10, v32
	ds_read_b64 v[36:37], v35
	v_cndmask_b32_e64 v38, v38, v23, s[10:11]
	v_cndmask_b32_e64 v39, v39, v20, s[8:9]
	v_cmp_eq_u32_e64 s[8:9], 11, v32
	v_cndmask_b32_e64 v38, v38, v25, s[8:9]
	v_cndmask_b32_e64 v39, v39, v22, s[10:11]
	v_cmp_eq_u32_e64 s[10:11], 12, v32
	v_cndmask_b32_e64 v38, v38, v27, s[10:11]
	v_cmp_eq_u32_e64 s[12:13], 13, v32
	v_cndmask_b32_e64 v40, v39, v24, s[8:9]
	v_add_co_u32_e64 v32, s[8:9], 1, v32
	v_addc_co_u32_e64 v33, s[8:9], 0, v33, s[8:9]
	v_cndmask_b32_e64 v39, v38, v29, s[12:13]
	v_cndmask_b32_e64 v38, v40, v26, s[10:11]
	v_add_u32_e32 v40, -1, v32
	v_cndmask_b32_e64 v38, v38, v28, s[12:13]
	v_cmp_lt_u32_e64 s[8:9], 5, v40
	v_add_u32_e32 v35, 8, v35
	s_or_b64 s[16:17], s[8:9], s[16:17]
	s_waitcnt lgkmcnt(0)
	v_fmac_f64_e32 v[30:31], v[38:39], v[36:37]
	s_andn2_b64 exec, exec, s[16:17]
	s_cbranch_execnz .LBB77_39
; %bb.40:
	s_or_b64 exec, exec, s[16:17]
	v_mov_b32_e32 v16, 0
	ds_read_b64 v[16:17], v16 offset:56
	s_waitcnt lgkmcnt(0)
	v_mul_f64 v[16:17], v[30:31], v[16:17]
.LBB77_41:
	s_or_b64 exec, exec, s[14:15]
	v_cmp_gt_u32_e64 s[8:9], 8, v0
	s_waitcnt lgkmcnt(0)
	; wave barrier
	ds_write_b64 v34, v[18:19]
	s_waitcnt lgkmcnt(0)
	; wave barrier
	s_waitcnt lgkmcnt(0)
	s_and_saveexec_b64 s[36:37], s[8:9]
	s_cbranch_execz .LBB77_57
; %bb.42:
	v_cmp_eq_u32_e64 s[8:9], 1, v0
	v_cndmask_b32_e64 v30, v3, v5, s[8:9]
	v_cmp_eq_u32_e64 s[10:11], 2, v0
	v_cndmask_b32_e64 v30, v30, v7, s[10:11]
	v_cmp_eq_u32_e64 s[12:13], 3, v0
	v_cndmask_b32_e64 v30, v30, v9, s[12:13]
	v_cmp_eq_u32_e64 s[14:15], 4, v0
	v_cndmask_b32_e64 v30, v30, v11, s[14:15]
	v_cmp_eq_u32_e64 s[16:17], 5, v0
	v_cndmask_b32_e64 v30, v30, v13, s[16:17]
	v_cmp_eq_u32_e64 s[18:19], 6, v0
	v_cndmask_b32_e64 v30, v30, v15, s[18:19]
	v_cmp_eq_u32_e64 s[20:21], 7, v0
	v_cndmask_b32_e64 v30, v30, v17, s[20:21]
	v_cmp_eq_u32_e64 s[22:23], 8, v0
	v_cndmask_b32_e64 v30, v30, v19, s[22:23]
	v_cmp_eq_u32_e64 s[24:25], 9, v0
	v_cndmask_b32_e64 v30, v30, v21, s[24:25]
	v_cmp_eq_u32_e64 s[26:27], 10, v0
	v_cndmask_b32_e64 v30, v30, v23, s[26:27]
	v_cmp_eq_u32_e64 s[28:29], 11, v0
	v_cndmask_b32_e64 v30, v30, v25, s[28:29]
	v_cmp_eq_u32_e64 s[30:31], 12, v0
	v_cndmask_b32_e64 v30, v30, v27, s[30:31]
	v_cmp_eq_u32_e64 s[34:35], 13, v0
	v_cndmask_b32_e64 v31, v30, v29, s[34:35]
	v_cndmask_b32_e64 v30, v2, v4, s[8:9]
	v_cndmask_b32_e64 v30, v30, v6, s[10:11]
	;; [unrolled: 1-line block ×9, first 2 shown]
	ds_read_b64 v[32:33], v34
	v_cndmask_b32_e64 v30, v30, v22, s[26:27]
	v_cndmask_b32_e64 v30, v30, v24, s[28:29]
	;; [unrolled: 1-line block ×4, first 2 shown]
	s_waitcnt lgkmcnt(0)
	v_fma_f64 v[30:31], v[30:31], v[32:33], 0
	v_cmp_ne_u32_e64 s[8:9], 7, v0
	s_and_saveexec_b64 s[44:45], s[8:9]
	s_cbranch_execz .LBB77_56
; %bb.43:
	v_add_u32_e32 v32, 1, v0
	v_cmp_eq_u32_e64 s[8:9], 1, v32
	v_cndmask_b32_e64 v33, v3, v5, s[8:9]
	v_cmp_eq_u32_e64 s[10:11], 2, v32
	v_cmp_eq_u32_e64 s[12:13], 3, v32
	;; [unrolled: 1-line block ×12, first 2 shown]
	v_cndmask_b32_e64 v32, v2, v4, s[8:9]
	v_cndmask_b32_e64 v33, v33, v7, s[10:11]
	;; [unrolled: 1-line block ×17, first 2 shown]
	ds_read_b64 v[36:37], v34 offset:8
	v_cndmask_b32_e64 v33, v33, v23, s[26:27]
	v_cndmask_b32_e64 v32, v32, v22, s[26:27]
	;; [unrolled: 1-line block ×8, first 2 shown]
	s_waitcnt lgkmcnt(0)
	v_fmac_f64_e32 v[30:31], v[32:33], v[36:37]
	s_and_saveexec_b64 s[34:35], s[4:5]
	s_cbranch_execz .LBB77_55
; %bb.44:
	v_add_u32_e32 v32, 2, v0
	v_cmp_eq_u32_e64 s[4:5], 1, v32
	v_cndmask_b32_e64 v33, v3, v5, s[4:5]
	v_cmp_eq_u32_e64 s[8:9], 2, v32
	v_cmp_eq_u32_e64 s[10:11], 3, v32
	;; [unrolled: 1-line block ×12, first 2 shown]
	v_cndmask_b32_e64 v32, v2, v4, s[4:5]
	v_cndmask_b32_e64 v33, v33, v7, s[8:9]
	;; [unrolled: 1-line block ×17, first 2 shown]
	ds_read_b64 v[36:37], v34 offset:16
	v_cndmask_b32_e64 v33, v33, v23, s[24:25]
	v_cndmask_b32_e64 v32, v32, v22, s[24:25]
	;; [unrolled: 1-line block ×8, first 2 shown]
	s_waitcnt lgkmcnt(0)
	v_fmac_f64_e32 v[30:31], v[32:33], v[36:37]
	v_cmp_ne_u32_e64 s[4:5], 5, v0
	s_and_saveexec_b64 s[46:47], s[4:5]
	s_cbranch_execz .LBB77_54
; %bb.45:
	v_add_u32_e32 v32, 3, v0
	v_cmp_eq_u32_e64 s[4:5], 1, v32
	v_cndmask_b32_e64 v33, v3, v5, s[4:5]
	v_cmp_eq_u32_e64 s[8:9], 2, v32
	v_cmp_eq_u32_e64 s[10:11], 3, v32
	v_cmp_eq_u32_e64 s[12:13], 4, v32
	v_cmp_eq_u32_e64 s[14:15], 5, v32
	v_cmp_eq_u32_e64 s[16:17], 6, v32
	v_cmp_eq_u32_e64 s[18:19], 7, v32
	v_cmp_eq_u32_e64 s[20:21], 8, v32
	v_cmp_eq_u32_e64 s[22:23], 9, v32
	v_cmp_eq_u32_e64 s[24:25], 10, v32
	v_cmp_eq_u32_e64 s[26:27], 11, v32
	v_cmp_eq_u32_e64 s[28:29], 12, v32
	v_cmp_eq_u32_e64 s[30:31], 13, v32
	v_cndmask_b32_e64 v32, v2, v4, s[4:5]
	v_cndmask_b32_e64 v33, v33, v7, s[8:9]
	;; [unrolled: 1-line block ×17, first 2 shown]
	ds_read_b64 v[36:37], v34 offset:24
	v_cndmask_b32_e64 v33, v33, v23, s[24:25]
	v_cndmask_b32_e64 v32, v32, v22, s[24:25]
	;; [unrolled: 1-line block ×8, first 2 shown]
	s_waitcnt lgkmcnt(0)
	v_fmac_f64_e32 v[30:31], v[32:33], v[36:37]
	s_and_saveexec_b64 s[30:31], s[2:3]
	s_cbranch_execz .LBB77_53
; %bb.46:
	v_or_b32_e32 v32, 4, v0
	v_cmp_eq_u32_e64 s[2:3], 1, v32
	v_cndmask_b32_e64 v33, v3, v5, s[2:3]
	v_cmp_eq_u32_e64 s[4:5], 2, v32
	v_cmp_eq_u32_e64 s[8:9], 3, v32
	v_cmp_eq_u32_e64 s[10:11], 4, v32
	v_cmp_eq_u32_e64 s[12:13], 5, v32
	v_cmp_eq_u32_e64 s[14:15], 6, v32
	v_cmp_eq_u32_e64 s[16:17], 7, v32
	v_cmp_eq_u32_e64 s[18:19], 8, v32
	v_cmp_eq_u32_e64 s[20:21], 9, v32
	v_cmp_eq_u32_e64 s[22:23], 10, v32
	v_cmp_eq_u32_e64 s[24:25], 11, v32
	v_cmp_eq_u32_e64 s[26:27], 12, v32
	v_cmp_eq_u32_e64 s[28:29], 13, v32
	v_cndmask_b32_e64 v32, v2, v4, s[2:3]
	v_cndmask_b32_e64 v33, v33, v7, s[4:5]
	;; [unrolled: 1-line block ×17, first 2 shown]
	ds_read_b64 v[36:37], v34 offset:32
	v_cndmask_b32_e64 v33, v33, v23, s[22:23]
	v_cndmask_b32_e64 v32, v32, v22, s[22:23]
	;; [unrolled: 1-line block ×8, first 2 shown]
	s_waitcnt lgkmcnt(0)
	v_fmac_f64_e32 v[30:31], v[32:33], v[36:37]
	v_cmp_ne_u32_e64 s[2:3], 3, v0
	s_and_saveexec_b64 s[48:49], s[2:3]
	s_cbranch_execz .LBB77_52
; %bb.47:
	v_add_u32_e32 v32, 5, v0
	v_cmp_eq_u32_e64 s[2:3], 1, v32
	v_cndmask_b32_e64 v33, v3, v5, s[2:3]
	v_cmp_eq_u32_e64 s[4:5], 2, v32
	v_cmp_eq_u32_e64 s[8:9], 3, v32
	v_cmp_eq_u32_e64 s[10:11], 4, v32
	v_cmp_eq_u32_e64 s[12:13], 5, v32
	v_cmp_eq_u32_e64 s[14:15], 6, v32
	v_cmp_eq_u32_e64 s[16:17], 7, v32
	v_cmp_eq_u32_e64 s[18:19], 8, v32
	v_cmp_eq_u32_e64 s[20:21], 9, v32
	v_cmp_eq_u32_e64 s[22:23], 10, v32
	v_cmp_eq_u32_e64 s[24:25], 11, v32
	v_cmp_eq_u32_e64 s[26:27], 12, v32
	v_cmp_eq_u32_e64 s[28:29], 13, v32
	v_cndmask_b32_e64 v32, v2, v4, s[2:3]
	v_cndmask_b32_e64 v33, v33, v7, s[4:5]
	;; [unrolled: 1-line block ×17, first 2 shown]
	ds_read_b64 v[36:37], v34 offset:40
	v_cndmask_b32_e64 v33, v33, v23, s[22:23]
	v_cndmask_b32_e64 v32, v32, v22, s[22:23]
	;; [unrolled: 1-line block ×8, first 2 shown]
	s_waitcnt lgkmcnt(0)
	v_fmac_f64_e32 v[30:31], v[32:33], v[36:37]
	s_and_saveexec_b64 s[28:29], vcc
	s_cbranch_execz .LBB77_51
; %bb.48:
	v_or_b32_e32 v32, 6, v0
	v_cmp_eq_u32_e32 vcc, 1, v32
	v_cndmask_b32_e32 v33, v3, v5, vcc
	v_cmp_eq_u32_e64 s[2:3], 2, v32
	v_cmp_eq_u32_e64 s[4:5], 3, v32
	;; [unrolled: 1-line block ×12, first 2 shown]
	v_cndmask_b32_e32 v32, v2, v4, vcc
	v_cndmask_b32_e64 v33, v33, v7, s[2:3]
	v_cndmask_b32_e64 v32, v32, v6, s[2:3]
	;; [unrolled: 1-line block ×16, first 2 shown]
	ds_read_b64 v[32:33], v34 offset:48
	v_cndmask_b32_e64 v19, v19, v23, s[20:21]
	v_cndmask_b32_e64 v18, v18, v22, s[20:21]
	v_cndmask_b32_e64 v19, v19, v25, s[22:23]
	v_cndmask_b32_e64 v18, v18, v24, s[22:23]
	v_cndmask_b32_e64 v19, v19, v27, s[24:25]
	v_cndmask_b32_e64 v18, v18, v26, s[24:25]
	v_cndmask_b32_e64 v19, v19, v29, s[26:27]
	v_cndmask_b32_e64 v18, v18, v28, s[26:27]
	s_waitcnt lgkmcnt(0)
	v_fmac_f64_e32 v[30:31], v[18:19], v[32:33]
	s_and_saveexec_b64 s[2:3], s[0:1]
	s_cbranch_execz .LBB77_50
; %bb.49:
	ds_read_b64 v[18:19], v34 offset:56
	s_waitcnt lgkmcnt(0)
	v_fmac_f64_e32 v[30:31], v[16:17], v[18:19]
.LBB77_50:
	s_or_b64 exec, exec, s[2:3]
.LBB77_51:
	s_or_b64 exec, exec, s[28:29]
.LBB77_52:
	s_or_b64 exec, exec, s[48:49]
.LBB77_53:
	s_or_b64 exec, exec, s[30:31]
.LBB77_54:
	s_or_b64 exec, exec, s[46:47]
.LBB77_55:
	s_or_b64 exec, exec, s[34:35]
.LBB77_56:
	s_or_b64 exec, exec, s[44:45]
	v_mov_b32_e32 v18, 0
	ds_read_b64 v[18:19], v18 offset:64
	s_waitcnt lgkmcnt(0)
	v_mul_f64 v[18:19], v[30:31], v[18:19]
.LBB77_57:
	s_or_b64 exec, exec, s[36:37]
	v_cmp_gt_u32_e32 vcc, 9, v0
	s_waitcnt lgkmcnt(0)
	; wave barrier
	ds_write_b64 v34, v[20:21]
	s_waitcnt lgkmcnt(0)
	; wave barrier
	s_waitcnt lgkmcnt(0)
	s_and_saveexec_b64 s[4:5], vcc
	s_cbranch_execz .LBB77_61
; %bb.58:
	v_mov_b32_e32 v30, 0x70
	v_lshl_add_u32 v35, v0, 3, v30
	s_mov_b64 s[8:9], 0
	v_pk_mov_b32 v[30:31], 0, 0
	v_pk_mov_b32 v[32:33], v[0:1], v[0:1] op_sel:[0,1]
.LBB77_59:                              ; =>This Inner Loop Header: Depth=1
	v_cmp_eq_u32_e32 vcc, 1, v32
	v_cndmask_b32_e32 v38, v3, v5, vcc
	v_cmp_eq_u32_e64 s[0:1], 2, v32
	v_cndmask_b32_e64 v38, v38, v7, s[0:1]
	v_cndmask_b32_e32 v39, v2, v4, vcc
	v_cmp_eq_u32_e32 vcc, 3, v32
	v_cndmask_b32_e32 v38, v38, v9, vcc
	v_cndmask_b32_e64 v39, v39, v6, s[0:1]
	v_cmp_eq_u32_e64 s[0:1], 4, v32
	v_cndmask_b32_e64 v38, v38, v11, s[0:1]
	v_cndmask_b32_e32 v39, v39, v8, vcc
	v_cmp_eq_u32_e32 vcc, 5, v32
	v_cndmask_b32_e32 v38, v38, v13, vcc
	v_cndmask_b32_e64 v39, v39, v10, s[0:1]
	;; [unrolled: 6-line block ×4, first 2 shown]
	v_cmp_eq_u32_e64 s[0:1], 10, v32
	ds_read_b64 v[36:37], v35
	v_cndmask_b32_e64 v38, v38, v23, s[0:1]
	v_cndmask_b32_e32 v39, v39, v20, vcc
	v_cmp_eq_u32_e32 vcc, 11, v32
	v_cndmask_b32_e32 v38, v38, v25, vcc
	v_cndmask_b32_e64 v39, v39, v22, s[0:1]
	v_cmp_eq_u32_e64 s[0:1], 12, v32
	v_cndmask_b32_e64 v38, v38, v27, s[0:1]
	v_cmp_eq_u32_e64 s[2:3], 13, v32
	v_cndmask_b32_e32 v40, v39, v24, vcc
	v_add_co_u32_e32 v32, vcc, 1, v32
	v_addc_co_u32_e32 v33, vcc, 0, v33, vcc
	v_cndmask_b32_e64 v39, v38, v29, s[2:3]
	v_cndmask_b32_e64 v38, v40, v26, s[0:1]
	v_add_u32_e32 v40, -1, v32
	v_cndmask_b32_e64 v38, v38, v28, s[2:3]
	v_cmp_lt_u32_e32 vcc, 7, v40
	v_add_u32_e32 v35, 8, v35
	s_or_b64 s[8:9], vcc, s[8:9]
	s_waitcnt lgkmcnt(0)
	v_fmac_f64_e32 v[30:31], v[38:39], v[36:37]
	s_andn2_b64 exec, exec, s[8:9]
	s_cbranch_execnz .LBB77_59
; %bb.60:
	s_or_b64 exec, exec, s[8:9]
	v_mov_b32_e32 v20, 0
	ds_read_b64 v[20:21], v20 offset:72
	s_waitcnt lgkmcnt(0)
	v_mul_f64 v[20:21], v[30:31], v[20:21]
.LBB77_61:
	s_or_b64 exec, exec, s[4:5]
	v_cmp_gt_u32_e32 vcc, 10, v0
	s_waitcnt lgkmcnt(0)
	; wave barrier
	ds_write_b64 v34, v[22:23]
	s_waitcnt lgkmcnt(0)
	; wave barrier
	s_waitcnt lgkmcnt(0)
	s_and_saveexec_b64 s[4:5], vcc
	s_cbranch_execz .LBB77_65
; %bb.62:
	v_mov_b32_e32 v30, 0x70
	v_lshl_add_u32 v35, v0, 3, v30
	s_mov_b64 s[8:9], 0
	v_pk_mov_b32 v[30:31], 0, 0
	v_pk_mov_b32 v[32:33], v[0:1], v[0:1] op_sel:[0,1]
.LBB77_63:                              ; =>This Inner Loop Header: Depth=1
	v_cmp_eq_u32_e32 vcc, 1, v32
	v_cndmask_b32_e32 v38, v3, v5, vcc
	v_cmp_eq_u32_e64 s[0:1], 2, v32
	v_cndmask_b32_e64 v38, v38, v7, s[0:1]
	v_cndmask_b32_e32 v39, v2, v4, vcc
	v_cmp_eq_u32_e32 vcc, 3, v32
	v_cndmask_b32_e32 v38, v38, v9, vcc
	v_cndmask_b32_e64 v39, v39, v6, s[0:1]
	v_cmp_eq_u32_e64 s[0:1], 4, v32
	v_cndmask_b32_e64 v38, v38, v11, s[0:1]
	v_cndmask_b32_e32 v39, v39, v8, vcc
	v_cmp_eq_u32_e32 vcc, 5, v32
	v_cndmask_b32_e32 v38, v38, v13, vcc
	v_cndmask_b32_e64 v39, v39, v10, s[0:1]
	;; [unrolled: 6-line block ×4, first 2 shown]
	v_cmp_eq_u32_e64 s[0:1], 10, v32
	ds_read_b64 v[36:37], v35
	v_cndmask_b32_e64 v38, v38, v23, s[0:1]
	v_cndmask_b32_e32 v39, v39, v20, vcc
	v_cmp_eq_u32_e32 vcc, 11, v32
	v_cndmask_b32_e32 v38, v38, v25, vcc
	v_cndmask_b32_e64 v39, v39, v22, s[0:1]
	v_cmp_eq_u32_e64 s[0:1], 12, v32
	v_cndmask_b32_e64 v38, v38, v27, s[0:1]
	v_cmp_eq_u32_e64 s[2:3], 13, v32
	v_cndmask_b32_e32 v40, v39, v24, vcc
	v_add_co_u32_e32 v32, vcc, 1, v32
	v_addc_co_u32_e32 v33, vcc, 0, v33, vcc
	v_cndmask_b32_e64 v39, v38, v29, s[2:3]
	v_cndmask_b32_e64 v38, v40, v26, s[0:1]
	v_add_u32_e32 v40, -1, v32
	v_cndmask_b32_e64 v38, v38, v28, s[2:3]
	v_cmp_lt_u32_e32 vcc, 8, v40
	v_add_u32_e32 v35, 8, v35
	s_or_b64 s[8:9], vcc, s[8:9]
	s_waitcnt lgkmcnt(0)
	v_fmac_f64_e32 v[30:31], v[38:39], v[36:37]
	s_andn2_b64 exec, exec, s[8:9]
	s_cbranch_execnz .LBB77_63
; %bb.64:
	s_or_b64 exec, exec, s[8:9]
	v_mov_b32_e32 v22, 0
	ds_read_b64 v[22:23], v22 offset:80
	s_waitcnt lgkmcnt(0)
	v_mul_f64 v[22:23], v[30:31], v[22:23]
.LBB77_65:
	s_or_b64 exec, exec, s[4:5]
	v_cmp_gt_u32_e32 vcc, 11, v0
	s_waitcnt lgkmcnt(0)
	; wave barrier
	ds_write_b64 v34, v[24:25]
	s_waitcnt lgkmcnt(0)
	; wave barrier
	s_waitcnt lgkmcnt(0)
	s_and_saveexec_b64 s[4:5], vcc
	s_cbranch_execz .LBB77_69
; %bb.66:
	v_mov_b32_e32 v30, 0x70
	v_lshl_add_u32 v35, v0, 3, v30
	s_mov_b64 s[8:9], 0
	v_pk_mov_b32 v[30:31], 0, 0
	v_pk_mov_b32 v[32:33], v[0:1], v[0:1] op_sel:[0,1]
.LBB77_67:                              ; =>This Inner Loop Header: Depth=1
	v_cmp_eq_u32_e32 vcc, 1, v32
	v_cndmask_b32_e32 v38, v3, v5, vcc
	v_cmp_eq_u32_e64 s[0:1], 2, v32
	v_cndmask_b32_e64 v38, v38, v7, s[0:1]
	v_cndmask_b32_e32 v39, v2, v4, vcc
	v_cmp_eq_u32_e32 vcc, 3, v32
	v_cndmask_b32_e32 v38, v38, v9, vcc
	v_cndmask_b32_e64 v39, v39, v6, s[0:1]
	v_cmp_eq_u32_e64 s[0:1], 4, v32
	v_cndmask_b32_e64 v38, v38, v11, s[0:1]
	v_cndmask_b32_e32 v39, v39, v8, vcc
	v_cmp_eq_u32_e32 vcc, 5, v32
	v_cndmask_b32_e32 v38, v38, v13, vcc
	v_cndmask_b32_e64 v39, v39, v10, s[0:1]
	;; [unrolled: 6-line block ×4, first 2 shown]
	v_cmp_eq_u32_e64 s[0:1], 10, v32
	ds_read_b64 v[36:37], v35
	v_cndmask_b32_e64 v38, v38, v23, s[0:1]
	v_cndmask_b32_e32 v39, v39, v20, vcc
	v_cmp_eq_u32_e32 vcc, 11, v32
	v_cndmask_b32_e32 v38, v38, v25, vcc
	v_cndmask_b32_e64 v39, v39, v22, s[0:1]
	v_cmp_eq_u32_e64 s[0:1], 12, v32
	v_cndmask_b32_e64 v38, v38, v27, s[0:1]
	v_cmp_eq_u32_e64 s[2:3], 13, v32
	v_cndmask_b32_e32 v40, v39, v24, vcc
	v_add_co_u32_e32 v32, vcc, 1, v32
	v_addc_co_u32_e32 v33, vcc, 0, v33, vcc
	v_cndmask_b32_e64 v39, v38, v29, s[2:3]
	v_cndmask_b32_e64 v38, v40, v26, s[0:1]
	v_add_u32_e32 v40, -1, v32
	v_cndmask_b32_e64 v38, v38, v28, s[2:3]
	v_cmp_lt_u32_e32 vcc, 9, v40
	v_add_u32_e32 v35, 8, v35
	s_or_b64 s[8:9], vcc, s[8:9]
	s_waitcnt lgkmcnt(0)
	v_fmac_f64_e32 v[30:31], v[38:39], v[36:37]
	s_andn2_b64 exec, exec, s[8:9]
	s_cbranch_execnz .LBB77_67
; %bb.68:
	s_or_b64 exec, exec, s[8:9]
	v_mov_b32_e32 v24, 0
	ds_read_b64 v[24:25], v24 offset:88
	s_waitcnt lgkmcnt(0)
	v_mul_f64 v[24:25], v[30:31], v[24:25]
.LBB77_69:
	s_or_b64 exec, exec, s[4:5]
	v_cmp_gt_u32_e32 vcc, 12, v0
	s_waitcnt lgkmcnt(0)
	; wave barrier
	ds_write_b64 v34, v[26:27]
	s_waitcnt lgkmcnt(0)
	; wave barrier
	s_waitcnt lgkmcnt(0)
	s_and_saveexec_b64 s[4:5], vcc
	s_cbranch_execz .LBB77_73
; %bb.70:
	v_mov_b32_e32 v30, 0x70
	v_lshl_add_u32 v35, v0, 3, v30
	s_mov_b64 s[8:9], 0
	v_pk_mov_b32 v[30:31], 0, 0
	v_pk_mov_b32 v[32:33], v[0:1], v[0:1] op_sel:[0,1]
.LBB77_71:                              ; =>This Inner Loop Header: Depth=1
	v_cmp_eq_u32_e32 vcc, 1, v32
	v_cndmask_b32_e32 v38, v3, v5, vcc
	v_cmp_eq_u32_e64 s[0:1], 2, v32
	v_cndmask_b32_e64 v38, v38, v7, s[0:1]
	v_cndmask_b32_e32 v39, v2, v4, vcc
	v_cmp_eq_u32_e32 vcc, 3, v32
	v_cndmask_b32_e32 v38, v38, v9, vcc
	v_cndmask_b32_e64 v39, v39, v6, s[0:1]
	v_cmp_eq_u32_e64 s[0:1], 4, v32
	v_cndmask_b32_e64 v38, v38, v11, s[0:1]
	v_cndmask_b32_e32 v39, v39, v8, vcc
	v_cmp_eq_u32_e32 vcc, 5, v32
	v_cndmask_b32_e32 v38, v38, v13, vcc
	v_cndmask_b32_e64 v39, v39, v10, s[0:1]
	;; [unrolled: 6-line block ×4, first 2 shown]
	v_cmp_eq_u32_e64 s[0:1], 10, v32
	ds_read_b64 v[36:37], v35
	v_cndmask_b32_e64 v38, v38, v23, s[0:1]
	v_cndmask_b32_e32 v39, v39, v20, vcc
	v_cmp_eq_u32_e32 vcc, 11, v32
	v_cndmask_b32_e32 v38, v38, v25, vcc
	v_cndmask_b32_e64 v39, v39, v22, s[0:1]
	v_cmp_eq_u32_e64 s[0:1], 12, v32
	v_cndmask_b32_e64 v38, v38, v27, s[0:1]
	v_cmp_eq_u32_e64 s[2:3], 13, v32
	v_cndmask_b32_e32 v40, v39, v24, vcc
	v_add_co_u32_e32 v32, vcc, 1, v32
	v_addc_co_u32_e32 v33, vcc, 0, v33, vcc
	v_cndmask_b32_e64 v39, v38, v29, s[2:3]
	v_cndmask_b32_e64 v38, v40, v26, s[0:1]
	v_add_u32_e32 v40, -1, v32
	v_cndmask_b32_e64 v38, v38, v28, s[2:3]
	v_cmp_lt_u32_e32 vcc, 10, v40
	v_add_u32_e32 v35, 8, v35
	s_or_b64 s[8:9], vcc, s[8:9]
	s_waitcnt lgkmcnt(0)
	v_fmac_f64_e32 v[30:31], v[38:39], v[36:37]
	s_andn2_b64 exec, exec, s[8:9]
	s_cbranch_execnz .LBB77_71
; %bb.72:
	s_or_b64 exec, exec, s[8:9]
	v_mov_b32_e32 v26, 0
	ds_read_b64 v[26:27], v26 offset:96
	s_waitcnt lgkmcnt(0)
	v_mul_f64 v[26:27], v[30:31], v[26:27]
.LBB77_73:
	s_or_b64 exec, exec, s[4:5]
	v_cmp_ne_u32_e32 vcc, 13, v0
	s_waitcnt lgkmcnt(0)
	; wave barrier
	ds_write_b64 v34, v[28:29]
	s_waitcnt lgkmcnt(0)
	; wave barrier
	s_waitcnt lgkmcnt(0)
	s_and_saveexec_b64 s[4:5], vcc
	s_cbranch_execz .LBB77_77
; %bb.74:
	v_mov_b32_e32 v30, 0x70
	v_lshl_add_u32 v34, v0, 3, v30
	s_mov_b64 s[8:9], 0
	v_pk_mov_b32 v[30:31], 0, 0
	v_pk_mov_b32 v[32:33], v[0:1], v[0:1] op_sel:[0,1]
.LBB77_75:                              ; =>This Inner Loop Header: Depth=1
	v_cmp_eq_u32_e32 vcc, 1, v32
	v_cndmask_b32_e32 v1, v3, v5, vcc
	v_cmp_eq_u32_e64 s[0:1], 2, v32
	v_cndmask_b32_e64 v1, v1, v7, s[0:1]
	v_cndmask_b32_e32 v35, v2, v4, vcc
	v_cmp_eq_u32_e32 vcc, 3, v32
	v_cndmask_b32_e32 v1, v1, v9, vcc
	v_cndmask_b32_e64 v35, v35, v6, s[0:1]
	v_cmp_eq_u32_e64 s[0:1], 4, v32
	v_cndmask_b32_e64 v1, v1, v11, s[0:1]
	v_cndmask_b32_e32 v35, v35, v8, vcc
	v_cmp_eq_u32_e32 vcc, 5, v32
	v_cndmask_b32_e32 v1, v1, v13, vcc
	v_cndmask_b32_e64 v35, v35, v10, s[0:1]
	v_cmp_eq_u32_e64 s[0:1], 6, v32
	v_cndmask_b32_e64 v1, v1, v15, s[0:1]
	v_cndmask_b32_e32 v35, v35, v12, vcc
	v_cmp_eq_u32_e32 vcc, 7, v32
	v_cndmask_b32_e32 v1, v1, v17, vcc
	v_cndmask_b32_e64 v35, v35, v14, s[0:1]
	v_cmp_eq_u32_e64 s[0:1], 8, v32
	v_cndmask_b32_e64 v1, v1, v19, s[0:1]
	v_cndmask_b32_e32 v35, v35, v16, vcc
	v_cmp_eq_u32_e32 vcc, 9, v32
	v_cndmask_b32_e32 v1, v1, v21, vcc
	v_cndmask_b32_e64 v35, v35, v18, s[0:1]
	v_cmp_eq_u32_e64 s[0:1], 10, v32
	ds_read_b64 v[36:37], v34
	v_cndmask_b32_e64 v1, v1, v23, s[0:1]
	v_cndmask_b32_e32 v35, v35, v20, vcc
	v_cmp_eq_u32_e32 vcc, 11, v32
	v_cndmask_b32_e32 v1, v1, v25, vcc
	v_cndmask_b32_e64 v35, v35, v22, s[0:1]
	v_cmp_eq_u32_e64 s[0:1], 12, v32
	v_cndmask_b32_e64 v1, v1, v27, s[0:1]
	v_cmp_eq_u32_e64 s[2:3], 13, v32
	v_cndmask_b32_e32 v35, v35, v24, vcc
	v_add_co_u32_e32 v32, vcc, 1, v32
	v_addc_co_u32_e32 v33, vcc, 0, v33, vcc
	v_cndmask_b32_e64 v39, v1, v29, s[2:3]
	v_cndmask_b32_e64 v1, v35, v26, s[0:1]
	v_add_u32_e32 v35, -1, v32
	v_cndmask_b32_e64 v38, v1, v28, s[2:3]
	v_cmp_lt_u32_e32 vcc, 11, v35
	v_add_u32_e32 v34, 8, v34
	s_or_b64 s[8:9], vcc, s[8:9]
	s_waitcnt lgkmcnt(0)
	v_fmac_f64_e32 v[30:31], v[38:39], v[36:37]
	s_andn2_b64 exec, exec, s[8:9]
	s_cbranch_execnz .LBB77_75
; %bb.76:
	s_or_b64 exec, exec, s[8:9]
	v_mov_b32_e32 v1, 0
	ds_read_b64 v[28:29], v1 offset:104
	s_waitcnt lgkmcnt(0)
	v_mul_f64 v[28:29], v[30:31], v[28:29]
.LBB77_77:
	s_or_b64 exec, exec, s[4:5]
	s_waitcnt lgkmcnt(0)
	; wave barrier
	s_cbranch_execnz .LBB77_15
	s_branch .LBB77_16
.LBB77_78:
	v_mov_b32_e32 v1, 0x70
	v_lshl_add_u32 v1, v0, 3, v1
	v_cmp_eq_u32_e32 vcc, 13, v0
	s_and_saveexec_b64 s[0:1], vcc
	s_cbranch_execz .LBB77_80
; %bb.79:
	v_mov_b32_e32 v54, 0
	v_mov_b32_e32 v30, v2
	;; [unrolled: 1-line block ×28, first 2 shown]
	ds_write_b64 v1, v[26:27]
	v_pk_mov_b32 v[2:3], v[30:31], v[30:31] op_sel:[0,1]
	v_pk_mov_b32 v[4:5], v[32:33], v[32:33] op_sel:[0,1]
	;; [unrolled: 1-line block ×16, first 2 shown]
.LBB77_80:
	s_or_b64 exec, exec, s[0:1]
	v_mov_b32_e32 v52, 0
	s_waitcnt lgkmcnt(0)
	; wave barrier
	s_waitcnt lgkmcnt(0)
	ds_read_b64 v[30:31], v52 offset:216
	v_cmp_lt_u32_e32 vcc, 11, v0
	s_waitcnt lgkmcnt(0)
	v_fma_f64 v[30:31], v[28:29], v[30:31], 0
	v_add_f64 v[26:27], v[26:27], -v[30:31]
	s_and_saveexec_b64 s[0:1], vcc
	s_cbranch_execz .LBB77_82
; %bb.81:
	v_mov_b32_e32 v30, v2
	v_mov_b32_e32 v31, v3
	;; [unrolled: 1-line block ×27, first 2 shown]
	ds_write_b64 v1, v[24:25]
	v_pk_mov_b32 v[2:3], v[30:31], v[30:31] op_sel:[0,1]
	v_pk_mov_b32 v[4:5], v[32:33], v[32:33] op_sel:[0,1]
	;; [unrolled: 1-line block ×16, first 2 shown]
.LBB77_82:
	s_or_b64 exec, exec, s[0:1]
	s_waitcnt lgkmcnt(0)
	; wave barrier
	s_waitcnt lgkmcnt(0)
	ds_read_b128 v[30:33], v52 offset:208
	v_cmp_lt_u32_e32 vcc, 10, v0
	s_waitcnt lgkmcnt(0)
	v_fma_f64 v[30:31], v[26:27], v[30:31], 0
	v_fmac_f64_e32 v[30:31], v[28:29], v[32:33]
	v_add_f64 v[24:25], v[24:25], -v[30:31]
	s_and_saveexec_b64 s[0:1], vcc
	s_cbranch_execz .LBB77_84
; %bb.83:
	v_mov_b32_e32 v50, 0
	v_mov_b32_e32 v30, v2
	;; [unrolled: 1-line block ×28, first 2 shown]
	ds_write_b64 v1, v[22:23]
	v_pk_mov_b32 v[2:3], v[30:31], v[30:31] op_sel:[0,1]
	v_pk_mov_b32 v[4:5], v[32:33], v[32:33] op_sel:[0,1]
	;; [unrolled: 1-line block ×16, first 2 shown]
.LBB77_84:
	s_or_b64 exec, exec, s[0:1]
	v_mov_b32_e32 v48, 0
	s_waitcnt lgkmcnt(0)
	; wave barrier
	s_waitcnt lgkmcnt(0)
	ds_read2_b64 v[30:33], v48 offset0:25 offset1:26
	ds_read_b64 v[34:35], v48 offset:216
	v_cmp_lt_u32_e32 vcc, 9, v0
	s_waitcnt lgkmcnt(1)
	v_fma_f64 v[30:31], v[24:25], v[30:31], 0
	v_fmac_f64_e32 v[30:31], v[26:27], v[32:33]
	s_waitcnt lgkmcnt(0)
	v_fmac_f64_e32 v[30:31], v[28:29], v[34:35]
	v_add_f64 v[22:23], v[22:23], -v[30:31]
	s_and_saveexec_b64 s[0:1], vcc
	s_cbranch_execz .LBB77_86
; %bb.85:
	v_mov_b32_e32 v30, v2
	v_mov_b32_e32 v31, v3
	;; [unrolled: 1-line block ×27, first 2 shown]
	ds_write_b64 v1, v[20:21]
	v_pk_mov_b32 v[2:3], v[30:31], v[30:31] op_sel:[0,1]
	v_pk_mov_b32 v[4:5], v[32:33], v[32:33] op_sel:[0,1]
	;; [unrolled: 1-line block ×16, first 2 shown]
.LBB77_86:
	s_or_b64 exec, exec, s[0:1]
	s_waitcnt lgkmcnt(0)
	; wave barrier
	s_waitcnt lgkmcnt(0)
	ds_read_b128 v[30:33], v48 offset:192
	ds_read_b128 v[34:37], v48 offset:208
	v_cmp_lt_u32_e32 vcc, 8, v0
	s_waitcnt lgkmcnt(1)
	v_fma_f64 v[30:31], v[22:23], v[30:31], 0
	v_fmac_f64_e32 v[30:31], v[24:25], v[32:33]
	s_waitcnt lgkmcnt(0)
	v_fmac_f64_e32 v[30:31], v[26:27], v[34:35]
	v_fmac_f64_e32 v[30:31], v[28:29], v[36:37]
	v_add_f64 v[20:21], v[20:21], -v[30:31]
	s_and_saveexec_b64 s[0:1], vcc
	s_cbranch_execz .LBB77_88
; %bb.87:
	v_mov_b32_e32 v46, 0
	v_mov_b32_e32 v30, v2
	;; [unrolled: 1-line block ×28, first 2 shown]
	ds_write_b64 v1, v[18:19]
	v_pk_mov_b32 v[2:3], v[30:31], v[30:31] op_sel:[0,1]
	v_pk_mov_b32 v[4:5], v[32:33], v[32:33] op_sel:[0,1]
	;; [unrolled: 1-line block ×16, first 2 shown]
.LBB77_88:
	s_or_b64 exec, exec, s[0:1]
	v_mov_b32_e32 v44, 0
	s_waitcnt lgkmcnt(0)
	; wave barrier
	s_waitcnt lgkmcnt(0)
	ds_read2_b64 v[30:33], v44 offset0:23 offset1:24
	ds_read2_b64 v[34:37], v44 offset0:25 offset1:26
	ds_read_b64 v[38:39], v44 offset:216
	v_cmp_lt_u32_e32 vcc, 7, v0
	s_waitcnt lgkmcnt(2)
	v_fma_f64 v[30:31], v[20:21], v[30:31], 0
	v_fmac_f64_e32 v[30:31], v[22:23], v[32:33]
	s_waitcnt lgkmcnt(1)
	v_fmac_f64_e32 v[30:31], v[24:25], v[34:35]
	v_fmac_f64_e32 v[30:31], v[26:27], v[36:37]
	s_waitcnt lgkmcnt(0)
	v_fmac_f64_e32 v[30:31], v[28:29], v[38:39]
	v_add_f64 v[18:19], v[18:19], -v[30:31]
	s_and_saveexec_b64 s[0:1], vcc
	s_cbranch_execz .LBB77_90
; %bb.89:
	v_mov_b32_e32 v30, v2
	v_mov_b32_e32 v31, v3
	;; [unrolled: 1-line block ×27, first 2 shown]
	ds_write_b64 v1, v[16:17]
	v_pk_mov_b32 v[2:3], v[30:31], v[30:31] op_sel:[0,1]
	v_pk_mov_b32 v[4:5], v[32:33], v[32:33] op_sel:[0,1]
	;; [unrolled: 1-line block ×16, first 2 shown]
.LBB77_90:
	s_or_b64 exec, exec, s[0:1]
	s_waitcnt lgkmcnt(0)
	; wave barrier
	s_waitcnt lgkmcnt(0)
	ds_read_b128 v[30:33], v44 offset:176
	ds_read_b128 v[34:37], v44 offset:192
	ds_read_b128 v[38:41], v44 offset:208
	v_cmp_lt_u32_e32 vcc, 6, v0
	s_waitcnt lgkmcnt(2)
	v_fma_f64 v[30:31], v[18:19], v[30:31], 0
	v_fmac_f64_e32 v[30:31], v[20:21], v[32:33]
	s_waitcnt lgkmcnt(1)
	v_fmac_f64_e32 v[30:31], v[22:23], v[34:35]
	v_fmac_f64_e32 v[30:31], v[24:25], v[36:37]
	s_waitcnt lgkmcnt(0)
	v_fmac_f64_e32 v[30:31], v[26:27], v[38:39]
	v_fmac_f64_e32 v[30:31], v[28:29], v[40:41]
	v_add_f64 v[16:17], v[16:17], -v[30:31]
	s_and_saveexec_b64 s[0:1], vcc
	s_cbranch_execz .LBB77_92
; %bb.91:
	v_mov_b32_e32 v42, 0
	v_mov_b32_e32 v30, v2
	;; [unrolled: 1-line block ×28, first 2 shown]
	ds_write_b64 v1, v[14:15]
	v_pk_mov_b32 v[2:3], v[30:31], v[30:31] op_sel:[0,1]
	v_pk_mov_b32 v[4:5], v[32:33], v[32:33] op_sel:[0,1]
	v_pk_mov_b32 v[6:7], v[34:35], v[34:35] op_sel:[0,1]
	v_pk_mov_b32 v[8:9], v[36:37], v[36:37] op_sel:[0,1]
	v_pk_mov_b32 v[10:11], v[38:39], v[38:39] op_sel:[0,1]
	v_pk_mov_b32 v[12:13], v[40:41], v[40:41] op_sel:[0,1]
	v_pk_mov_b32 v[14:15], v[42:43], v[42:43] op_sel:[0,1]
	v_pk_mov_b32 v[16:17], v[44:45], v[44:45] op_sel:[0,1]
	v_pk_mov_b32 v[18:19], v[46:47], v[46:47] op_sel:[0,1]
	v_pk_mov_b32 v[20:21], v[48:49], v[48:49] op_sel:[0,1]
	v_pk_mov_b32 v[22:23], v[50:51], v[50:51] op_sel:[0,1]
	v_pk_mov_b32 v[24:25], v[52:53], v[52:53] op_sel:[0,1]
	v_pk_mov_b32 v[26:27], v[54:55], v[54:55] op_sel:[0,1]
	v_pk_mov_b32 v[28:29], v[56:57], v[56:57] op_sel:[0,1]
	v_pk_mov_b32 v[30:31], v[58:59], v[58:59] op_sel:[0,1]
	v_pk_mov_b32 v[32:33], v[60:61], v[60:61] op_sel:[0,1]
.LBB77_92:
	s_or_b64 exec, exec, s[0:1]
	v_mov_b32_e32 v40, 0
	s_waitcnt lgkmcnt(0)
	; wave barrier
	s_waitcnt lgkmcnt(0)
	ds_read2_b64 v[30:33], v40 offset0:21 offset1:22
	ds_read2_b64 v[34:37], v40 offset0:23 offset1:24
	;; [unrolled: 1-line block ×3, first 2 shown]
	v_cmp_lt_u32_e32 vcc, 5, v0
	s_waitcnt lgkmcnt(2)
	v_fma_f64 v[30:31], v[16:17], v[30:31], 0
	v_fmac_f64_e32 v[30:31], v[18:19], v[32:33]
	ds_read_b64 v[32:33], v40 offset:216
	s_waitcnt lgkmcnt(2)
	v_fmac_f64_e32 v[30:31], v[20:21], v[34:35]
	v_fmac_f64_e32 v[30:31], v[22:23], v[36:37]
	s_waitcnt lgkmcnt(1)
	v_fmac_f64_e32 v[30:31], v[24:25], v[42:43]
	v_fmac_f64_e32 v[30:31], v[26:27], v[44:45]
	s_waitcnt lgkmcnt(0)
	v_fmac_f64_e32 v[30:31], v[28:29], v[32:33]
	v_add_f64 v[14:15], v[14:15], -v[30:31]
	s_and_saveexec_b64 s[0:1], vcc
	s_cbranch_execz .LBB77_94
; %bb.93:
	v_mov_b32_e32 v30, v2
	v_mov_b32_e32 v31, v3
	;; [unrolled: 1-line block ×27, first 2 shown]
	ds_write_b64 v1, v[12:13]
	v_pk_mov_b32 v[2:3], v[30:31], v[30:31] op_sel:[0,1]
	v_pk_mov_b32 v[4:5], v[32:33], v[32:33] op_sel:[0,1]
	v_pk_mov_b32 v[6:7], v[34:35], v[34:35] op_sel:[0,1]
	v_pk_mov_b32 v[8:9], v[36:37], v[36:37] op_sel:[0,1]
	v_pk_mov_b32 v[10:11], v[38:39], v[38:39] op_sel:[0,1]
	v_pk_mov_b32 v[12:13], v[40:41], v[40:41] op_sel:[0,1]
	v_pk_mov_b32 v[14:15], v[42:43], v[42:43] op_sel:[0,1]
	v_pk_mov_b32 v[16:17], v[44:45], v[44:45] op_sel:[0,1]
	v_pk_mov_b32 v[18:19], v[46:47], v[46:47] op_sel:[0,1]
	v_pk_mov_b32 v[20:21], v[48:49], v[48:49] op_sel:[0,1]
	v_pk_mov_b32 v[22:23], v[50:51], v[50:51] op_sel:[0,1]
	v_pk_mov_b32 v[24:25], v[52:53], v[52:53] op_sel:[0,1]
	v_pk_mov_b32 v[26:27], v[54:55], v[54:55] op_sel:[0,1]
	v_pk_mov_b32 v[28:29], v[56:57], v[56:57] op_sel:[0,1]
	v_pk_mov_b32 v[30:31], v[58:59], v[58:59] op_sel:[0,1]
	v_pk_mov_b32 v[32:33], v[60:61], v[60:61] op_sel:[0,1]
.LBB77_94:
	s_or_b64 exec, exec, s[0:1]
	s_waitcnt lgkmcnt(0)
	; wave barrier
	s_waitcnt lgkmcnt(0)
	ds_read_b128 v[30:33], v40 offset:160
	ds_read_b128 v[34:37], v40 offset:176
	;; [unrolled: 1-line block ×4, first 2 shown]
	v_cmp_lt_u32_e32 vcc, 4, v0
	s_waitcnt lgkmcnt(3)
	v_fma_f64 v[30:31], v[14:15], v[30:31], 0
	v_fmac_f64_e32 v[30:31], v[16:17], v[32:33]
	s_waitcnt lgkmcnt(2)
	v_fmac_f64_e32 v[30:31], v[18:19], v[34:35]
	v_fmac_f64_e32 v[30:31], v[20:21], v[36:37]
	s_waitcnt lgkmcnt(1)
	v_fmac_f64_e32 v[30:31], v[22:23], v[42:43]
	v_fmac_f64_e32 v[30:31], v[24:25], v[44:45]
	s_waitcnt lgkmcnt(0)
	v_fmac_f64_e32 v[30:31], v[26:27], v[38:39]
	v_fmac_f64_e32 v[30:31], v[28:29], v[40:41]
	v_add_f64 v[12:13], v[12:13], -v[30:31]
	s_and_saveexec_b64 s[0:1], vcc
	s_cbranch_execz .LBB77_96
; %bb.95:
	v_mov_b32_e32 v38, 0
	v_mov_b32_e32 v30, v2
	;; [unrolled: 1-line block ×30, first 2 shown]
	ds_write_b64 v1, v[2:3]
	v_pk_mov_b32 v[2:3], v[30:31], v[30:31] op_sel:[0,1]
	v_pk_mov_b32 v[4:5], v[32:33], v[32:33] op_sel:[0,1]
	;; [unrolled: 1-line block ×16, first 2 shown]
.LBB77_96:
	s_or_b64 exec, exec, s[0:1]
	v_mov_b32_e32 v36, 0
	s_waitcnt lgkmcnt(0)
	; wave barrier
	s_waitcnt lgkmcnt(0)
	ds_read2_b64 v[30:33], v36 offset0:19 offset1:20
	ds_read2_b64 v[38:41], v36 offset0:21 offset1:22
	v_cmp_lt_u32_e32 vcc, 3, v0
	ds_read2_b64 v[42:45], v36 offset0:25 offset1:26
	s_waitcnt lgkmcnt(2)
	v_fma_f64 v[34:35], v[12:13], v[30:31], 0
	v_fmac_f64_e32 v[34:35], v[14:15], v[32:33]
	ds_read2_b64 v[30:33], v36 offset0:23 offset1:24
	s_waitcnt lgkmcnt(2)
	v_fmac_f64_e32 v[34:35], v[16:17], v[38:39]
	v_fmac_f64_e32 v[34:35], v[18:19], v[40:41]
	ds_read_b64 v[38:39], v36 offset:216
	s_waitcnt lgkmcnt(1)
	v_fmac_f64_e32 v[34:35], v[20:21], v[30:31]
	v_fmac_f64_e32 v[34:35], v[22:23], v[32:33]
	;; [unrolled: 1-line block ×4, first 2 shown]
	s_waitcnt lgkmcnt(0)
	v_fmac_f64_e32 v[34:35], v[28:29], v[38:39]
	v_add_f64 v[10:11], v[10:11], -v[34:35]
	s_and_saveexec_b64 s[0:1], vcc
	s_cbranch_execz .LBB77_98
; %bb.97:
	v_mov_b32_e32 v30, v2
	v_mov_b32_e32 v31, v3
	;; [unrolled: 1-line block ×29, first 2 shown]
	ds_write_b64 v1, v[2:3]
	v_pk_mov_b32 v[2:3], v[30:31], v[30:31] op_sel:[0,1]
	v_pk_mov_b32 v[4:5], v[32:33], v[32:33] op_sel:[0,1]
	;; [unrolled: 1-line block ×16, first 2 shown]
.LBB77_98:
	s_or_b64 exec, exec, s[0:1]
	s_waitcnt lgkmcnt(0)
	; wave barrier
	s_waitcnt lgkmcnt(0)
	ds_read_b128 v[30:33], v36 offset:144
	ds_read_b128 v[38:41], v36 offset:160
	;; [unrolled: 1-line block ×4, first 2 shown]
	v_cmp_lt_u32_e32 vcc, 2, v0
	s_waitcnt lgkmcnt(3)
	v_fma_f64 v[34:35], v[10:11], v[30:31], 0
	v_fmac_f64_e32 v[34:35], v[12:13], v[32:33]
	s_waitcnt lgkmcnt(2)
	v_fmac_f64_e32 v[34:35], v[14:15], v[38:39]
	v_fmac_f64_e32 v[34:35], v[16:17], v[40:41]
	ds_read_b128 v[30:33], v36 offset:208
	s_waitcnt lgkmcnt(2)
	v_fmac_f64_e32 v[34:35], v[18:19], v[42:43]
	v_fmac_f64_e32 v[34:35], v[20:21], v[44:45]
	s_waitcnt lgkmcnt(1)
	v_fmac_f64_e32 v[34:35], v[22:23], v[46:47]
	v_fmac_f64_e32 v[34:35], v[24:25], v[48:49]
	;; [unrolled: 3-line block ×3, first 2 shown]
	v_add_f64 v[8:9], v[8:9], -v[34:35]
	s_and_saveexec_b64 s[0:1], vcc
	s_cbranch_execz .LBB77_100
; %bb.99:
	v_mov_b32_e32 v34, 0
	v_mov_b32_e32 v30, v2
	;; [unrolled: 1-line block ×30, first 2 shown]
	ds_write_b64 v1, v[2:3]
	v_pk_mov_b32 v[2:3], v[30:31], v[30:31] op_sel:[0,1]
	v_pk_mov_b32 v[4:5], v[32:33], v[32:33] op_sel:[0,1]
	;; [unrolled: 1-line block ×16, first 2 shown]
.LBB77_100:
	s_or_b64 exec, exec, s[0:1]
	v_mov_b32_e32 v34, 0
	s_waitcnt lgkmcnt(0)
	; wave barrier
	s_waitcnt lgkmcnt(0)
	ds_read2_b64 v[30:33], v34 offset0:17 offset1:18
	ds_read2_b64 v[36:39], v34 offset0:19 offset1:20
	;; [unrolled: 1-line block ×3, first 2 shown]
	v_cmp_lt_u32_e32 vcc, 1, v0
	s_waitcnt lgkmcnt(2)
	v_fma_f64 v[44:45], v[8:9], v[30:31], 0
	v_fmac_f64_e32 v[44:45], v[10:11], v[32:33]
	ds_read2_b64 v[30:33], v34 offset0:23 offset1:24
	s_waitcnt lgkmcnt(2)
	v_fmac_f64_e32 v[44:45], v[12:13], v[36:37]
	v_fmac_f64_e32 v[44:45], v[14:15], v[38:39]
	ds_read2_b64 v[36:39], v34 offset0:25 offset1:26
	s_waitcnt lgkmcnt(2)
	v_fmac_f64_e32 v[44:45], v[16:17], v[40:41]
	ds_read_b64 v[40:41], v34 offset:216
	v_fmac_f64_e32 v[44:45], v[18:19], v[42:43]
	s_waitcnt lgkmcnt(2)
	v_fmac_f64_e32 v[44:45], v[20:21], v[30:31]
	v_fmac_f64_e32 v[44:45], v[22:23], v[32:33]
	s_waitcnt lgkmcnt(1)
	v_fmac_f64_e32 v[44:45], v[24:25], v[36:37]
	;; [unrolled: 3-line block ×3, first 2 shown]
	v_add_f64 v[6:7], v[6:7], -v[44:45]
	s_and_saveexec_b64 s[0:1], vcc
	s_cbranch_execz .LBB77_102
; %bb.101:
	v_mov_b32_e32 v32, v2
	v_mov_b32_e32 v33, v3
	;; [unrolled: 1-line block ×29, first 2 shown]
	ds_write_b64 v1, v[2:3]
	v_pk_mov_b32 v[2:3], v[32:33], v[32:33] op_sel:[0,1]
	v_pk_mov_b32 v[4:5], v[34:35], v[34:35] op_sel:[0,1]
	;; [unrolled: 1-line block ×16, first 2 shown]
.LBB77_102:
	s_or_b64 exec, exec, s[0:1]
	s_waitcnt lgkmcnt(0)
	; wave barrier
	s_waitcnt lgkmcnt(0)
	ds_read_b128 v[30:33], v34 offset:128
	ds_read_b128 v[36:39], v34 offset:144
	ds_read_b128 v[40:43], v34 offset:160
	ds_read_b128 v[44:47], v34 offset:176
	v_cmp_ne_u32_e32 vcc, 0, v0
	s_waitcnt lgkmcnt(3)
	v_fma_f64 v[48:49], v[6:7], v[30:31], 0
	v_fmac_f64_e32 v[48:49], v[8:9], v[32:33]
	s_waitcnt lgkmcnt(2)
	v_fmac_f64_e32 v[48:49], v[10:11], v[36:37]
	v_fmac_f64_e32 v[48:49], v[12:13], v[38:39]
	ds_read_b128 v[30:33], v34 offset:192
	s_waitcnt lgkmcnt(2)
	v_fmac_f64_e32 v[48:49], v[14:15], v[40:41]
	v_fmac_f64_e32 v[48:49], v[16:17], v[42:43]
	ds_read_b128 v[34:37], v34 offset:208
	s_waitcnt lgkmcnt(2)
	v_fmac_f64_e32 v[48:49], v[18:19], v[44:45]
	v_fmac_f64_e32 v[48:49], v[20:21], v[46:47]
	s_waitcnt lgkmcnt(1)
	v_fmac_f64_e32 v[48:49], v[22:23], v[30:31]
	v_fmac_f64_e32 v[48:49], v[24:25], v[32:33]
	;; [unrolled: 3-line block ×3, first 2 shown]
	v_add_f64 v[4:5], v[4:5], -v[48:49]
	s_and_saveexec_b64 s[0:1], vcc
	s_cbranch_execz .LBB77_104
; %bb.103:
	v_mov_b32_e32 v30, 0
	v_mov_b32_e32 v33, v5
	;; [unrolled: 1-line block ×28, first 2 shown]
	ds_write_b64 v1, v[2:3]
	v_pk_mov_b32 v[2:3], v[30:31], v[30:31] op_sel:[0,1]
	v_pk_mov_b32 v[4:5], v[32:33], v[32:33] op_sel:[0,1]
	;; [unrolled: 1-line block ×16, first 2 shown]
.LBB77_104:
	s_or_b64 exec, exec, s[0:1]
	v_mov_b32_e32 v42, 0
	s_waitcnt lgkmcnt(0)
	; wave barrier
	s_waitcnt lgkmcnt(0)
	ds_read2_b64 v[30:33], v42 offset0:15 offset1:16
	ds_read2_b64 v[34:37], v42 offset0:17 offset1:18
	ds_read2_b64 v[38:41], v42 offset0:19 offset1:20
	s_and_b64 vcc, exec, s[42:43]
	s_waitcnt lgkmcnt(2)
	v_fma_f64 v[0:1], v[4:5], v[30:31], 0
	v_fmac_f64_e32 v[0:1], v[6:7], v[32:33]
	ds_read2_b64 v[30:33], v42 offset0:21 offset1:22
	s_waitcnt lgkmcnt(2)
	v_fmac_f64_e32 v[0:1], v[8:9], v[34:35]
	v_fmac_f64_e32 v[0:1], v[10:11], v[36:37]
	ds_read2_b64 v[34:37], v42 offset0:23 offset1:24
	s_waitcnt lgkmcnt(2)
	v_fmac_f64_e32 v[0:1], v[12:13], v[38:39]
	;; [unrolled: 4-line block ×3, first 2 shown]
	v_fmac_f64_e32 v[0:1], v[18:19], v[32:33]
	ds_read_b64 v[30:31], v42 offset:216
	s_waitcnt lgkmcnt(2)
	v_fmac_f64_e32 v[0:1], v[20:21], v[34:35]
	v_fmac_f64_e32 v[0:1], v[22:23], v[36:37]
	s_waitcnt lgkmcnt(1)
	v_fmac_f64_e32 v[0:1], v[24:25], v[38:39]
	v_fmac_f64_e32 v[0:1], v[26:27], v[40:41]
	s_waitcnt lgkmcnt(0)
	v_fmac_f64_e32 v[0:1], v[28:29], v[30:31]
	v_add_f64 v[2:3], v[2:3], -v[0:1]
	s_cbranch_vccz .LBB77_132
; %bb.105:
	v_pk_mov_b32 v[0:1], s[40:41], s[40:41] op_sel:[0,1]
	flat_load_dword v0, v[0:1] offset:48
	s_waitcnt vmcnt(0) lgkmcnt(0)
	v_add_u32_e32 v0, -1, v0
	v_cmp_ne_u32_e32 vcc, 12, v0
	s_and_saveexec_b64 s[24:25], vcc
	s_cbranch_execz .LBB77_107
; %bb.106:
	v_cmp_eq_u32_e32 vcc, 1, v0
	v_cndmask_b32_e32 v1, v2, v4, vcc
	v_cmp_eq_u32_e64 s[0:1], 2, v0
	v_cndmask_b32_e32 v30, v3, v5, vcc
	v_cndmask_b32_e64 v1, v1, v6, s[0:1]
	v_cmp_eq_u32_e64 s[2:3], 3, v0
	v_cndmask_b32_e64 v30, v30, v7, s[0:1]
	v_cndmask_b32_e64 v1, v1, v8, s[2:3]
	v_cmp_eq_u32_e64 s[4:5], 4, v0
	v_cndmask_b32_e64 v30, v30, v9, s[2:3]
	;; [unrolled: 3-line block ×11, first 2 shown]
	v_cndmask_b32_e64 v1, v1, v28, s[22:23]
	v_cndmask_b32_e64 v30, v30, v29, s[22:23]
	;; [unrolled: 1-line block ×4, first 2 shown]
	v_cndmask_b32_e32 v29, v5, v27, vcc
	v_cndmask_b32_e32 v28, v4, v26, vcc
	v_cmp_eq_u32_e32 vcc, 0, v0
	v_cndmask_b32_e64 v51, v30, v27, s[20:21]
	v_cndmask_b32_e64 v50, v1, v26, s[20:21]
	;; [unrolled: 1-line block ×22, first 2 shown]
	v_cndmask_b32_e32 v27, v3, v27, vcc
	v_cndmask_b32_e32 v26, v2, v26, vcc
	v_pk_mov_b32 v[2:3], v[26:27], v[26:27] op_sel:[0,1]
	v_pk_mov_b32 v[4:5], v[28:29], v[28:29] op_sel:[0,1]
	;; [unrolled: 1-line block ×16, first 2 shown]
.LBB77_107:
	s_or_b64 exec, exec, s[24:25]
	v_pk_mov_b32 v[0:1], s[40:41], s[40:41] op_sel:[0,1]
	flat_load_dword v0, v[0:1] offset:44
	s_waitcnt vmcnt(0) lgkmcnt(0)
	v_add_u32_e32 v0, -1, v0
	v_cmp_ne_u32_e32 vcc, 11, v0
	s_and_saveexec_b64 s[24:25], vcc
	s_cbranch_execz .LBB77_109
; %bb.108:
	v_cmp_eq_u32_e32 vcc, 1, v0
	v_cndmask_b32_e32 v1, v2, v4, vcc
	v_cmp_eq_u32_e64 s[0:1], 2, v0
	v_cndmask_b32_e32 v30, v3, v5, vcc
	v_cndmask_b32_e64 v1, v1, v6, s[0:1]
	v_cmp_eq_u32_e64 s[2:3], 3, v0
	v_cndmask_b32_e64 v30, v30, v7, s[0:1]
	v_cndmask_b32_e64 v1, v1, v8, s[2:3]
	v_cmp_eq_u32_e64 s[4:5], 4, v0
	v_cndmask_b32_e64 v30, v30, v9, s[2:3]
	;; [unrolled: 3-line block ×11, first 2 shown]
	v_cndmask_b32_e64 v1, v1, v28, s[22:23]
	v_cndmask_b32_e64 v30, v30, v29, s[22:23]
	;; [unrolled: 1-line block ×4, first 2 shown]
	v_cndmask_b32_e32 v27, v5, v25, vcc
	v_cndmask_b32_e32 v26, v4, v24, vcc
	v_cmp_eq_u32_e32 vcc, 0, v0
	v_cndmask_b32_e64 v47, v30, v25, s[18:19]
	v_cndmask_b32_e64 v46, v1, v24, s[18:19]
	;; [unrolled: 1-line block ×22, first 2 shown]
	v_cndmask_b32_e32 v25, v3, v25, vcc
	v_cndmask_b32_e32 v24, v2, v24, vcc
	v_pk_mov_b32 v[2:3], v[24:25], v[24:25] op_sel:[0,1]
	v_pk_mov_b32 v[4:5], v[26:27], v[26:27] op_sel:[0,1]
	;; [unrolled: 1-line block ×16, first 2 shown]
.LBB77_109:
	s_or_b64 exec, exec, s[24:25]
	v_pk_mov_b32 v[0:1], s[40:41], s[40:41] op_sel:[0,1]
	flat_load_dword v0, v[0:1] offset:40
	s_waitcnt vmcnt(0) lgkmcnt(0)
	v_add_u32_e32 v0, -1, v0
	v_cmp_ne_u32_e32 vcc, 10, v0
	s_and_saveexec_b64 s[24:25], vcc
	s_cbranch_execz .LBB77_111
; %bb.110:
	v_cmp_eq_u32_e32 vcc, 1, v0
	v_cndmask_b32_e32 v1, v2, v4, vcc
	v_cmp_eq_u32_e64 s[0:1], 2, v0
	v_cndmask_b32_e32 v30, v3, v5, vcc
	v_cndmask_b32_e64 v1, v1, v6, s[0:1]
	v_cmp_eq_u32_e64 s[2:3], 3, v0
	v_cndmask_b32_e64 v30, v30, v7, s[0:1]
	v_cndmask_b32_e64 v1, v1, v8, s[2:3]
	v_cmp_eq_u32_e64 s[4:5], 4, v0
	v_cndmask_b32_e64 v30, v30, v9, s[2:3]
	;; [unrolled: 3-line block ×11, first 2 shown]
	v_cndmask_b32_e64 v1, v1, v28, s[22:23]
	v_cndmask_b32_e64 v30, v30, v29, s[22:23]
	;; [unrolled: 1-line block ×4, first 2 shown]
	v_cndmask_b32_e32 v25, v5, v23, vcc
	v_cndmask_b32_e32 v24, v4, v22, vcc
	v_cmp_eq_u32_e32 vcc, 0, v0
	v_cndmask_b32_e64 v43, v30, v23, s[16:17]
	v_cndmask_b32_e64 v42, v1, v22, s[16:17]
	;; [unrolled: 1-line block ×22, first 2 shown]
	v_cndmask_b32_e32 v23, v3, v23, vcc
	v_cndmask_b32_e32 v22, v2, v22, vcc
	v_pk_mov_b32 v[2:3], v[22:23], v[22:23] op_sel:[0,1]
	v_pk_mov_b32 v[4:5], v[24:25], v[24:25] op_sel:[0,1]
	;; [unrolled: 1-line block ×16, first 2 shown]
.LBB77_111:
	s_or_b64 exec, exec, s[24:25]
	v_pk_mov_b32 v[0:1], s[40:41], s[40:41] op_sel:[0,1]
	flat_load_dword v0, v[0:1] offset:36
	s_waitcnt vmcnt(0) lgkmcnt(0)
	v_add_u32_e32 v0, -1, v0
	v_cmp_ne_u32_e32 vcc, 9, v0
	s_and_saveexec_b64 s[24:25], vcc
	s_cbranch_execz .LBB77_113
; %bb.112:
	v_cmp_eq_u32_e32 vcc, 1, v0
	v_cndmask_b32_e32 v1, v2, v4, vcc
	v_cmp_eq_u32_e64 s[0:1], 2, v0
	v_cndmask_b32_e32 v30, v3, v5, vcc
	v_cndmask_b32_e64 v1, v1, v6, s[0:1]
	v_cmp_eq_u32_e64 s[2:3], 3, v0
	v_cndmask_b32_e64 v30, v30, v7, s[0:1]
	v_cndmask_b32_e64 v1, v1, v8, s[2:3]
	v_cmp_eq_u32_e64 s[4:5], 4, v0
	v_cndmask_b32_e64 v30, v30, v9, s[2:3]
	;; [unrolled: 3-line block ×11, first 2 shown]
	v_cndmask_b32_e64 v1, v1, v28, s[22:23]
	v_cndmask_b32_e64 v30, v30, v29, s[22:23]
	v_cndmask_b32_e64 v41, v23, v21, s[16:17]
	v_cndmask_b32_e64 v40, v22, v20, s[16:17]
	v_cndmask_b32_e32 v23, v5, v21, vcc
	v_cndmask_b32_e32 v22, v4, v20, vcc
	v_cmp_eq_u32_e32 vcc, 0, v0
	v_cndmask_b32_e64 v39, v30, v21, s[14:15]
	v_cndmask_b32_e64 v38, v1, v20, s[14:15]
	v_cndmask_b32_e64 v47, v29, v21, s[22:23]
	v_cndmask_b32_e64 v46, v28, v20, s[22:23]
	v_cndmask_b32_e64 v45, v27, v21, s[20:21]
	v_cndmask_b32_e64 v44, v26, v20, s[20:21]
	v_cndmask_b32_e64 v43, v25, v21, s[18:19]
	v_cndmask_b32_e64 v42, v24, v20, s[18:19]
	v_cndmask_b32_e64 v37, v19, v21, s[12:13]
	v_cndmask_b32_e64 v36, v18, v20, s[12:13]
	v_cndmask_b32_e64 v35, v17, v21, s[10:11]
	v_cndmask_b32_e64 v34, v16, v20, s[10:11]
	v_cndmask_b32_e64 v33, v15, v21, s[8:9]
	v_cndmask_b32_e64 v32, v14, v20, s[8:9]
	v_cndmask_b32_e64 v31, v13, v21, s[6:7]
	v_cndmask_b32_e64 v30, v12, v20, s[6:7]
	v_cndmask_b32_e64 v29, v11, v21, s[4:5]
	v_cndmask_b32_e64 v28, v10, v20, s[4:5]
	v_cndmask_b32_e64 v27, v9, v21, s[2:3]
	v_cndmask_b32_e64 v26, v8, v20, s[2:3]
	v_cndmask_b32_e64 v25, v7, v21, s[0:1]
	v_cndmask_b32_e64 v24, v6, v20, s[0:1]
	v_cndmask_b32_e32 v21, v3, v21, vcc
	v_cndmask_b32_e32 v20, v2, v20, vcc
	v_pk_mov_b32 v[2:3], v[20:21], v[20:21] op_sel:[0,1]
	v_pk_mov_b32 v[4:5], v[22:23], v[22:23] op_sel:[0,1]
	;; [unrolled: 1-line block ×16, first 2 shown]
.LBB77_113:
	s_or_b64 exec, exec, s[24:25]
	v_pk_mov_b32 v[0:1], s[40:41], s[40:41] op_sel:[0,1]
	flat_load_dword v0, v[0:1] offset:32
	s_waitcnt vmcnt(0) lgkmcnt(0)
	v_add_u32_e32 v0, -1, v0
	v_cmp_ne_u32_e32 vcc, 8, v0
	s_and_saveexec_b64 s[24:25], vcc
	s_cbranch_execz .LBB77_115
; %bb.114:
	v_cmp_eq_u32_e32 vcc, 1, v0
	v_cndmask_b32_e32 v1, v2, v4, vcc
	v_cmp_eq_u32_e64 s[0:1], 2, v0
	v_cndmask_b32_e32 v30, v3, v5, vcc
	v_cndmask_b32_e64 v1, v1, v6, s[0:1]
	v_cmp_eq_u32_e64 s[2:3], 3, v0
	v_cndmask_b32_e64 v30, v30, v7, s[0:1]
	v_cndmask_b32_e64 v1, v1, v8, s[2:3]
	v_cmp_eq_u32_e64 s[4:5], 4, v0
	v_cndmask_b32_e64 v30, v30, v9, s[2:3]
	;; [unrolled: 3-line block ×11, first 2 shown]
	v_cndmask_b32_e64 v1, v1, v28, s[22:23]
	v_cndmask_b32_e64 v30, v30, v29, s[22:23]
	;; [unrolled: 1-line block ×4, first 2 shown]
	v_cndmask_b32_e32 v21, v5, v19, vcc
	v_cndmask_b32_e32 v20, v4, v18, vcc
	v_cmp_eq_u32_e32 vcc, 0, v0
	v_cndmask_b32_e64 v35, v30, v19, s[12:13]
	v_cndmask_b32_e64 v34, v1, v18, s[12:13]
	v_cndmask_b32_e64 v45, v29, v19, s[22:23]
	v_cndmask_b32_e64 v44, v28, v18, s[22:23]
	v_cndmask_b32_e64 v43, v27, v19, s[20:21]
	v_cndmask_b32_e64 v42, v26, v18, s[20:21]
	v_cndmask_b32_e64 v41, v25, v19, s[18:19]
	v_cndmask_b32_e64 v40, v24, v18, s[18:19]
	v_cndmask_b32_e64 v39, v23, v19, s[16:17]
	v_cndmask_b32_e64 v38, v22, v18, s[16:17]
	v_cndmask_b32_e64 v33, v17, v19, s[10:11]
	v_cndmask_b32_e64 v32, v16, v18, s[10:11]
	v_cndmask_b32_e64 v31, v15, v19, s[8:9]
	v_cndmask_b32_e64 v30, v14, v18, s[8:9]
	v_cndmask_b32_e64 v29, v13, v19, s[6:7]
	v_cndmask_b32_e64 v28, v12, v18, s[6:7]
	v_cndmask_b32_e64 v27, v11, v19, s[4:5]
	v_cndmask_b32_e64 v26, v10, v18, s[4:5]
	v_cndmask_b32_e64 v25, v9, v19, s[2:3]
	v_cndmask_b32_e64 v24, v8, v18, s[2:3]
	v_cndmask_b32_e64 v23, v7, v19, s[0:1]
	v_cndmask_b32_e64 v22, v6, v18, s[0:1]
	v_cndmask_b32_e32 v19, v3, v19, vcc
	v_cndmask_b32_e32 v18, v2, v18, vcc
	v_pk_mov_b32 v[2:3], v[18:19], v[18:19] op_sel:[0,1]
	v_pk_mov_b32 v[4:5], v[20:21], v[20:21] op_sel:[0,1]
	;; [unrolled: 1-line block ×16, first 2 shown]
.LBB77_115:
	s_or_b64 exec, exec, s[24:25]
	v_pk_mov_b32 v[0:1], s[40:41], s[40:41] op_sel:[0,1]
	flat_load_dword v0, v[0:1] offset:28
	s_waitcnt vmcnt(0) lgkmcnt(0)
	v_add_u32_e32 v0, -1, v0
	v_cmp_ne_u32_e32 vcc, 7, v0
	s_and_saveexec_b64 s[24:25], vcc
	s_cbranch_execz .LBB77_117
; %bb.116:
	v_cmp_eq_u32_e32 vcc, 1, v0
	v_cndmask_b32_e32 v1, v2, v4, vcc
	v_cmp_eq_u32_e64 s[0:1], 2, v0
	v_cndmask_b32_e32 v30, v3, v5, vcc
	v_cndmask_b32_e64 v1, v1, v6, s[0:1]
	v_cmp_eq_u32_e64 s[2:3], 3, v0
	v_cndmask_b32_e64 v30, v30, v7, s[0:1]
	v_cndmask_b32_e64 v1, v1, v8, s[2:3]
	v_cmp_eq_u32_e64 s[4:5], 4, v0
	v_cndmask_b32_e64 v30, v30, v9, s[2:3]
	;; [unrolled: 3-line block ×11, first 2 shown]
	v_cndmask_b32_e64 v1, v1, v28, s[22:23]
	v_cndmask_b32_e64 v30, v30, v29, s[22:23]
	;; [unrolled: 1-line block ×4, first 2 shown]
	v_cndmask_b32_e32 v19, v5, v17, vcc
	v_cndmask_b32_e32 v18, v4, v16, vcc
	v_cmp_eq_u32_e32 vcc, 0, v0
	v_cndmask_b32_e64 v31, v30, v17, s[10:11]
	v_cndmask_b32_e64 v30, v1, v16, s[10:11]
	;; [unrolled: 1-line block ×22, first 2 shown]
	v_cndmask_b32_e32 v17, v3, v17, vcc
	v_cndmask_b32_e32 v16, v2, v16, vcc
	v_pk_mov_b32 v[2:3], v[16:17], v[16:17] op_sel:[0,1]
	v_pk_mov_b32 v[4:5], v[18:19], v[18:19] op_sel:[0,1]
	v_pk_mov_b32 v[6:7], v[20:21], v[20:21] op_sel:[0,1]
	v_pk_mov_b32 v[8:9], v[22:23], v[22:23] op_sel:[0,1]
	v_pk_mov_b32 v[10:11], v[24:25], v[24:25] op_sel:[0,1]
	v_pk_mov_b32 v[12:13], v[26:27], v[26:27] op_sel:[0,1]
	v_pk_mov_b32 v[14:15], v[28:29], v[28:29] op_sel:[0,1]
	v_pk_mov_b32 v[16:17], v[30:31], v[30:31] op_sel:[0,1]
	v_pk_mov_b32 v[18:19], v[32:33], v[32:33] op_sel:[0,1]
	v_pk_mov_b32 v[20:21], v[34:35], v[34:35] op_sel:[0,1]
	v_pk_mov_b32 v[22:23], v[36:37], v[36:37] op_sel:[0,1]
	v_pk_mov_b32 v[24:25], v[38:39], v[38:39] op_sel:[0,1]
	v_pk_mov_b32 v[26:27], v[40:41], v[40:41] op_sel:[0,1]
	v_pk_mov_b32 v[28:29], v[42:43], v[42:43] op_sel:[0,1]
	v_pk_mov_b32 v[30:31], v[44:45], v[44:45] op_sel:[0,1]
	v_pk_mov_b32 v[32:33], v[46:47], v[46:47] op_sel:[0,1]
.LBB77_117:
	s_or_b64 exec, exec, s[24:25]
	v_pk_mov_b32 v[0:1], s[40:41], s[40:41] op_sel:[0,1]
	flat_load_dword v0, v[0:1] offset:24
	s_waitcnt vmcnt(0) lgkmcnt(0)
	v_add_u32_e32 v0, -1, v0
	v_cmp_ne_u32_e32 vcc, 6, v0
	s_and_saveexec_b64 s[24:25], vcc
	s_cbranch_execz .LBB77_119
; %bb.118:
	v_cmp_eq_u32_e32 vcc, 1, v0
	v_cndmask_b32_e32 v1, v2, v4, vcc
	v_cmp_eq_u32_e64 s[0:1], 2, v0
	v_cndmask_b32_e32 v30, v3, v5, vcc
	v_cndmask_b32_e64 v1, v1, v6, s[0:1]
	v_cmp_eq_u32_e64 s[2:3], 3, v0
	v_cndmask_b32_e64 v30, v30, v7, s[0:1]
	v_cndmask_b32_e64 v1, v1, v8, s[2:3]
	v_cmp_eq_u32_e64 s[4:5], 4, v0
	v_cndmask_b32_e64 v30, v30, v9, s[2:3]
	;; [unrolled: 3-line block ×11, first 2 shown]
	v_cndmask_b32_e64 v1, v1, v28, s[22:23]
	v_cndmask_b32_e64 v30, v30, v29, s[22:23]
	;; [unrolled: 1-line block ×4, first 2 shown]
	v_cndmask_b32_e32 v21, v5, v15, vcc
	v_cndmask_b32_e32 v20, v4, v14, vcc
	v_cmp_eq_u32_e32 vcc, 0, v0
	v_cndmask_b32_e64 v31, v30, v15, s[8:9]
	v_cndmask_b32_e64 v30, v1, v14, s[8:9]
	;; [unrolled: 1-line block ×22, first 2 shown]
	v_cndmask_b32_e32 v19, v3, v15, vcc
	v_cndmask_b32_e32 v18, v2, v14, vcc
	v_pk_mov_b32 v[2:3], v[18:19], v[18:19] op_sel:[0,1]
	v_pk_mov_b32 v[4:5], v[20:21], v[20:21] op_sel:[0,1]
	;; [unrolled: 1-line block ×16, first 2 shown]
.LBB77_119:
	s_or_b64 exec, exec, s[24:25]
	v_pk_mov_b32 v[0:1], s[40:41], s[40:41] op_sel:[0,1]
	flat_load_dword v0, v[0:1] offset:20
	s_waitcnt vmcnt(0) lgkmcnt(0)
	v_add_u32_e32 v0, -1, v0
	v_cmp_ne_u32_e32 vcc, 5, v0
	s_and_saveexec_b64 s[24:25], vcc
	s_cbranch_execz .LBB77_121
; %bb.120:
	v_cmp_eq_u32_e32 vcc, 1, v0
	v_cndmask_b32_e32 v1, v2, v4, vcc
	v_cmp_eq_u32_e64 s[0:1], 2, v0
	v_cndmask_b32_e32 v30, v3, v5, vcc
	v_cndmask_b32_e64 v1, v1, v6, s[0:1]
	v_cmp_eq_u32_e64 s[2:3], 3, v0
	v_cndmask_b32_e64 v30, v30, v7, s[0:1]
	v_cndmask_b32_e64 v1, v1, v8, s[2:3]
	v_cmp_eq_u32_e64 s[4:5], 4, v0
	v_cndmask_b32_e64 v30, v30, v9, s[2:3]
	v_cndmask_b32_e64 v1, v1, v10, s[4:5]
	v_cmp_eq_u32_e64 s[6:7], 5, v0
	v_cndmask_b32_e64 v30, v30, v11, s[4:5]
	v_cndmask_b32_e64 v1, v1, v12, s[6:7]
	v_cmp_eq_u32_e64 s[8:9], 6, v0
	v_cndmask_b32_e64 v30, v30, v13, s[6:7]
	v_cndmask_b32_e64 v1, v1, v14, s[8:9]
	v_cmp_eq_u32_e64 s[10:11], 7, v0
	v_cndmask_b32_e64 v30, v30, v15, s[8:9]
	v_cndmask_b32_e64 v1, v1, v16, s[10:11]
	v_cmp_eq_u32_e64 s[12:13], 8, v0
	v_cndmask_b32_e64 v30, v30, v17, s[10:11]
	v_cndmask_b32_e64 v1, v1, v18, s[12:13]
	v_cmp_eq_u32_e64 s[14:15], 9, v0
	v_cndmask_b32_e64 v30, v30, v19, s[12:13]
	v_cndmask_b32_e64 v1, v1, v20, s[14:15]
	v_cmp_eq_u32_e64 s[16:17], 10, v0
	v_cndmask_b32_e64 v30, v30, v21, s[14:15]
	v_cndmask_b32_e64 v1, v1, v22, s[16:17]
	v_cmp_eq_u32_e64 s[18:19], 11, v0
	v_cndmask_b32_e64 v30, v30, v23, s[16:17]
	v_cndmask_b32_e64 v1, v1, v24, s[18:19]
	v_cmp_eq_u32_e64 s[20:21], 12, v0
	v_cndmask_b32_e64 v30, v30, v25, s[18:19]
	v_cndmask_b32_e64 v1, v1, v26, s[20:21]
	v_cmp_eq_u32_e64 s[22:23], 13, v0
	v_cndmask_b32_e64 v30, v30, v27, s[20:21]
	v_cndmask_b32_e64 v1, v1, v28, s[22:23]
	v_cndmask_b32_e64 v30, v30, v29, s[22:23]
	;; [unrolled: 1-line block ×4, first 2 shown]
	v_cndmask_b32_e32 v23, v5, v13, vcc
	v_cndmask_b32_e32 v22, v4, v12, vcc
	v_cmp_eq_u32_e32 vcc, 0, v0
	v_cndmask_b32_e64 v31, v30, v13, s[6:7]
	v_cndmask_b32_e64 v30, v1, v12, s[6:7]
	;; [unrolled: 1-line block ×18, first 2 shown]
	v_cndmask_b32_e32 v21, v3, v13, vcc
	v_cndmask_b32_e32 v20, v2, v12, vcc
	v_cndmask_b32_e64 v37, v19, v13, s[12:13]
	v_cndmask_b32_e64 v36, v18, v12, s[12:13]
	;; [unrolled: 1-line block ×4, first 2 shown]
	v_pk_mov_b32 v[2:3], v[20:21], v[20:21] op_sel:[0,1]
	v_pk_mov_b32 v[4:5], v[22:23], v[22:23] op_sel:[0,1]
	;; [unrolled: 1-line block ×16, first 2 shown]
.LBB77_121:
	s_or_b64 exec, exec, s[24:25]
	v_pk_mov_b32 v[0:1], s[40:41], s[40:41] op_sel:[0,1]
	flat_load_dword v0, v[0:1] offset:16
	s_waitcnt vmcnt(0) lgkmcnt(0)
	v_add_u32_e32 v0, -1, v0
	v_cmp_ne_u32_e32 vcc, 4, v0
	s_and_saveexec_b64 s[24:25], vcc
	s_cbranch_execz .LBB77_123
; %bb.122:
	v_cmp_eq_u32_e32 vcc, 1, v0
	v_cndmask_b32_e32 v1, v2, v4, vcc
	v_cmp_eq_u32_e64 s[0:1], 2, v0
	v_cndmask_b32_e32 v30, v3, v5, vcc
	v_cndmask_b32_e64 v1, v1, v6, s[0:1]
	v_cmp_eq_u32_e64 s[2:3], 3, v0
	v_cndmask_b32_e64 v30, v30, v7, s[0:1]
	v_cndmask_b32_e64 v1, v1, v8, s[2:3]
	v_cmp_eq_u32_e64 s[4:5], 4, v0
	v_cndmask_b32_e64 v30, v30, v9, s[2:3]
	;; [unrolled: 3-line block ×11, first 2 shown]
	v_cndmask_b32_e64 v1, v1, v28, s[22:23]
	v_cndmask_b32_e64 v30, v30, v29, s[22:23]
	;; [unrolled: 1-line block ×4, first 2 shown]
	v_cndmask_b32_e32 v25, v5, v11, vcc
	v_cndmask_b32_e32 v24, v4, v10, vcc
	v_cmp_eq_u32_e32 vcc, 0, v0
	v_cndmask_b32_e64 v31, v30, v11, s[4:5]
	v_cndmask_b32_e64 v30, v1, v10, s[4:5]
	;; [unrolled: 1-line block ×14, first 2 shown]
	v_cndmask_b32_e32 v23, v3, v11, vcc
	v_cndmask_b32_e32 v22, v2, v10, vcc
	v_cndmask_b32_e64 v41, v21, v11, s[14:15]
	v_cndmask_b32_e64 v40, v20, v10, s[14:15]
	;; [unrolled: 1-line block ×8, first 2 shown]
	v_pk_mov_b32 v[2:3], v[22:23], v[22:23] op_sel:[0,1]
	v_pk_mov_b32 v[4:5], v[24:25], v[24:25] op_sel:[0,1]
	v_pk_mov_b32 v[6:7], v[26:27], v[26:27] op_sel:[0,1]
	v_pk_mov_b32 v[8:9], v[28:29], v[28:29] op_sel:[0,1]
	v_pk_mov_b32 v[10:11], v[30:31], v[30:31] op_sel:[0,1]
	v_pk_mov_b32 v[12:13], v[32:33], v[32:33] op_sel:[0,1]
	v_pk_mov_b32 v[14:15], v[34:35], v[34:35] op_sel:[0,1]
	v_pk_mov_b32 v[16:17], v[36:37], v[36:37] op_sel:[0,1]
	v_pk_mov_b32 v[18:19], v[38:39], v[38:39] op_sel:[0,1]
	v_pk_mov_b32 v[20:21], v[40:41], v[40:41] op_sel:[0,1]
	v_pk_mov_b32 v[22:23], v[42:43], v[42:43] op_sel:[0,1]
	v_pk_mov_b32 v[24:25], v[44:45], v[44:45] op_sel:[0,1]
	v_pk_mov_b32 v[26:27], v[46:47], v[46:47] op_sel:[0,1]
	v_pk_mov_b32 v[28:29], v[48:49], v[48:49] op_sel:[0,1]
	v_pk_mov_b32 v[30:31], v[50:51], v[50:51] op_sel:[0,1]
	v_pk_mov_b32 v[32:33], v[52:53], v[52:53] op_sel:[0,1]
.LBB77_123:
	s_or_b64 exec, exec, s[24:25]
	v_pk_mov_b32 v[0:1], s[40:41], s[40:41] op_sel:[0,1]
	flat_load_dword v0, v[0:1] offset:12
	s_waitcnt vmcnt(0) lgkmcnt(0)
	v_add_u32_e32 v0, -1, v0
	v_cmp_ne_u32_e32 vcc, 3, v0
	s_and_saveexec_b64 s[24:25], vcc
	s_cbranch_execz .LBB77_125
; %bb.124:
	v_cmp_eq_u32_e32 vcc, 1, v0
	v_cndmask_b32_e32 v1, v2, v4, vcc
	v_cmp_eq_u32_e64 s[0:1], 2, v0
	v_cndmask_b32_e32 v30, v3, v5, vcc
	v_cndmask_b32_e64 v1, v1, v6, s[0:1]
	v_cmp_eq_u32_e64 s[2:3], 3, v0
	v_cndmask_b32_e64 v30, v30, v7, s[0:1]
	v_cndmask_b32_e64 v1, v1, v8, s[2:3]
	v_cmp_eq_u32_e64 s[4:5], 4, v0
	v_cndmask_b32_e64 v30, v30, v9, s[2:3]
	;; [unrolled: 3-line block ×11, first 2 shown]
	v_cndmask_b32_e64 v1, v1, v28, s[22:23]
	v_cndmask_b32_e64 v30, v30, v29, s[22:23]
	;; [unrolled: 1-line block ×4, first 2 shown]
	v_cndmask_b32_e32 v27, v5, v9, vcc
	v_cndmask_b32_e32 v26, v4, v8, vcc
	v_cmp_eq_u32_e32 vcc, 0, v0
	v_cndmask_b32_e64 v31, v30, v9, s[2:3]
	v_cndmask_b32_e64 v30, v1, v8, s[2:3]
	;; [unrolled: 1-line block ×10, first 2 shown]
	v_cndmask_b32_e32 v25, v3, v9, vcc
	v_cndmask_b32_e32 v24, v2, v8, vcc
	v_cndmask_b32_e64 v45, v23, v9, s[16:17]
	v_cndmask_b32_e64 v44, v22, v8, s[16:17]
	;; [unrolled: 1-line block ×12, first 2 shown]
	v_pk_mov_b32 v[2:3], v[24:25], v[24:25] op_sel:[0,1]
	v_pk_mov_b32 v[4:5], v[26:27], v[26:27] op_sel:[0,1]
	;; [unrolled: 1-line block ×16, first 2 shown]
.LBB77_125:
	s_or_b64 exec, exec, s[24:25]
	v_pk_mov_b32 v[0:1], s[40:41], s[40:41] op_sel:[0,1]
	flat_load_dword v0, v[0:1] offset:8
	s_waitcnt vmcnt(0) lgkmcnt(0)
	v_add_u32_e32 v0, -1, v0
	v_cmp_ne_u32_e32 vcc, 2, v0
	s_and_saveexec_b64 s[24:25], vcc
	s_cbranch_execz .LBB77_127
; %bb.126:
	v_cmp_eq_u32_e32 vcc, 1, v0
	v_cndmask_b32_e32 v1, v2, v4, vcc
	v_cmp_eq_u32_e64 s[0:1], 2, v0
	v_cndmask_b32_e32 v30, v3, v5, vcc
	v_cndmask_b32_e64 v1, v1, v6, s[0:1]
	v_cmp_eq_u32_e64 s[2:3], 3, v0
	v_cndmask_b32_e64 v30, v30, v7, s[0:1]
	v_cndmask_b32_e64 v1, v1, v8, s[2:3]
	v_cmp_eq_u32_e64 s[4:5], 4, v0
	v_cndmask_b32_e64 v30, v30, v9, s[2:3]
	;; [unrolled: 3-line block ×11, first 2 shown]
	v_cndmask_b32_e64 v1, v1, v28, s[22:23]
	v_cndmask_b32_e64 v30, v30, v29, s[22:23]
	;; [unrolled: 1-line block ×4, first 2 shown]
	v_cndmask_b32_e32 v29, v5, v7, vcc
	v_cndmask_b32_e32 v28, v4, v6, vcc
	v_cmp_eq_u32_e32 vcc, 0, v0
	v_cndmask_b32_e64 v31, v30, v7, s[0:1]
	v_cndmask_b32_e64 v30, v1, v6, s[0:1]
	;; [unrolled: 1-line block ×6, first 2 shown]
	v_cndmask_b32_e32 v27, v3, v7, vcc
	v_cndmask_b32_e32 v26, v2, v6, vcc
	v_cndmask_b32_e64 v49, v25, v7, s[18:19]
	v_cndmask_b32_e64 v48, v24, v6, s[18:19]
	v_cndmask_b32_e64 v47, v23, v7, s[16:17]
	v_cndmask_b32_e64 v46, v22, v6, s[16:17]
	v_cndmask_b32_e64 v45, v21, v7, s[14:15]
	v_cndmask_b32_e64 v44, v20, v6, s[14:15]
	v_cndmask_b32_e64 v43, v19, v7, s[12:13]
	v_cndmask_b32_e64 v42, v18, v6, s[12:13]
	v_cndmask_b32_e64 v41, v17, v7, s[10:11]
	v_cndmask_b32_e64 v40, v16, v6, s[10:11]
	v_cndmask_b32_e64 v39, v15, v7, s[8:9]
	v_cndmask_b32_e64 v38, v14, v6, s[8:9]
	v_cndmask_b32_e64 v37, v13, v7, s[6:7]
	v_cndmask_b32_e64 v36, v12, v6, s[6:7]
	v_cndmask_b32_e64 v35, v11, v7, s[4:5]
	v_cndmask_b32_e64 v34, v10, v6, s[4:5]
	v_pk_mov_b32 v[2:3], v[26:27], v[26:27] op_sel:[0,1]
	v_pk_mov_b32 v[4:5], v[28:29], v[28:29] op_sel:[0,1]
	;; [unrolled: 1-line block ×16, first 2 shown]
.LBB77_127:
	s_or_b64 exec, exec, s[24:25]
	v_pk_mov_b32 v[0:1], s[40:41], s[40:41] op_sel:[0,1]
	flat_load_dword v0, v[0:1] offset:4
	s_waitcnt vmcnt(0) lgkmcnt(0)
	v_add_u32_e32 v0, -1, v0
	v_cmp_ne_u32_e32 vcc, 1, v0
	s_and_saveexec_b64 s[24:25], vcc
	s_cbranch_execz .LBB77_129
; %bb.128:
	v_cmp_eq_u32_e32 vcc, 1, v0
	v_cndmask_b32_e32 v1, v2, v4, vcc
	v_cmp_eq_u32_e64 s[0:1], 2, v0
	v_cndmask_b32_e32 v30, v3, v5, vcc
	v_cndmask_b32_e64 v1, v1, v6, s[0:1]
	v_cmp_eq_u32_e64 s[2:3], 3, v0
	v_cndmask_b32_e64 v30, v30, v7, s[0:1]
	v_cndmask_b32_e64 v1, v1, v8, s[2:3]
	v_cmp_eq_u32_e64 s[4:5], 4, v0
	v_cndmask_b32_e64 v30, v30, v9, s[2:3]
	v_cndmask_b32_e64 v1, v1, v10, s[4:5]
	v_cmp_eq_u32_e64 s[6:7], 5, v0
	v_cndmask_b32_e64 v30, v30, v11, s[4:5]
	v_cndmask_b32_e64 v1, v1, v12, s[6:7]
	v_cmp_eq_u32_e64 s[8:9], 6, v0
	v_cndmask_b32_e64 v30, v30, v13, s[6:7]
	v_cndmask_b32_e64 v1, v1, v14, s[8:9]
	v_cmp_eq_u32_e64 s[10:11], 7, v0
	v_cndmask_b32_e64 v30, v30, v15, s[8:9]
	v_cndmask_b32_e64 v1, v1, v16, s[10:11]
	v_cmp_eq_u32_e64 s[12:13], 8, v0
	v_cndmask_b32_e64 v30, v30, v17, s[10:11]
	v_cndmask_b32_e64 v1, v1, v18, s[12:13]
	v_cmp_eq_u32_e64 s[14:15], 9, v0
	v_cndmask_b32_e64 v30, v30, v19, s[12:13]
	v_cndmask_b32_e64 v1, v1, v20, s[14:15]
	v_cmp_eq_u32_e64 s[16:17], 10, v0
	v_cndmask_b32_e64 v30, v30, v21, s[14:15]
	v_cndmask_b32_e64 v1, v1, v22, s[16:17]
	v_cmp_eq_u32_e64 s[18:19], 11, v0
	v_cndmask_b32_e64 v30, v30, v23, s[16:17]
	v_cndmask_b32_e64 v1, v1, v24, s[18:19]
	v_cmp_eq_u32_e64 s[20:21], 12, v0
	v_cndmask_b32_e64 v30, v30, v25, s[18:19]
	v_cndmask_b32_e64 v1, v1, v26, s[20:21]
	v_cmp_eq_u32_e64 s[22:23], 13, v0
	v_cndmask_b32_e64 v30, v30, v27, s[20:21]
	v_cndmask_b32_e64 v1, v1, v28, s[22:23]
	v_cndmask_b32_e64 v30, v30, v29, s[22:23]
	v_cndmask_b32_e32 v31, v30, v5, vcc
	v_cndmask_b32_e32 v30, v1, v4, vcc
	v_cmp_eq_u32_e32 vcc, 0, v0
	v_cndmask_b32_e64 v55, v29, v5, s[22:23]
	v_cndmask_b32_e64 v54, v28, v4, s[22:23]
	v_cndmask_b32_e64 v33, v7, v5, s[0:1]
	v_cndmask_b32_e64 v32, v6, v4, s[0:1]
	v_cndmask_b32_e32 v29, v3, v5, vcc
	v_cndmask_b32_e32 v28, v2, v4, vcc
	v_cndmask_b32_e64 v53, v27, v5, s[20:21]
	v_cndmask_b32_e64 v52, v26, v4, s[20:21]
	;; [unrolled: 1-line block ×20, first 2 shown]
	v_pk_mov_b32 v[2:3], v[28:29], v[28:29] op_sel:[0,1]
	v_pk_mov_b32 v[4:5], v[30:31], v[30:31] op_sel:[0,1]
	;; [unrolled: 1-line block ×16, first 2 shown]
.LBB77_129:
	s_or_b64 exec, exec, s[24:25]
	v_pk_mov_b32 v[0:1], s[40:41], s[40:41] op_sel:[0,1]
	flat_load_dword v0, v[0:1]
	s_waitcnt vmcnt(0) lgkmcnt(0)
	v_add_u32_e32 v0, -1, v0
	v_cmp_ne_u32_e32 vcc, 0, v0
	s_and_saveexec_b64 s[26:27], vcc
	s_cbranch_execz .LBB77_131
; %bb.130:
	v_cmp_eq_u32_e32 vcc, 1, v0
	v_cndmask_b32_e32 v1, v2, v4, vcc
	v_cmp_eq_u32_e64 s[0:1], 2, v0
	v_cndmask_b32_e32 v30, v3, v5, vcc
	v_cndmask_b32_e64 v1, v1, v6, s[0:1]
	v_cmp_eq_u32_e64 s[2:3], 3, v0
	v_cndmask_b32_e64 v30, v30, v7, s[0:1]
	v_cndmask_b32_e64 v1, v1, v8, s[2:3]
	v_cmp_eq_u32_e64 s[4:5], 4, v0
	v_cndmask_b32_e64 v30, v30, v9, s[2:3]
	;; [unrolled: 3-line block ×11, first 2 shown]
	v_cndmask_b32_e64 v1, v1, v28, s[22:23]
	v_cndmask_b32_e64 v30, v30, v29, s[22:23]
	v_cmp_eq_u32_e64 s[24:25], 0, v0
	v_cndmask_b32_e64 v31, v30, v3, s[24:25]
	v_cndmask_b32_e64 v30, v1, v2, s[24:25]
	v_cndmask_b32_e32 v33, v5, v3, vcc
	v_cndmask_b32_e32 v32, v4, v2, vcc
	v_cndmask_b32_e64 v57, v29, v3, s[22:23]
	v_cndmask_b32_e64 v56, v28, v2, s[22:23]
	;; [unrolled: 1-line block ×24, first 2 shown]
	v_pk_mov_b32 v[2:3], v[30:31], v[30:31] op_sel:[0,1]
	v_pk_mov_b32 v[4:5], v[32:33], v[32:33] op_sel:[0,1]
	;; [unrolled: 1-line block ×16, first 2 shown]
.LBB77_131:
	s_or_b64 exec, exec, s[26:27]
.LBB77_132:
	v_mov_b32_e32 v1, v3
	v_mov_b32_e32 v0, v2
	global_store_dwordx2 v[60:61], v[0:1], off
	v_mov_b32_e32 v1, v5
	v_mov_b32_e32 v0, v4
	global_store_dwordx2 v[62:63], v[0:1], off
	;; [unrolled: 3-line block ×14, first 2 shown]
	s_endpgm
	.section	.rodata,"a",@progbits
	.p2align	6, 0x0
	.amdhsa_kernel _ZN9rocsolver6v33100L18getri_kernel_smallILi14EdPKPdEEvT1_iilPiilS6_bb
		.amdhsa_group_segment_fixed_size 232
		.amdhsa_private_segment_fixed_size 0
		.amdhsa_kernarg_size 60
		.amdhsa_user_sgpr_count 6
		.amdhsa_user_sgpr_private_segment_buffer 1
		.amdhsa_user_sgpr_dispatch_ptr 0
		.amdhsa_user_sgpr_queue_ptr 0
		.amdhsa_user_sgpr_kernarg_segment_ptr 1
		.amdhsa_user_sgpr_dispatch_id 0
		.amdhsa_user_sgpr_flat_scratch_init 0
		.amdhsa_user_sgpr_kernarg_preload_length 0
		.amdhsa_user_sgpr_kernarg_preload_offset 0
		.amdhsa_user_sgpr_private_segment_size 0
		.amdhsa_uses_dynamic_stack 0
		.amdhsa_system_sgpr_private_segment_wavefront_offset 0
		.amdhsa_system_sgpr_workgroup_id_x 1
		.amdhsa_system_sgpr_workgroup_id_y 0
		.amdhsa_system_sgpr_workgroup_id_z 0
		.amdhsa_system_sgpr_workgroup_info 0
		.amdhsa_system_vgpr_workitem_id 0
		.amdhsa_next_free_vgpr 88
		.amdhsa_next_free_sgpr 50
		.amdhsa_accum_offset 88
		.amdhsa_reserve_vcc 1
		.amdhsa_reserve_flat_scratch 0
		.amdhsa_float_round_mode_32 0
		.amdhsa_float_round_mode_16_64 0
		.amdhsa_float_denorm_mode_32 3
		.amdhsa_float_denorm_mode_16_64 3
		.amdhsa_dx10_clamp 1
		.amdhsa_ieee_mode 1
		.amdhsa_fp16_overflow 0
		.amdhsa_tg_split 0
		.amdhsa_exception_fp_ieee_invalid_op 0
		.amdhsa_exception_fp_denorm_src 0
		.amdhsa_exception_fp_ieee_div_zero 0
		.amdhsa_exception_fp_ieee_overflow 0
		.amdhsa_exception_fp_ieee_underflow 0
		.amdhsa_exception_fp_ieee_inexact 0
		.amdhsa_exception_int_div_zero 0
	.end_amdhsa_kernel
	.section	.text._ZN9rocsolver6v33100L18getri_kernel_smallILi14EdPKPdEEvT1_iilPiilS6_bb,"axG",@progbits,_ZN9rocsolver6v33100L18getri_kernel_smallILi14EdPKPdEEvT1_iilPiilS6_bb,comdat
.Lfunc_end77:
	.size	_ZN9rocsolver6v33100L18getri_kernel_smallILi14EdPKPdEEvT1_iilPiilS6_bb, .Lfunc_end77-_ZN9rocsolver6v33100L18getri_kernel_smallILi14EdPKPdEEvT1_iilPiilS6_bb
                                        ; -- End function
	.section	.AMDGPU.csdata,"",@progbits
; Kernel info:
; codeLenInByte = 22600
; NumSgprs: 54
; NumVgprs: 88
; NumAgprs: 0
; TotalNumVgprs: 88
; ScratchSize: 0
; MemoryBound: 0
; FloatMode: 240
; IeeeMode: 1
; LDSByteSize: 232 bytes/workgroup (compile time only)
; SGPRBlocks: 6
; VGPRBlocks: 10
; NumSGPRsForWavesPerEU: 54
; NumVGPRsForWavesPerEU: 88
; AccumOffset: 88
; Occupancy: 5
; WaveLimiterHint : 1
; COMPUTE_PGM_RSRC2:SCRATCH_EN: 0
; COMPUTE_PGM_RSRC2:USER_SGPR: 6
; COMPUTE_PGM_RSRC2:TRAP_HANDLER: 0
; COMPUTE_PGM_RSRC2:TGID_X_EN: 1
; COMPUTE_PGM_RSRC2:TGID_Y_EN: 0
; COMPUTE_PGM_RSRC2:TGID_Z_EN: 0
; COMPUTE_PGM_RSRC2:TIDIG_COMP_CNT: 0
; COMPUTE_PGM_RSRC3_GFX90A:ACCUM_OFFSET: 21
; COMPUTE_PGM_RSRC3_GFX90A:TG_SPLIT: 0
	.section	.text._ZN9rocsolver6v33100L18getri_kernel_smallILi15EdPKPdEEvT1_iilPiilS6_bb,"axG",@progbits,_ZN9rocsolver6v33100L18getri_kernel_smallILi15EdPKPdEEvT1_iilPiilS6_bb,comdat
	.globl	_ZN9rocsolver6v33100L18getri_kernel_smallILi15EdPKPdEEvT1_iilPiilS6_bb ; -- Begin function _ZN9rocsolver6v33100L18getri_kernel_smallILi15EdPKPdEEvT1_iilPiilS6_bb
	.p2align	8
	.type	_ZN9rocsolver6v33100L18getri_kernel_smallILi15EdPKPdEEvT1_iilPiilS6_bb,@function
_ZN9rocsolver6v33100L18getri_kernel_smallILi15EdPKPdEEvT1_iilPiilS6_bb: ; @_ZN9rocsolver6v33100L18getri_kernel_smallILi15EdPKPdEEvT1_iilPiilS6_bb
; %bb.0:
	v_cmp_gt_u32_e32 vcc, 15, v0
	s_and_saveexec_b64 s[0:1], vcc
	s_cbranch_execz .LBB78_16
; %bb.1:
	s_load_dword s8, s[4:5], 0x38
	s_load_dwordx2 s[0:1], s[4:5], 0x0
	s_load_dwordx4 s[36:39], s[4:5], 0x28
                                        ; implicit-def: $sgpr40_sgpr41
	s_waitcnt lgkmcnt(0)
	s_bitcmp1_b32 s8, 8
	s_cselect_b64 s[42:43], -1, 0
	s_ashr_i32 s7, s6, 31
	s_lshl_b64 s[2:3], s[6:7], 3
	s_add_u32 s0, s0, s2
	s_addc_u32 s1, s1, s3
	s_load_dwordx2 s[0:1], s[0:1], 0x0
	s_bfe_u32 s2, s8, 0x10008
	s_cmp_eq_u32 s2, 0
	s_cbranch_scc1 .LBB78_3
; %bb.2:
	s_load_dword s2, s[4:5], 0x20
	s_load_dwordx2 s[10:11], s[4:5], 0x18
	s_mul_i32 s3, s6, s37
	s_mul_hi_u32 s9, s6, s36
	s_add_i32 s9, s9, s3
	s_mul_i32 s12, s7, s36
	s_add_i32 s13, s9, s12
	s_mul_i32 s12, s6, s36
	s_waitcnt lgkmcnt(0)
	s_ashr_i32 s3, s2, 31
	s_lshl_b64 s[12:13], s[12:13], 2
	s_add_u32 s9, s10, s12
	s_addc_u32 s10, s11, s13
	s_lshl_b64 s[2:3], s[2:3], 2
	s_add_u32 s40, s9, s2
	s_addc_u32 s41, s10, s3
.LBB78_3:
	s_load_dwordx2 s[2:3], s[4:5], 0x8
	v_lshlrev_b32_e32 v34, 3, v0
	s_waitcnt lgkmcnt(0)
	s_ashr_i32 s5, s2, 31
	s_mov_b32 s4, s2
	s_lshl_b64 s[4:5], s[4:5], 3
	s_add_u32 s0, s0, s4
	s_addc_u32 s1, s1, s5
	v_mov_b32_e32 v1, s1
	v_add_co_u32_e32 v64, vcc, s0, v34
	s_ashr_i32 s5, s3, 31
	s_mov_b32 s4, s3
	s_add_i32 s2, s3, s3
	v_addc_co_u32_e32 v65, vcc, 0, v1, vcc
	s_lshl_b64 s[4:5], s[4:5], 3
	v_add_u32_e32 v2, s2, v0
	v_mov_b32_e32 v1, s5
	v_add_co_u32_e32 v66, vcc, s4, v64
	v_ashrrev_i32_e32 v3, 31, v2
	v_addc_co_u32_e32 v67, vcc, v65, v1, vcc
	v_lshlrev_b64 v[4:5], 3, v[2:3]
	v_add_u32_e32 v2, s3, v2
	v_mov_b32_e32 v1, s1
	v_add_co_u32_e32 v68, vcc, s0, v4
	v_ashrrev_i32_e32 v3, 31, v2
	v_addc_co_u32_e32 v69, vcc, v1, v5, vcc
	v_lshlrev_b64 v[4:5], 3, v[2:3]
	v_add_u32_e32 v2, s3, v2
	v_add_co_u32_e32 v70, vcc, s0, v4
	v_ashrrev_i32_e32 v3, 31, v2
	v_addc_co_u32_e32 v71, vcc, v1, v5, vcc
	v_lshlrev_b64 v[4:5], 3, v[2:3]
	v_add_u32_e32 v2, s3, v2
	;; [unrolled: 5-line block ×11, first 2 shown]
	v_add_co_u32_e32 v90, vcc, s0, v4
	v_ashrrev_i32_e32 v3, 31, v2
	v_addc_co_u32_e32 v91, vcc, v1, v5, vcc
	v_lshlrev_b64 v[2:3], 3, v[2:3]
	v_add_co_u32_e32 v92, vcc, s0, v2
	v_addc_co_u32_e32 v93, vcc, v1, v3, vcc
	global_load_dwordx2 v[4:5], v[66:67], off
	global_load_dwordx2 v[6:7], v[68:69], off
	;; [unrolled: 1-line block ×13, first 2 shown]
	global_load_dwordx2 v[2:3], v34, s[0:1]
	global_load_dwordx2 v[30:31], v[92:93], off
	v_mov_b32_e32 v1, 0
	s_bitcmp0_b32 s8, 0
	s_mov_b64 s[0:1], -1
	s_cbranch_scc1 .LBB78_14
; %bb.4:
	v_cmp_eq_u32_e64 s[0:1], 0, v0
	s_and_saveexec_b64 s[2:3], s[0:1]
	s_cbranch_execz .LBB78_6
; %bb.5:
	v_mov_b32_e32 v32, 0
	ds_write_b32 v32, v32 offset:120
.LBB78_6:
	s_or_b64 exec, exec, s[2:3]
	v_cmp_eq_u32_e32 vcc, 1, v0
	s_waitcnt vmcnt(1)
	v_cndmask_b32_e32 v32, v3, v5, vcc
	v_cmp_eq_u32_e64 s[2:3], 2, v0
	v_cndmask_b32_e64 v32, v32, v7, s[2:3]
	v_cmp_eq_u32_e64 s[4:5], 3, v0
	v_cndmask_b32_e64 v32, v32, v9, s[4:5]
	v_cmp_eq_u32_e64 s[8:9], 4, v0
	v_cndmask_b32_e64 v32, v32, v11, s[8:9]
	v_cmp_eq_u32_e64 s[10:11], 5, v0
	v_cndmask_b32_e64 v32, v32, v13, s[10:11]
	v_cmp_eq_u32_e64 s[12:13], 6, v0
	v_cndmask_b32_e64 v32, v32, v15, s[12:13]
	v_cmp_eq_u32_e64 s[14:15], 7, v0
	v_cndmask_b32_e64 v32, v32, v17, s[14:15]
	v_cmp_eq_u32_e64 s[16:17], 8, v0
	v_cndmask_b32_e64 v32, v32, v19, s[16:17]
	v_cmp_eq_u32_e64 s[18:19], 9, v0
	v_cndmask_b32_e64 v32, v32, v21, s[18:19]
	v_cmp_eq_u32_e64 s[20:21], 10, v0
	v_cndmask_b32_e64 v32, v32, v23, s[20:21]
	v_cmp_eq_u32_e64 s[22:23], 11, v0
	v_cndmask_b32_e64 v32, v32, v25, s[22:23]
	v_cmp_eq_u32_e64 s[24:25], 12, v0
	v_cndmask_b32_e64 v32, v32, v27, s[24:25]
	v_cmp_eq_u32_e64 s[26:27], 13, v0
	v_cndmask_b32_e64 v32, v32, v29, s[26:27]
	v_cmp_eq_u32_e64 s[28:29], 14, v0
	s_waitcnt vmcnt(0)
	v_cndmask_b32_e64 v33, v32, v31, s[28:29]
	v_cndmask_b32_e32 v32, v2, v4, vcc
	v_cndmask_b32_e64 v32, v32, v6, s[2:3]
	v_cndmask_b32_e64 v32, v32, v8, s[4:5]
	;; [unrolled: 1-line block ×13, first 2 shown]
	v_cmp_eq_f64_e32 vcc, 0, v[32:33]
	s_waitcnt lgkmcnt(0)
	; wave barrier
	s_waitcnt lgkmcnt(0)
	s_and_saveexec_b64 s[4:5], vcc
	s_cbranch_execz .LBB78_10
; %bb.7:
	v_mov_b32_e32 v35, 0
	ds_read_b32 v37, v35 offset:120
	v_add_u32_e32 v36, 1, v0
	s_waitcnt lgkmcnt(0)
	v_readfirstlane_b32 s2, v37
	s_cmp_eq_u32 s2, 0
	s_cselect_b64 s[8:9], -1, 0
	v_cmp_gt_i32_e32 vcc, s2, v36
	s_or_b64 s[8:9], s[8:9], vcc
	s_and_b64 exec, exec, s[8:9]
	s_cbranch_execz .LBB78_10
; %bb.8:
	s_mov_b64 s[8:9], 0
	v_mov_b32_e32 v37, s2
.LBB78_9:                               ; =>This Inner Loop Header: Depth=1
	ds_cmpst_rtn_b32 v37, v35, v37, v36 offset:120
	s_waitcnt lgkmcnt(0)
	v_cmp_ne_u32_e32 vcc, 0, v37
	v_cmp_le_i32_e64 s[2:3], v37, v36
	s_and_b64 s[2:3], vcc, s[2:3]
	s_and_b64 s[2:3], exec, s[2:3]
	s_or_b64 s[8:9], s[2:3], s[8:9]
	s_andn2_b64 exec, exec, s[8:9]
	s_cbranch_execnz .LBB78_9
.LBB78_10:
	s_or_b64 exec, exec, s[4:5]
	v_mov_b32_e32 v36, 0
	s_waitcnt lgkmcnt(0)
	; wave barrier
	ds_read_b32 v35, v36 offset:120
	s_and_saveexec_b64 s[2:3], s[0:1]
	s_cbranch_execz .LBB78_12
; %bb.11:
	s_lshl_b64 s[4:5], s[6:7], 2
	s_add_u32 s4, s38, s4
	s_addc_u32 s5, s39, s5
	s_waitcnt lgkmcnt(0)
	global_store_dword v36, v35, s[4:5]
.LBB78_12:
	s_or_b64 exec, exec, s[2:3]
	s_waitcnt lgkmcnt(0)
	v_cmp_ne_u32_e32 vcc, 0, v35
	s_cbranch_vccz .LBB78_17
; %bb.13:
	s_mov_b64 s[0:1], 0
                                        ; implicit-def: $vgpr2_vgpr3_vgpr4_vgpr5_vgpr6_vgpr7_vgpr8_vgpr9_vgpr10_vgpr11_vgpr12_vgpr13_vgpr14_vgpr15_vgpr16_vgpr17_vgpr18_vgpr19_vgpr20_vgpr21_vgpr22_vgpr23_vgpr24_vgpr25_vgpr26_vgpr27_vgpr28_vgpr29_vgpr30_vgpr31_vgpr32_vgpr33
.LBB78_14:
	s_and_b64 vcc, exec, s[0:1]
	s_cbranch_vccz .LBB78_16
.LBB78_15:
	s_lshl_b64 s[0:1], s[6:7], 2
	s_add_u32 s0, s38, s0
	s_addc_u32 s1, s39, s1
	v_mov_b32_e32 v1, 0
	global_load_dword v1, v1, s[0:1]
	s_waitcnt vmcnt(0)
	v_cmp_ne_u32_e32 vcc, 0, v1
	s_cbranch_vccz .LBB78_82
.LBB78_16:
	s_endpgm
.LBB78_17:
	v_div_scale_f64 v[36:37], s[2:3], v[32:33], v[32:33], 1.0
	v_rcp_f64_e32 v[38:39], v[36:37]
	v_div_scale_f64 v[40:41], vcc, 1.0, v[32:33], 1.0
	v_fma_f64 v[42:43], -v[36:37], v[38:39], 1.0
	v_fmac_f64_e32 v[38:39], v[38:39], v[42:43]
	v_fma_f64 v[42:43], -v[36:37], v[38:39], 1.0
	v_fmac_f64_e32 v[38:39], v[38:39], v[42:43]
	v_mul_f64 v[42:43], v[40:41], v[38:39]
	v_fma_f64 v[36:37], -v[36:37], v[42:43], v[40:41]
	v_div_fmas_f64 v[36:37], v[36:37], v[38:39], v[42:43]
	v_div_fixup_f64 v[32:33], v[36:37], v[32:33], 1.0
	v_cmp_eq_u32_e32 vcc, 14, v0
	v_cndmask_b32_e32 v31, v31, v33, vcc
	v_cndmask_b32_e32 v30, v30, v32, vcc
	v_cmp_eq_u32_e32 vcc, 13, v0
	v_cndmask_b32_e32 v29, v29, v33, vcc
	v_cndmask_b32_e32 v28, v28, v32, vcc
	;; [unrolled: 3-line block ×15, first 2 shown]
	v_xor_b32_e32 v39, 0x80000000, v33
	v_mov_b32_e32 v38, v32
	v_add_u32_e32 v36, 0x80, v34
	ds_write2_b64 v34, v[38:39], v[4:5] offset1:16
	s_waitcnt lgkmcnt(0)
	; wave barrier
	s_waitcnt lgkmcnt(0)
	s_and_saveexec_b64 s[2:3], s[0:1]
	s_cbranch_execz .LBB78_19
; %bb.18:
	v_mov_b32_e32 v34, 0
	ds_read_b64 v[4:5], v36
	ds_read_b64 v[34:35], v34 offset:8
	s_waitcnt lgkmcnt(1)
	v_fma_f64 v[4:5], v[32:33], v[4:5], 0
	s_waitcnt lgkmcnt(0)
	v_mul_f64 v[4:5], v[4:5], v[34:35]
.LBB78_19:
	s_or_b64 exec, exec, s[2:3]
	v_cmp_gt_u32_e32 vcc, 2, v0
	s_waitcnt lgkmcnt(0)
	; wave barrier
	ds_write_b64 v36, v[6:7]
	s_waitcnt lgkmcnt(0)
	; wave barrier
	s_waitcnt lgkmcnt(0)
	s_and_saveexec_b64 s[34:35], vcc
	s_cbranch_execz .LBB78_21
; %bb.20:
	v_cmp_eq_u32_e64 s[2:3], 1, v0
	v_cndmask_b32_e64 v32, v3, v5, s[2:3]
	v_cmp_eq_u32_e64 s[4:5], 2, v0
	v_cndmask_b32_e64 v7, v32, v7, s[4:5]
	v_cndmask_b32_e64 v32, v2, v4, s[2:3]
	v_cmp_eq_u32_e64 s[8:9], 3, v0
	v_cndmask_b32_e64 v6, v32, v6, s[4:5]
	;; [unrolled: 3-line block ×10, first 2 shown]
	ds_read_b64 v[38:39], v36
	v_mov_b32_e32 v32, 0
	v_cndmask_b32_e64 v7, v7, v25, s[24:25]
	v_cmp_eq_u32_e64 s[26:27], 12, v0
	v_cndmask_b32_e64 v6, v6, v24, s[24:25]
	ds_read2_b64 v[32:35], v32 offset0:2 offset1:17
	v_cndmask_b32_e64 v7, v7, v27, s[26:27]
	v_cmp_eq_u32_e64 s[28:29], 13, v0
	v_cndmask_b32_e64 v6, v6, v26, s[26:27]
	v_cndmask_b32_e64 v7, v7, v29, s[28:29]
	v_cmp_eq_u32_e64 s[30:31], 14, v0
	v_cndmask_b32_e64 v6, v6, v28, s[28:29]
	v_cndmask_b32_e64 v7, v7, v31, s[30:31]
	;; [unrolled: 1-line block ×3, first 2 shown]
	s_waitcnt lgkmcnt(1)
	v_fma_f64 v[6:7], v[6:7], v[38:39], 0
	s_waitcnt lgkmcnt(0)
	v_fma_f64 v[34:35], v[4:5], v[34:35], v[6:7]
	v_cndmask_b32_e64 v7, v7, v35, s[0:1]
	v_cndmask_b32_e64 v6, v6, v34, s[0:1]
	v_mul_f64 v[6:7], v[6:7], v[32:33]
.LBB78_21:
	s_or_b64 exec, exec, s[34:35]
	v_cmp_gt_u32_e64 s[2:3], 3, v0
	s_waitcnt lgkmcnt(0)
	; wave barrier
	ds_write_b64 v36, v[8:9]
	s_waitcnt lgkmcnt(0)
	; wave barrier
	s_waitcnt lgkmcnt(0)
	s_and_saveexec_b64 s[10:11], s[2:3]
	s_cbranch_execz .LBB78_25
; %bb.22:
	v_mov_b32_e32 v32, 0x80
	v_lshl_add_u32 v37, v0, 3, v32
	s_mov_b64 s[12:13], 0
	v_pk_mov_b32 v[32:33], 0, 0
	v_pk_mov_b32 v[34:35], v[0:1], v[0:1] op_sel:[0,1]
.LBB78_23:                              ; =>This Inner Loop Header: Depth=1
	v_cmp_eq_u32_e64 s[2:3], 1, v34
	v_cndmask_b32_e64 v40, v3, v5, s[2:3]
	v_cmp_eq_u32_e64 s[4:5], 2, v34
	v_cndmask_b32_e64 v40, v40, v7, s[4:5]
	v_cndmask_b32_e64 v41, v2, v4, s[2:3]
	v_cmp_eq_u32_e64 s[2:3], 3, v34
	v_cndmask_b32_e64 v40, v40, v9, s[2:3]
	v_cndmask_b32_e64 v41, v41, v6, s[4:5]
	v_cmp_eq_u32_e64 s[4:5], 4, v34
	v_cndmask_b32_e64 v40, v40, v11, s[4:5]
	v_cndmask_b32_e64 v41, v41, v8, s[2:3]
	v_cmp_eq_u32_e64 s[2:3], 5, v34
	v_cndmask_b32_e64 v40, v40, v13, s[2:3]
	v_cndmask_b32_e64 v41, v41, v10, s[4:5]
	v_cmp_eq_u32_e64 s[4:5], 6, v34
	v_cndmask_b32_e64 v40, v40, v15, s[4:5]
	v_cndmask_b32_e64 v41, v41, v12, s[2:3]
	v_cmp_eq_u32_e64 s[2:3], 7, v34
	v_cndmask_b32_e64 v40, v40, v17, s[2:3]
	v_cndmask_b32_e64 v41, v41, v14, s[4:5]
	v_cmp_eq_u32_e64 s[4:5], 8, v34
	v_cndmask_b32_e64 v40, v40, v19, s[4:5]
	v_cndmask_b32_e64 v41, v41, v16, s[2:3]
	v_cmp_eq_u32_e64 s[2:3], 9, v34
	v_cndmask_b32_e64 v40, v40, v21, s[2:3]
	v_cndmask_b32_e64 v41, v41, v18, s[4:5]
	v_cmp_eq_u32_e64 s[4:5], 10, v34
	v_cndmask_b32_e64 v40, v40, v23, s[4:5]
	v_cndmask_b32_e64 v41, v41, v20, s[2:3]
	v_cmp_eq_u32_e64 s[2:3], 11, v34
	ds_read_b64 v[38:39], v37
	v_cndmask_b32_e64 v40, v40, v25, s[2:3]
	v_cndmask_b32_e64 v41, v41, v22, s[4:5]
	v_cmp_eq_u32_e64 s[4:5], 12, v34
	v_cndmask_b32_e64 v40, v40, v27, s[4:5]
	v_cndmask_b32_e64 v41, v41, v24, s[2:3]
	v_cmp_eq_u32_e64 s[2:3], 13, v34
	v_cndmask_b32_e64 v40, v40, v29, s[2:3]
	v_cmp_eq_u32_e64 s[8:9], 14, v34
	v_cndmask_b32_e64 v42, v41, v26, s[4:5]
	v_add_co_u32_e64 v34, s[4:5], 1, v34
	v_cndmask_b32_e64 v41, v40, v31, s[8:9]
	v_cndmask_b32_e64 v40, v42, v28, s[2:3]
	v_add_u32_e32 v42, -1, v34
	v_cndmask_b32_e64 v40, v40, v30, s[8:9]
	v_cmp_lt_u32_e64 s[2:3], 1, v42
	v_add_u32_e32 v37, 8, v37
	v_addc_co_u32_e64 v35, s[4:5], 0, v35, s[4:5]
	s_or_b64 s[12:13], s[2:3], s[12:13]
	s_waitcnt lgkmcnt(0)
	v_fmac_f64_e32 v[32:33], v[40:41], v[38:39]
	s_andn2_b64 exec, exec, s[12:13]
	s_cbranch_execnz .LBB78_23
; %bb.24:
	s_or_b64 exec, exec, s[12:13]
	v_mov_b32_e32 v8, 0
	ds_read_b64 v[8:9], v8 offset:24
	s_waitcnt lgkmcnt(0)
	v_mul_f64 v[8:9], v[32:33], v[8:9]
.LBB78_25:
	s_or_b64 exec, exec, s[10:11]
	v_cmp_gt_u32_e64 s[2:3], 4, v0
	s_waitcnt lgkmcnt(0)
	; wave barrier
	ds_write_b64 v36, v[10:11]
	s_waitcnt lgkmcnt(0)
	; wave barrier
	s_waitcnt lgkmcnt(0)
	s_and_saveexec_b64 s[12:13], s[2:3]
	s_cbranch_execz .LBB78_29
; %bb.26:
	v_mov_b32_e32 v32, 0x80
	v_lshl_add_u32 v37, v0, 3, v32
	s_mov_b64 s[14:15], 0
	v_pk_mov_b32 v[32:33], 0, 0
	v_pk_mov_b32 v[34:35], v[0:1], v[0:1] op_sel:[0,1]
.LBB78_27:                              ; =>This Inner Loop Header: Depth=1
	v_cmp_eq_u32_e64 s[4:5], 1, v34
	v_cndmask_b32_e64 v40, v3, v5, s[4:5]
	v_cmp_eq_u32_e64 s[8:9], 2, v34
	v_cndmask_b32_e64 v40, v40, v7, s[8:9]
	v_cndmask_b32_e64 v41, v2, v4, s[4:5]
	v_cmp_eq_u32_e64 s[4:5], 3, v34
	v_cndmask_b32_e64 v40, v40, v9, s[4:5]
	;; [unrolled: 3-line block ×9, first 2 shown]
	v_cndmask_b32_e64 v41, v41, v20, s[4:5]
	v_cmp_eq_u32_e64 s[4:5], 11, v34
	ds_read_b64 v[38:39], v37
	v_cndmask_b32_e64 v40, v40, v25, s[4:5]
	v_cndmask_b32_e64 v41, v41, v22, s[8:9]
	v_cmp_eq_u32_e64 s[8:9], 12, v34
	v_cndmask_b32_e64 v40, v40, v27, s[8:9]
	v_cndmask_b32_e64 v41, v41, v24, s[4:5]
	v_cmp_eq_u32_e64 s[4:5], 13, v34
	v_cndmask_b32_e64 v40, v40, v29, s[4:5]
	v_cmp_eq_u32_e64 s[10:11], 14, v34
	v_cndmask_b32_e64 v42, v41, v26, s[8:9]
	v_add_co_u32_e64 v34, s[8:9], 1, v34
	v_cndmask_b32_e64 v41, v40, v31, s[10:11]
	v_cndmask_b32_e64 v40, v42, v28, s[4:5]
	v_add_u32_e32 v42, -1, v34
	v_cndmask_b32_e64 v40, v40, v30, s[10:11]
	v_cmp_lt_u32_e64 s[4:5], 2, v42
	v_add_u32_e32 v37, 8, v37
	v_addc_co_u32_e64 v35, s[8:9], 0, v35, s[8:9]
	s_or_b64 s[14:15], s[4:5], s[14:15]
	s_waitcnt lgkmcnt(0)
	v_fmac_f64_e32 v[32:33], v[40:41], v[38:39]
	s_andn2_b64 exec, exec, s[14:15]
	s_cbranch_execnz .LBB78_27
; %bb.28:
	s_or_b64 exec, exec, s[14:15]
	v_mov_b32_e32 v10, 0
	ds_read_b64 v[10:11], v10 offset:32
	s_waitcnt lgkmcnt(0)
	v_mul_f64 v[10:11], v[32:33], v[10:11]
.LBB78_29:
	s_or_b64 exec, exec, s[12:13]
	v_cmp_gt_u32_e64 s[4:5], 5, v0
	s_waitcnt lgkmcnt(0)
	; wave barrier
	ds_write_b64 v36, v[12:13]
	s_waitcnt lgkmcnt(0)
	; wave barrier
	s_waitcnt lgkmcnt(0)
	s_and_saveexec_b64 s[12:13], s[4:5]
	s_cbranch_execz .LBB78_33
; %bb.30:
	v_mov_b32_e32 v32, 0x80
	v_lshl_add_u32 v37, v0, 3, v32
	s_mov_b64 s[14:15], 0
	v_pk_mov_b32 v[32:33], 0, 0
	v_pk_mov_b32 v[34:35], v[0:1], v[0:1] op_sel:[0,1]
.LBB78_31:                              ; =>This Inner Loop Header: Depth=1
	v_cmp_eq_u32_e64 s[4:5], 1, v34
	v_cndmask_b32_e64 v40, v3, v5, s[4:5]
	v_cmp_eq_u32_e64 s[8:9], 2, v34
	v_cndmask_b32_e64 v40, v40, v7, s[8:9]
	v_cndmask_b32_e64 v41, v2, v4, s[4:5]
	v_cmp_eq_u32_e64 s[4:5], 3, v34
	v_cndmask_b32_e64 v40, v40, v9, s[4:5]
	v_cndmask_b32_e64 v41, v41, v6, s[8:9]
	v_cmp_eq_u32_e64 s[8:9], 4, v34
	v_cndmask_b32_e64 v40, v40, v11, s[8:9]
	v_cndmask_b32_e64 v41, v41, v8, s[4:5]
	v_cmp_eq_u32_e64 s[4:5], 5, v34
	v_cndmask_b32_e64 v40, v40, v13, s[4:5]
	v_cndmask_b32_e64 v41, v41, v10, s[8:9]
	v_cmp_eq_u32_e64 s[8:9], 6, v34
	v_cndmask_b32_e64 v40, v40, v15, s[8:9]
	v_cndmask_b32_e64 v41, v41, v12, s[4:5]
	v_cmp_eq_u32_e64 s[4:5], 7, v34
	v_cndmask_b32_e64 v40, v40, v17, s[4:5]
	v_cndmask_b32_e64 v41, v41, v14, s[8:9]
	v_cmp_eq_u32_e64 s[8:9], 8, v34
	v_cndmask_b32_e64 v40, v40, v19, s[8:9]
	v_cndmask_b32_e64 v41, v41, v16, s[4:5]
	v_cmp_eq_u32_e64 s[4:5], 9, v34
	v_cndmask_b32_e64 v40, v40, v21, s[4:5]
	v_cndmask_b32_e64 v41, v41, v18, s[8:9]
	v_cmp_eq_u32_e64 s[8:9], 10, v34
	v_cndmask_b32_e64 v40, v40, v23, s[8:9]
	v_cndmask_b32_e64 v41, v41, v20, s[4:5]
	v_cmp_eq_u32_e64 s[4:5], 11, v34
	ds_read_b64 v[38:39], v37
	v_cndmask_b32_e64 v40, v40, v25, s[4:5]
	v_cndmask_b32_e64 v41, v41, v22, s[8:9]
	v_cmp_eq_u32_e64 s[8:9], 12, v34
	v_cndmask_b32_e64 v40, v40, v27, s[8:9]
	v_cndmask_b32_e64 v41, v41, v24, s[4:5]
	v_cmp_eq_u32_e64 s[4:5], 13, v34
	v_cndmask_b32_e64 v40, v40, v29, s[4:5]
	v_cmp_eq_u32_e64 s[10:11], 14, v34
	v_cndmask_b32_e64 v42, v41, v26, s[8:9]
	v_add_co_u32_e64 v34, s[8:9], 1, v34
	v_cndmask_b32_e64 v41, v40, v31, s[10:11]
	v_cndmask_b32_e64 v40, v42, v28, s[4:5]
	v_add_u32_e32 v42, -1, v34
	v_cndmask_b32_e64 v40, v40, v30, s[10:11]
	v_cmp_lt_u32_e64 s[4:5], 3, v42
	v_add_u32_e32 v37, 8, v37
	v_addc_co_u32_e64 v35, s[8:9], 0, v35, s[8:9]
	s_or_b64 s[14:15], s[4:5], s[14:15]
	s_waitcnt lgkmcnt(0)
	v_fmac_f64_e32 v[32:33], v[40:41], v[38:39]
	s_andn2_b64 exec, exec, s[14:15]
	s_cbranch_execnz .LBB78_31
; %bb.32:
	s_or_b64 exec, exec, s[14:15]
	v_mov_b32_e32 v12, 0
	ds_read_b64 v[12:13], v12 offset:40
	s_waitcnt lgkmcnt(0)
	v_mul_f64 v[12:13], v[32:33], v[12:13]
.LBB78_33:
	s_or_b64 exec, exec, s[12:13]
	v_cmp_gt_u32_e64 s[4:5], 6, v0
	s_waitcnt lgkmcnt(0)
	; wave barrier
	ds_write_b64 v36, v[14:15]
	s_waitcnt lgkmcnt(0)
	; wave barrier
	s_waitcnt lgkmcnt(0)
	s_and_saveexec_b64 s[14:15], s[4:5]
	s_cbranch_execz .LBB78_37
; %bb.34:
	v_mov_b32_e32 v32, 0x80
	v_lshl_add_u32 v37, v0, 3, v32
	s_mov_b64 s[16:17], 0
	v_pk_mov_b32 v[32:33], 0, 0
	v_pk_mov_b32 v[34:35], v[0:1], v[0:1] op_sel:[0,1]
.LBB78_35:                              ; =>This Inner Loop Header: Depth=1
	v_cmp_eq_u32_e64 s[8:9], 1, v34
	v_cndmask_b32_e64 v40, v3, v5, s[8:9]
	v_cmp_eq_u32_e64 s[10:11], 2, v34
	v_cndmask_b32_e64 v40, v40, v7, s[10:11]
	v_cndmask_b32_e64 v41, v2, v4, s[8:9]
	v_cmp_eq_u32_e64 s[8:9], 3, v34
	v_cndmask_b32_e64 v40, v40, v9, s[8:9]
	;; [unrolled: 3-line block ×9, first 2 shown]
	v_cndmask_b32_e64 v41, v41, v20, s[8:9]
	v_cmp_eq_u32_e64 s[8:9], 11, v34
	ds_read_b64 v[38:39], v37
	v_cndmask_b32_e64 v40, v40, v25, s[8:9]
	v_cndmask_b32_e64 v41, v41, v22, s[10:11]
	v_cmp_eq_u32_e64 s[10:11], 12, v34
	v_cndmask_b32_e64 v40, v40, v27, s[10:11]
	v_cndmask_b32_e64 v41, v41, v24, s[8:9]
	v_cmp_eq_u32_e64 s[8:9], 13, v34
	v_cndmask_b32_e64 v40, v40, v29, s[8:9]
	v_cmp_eq_u32_e64 s[12:13], 14, v34
	v_cndmask_b32_e64 v42, v41, v26, s[10:11]
	v_add_co_u32_e64 v34, s[10:11], 1, v34
	v_cndmask_b32_e64 v41, v40, v31, s[12:13]
	v_cndmask_b32_e64 v40, v42, v28, s[8:9]
	v_add_u32_e32 v42, -1, v34
	v_cndmask_b32_e64 v40, v40, v30, s[12:13]
	v_cmp_lt_u32_e64 s[8:9], 4, v42
	v_add_u32_e32 v37, 8, v37
	v_addc_co_u32_e64 v35, s[10:11], 0, v35, s[10:11]
	s_or_b64 s[16:17], s[8:9], s[16:17]
	s_waitcnt lgkmcnt(0)
	v_fmac_f64_e32 v[32:33], v[40:41], v[38:39]
	s_andn2_b64 exec, exec, s[16:17]
	s_cbranch_execnz .LBB78_35
; %bb.36:
	s_or_b64 exec, exec, s[16:17]
	v_mov_b32_e32 v14, 0
	ds_read_b64 v[14:15], v14 offset:48
	s_waitcnt lgkmcnt(0)
	v_mul_f64 v[14:15], v[32:33], v[14:15]
.LBB78_37:
	s_or_b64 exec, exec, s[14:15]
	v_cmp_gt_u32_e64 s[8:9], 7, v0
	s_waitcnt lgkmcnt(0)
	; wave barrier
	ds_write_b64 v36, v[16:17]
	s_waitcnt lgkmcnt(0)
	; wave barrier
	s_waitcnt lgkmcnt(0)
	s_and_saveexec_b64 s[14:15], s[8:9]
	s_cbranch_execz .LBB78_41
; %bb.38:
	v_mov_b32_e32 v32, 0x80
	v_lshl_add_u32 v37, v0, 3, v32
	s_mov_b64 s[16:17], 0
	v_pk_mov_b32 v[32:33], 0, 0
	v_pk_mov_b32 v[34:35], v[0:1], v[0:1] op_sel:[0,1]
.LBB78_39:                              ; =>This Inner Loop Header: Depth=1
	v_cmp_eq_u32_e64 s[8:9], 1, v34
	v_cndmask_b32_e64 v40, v3, v5, s[8:9]
	v_cmp_eq_u32_e64 s[10:11], 2, v34
	v_cndmask_b32_e64 v40, v40, v7, s[10:11]
	v_cndmask_b32_e64 v41, v2, v4, s[8:9]
	v_cmp_eq_u32_e64 s[8:9], 3, v34
	v_cndmask_b32_e64 v40, v40, v9, s[8:9]
	;; [unrolled: 3-line block ×9, first 2 shown]
	v_cndmask_b32_e64 v41, v41, v20, s[8:9]
	v_cmp_eq_u32_e64 s[8:9], 11, v34
	ds_read_b64 v[38:39], v37
	v_cndmask_b32_e64 v40, v40, v25, s[8:9]
	v_cndmask_b32_e64 v41, v41, v22, s[10:11]
	v_cmp_eq_u32_e64 s[10:11], 12, v34
	v_cndmask_b32_e64 v40, v40, v27, s[10:11]
	v_cndmask_b32_e64 v41, v41, v24, s[8:9]
	v_cmp_eq_u32_e64 s[8:9], 13, v34
	v_cndmask_b32_e64 v40, v40, v29, s[8:9]
	v_cmp_eq_u32_e64 s[12:13], 14, v34
	v_cndmask_b32_e64 v42, v41, v26, s[10:11]
	v_add_co_u32_e64 v34, s[10:11], 1, v34
	v_cndmask_b32_e64 v41, v40, v31, s[12:13]
	v_cndmask_b32_e64 v40, v42, v28, s[8:9]
	v_add_u32_e32 v42, -1, v34
	v_cndmask_b32_e64 v40, v40, v30, s[12:13]
	v_cmp_lt_u32_e64 s[8:9], 5, v42
	v_add_u32_e32 v37, 8, v37
	v_addc_co_u32_e64 v35, s[10:11], 0, v35, s[10:11]
	s_or_b64 s[16:17], s[8:9], s[16:17]
	s_waitcnt lgkmcnt(0)
	v_fmac_f64_e32 v[32:33], v[40:41], v[38:39]
	s_andn2_b64 exec, exec, s[16:17]
	s_cbranch_execnz .LBB78_39
; %bb.40:
	s_or_b64 exec, exec, s[16:17]
	v_mov_b32_e32 v16, 0
	ds_read_b64 v[16:17], v16 offset:56
	s_waitcnt lgkmcnt(0)
	v_mul_f64 v[16:17], v[32:33], v[16:17]
.LBB78_41:
	s_or_b64 exec, exec, s[14:15]
	v_cmp_gt_u32_e64 s[8:9], 8, v0
	s_waitcnt lgkmcnt(0)
	; wave barrier
	ds_write_b64 v36, v[18:19]
	s_waitcnt lgkmcnt(0)
	; wave barrier
	s_waitcnt lgkmcnt(0)
	s_and_saveexec_b64 s[44:45], s[8:9]
	s_cbranch_execz .LBB78_57
; %bb.42:
	v_cmp_eq_u32_e64 s[8:9], 1, v0
	v_cndmask_b32_e64 v32, v3, v5, s[8:9]
	v_cmp_eq_u32_e64 s[10:11], 2, v0
	v_cndmask_b32_e64 v32, v32, v7, s[10:11]
	;; [unrolled: 2-line block ×14, first 2 shown]
	v_cndmask_b32_e64 v32, v2, v4, s[8:9]
	v_cndmask_b32_e64 v32, v32, v6, s[10:11]
	;; [unrolled: 1-line block ×10, first 2 shown]
	ds_read_b64 v[34:35], v36
	v_cndmask_b32_e64 v32, v32, v24, s[28:29]
	v_cndmask_b32_e64 v32, v32, v26, s[30:31]
	;; [unrolled: 1-line block ×4, first 2 shown]
	s_waitcnt lgkmcnt(0)
	v_fma_f64 v[32:33], v[32:33], v[34:35], 0
	v_cmp_ne_u32_e64 s[8:9], 7, v0
	s_and_saveexec_b64 s[46:47], s[8:9]
	s_cbranch_execz .LBB78_56
; %bb.43:
	v_add_u32_e32 v34, 1, v0
	v_cmp_eq_u32_e64 s[8:9], 1, v34
	v_cndmask_b32_e64 v35, v3, v5, s[8:9]
	v_cmp_eq_u32_e64 s[10:11], 2, v34
	v_cmp_eq_u32_e64 s[12:13], 3, v34
	;; [unrolled: 1-line block ×13, first 2 shown]
	v_cndmask_b32_e64 v34, v2, v4, s[8:9]
	v_cndmask_b32_e64 v35, v35, v7, s[10:11]
	;; [unrolled: 1-line block ×19, first 2 shown]
	ds_read_b64 v[38:39], v36 offset:8
	v_cndmask_b32_e64 v35, v35, v25, s[28:29]
	v_cndmask_b32_e64 v34, v34, v24, s[28:29]
	;; [unrolled: 1-line block ×8, first 2 shown]
	s_waitcnt lgkmcnt(0)
	v_fmac_f64_e32 v[32:33], v[34:35], v[38:39]
	s_and_saveexec_b64 s[36:37], s[4:5]
	s_cbranch_execz .LBB78_55
; %bb.44:
	v_add_u32_e32 v34, 2, v0
	v_cmp_eq_u32_e64 s[4:5], 1, v34
	v_cndmask_b32_e64 v35, v3, v5, s[4:5]
	v_cmp_eq_u32_e64 s[8:9], 2, v34
	v_cmp_eq_u32_e64 s[10:11], 3, v34
	;; [unrolled: 1-line block ×13, first 2 shown]
	v_cndmask_b32_e64 v34, v2, v4, s[4:5]
	v_cndmask_b32_e64 v35, v35, v7, s[8:9]
	;; [unrolled: 1-line block ×19, first 2 shown]
	ds_read_b64 v[38:39], v36 offset:16
	v_cndmask_b32_e64 v35, v35, v25, s[26:27]
	v_cndmask_b32_e64 v34, v34, v24, s[26:27]
	;; [unrolled: 1-line block ×8, first 2 shown]
	s_waitcnt lgkmcnt(0)
	v_fmac_f64_e32 v[32:33], v[34:35], v[38:39]
	v_cmp_ne_u32_e64 s[4:5], 5, v0
	s_and_saveexec_b64 s[48:49], s[4:5]
	s_cbranch_execz .LBB78_54
; %bb.45:
	v_add_u32_e32 v34, 3, v0
	v_cmp_eq_u32_e64 s[4:5], 1, v34
	v_cndmask_b32_e64 v35, v3, v5, s[4:5]
	v_cmp_eq_u32_e64 s[8:9], 2, v34
	v_cmp_eq_u32_e64 s[10:11], 3, v34
	;; [unrolled: 1-line block ×13, first 2 shown]
	v_cndmask_b32_e64 v34, v2, v4, s[4:5]
	v_cndmask_b32_e64 v35, v35, v7, s[8:9]
	;; [unrolled: 1-line block ×19, first 2 shown]
	ds_read_b64 v[38:39], v36 offset:24
	v_cndmask_b32_e64 v35, v35, v25, s[26:27]
	v_cndmask_b32_e64 v34, v34, v24, s[26:27]
	;; [unrolled: 1-line block ×8, first 2 shown]
	s_waitcnt lgkmcnt(0)
	v_fmac_f64_e32 v[32:33], v[34:35], v[38:39]
	s_and_saveexec_b64 s[34:35], s[2:3]
	s_cbranch_execz .LBB78_53
; %bb.46:
	v_or_b32_e32 v34, 4, v0
	v_cmp_eq_u32_e64 s[2:3], 1, v34
	v_cndmask_b32_e64 v35, v3, v5, s[2:3]
	v_cmp_eq_u32_e64 s[4:5], 2, v34
	v_cmp_eq_u32_e64 s[8:9], 3, v34
	;; [unrolled: 1-line block ×13, first 2 shown]
	v_cndmask_b32_e64 v34, v2, v4, s[2:3]
	v_cndmask_b32_e64 v35, v35, v7, s[4:5]
	;; [unrolled: 1-line block ×19, first 2 shown]
	ds_read_b64 v[38:39], v36 offset:32
	v_cndmask_b32_e64 v35, v35, v25, s[24:25]
	v_cndmask_b32_e64 v34, v34, v24, s[24:25]
	;; [unrolled: 1-line block ×8, first 2 shown]
	s_waitcnt lgkmcnt(0)
	v_fmac_f64_e32 v[32:33], v[34:35], v[38:39]
	v_cmp_ne_u32_e64 s[2:3], 3, v0
	s_and_saveexec_b64 s[50:51], s[2:3]
	s_cbranch_execz .LBB78_52
; %bb.47:
	v_add_u32_e32 v34, 5, v0
	v_cmp_eq_u32_e64 s[2:3], 1, v34
	v_cndmask_b32_e64 v35, v3, v5, s[2:3]
	v_cmp_eq_u32_e64 s[4:5], 2, v34
	v_cmp_eq_u32_e64 s[8:9], 3, v34
	;; [unrolled: 1-line block ×13, first 2 shown]
	v_cndmask_b32_e64 v34, v2, v4, s[2:3]
	v_cndmask_b32_e64 v35, v35, v7, s[4:5]
	;; [unrolled: 1-line block ×19, first 2 shown]
	ds_read_b64 v[38:39], v36 offset:40
	v_cndmask_b32_e64 v35, v35, v25, s[24:25]
	v_cndmask_b32_e64 v34, v34, v24, s[24:25]
	v_cndmask_b32_e64 v35, v35, v27, s[26:27]
	v_cndmask_b32_e64 v34, v34, v26, s[26:27]
	v_cndmask_b32_e64 v35, v35, v29, s[28:29]
	v_cndmask_b32_e64 v34, v34, v28, s[28:29]
	v_cndmask_b32_e64 v35, v35, v31, s[30:31]
	v_cndmask_b32_e64 v34, v34, v30, s[30:31]
	s_waitcnt lgkmcnt(0)
	v_fmac_f64_e32 v[32:33], v[34:35], v[38:39]
	s_and_saveexec_b64 s[30:31], vcc
	s_cbranch_execz .LBB78_51
; %bb.48:
	v_or_b32_e32 v34, 6, v0
	v_cmp_eq_u32_e32 vcc, 1, v34
	v_cndmask_b32_e32 v35, v3, v5, vcc
	v_cmp_eq_u32_e64 s[2:3], 2, v34
	v_cmp_eq_u32_e64 s[4:5], 3, v34
	;; [unrolled: 1-line block ×13, first 2 shown]
	v_cndmask_b32_e32 v34, v2, v4, vcc
	v_cndmask_b32_e64 v35, v35, v7, s[2:3]
	v_cndmask_b32_e64 v34, v34, v6, s[2:3]
	;; [unrolled: 1-line block ×18, first 2 shown]
	ds_read_b64 v[34:35], v36 offset:48
	v_cndmask_b32_e64 v19, v19, v25, s[22:23]
	v_cndmask_b32_e64 v18, v18, v24, s[22:23]
	;; [unrolled: 1-line block ×8, first 2 shown]
	s_waitcnt lgkmcnt(0)
	v_fmac_f64_e32 v[32:33], v[18:19], v[34:35]
	s_and_saveexec_b64 s[2:3], s[0:1]
	s_cbranch_execz .LBB78_50
; %bb.49:
	ds_read_b64 v[18:19], v36 offset:56
	s_waitcnt lgkmcnt(0)
	v_fmac_f64_e32 v[32:33], v[16:17], v[18:19]
.LBB78_50:
	s_or_b64 exec, exec, s[2:3]
.LBB78_51:
	s_or_b64 exec, exec, s[30:31]
.LBB78_52:
	s_or_b64 exec, exec, s[50:51]
.LBB78_53:
	s_or_b64 exec, exec, s[34:35]
.LBB78_54:
	s_or_b64 exec, exec, s[48:49]
.LBB78_55:
	s_or_b64 exec, exec, s[36:37]
.LBB78_56:
	s_or_b64 exec, exec, s[46:47]
	v_mov_b32_e32 v18, 0
	ds_read_b64 v[18:19], v18 offset:64
	s_waitcnt lgkmcnt(0)
	v_mul_f64 v[18:19], v[32:33], v[18:19]
.LBB78_57:
	s_or_b64 exec, exec, s[44:45]
	v_cmp_gt_u32_e32 vcc, 9, v0
	s_waitcnt lgkmcnt(0)
	; wave barrier
	ds_write_b64 v36, v[20:21]
	s_waitcnt lgkmcnt(0)
	; wave barrier
	s_waitcnt lgkmcnt(0)
	s_and_saveexec_b64 s[4:5], vcc
	s_cbranch_execz .LBB78_61
; %bb.58:
	v_mov_b32_e32 v32, 0x80
	v_lshl_add_u32 v37, v0, 3, v32
	s_mov_b64 s[8:9], 0
	v_pk_mov_b32 v[32:33], 0, 0
	v_pk_mov_b32 v[34:35], v[0:1], v[0:1] op_sel:[0,1]
.LBB78_59:                              ; =>This Inner Loop Header: Depth=1
	v_cmp_eq_u32_e32 vcc, 1, v34
	v_cndmask_b32_e32 v40, v3, v5, vcc
	v_cmp_eq_u32_e64 s[0:1], 2, v34
	v_cndmask_b32_e64 v40, v40, v7, s[0:1]
	v_cndmask_b32_e32 v41, v2, v4, vcc
	v_cmp_eq_u32_e32 vcc, 3, v34
	v_cndmask_b32_e32 v40, v40, v9, vcc
	v_cndmask_b32_e64 v41, v41, v6, s[0:1]
	v_cmp_eq_u32_e64 s[0:1], 4, v34
	v_cndmask_b32_e64 v40, v40, v11, s[0:1]
	v_cndmask_b32_e32 v41, v41, v8, vcc
	v_cmp_eq_u32_e32 vcc, 5, v34
	v_cndmask_b32_e32 v40, v40, v13, vcc
	v_cndmask_b32_e64 v41, v41, v10, s[0:1]
	;; [unrolled: 6-line block ×4, first 2 shown]
	v_cmp_eq_u32_e64 s[0:1], 10, v34
	v_cndmask_b32_e64 v40, v40, v23, s[0:1]
	v_cndmask_b32_e32 v41, v41, v20, vcc
	v_cmp_eq_u32_e32 vcc, 11, v34
	ds_read_b64 v[38:39], v37
	v_cndmask_b32_e32 v40, v40, v25, vcc
	v_cndmask_b32_e64 v41, v41, v22, s[0:1]
	v_cmp_eq_u32_e64 s[0:1], 12, v34
	v_cndmask_b32_e64 v40, v40, v27, s[0:1]
	v_cndmask_b32_e32 v41, v41, v24, vcc
	v_cmp_eq_u32_e32 vcc, 13, v34
	v_cndmask_b32_e32 v40, v40, v29, vcc
	v_cmp_eq_u32_e64 s[2:3], 14, v34
	v_cndmask_b32_e64 v42, v41, v26, s[0:1]
	v_add_co_u32_e64 v34, s[0:1], 1, v34
	v_cndmask_b32_e64 v41, v40, v31, s[2:3]
	v_cndmask_b32_e32 v40, v42, v28, vcc
	v_add_u32_e32 v42, -1, v34
	v_cndmask_b32_e64 v40, v40, v30, s[2:3]
	v_cmp_lt_u32_e32 vcc, 7, v42
	v_add_u32_e32 v37, 8, v37
	v_addc_co_u32_e64 v35, s[0:1], 0, v35, s[0:1]
	s_or_b64 s[8:9], vcc, s[8:9]
	s_waitcnt lgkmcnt(0)
	v_fmac_f64_e32 v[32:33], v[40:41], v[38:39]
	s_andn2_b64 exec, exec, s[8:9]
	s_cbranch_execnz .LBB78_59
; %bb.60:
	s_or_b64 exec, exec, s[8:9]
	v_mov_b32_e32 v20, 0
	ds_read_b64 v[20:21], v20 offset:72
	s_waitcnt lgkmcnt(0)
	v_mul_f64 v[20:21], v[32:33], v[20:21]
.LBB78_61:
	s_or_b64 exec, exec, s[4:5]
	v_cmp_gt_u32_e32 vcc, 10, v0
	s_waitcnt lgkmcnt(0)
	; wave barrier
	ds_write_b64 v36, v[22:23]
	s_waitcnt lgkmcnt(0)
	; wave barrier
	s_waitcnt lgkmcnt(0)
	s_and_saveexec_b64 s[4:5], vcc
	s_cbranch_execz .LBB78_65
; %bb.62:
	v_mov_b32_e32 v32, 0x80
	v_lshl_add_u32 v37, v0, 3, v32
	s_mov_b64 s[8:9], 0
	v_pk_mov_b32 v[32:33], 0, 0
	v_pk_mov_b32 v[34:35], v[0:1], v[0:1] op_sel:[0,1]
.LBB78_63:                              ; =>This Inner Loop Header: Depth=1
	v_cmp_eq_u32_e32 vcc, 1, v34
	v_cndmask_b32_e32 v40, v3, v5, vcc
	v_cmp_eq_u32_e64 s[0:1], 2, v34
	v_cndmask_b32_e64 v40, v40, v7, s[0:1]
	v_cndmask_b32_e32 v41, v2, v4, vcc
	v_cmp_eq_u32_e32 vcc, 3, v34
	v_cndmask_b32_e32 v40, v40, v9, vcc
	v_cndmask_b32_e64 v41, v41, v6, s[0:1]
	v_cmp_eq_u32_e64 s[0:1], 4, v34
	v_cndmask_b32_e64 v40, v40, v11, s[0:1]
	v_cndmask_b32_e32 v41, v41, v8, vcc
	v_cmp_eq_u32_e32 vcc, 5, v34
	v_cndmask_b32_e32 v40, v40, v13, vcc
	v_cndmask_b32_e64 v41, v41, v10, s[0:1]
	;; [unrolled: 6-line block ×4, first 2 shown]
	v_cmp_eq_u32_e64 s[0:1], 10, v34
	v_cndmask_b32_e64 v40, v40, v23, s[0:1]
	v_cndmask_b32_e32 v41, v41, v20, vcc
	v_cmp_eq_u32_e32 vcc, 11, v34
	ds_read_b64 v[38:39], v37
	v_cndmask_b32_e32 v40, v40, v25, vcc
	v_cndmask_b32_e64 v41, v41, v22, s[0:1]
	v_cmp_eq_u32_e64 s[0:1], 12, v34
	v_cndmask_b32_e64 v40, v40, v27, s[0:1]
	v_cndmask_b32_e32 v41, v41, v24, vcc
	v_cmp_eq_u32_e32 vcc, 13, v34
	v_cndmask_b32_e32 v40, v40, v29, vcc
	v_cmp_eq_u32_e64 s[2:3], 14, v34
	v_cndmask_b32_e64 v42, v41, v26, s[0:1]
	v_add_co_u32_e64 v34, s[0:1], 1, v34
	v_cndmask_b32_e64 v41, v40, v31, s[2:3]
	v_cndmask_b32_e32 v40, v42, v28, vcc
	v_add_u32_e32 v42, -1, v34
	v_cndmask_b32_e64 v40, v40, v30, s[2:3]
	v_cmp_lt_u32_e32 vcc, 8, v42
	v_add_u32_e32 v37, 8, v37
	v_addc_co_u32_e64 v35, s[0:1], 0, v35, s[0:1]
	s_or_b64 s[8:9], vcc, s[8:9]
	s_waitcnt lgkmcnt(0)
	v_fmac_f64_e32 v[32:33], v[40:41], v[38:39]
	s_andn2_b64 exec, exec, s[8:9]
	s_cbranch_execnz .LBB78_63
; %bb.64:
	s_or_b64 exec, exec, s[8:9]
	v_mov_b32_e32 v22, 0
	ds_read_b64 v[22:23], v22 offset:80
	s_waitcnt lgkmcnt(0)
	v_mul_f64 v[22:23], v[32:33], v[22:23]
.LBB78_65:
	s_or_b64 exec, exec, s[4:5]
	v_cmp_gt_u32_e32 vcc, 11, v0
	s_waitcnt lgkmcnt(0)
	; wave barrier
	ds_write_b64 v36, v[24:25]
	s_waitcnt lgkmcnt(0)
	; wave barrier
	s_waitcnt lgkmcnt(0)
	s_and_saveexec_b64 s[4:5], vcc
	s_cbranch_execz .LBB78_69
; %bb.66:
	v_mov_b32_e32 v32, 0x80
	v_lshl_add_u32 v37, v0, 3, v32
	s_mov_b64 s[8:9], 0
	v_pk_mov_b32 v[32:33], 0, 0
	v_pk_mov_b32 v[34:35], v[0:1], v[0:1] op_sel:[0,1]
.LBB78_67:                              ; =>This Inner Loop Header: Depth=1
	v_cmp_eq_u32_e32 vcc, 1, v34
	v_cndmask_b32_e32 v40, v3, v5, vcc
	v_cmp_eq_u32_e64 s[0:1], 2, v34
	v_cndmask_b32_e64 v40, v40, v7, s[0:1]
	v_cndmask_b32_e32 v41, v2, v4, vcc
	v_cmp_eq_u32_e32 vcc, 3, v34
	v_cndmask_b32_e32 v40, v40, v9, vcc
	v_cndmask_b32_e64 v41, v41, v6, s[0:1]
	v_cmp_eq_u32_e64 s[0:1], 4, v34
	v_cndmask_b32_e64 v40, v40, v11, s[0:1]
	v_cndmask_b32_e32 v41, v41, v8, vcc
	v_cmp_eq_u32_e32 vcc, 5, v34
	v_cndmask_b32_e32 v40, v40, v13, vcc
	v_cndmask_b32_e64 v41, v41, v10, s[0:1]
	;; [unrolled: 6-line block ×4, first 2 shown]
	v_cmp_eq_u32_e64 s[0:1], 10, v34
	v_cndmask_b32_e64 v40, v40, v23, s[0:1]
	v_cndmask_b32_e32 v41, v41, v20, vcc
	v_cmp_eq_u32_e32 vcc, 11, v34
	ds_read_b64 v[38:39], v37
	v_cndmask_b32_e32 v40, v40, v25, vcc
	v_cndmask_b32_e64 v41, v41, v22, s[0:1]
	v_cmp_eq_u32_e64 s[0:1], 12, v34
	v_cndmask_b32_e64 v40, v40, v27, s[0:1]
	v_cndmask_b32_e32 v41, v41, v24, vcc
	v_cmp_eq_u32_e32 vcc, 13, v34
	v_cndmask_b32_e32 v40, v40, v29, vcc
	v_cmp_eq_u32_e64 s[2:3], 14, v34
	v_cndmask_b32_e64 v42, v41, v26, s[0:1]
	v_add_co_u32_e64 v34, s[0:1], 1, v34
	v_cndmask_b32_e64 v41, v40, v31, s[2:3]
	v_cndmask_b32_e32 v40, v42, v28, vcc
	v_add_u32_e32 v42, -1, v34
	v_cndmask_b32_e64 v40, v40, v30, s[2:3]
	v_cmp_lt_u32_e32 vcc, 9, v42
	v_add_u32_e32 v37, 8, v37
	v_addc_co_u32_e64 v35, s[0:1], 0, v35, s[0:1]
	s_or_b64 s[8:9], vcc, s[8:9]
	s_waitcnt lgkmcnt(0)
	v_fmac_f64_e32 v[32:33], v[40:41], v[38:39]
	s_andn2_b64 exec, exec, s[8:9]
	s_cbranch_execnz .LBB78_67
; %bb.68:
	s_or_b64 exec, exec, s[8:9]
	v_mov_b32_e32 v24, 0
	ds_read_b64 v[24:25], v24 offset:88
	s_waitcnt lgkmcnt(0)
	v_mul_f64 v[24:25], v[32:33], v[24:25]
.LBB78_69:
	s_or_b64 exec, exec, s[4:5]
	v_cmp_gt_u32_e32 vcc, 12, v0
	s_waitcnt lgkmcnt(0)
	; wave barrier
	ds_write_b64 v36, v[26:27]
	s_waitcnt lgkmcnt(0)
	; wave barrier
	s_waitcnt lgkmcnt(0)
	s_and_saveexec_b64 s[4:5], vcc
	s_cbranch_execz .LBB78_73
; %bb.70:
	v_mov_b32_e32 v32, 0x80
	v_lshl_add_u32 v37, v0, 3, v32
	s_mov_b64 s[8:9], 0
	v_pk_mov_b32 v[32:33], 0, 0
	v_pk_mov_b32 v[34:35], v[0:1], v[0:1] op_sel:[0,1]
.LBB78_71:                              ; =>This Inner Loop Header: Depth=1
	v_cmp_eq_u32_e32 vcc, 1, v34
	v_cndmask_b32_e32 v40, v3, v5, vcc
	v_cmp_eq_u32_e64 s[0:1], 2, v34
	v_cndmask_b32_e64 v40, v40, v7, s[0:1]
	v_cndmask_b32_e32 v41, v2, v4, vcc
	v_cmp_eq_u32_e32 vcc, 3, v34
	v_cndmask_b32_e32 v40, v40, v9, vcc
	v_cndmask_b32_e64 v41, v41, v6, s[0:1]
	v_cmp_eq_u32_e64 s[0:1], 4, v34
	v_cndmask_b32_e64 v40, v40, v11, s[0:1]
	v_cndmask_b32_e32 v41, v41, v8, vcc
	v_cmp_eq_u32_e32 vcc, 5, v34
	v_cndmask_b32_e32 v40, v40, v13, vcc
	v_cndmask_b32_e64 v41, v41, v10, s[0:1]
	;; [unrolled: 6-line block ×4, first 2 shown]
	v_cmp_eq_u32_e64 s[0:1], 10, v34
	v_cndmask_b32_e64 v40, v40, v23, s[0:1]
	v_cndmask_b32_e32 v41, v41, v20, vcc
	v_cmp_eq_u32_e32 vcc, 11, v34
	ds_read_b64 v[38:39], v37
	v_cndmask_b32_e32 v40, v40, v25, vcc
	v_cndmask_b32_e64 v41, v41, v22, s[0:1]
	v_cmp_eq_u32_e64 s[0:1], 12, v34
	v_cndmask_b32_e64 v40, v40, v27, s[0:1]
	v_cndmask_b32_e32 v41, v41, v24, vcc
	v_cmp_eq_u32_e32 vcc, 13, v34
	v_cndmask_b32_e32 v40, v40, v29, vcc
	v_cmp_eq_u32_e64 s[2:3], 14, v34
	v_cndmask_b32_e64 v42, v41, v26, s[0:1]
	v_add_co_u32_e64 v34, s[0:1], 1, v34
	v_cndmask_b32_e64 v41, v40, v31, s[2:3]
	v_cndmask_b32_e32 v40, v42, v28, vcc
	v_add_u32_e32 v42, -1, v34
	v_cndmask_b32_e64 v40, v40, v30, s[2:3]
	v_cmp_lt_u32_e32 vcc, 10, v42
	v_add_u32_e32 v37, 8, v37
	v_addc_co_u32_e64 v35, s[0:1], 0, v35, s[0:1]
	s_or_b64 s[8:9], vcc, s[8:9]
	s_waitcnt lgkmcnt(0)
	v_fmac_f64_e32 v[32:33], v[40:41], v[38:39]
	s_andn2_b64 exec, exec, s[8:9]
	s_cbranch_execnz .LBB78_71
; %bb.72:
	s_or_b64 exec, exec, s[8:9]
	v_mov_b32_e32 v26, 0
	ds_read_b64 v[26:27], v26 offset:96
	s_waitcnt lgkmcnt(0)
	v_mul_f64 v[26:27], v[32:33], v[26:27]
.LBB78_73:
	s_or_b64 exec, exec, s[4:5]
	v_cmp_gt_u32_e32 vcc, 13, v0
	s_waitcnt lgkmcnt(0)
	; wave barrier
	ds_write_b64 v36, v[28:29]
	s_waitcnt lgkmcnt(0)
	; wave barrier
	s_waitcnt lgkmcnt(0)
	s_and_saveexec_b64 s[4:5], vcc
	s_cbranch_execz .LBB78_77
; %bb.74:
	v_mov_b32_e32 v32, 0x80
	v_lshl_add_u32 v37, v0, 3, v32
	s_mov_b64 s[8:9], 0
	v_pk_mov_b32 v[32:33], 0, 0
	v_pk_mov_b32 v[34:35], v[0:1], v[0:1] op_sel:[0,1]
.LBB78_75:                              ; =>This Inner Loop Header: Depth=1
	v_cmp_eq_u32_e32 vcc, 1, v34
	v_cndmask_b32_e32 v40, v3, v5, vcc
	v_cmp_eq_u32_e64 s[0:1], 2, v34
	v_cndmask_b32_e64 v40, v40, v7, s[0:1]
	v_cndmask_b32_e32 v41, v2, v4, vcc
	v_cmp_eq_u32_e32 vcc, 3, v34
	v_cndmask_b32_e32 v40, v40, v9, vcc
	v_cndmask_b32_e64 v41, v41, v6, s[0:1]
	v_cmp_eq_u32_e64 s[0:1], 4, v34
	v_cndmask_b32_e64 v40, v40, v11, s[0:1]
	v_cndmask_b32_e32 v41, v41, v8, vcc
	v_cmp_eq_u32_e32 vcc, 5, v34
	v_cndmask_b32_e32 v40, v40, v13, vcc
	v_cndmask_b32_e64 v41, v41, v10, s[0:1]
	;; [unrolled: 6-line block ×4, first 2 shown]
	v_cmp_eq_u32_e64 s[0:1], 10, v34
	v_cndmask_b32_e64 v40, v40, v23, s[0:1]
	v_cndmask_b32_e32 v41, v41, v20, vcc
	v_cmp_eq_u32_e32 vcc, 11, v34
	ds_read_b64 v[38:39], v37
	v_cndmask_b32_e32 v40, v40, v25, vcc
	v_cndmask_b32_e64 v41, v41, v22, s[0:1]
	v_cmp_eq_u32_e64 s[0:1], 12, v34
	v_cndmask_b32_e64 v40, v40, v27, s[0:1]
	v_cndmask_b32_e32 v41, v41, v24, vcc
	v_cmp_eq_u32_e32 vcc, 13, v34
	v_cndmask_b32_e32 v40, v40, v29, vcc
	v_cmp_eq_u32_e64 s[2:3], 14, v34
	v_cndmask_b32_e64 v42, v41, v26, s[0:1]
	v_add_co_u32_e64 v34, s[0:1], 1, v34
	v_cndmask_b32_e64 v41, v40, v31, s[2:3]
	v_cndmask_b32_e32 v40, v42, v28, vcc
	v_add_u32_e32 v42, -1, v34
	v_cndmask_b32_e64 v40, v40, v30, s[2:3]
	v_cmp_lt_u32_e32 vcc, 11, v42
	v_add_u32_e32 v37, 8, v37
	v_addc_co_u32_e64 v35, s[0:1], 0, v35, s[0:1]
	s_or_b64 s[8:9], vcc, s[8:9]
	s_waitcnt lgkmcnt(0)
	v_fmac_f64_e32 v[32:33], v[40:41], v[38:39]
	s_andn2_b64 exec, exec, s[8:9]
	s_cbranch_execnz .LBB78_75
; %bb.76:
	s_or_b64 exec, exec, s[8:9]
	v_mov_b32_e32 v28, 0
	ds_read_b64 v[28:29], v28 offset:104
	s_waitcnt lgkmcnt(0)
	v_mul_f64 v[28:29], v[32:33], v[28:29]
.LBB78_77:
	s_or_b64 exec, exec, s[4:5]
	v_cmp_ne_u32_e32 vcc, 14, v0
	s_waitcnt lgkmcnt(0)
	; wave barrier
	ds_write_b64 v36, v[30:31]
	s_waitcnt lgkmcnt(0)
	; wave barrier
	s_waitcnt lgkmcnt(0)
	s_and_saveexec_b64 s[4:5], vcc
	s_cbranch_execz .LBB78_81
; %bb.78:
	v_mov_b32_e32 v32, 0x80
	v_lshl_add_u32 v36, v0, 3, v32
	s_mov_b64 s[8:9], 0
	v_pk_mov_b32 v[32:33], 0, 0
	v_pk_mov_b32 v[34:35], v[0:1], v[0:1] op_sel:[0,1]
.LBB78_79:                              ; =>This Inner Loop Header: Depth=1
	v_cmp_eq_u32_e32 vcc, 1, v34
	v_cndmask_b32_e32 v1, v3, v5, vcc
	v_cmp_eq_u32_e64 s[0:1], 2, v34
	v_cndmask_b32_e64 v1, v1, v7, s[0:1]
	v_cndmask_b32_e32 v37, v2, v4, vcc
	v_cmp_eq_u32_e32 vcc, 3, v34
	v_cndmask_b32_e32 v1, v1, v9, vcc
	v_cndmask_b32_e64 v37, v37, v6, s[0:1]
	v_cmp_eq_u32_e64 s[0:1], 4, v34
	v_cndmask_b32_e64 v1, v1, v11, s[0:1]
	v_cndmask_b32_e32 v37, v37, v8, vcc
	v_cmp_eq_u32_e32 vcc, 5, v34
	v_cndmask_b32_e32 v1, v1, v13, vcc
	v_cndmask_b32_e64 v37, v37, v10, s[0:1]
	;; [unrolled: 6-line block ×4, first 2 shown]
	v_cmp_eq_u32_e64 s[0:1], 10, v34
	v_cndmask_b32_e64 v1, v1, v23, s[0:1]
	v_cndmask_b32_e32 v37, v37, v20, vcc
	v_cmp_eq_u32_e32 vcc, 11, v34
	ds_read_b64 v[38:39], v36
	v_cndmask_b32_e32 v1, v1, v25, vcc
	v_cndmask_b32_e64 v37, v37, v22, s[0:1]
	v_cmp_eq_u32_e64 s[0:1], 12, v34
	v_cndmask_b32_e64 v1, v1, v27, s[0:1]
	v_cndmask_b32_e32 v37, v37, v24, vcc
	v_cmp_eq_u32_e32 vcc, 13, v34
	v_cndmask_b32_e32 v1, v1, v29, vcc
	v_cmp_eq_u32_e64 s[2:3], 14, v34
	v_cndmask_b32_e64 v37, v37, v26, s[0:1]
	v_add_co_u32_e64 v34, s[0:1], 1, v34
	v_cndmask_b32_e64 v41, v1, v31, s[2:3]
	v_cndmask_b32_e32 v1, v37, v28, vcc
	v_add_u32_e32 v37, -1, v34
	v_cndmask_b32_e64 v40, v1, v30, s[2:3]
	v_cmp_lt_u32_e32 vcc, 12, v37
	v_add_u32_e32 v36, 8, v36
	v_addc_co_u32_e64 v35, s[0:1], 0, v35, s[0:1]
	s_or_b64 s[8:9], vcc, s[8:9]
	s_waitcnt lgkmcnt(0)
	v_fmac_f64_e32 v[32:33], v[40:41], v[38:39]
	s_andn2_b64 exec, exec, s[8:9]
	s_cbranch_execnz .LBB78_79
; %bb.80:
	s_or_b64 exec, exec, s[8:9]
	v_mov_b32_e32 v1, 0
	ds_read_b64 v[30:31], v1 offset:112
	s_waitcnt lgkmcnt(0)
	v_mul_f64 v[30:31], v[32:33], v[30:31]
.LBB78_81:
	s_or_b64 exec, exec, s[4:5]
	s_waitcnt lgkmcnt(0)
	; wave barrier
	s_cbranch_execnz .LBB78_15
	s_branch .LBB78_16
.LBB78_82:
	v_mov_b32_e32 v1, 0x80
	v_lshl_add_u32 v1, v0, 3, v1
	v_cmp_eq_u32_e32 vcc, 14, v0
	s_and_saveexec_b64 s[0:1], vcc
	s_cbranch_execz .LBB78_84
; %bb.83:
	v_mov_b32_e32 v58, 0
	v_mov_b32_e32 v32, v2
	;; [unrolled: 1-line block ×30, first 2 shown]
	ds_write_b64 v1, v[28:29]
	v_pk_mov_b32 v[2:3], v[32:33], v[32:33] op_sel:[0,1]
	v_pk_mov_b32 v[4:5], v[34:35], v[34:35] op_sel:[0,1]
	;; [unrolled: 1-line block ×16, first 2 shown]
.LBB78_84:
	s_or_b64 exec, exec, s[0:1]
	v_mov_b32_e32 v56, 0
	s_waitcnt lgkmcnt(0)
	; wave barrier
	s_waitcnt lgkmcnt(0)
	ds_read_b64 v[32:33], v56 offset:240
	v_cmp_lt_u32_e32 vcc, 12, v0
	s_waitcnt lgkmcnt(0)
	v_fma_f64 v[32:33], v[30:31], v[32:33], 0
	v_add_f64 v[28:29], v[28:29], -v[32:33]
	s_and_saveexec_b64 s[0:1], vcc
	s_cbranch_execz .LBB78_86
; %bb.85:
	v_mov_b32_e32 v32, v2
	v_mov_b32_e32 v33, v3
	;; [unrolled: 1-line block ×29, first 2 shown]
	ds_write_b64 v1, v[26:27]
	v_pk_mov_b32 v[2:3], v[32:33], v[32:33] op_sel:[0,1]
	v_pk_mov_b32 v[4:5], v[34:35], v[34:35] op_sel:[0,1]
	;; [unrolled: 1-line block ×16, first 2 shown]
.LBB78_86:
	s_or_b64 exec, exec, s[0:1]
	s_waitcnt lgkmcnt(0)
	; wave barrier
	s_waitcnt lgkmcnt(0)
	ds_read2_b64 v[32:35], v56 offset0:29 offset1:30
	v_cmp_lt_u32_e32 vcc, 11, v0
	s_waitcnt lgkmcnt(0)
	v_fma_f64 v[32:33], v[28:29], v[32:33], 0
	v_fmac_f64_e32 v[32:33], v[30:31], v[34:35]
	v_add_f64 v[26:27], v[26:27], -v[32:33]
	s_and_saveexec_b64 s[0:1], vcc
	s_cbranch_execz .LBB78_88
; %bb.87:
	v_mov_b32_e32 v54, 0
	v_mov_b32_e32 v32, v2
	;; [unrolled: 1-line block ×30, first 2 shown]
	ds_write_b64 v1, v[24:25]
	v_pk_mov_b32 v[2:3], v[32:33], v[32:33] op_sel:[0,1]
	v_pk_mov_b32 v[4:5], v[34:35], v[34:35] op_sel:[0,1]
	;; [unrolled: 1-line block ×16, first 2 shown]
.LBB78_88:
	s_or_b64 exec, exec, s[0:1]
	v_mov_b32_e32 v52, 0
	s_waitcnt lgkmcnt(0)
	; wave barrier
	s_waitcnt lgkmcnt(0)
	ds_read_b128 v[32:35], v52 offset:224
	ds_read_b64 v[36:37], v52 offset:240
	v_cmp_lt_u32_e32 vcc, 10, v0
	s_waitcnt lgkmcnt(1)
	v_fma_f64 v[32:33], v[26:27], v[32:33], 0
	v_fmac_f64_e32 v[32:33], v[28:29], v[34:35]
	s_waitcnt lgkmcnt(0)
	v_fmac_f64_e32 v[32:33], v[30:31], v[36:37]
	v_add_f64 v[24:25], v[24:25], -v[32:33]
	s_and_saveexec_b64 s[0:1], vcc
	s_cbranch_execz .LBB78_90
; %bb.89:
	v_mov_b32_e32 v32, v2
	v_mov_b32_e32 v33, v3
	;; [unrolled: 1-line block ×29, first 2 shown]
	ds_write_b64 v1, v[22:23]
	v_pk_mov_b32 v[2:3], v[32:33], v[32:33] op_sel:[0,1]
	v_pk_mov_b32 v[4:5], v[34:35], v[34:35] op_sel:[0,1]
	;; [unrolled: 1-line block ×16, first 2 shown]
.LBB78_90:
	s_or_b64 exec, exec, s[0:1]
	s_waitcnt lgkmcnt(0)
	; wave barrier
	s_waitcnt lgkmcnt(0)
	ds_read2_b64 v[32:35], v52 offset0:27 offset1:28
	ds_read2_b64 v[36:39], v52 offset0:29 offset1:30
	v_cmp_lt_u32_e32 vcc, 9, v0
	s_waitcnt lgkmcnt(1)
	v_fma_f64 v[32:33], v[24:25], v[32:33], 0
	v_fmac_f64_e32 v[32:33], v[26:27], v[34:35]
	s_waitcnt lgkmcnt(0)
	v_fmac_f64_e32 v[32:33], v[28:29], v[36:37]
	v_fmac_f64_e32 v[32:33], v[30:31], v[38:39]
	v_add_f64 v[22:23], v[22:23], -v[32:33]
	s_and_saveexec_b64 s[0:1], vcc
	s_cbranch_execz .LBB78_92
; %bb.91:
	v_mov_b32_e32 v50, 0
	v_mov_b32_e32 v32, v2
	;; [unrolled: 1-line block ×30, first 2 shown]
	ds_write_b64 v1, v[20:21]
	v_pk_mov_b32 v[2:3], v[32:33], v[32:33] op_sel:[0,1]
	v_pk_mov_b32 v[4:5], v[34:35], v[34:35] op_sel:[0,1]
	;; [unrolled: 1-line block ×16, first 2 shown]
.LBB78_92:
	s_or_b64 exec, exec, s[0:1]
	v_mov_b32_e32 v48, 0
	s_waitcnt lgkmcnt(0)
	; wave barrier
	s_waitcnt lgkmcnt(0)
	ds_read_b128 v[32:35], v48 offset:208
	ds_read_b128 v[36:39], v48 offset:224
	ds_read_b64 v[40:41], v48 offset:240
	v_cmp_lt_u32_e32 vcc, 8, v0
	s_waitcnt lgkmcnt(2)
	v_fma_f64 v[32:33], v[22:23], v[32:33], 0
	v_fmac_f64_e32 v[32:33], v[24:25], v[34:35]
	s_waitcnt lgkmcnt(1)
	v_fmac_f64_e32 v[32:33], v[26:27], v[36:37]
	v_fmac_f64_e32 v[32:33], v[28:29], v[38:39]
	s_waitcnt lgkmcnt(0)
	v_fmac_f64_e32 v[32:33], v[30:31], v[40:41]
	v_add_f64 v[20:21], v[20:21], -v[32:33]
	s_and_saveexec_b64 s[0:1], vcc
	s_cbranch_execz .LBB78_94
; %bb.93:
	v_mov_b32_e32 v32, v2
	v_mov_b32_e32 v33, v3
	;; [unrolled: 1-line block ×29, first 2 shown]
	ds_write_b64 v1, v[18:19]
	v_pk_mov_b32 v[2:3], v[32:33], v[32:33] op_sel:[0,1]
	v_pk_mov_b32 v[4:5], v[34:35], v[34:35] op_sel:[0,1]
	;; [unrolled: 1-line block ×16, first 2 shown]
.LBB78_94:
	s_or_b64 exec, exec, s[0:1]
	s_waitcnt lgkmcnt(0)
	; wave barrier
	s_waitcnt lgkmcnt(0)
	ds_read2_b64 v[32:35], v48 offset0:25 offset1:26
	ds_read2_b64 v[36:39], v48 offset0:27 offset1:28
	ds_read2_b64 v[40:43], v48 offset0:29 offset1:30
	v_cmp_lt_u32_e32 vcc, 7, v0
	s_waitcnt lgkmcnt(2)
	v_fma_f64 v[32:33], v[20:21], v[32:33], 0
	v_fmac_f64_e32 v[32:33], v[22:23], v[34:35]
	s_waitcnt lgkmcnt(1)
	v_fmac_f64_e32 v[32:33], v[24:25], v[36:37]
	v_fmac_f64_e32 v[32:33], v[26:27], v[38:39]
	s_waitcnt lgkmcnt(0)
	v_fmac_f64_e32 v[32:33], v[28:29], v[40:41]
	v_fmac_f64_e32 v[32:33], v[30:31], v[42:43]
	v_add_f64 v[18:19], v[18:19], -v[32:33]
	s_and_saveexec_b64 s[0:1], vcc
	s_cbranch_execz .LBB78_96
; %bb.95:
	v_mov_b32_e32 v46, 0
	v_mov_b32_e32 v32, v2
	;; [unrolled: 1-line block ×30, first 2 shown]
	ds_write_b64 v1, v[16:17]
	v_pk_mov_b32 v[2:3], v[32:33], v[32:33] op_sel:[0,1]
	v_pk_mov_b32 v[4:5], v[34:35], v[34:35] op_sel:[0,1]
	;; [unrolled: 1-line block ×16, first 2 shown]
.LBB78_96:
	s_or_b64 exec, exec, s[0:1]
	v_mov_b32_e32 v44, 0
	s_waitcnt lgkmcnt(0)
	; wave barrier
	s_waitcnt lgkmcnt(0)
	ds_read_b128 v[32:35], v44 offset:192
	ds_read_b128 v[36:39], v44 offset:208
	;; [unrolled: 1-line block ×3, first 2 shown]
	ds_read_b64 v[46:47], v44 offset:240
	v_cmp_lt_u32_e32 vcc, 6, v0
	s_waitcnt lgkmcnt(3)
	v_fma_f64 v[32:33], v[18:19], v[32:33], 0
	v_fmac_f64_e32 v[32:33], v[20:21], v[34:35]
	s_waitcnt lgkmcnt(2)
	v_fmac_f64_e32 v[32:33], v[22:23], v[36:37]
	v_fmac_f64_e32 v[32:33], v[24:25], v[38:39]
	s_waitcnt lgkmcnt(1)
	v_fmac_f64_e32 v[32:33], v[26:27], v[40:41]
	;; [unrolled: 3-line block ×3, first 2 shown]
	v_add_f64 v[16:17], v[16:17], -v[32:33]
	s_and_saveexec_b64 s[0:1], vcc
	s_cbranch_execz .LBB78_98
; %bb.97:
	v_mov_b32_e32 v32, v2
	v_mov_b32_e32 v33, v3
	;; [unrolled: 1-line block ×31, first 2 shown]
	ds_write_b64 v1, v[2:3]
	v_pk_mov_b32 v[2:3], v[32:33], v[32:33] op_sel:[0,1]
	v_pk_mov_b32 v[4:5], v[34:35], v[34:35] op_sel:[0,1]
	;; [unrolled: 1-line block ×16, first 2 shown]
.LBB78_98:
	s_or_b64 exec, exec, s[0:1]
	s_waitcnt lgkmcnt(0)
	; wave barrier
	s_waitcnt lgkmcnt(0)
	ds_read2_b64 v[32:35], v44 offset0:23 offset1:24
	ds_read2_b64 v[36:39], v44 offset0:25 offset1:26
	;; [unrolled: 1-line block ×3, first 2 shown]
	v_cmp_lt_u32_e32 vcc, 5, v0
	s_waitcnt lgkmcnt(2)
	v_fma_f64 v[46:47], v[16:17], v[32:33], 0
	v_fmac_f64_e32 v[46:47], v[18:19], v[34:35]
	ds_read2_b64 v[32:35], v44 offset0:29 offset1:30
	s_waitcnt lgkmcnt(2)
	v_fmac_f64_e32 v[46:47], v[20:21], v[36:37]
	v_fmac_f64_e32 v[46:47], v[22:23], v[38:39]
	s_waitcnt lgkmcnt(1)
	v_fmac_f64_e32 v[46:47], v[24:25], v[40:41]
	v_fmac_f64_e32 v[46:47], v[26:27], v[42:43]
	;; [unrolled: 3-line block ×3, first 2 shown]
	v_add_f64 v[14:15], v[14:15], -v[46:47]
	s_and_saveexec_b64 s[0:1], vcc
	s_cbranch_execz .LBB78_100
; %bb.99:
	v_mov_b32_e32 v42, 0
	v_mov_b32_e32 v32, v2
	;; [unrolled: 1-line block ×32, first 2 shown]
	ds_write_b64 v1, v[2:3]
	v_pk_mov_b32 v[2:3], v[32:33], v[32:33] op_sel:[0,1]
	v_pk_mov_b32 v[4:5], v[34:35], v[34:35] op_sel:[0,1]
	;; [unrolled: 1-line block ×16, first 2 shown]
.LBB78_100:
	s_or_b64 exec, exec, s[0:1]
	v_mov_b32_e32 v40, 0
	s_waitcnt lgkmcnt(0)
	; wave barrier
	s_waitcnt lgkmcnt(0)
	ds_read_b128 v[32:35], v40 offset:176
	ds_read_b128 v[36:39], v40 offset:192
	;; [unrolled: 1-line block ×4, first 2 shown]
	v_cmp_lt_u32_e32 vcc, 4, v0
	s_waitcnt lgkmcnt(3)
	v_fma_f64 v[32:33], v[14:15], v[32:33], 0
	v_fmac_f64_e32 v[32:33], v[16:17], v[34:35]
	s_waitcnt lgkmcnt(2)
	v_fmac_f64_e32 v[32:33], v[18:19], v[36:37]
	v_fmac_f64_e32 v[32:33], v[20:21], v[38:39]
	ds_read_b64 v[34:35], v40 offset:240
	s_waitcnt lgkmcnt(2)
	v_fmac_f64_e32 v[32:33], v[22:23], v[42:43]
	v_fmac_f64_e32 v[32:33], v[24:25], v[44:45]
	s_waitcnt lgkmcnt(1)
	v_fmac_f64_e32 v[32:33], v[26:27], v[46:47]
	v_fmac_f64_e32 v[32:33], v[28:29], v[48:49]
	s_waitcnt lgkmcnt(0)
	v_fmac_f64_e32 v[32:33], v[30:31], v[34:35]
	v_add_f64 v[12:13], v[12:13], -v[32:33]
	s_and_saveexec_b64 s[0:1], vcc
	s_cbranch_execz .LBB78_102
; %bb.101:
	v_mov_b32_e32 v32, v2
	v_mov_b32_e32 v33, v3
	v_mov_b32_e32 v3, v11
	v_mov_b32_e32 v2, v10
	v_mov_b32_e32 v43, v13
	v_mov_b32_e32 v42, v12
	v_mov_b32_e32 v34, v4
	v_mov_b32_e32 v35, v5
	v_mov_b32_e32 v36, v6
	v_mov_b32_e32 v37, v7
	v_mov_b32_e32 v38, v8
	v_mov_b32_e32 v39, v9
	v_mov_b32_e32 v41, v40
	v_mov_b32_e32 v44, v14
	v_mov_b32_e32 v45, v15
	v_mov_b32_e32 v46, v16
	v_mov_b32_e32 v47, v17
	v_mov_b32_e32 v48, v18
	v_mov_b32_e32 v49, v19
	v_mov_b32_e32 v50, v20
	v_mov_b32_e32 v51, v21
	v_mov_b32_e32 v52, v22
	v_mov_b32_e32 v53, v23
	v_mov_b32_e32 v54, v24
	v_mov_b32_e32 v55, v25
	v_mov_b32_e32 v56, v26
	v_mov_b32_e32 v57, v27
	v_mov_b32_e32 v58, v28
	v_mov_b32_e32 v59, v29
	v_mov_b32_e32 v60, v30
	v_mov_b32_e32 v61, v31
	ds_write_b64 v1, v[2:3]
	v_pk_mov_b32 v[2:3], v[32:33], v[32:33] op_sel:[0,1]
	v_pk_mov_b32 v[4:5], v[34:35], v[34:35] op_sel:[0,1]
	;; [unrolled: 1-line block ×16, first 2 shown]
.LBB78_102:
	s_or_b64 exec, exec, s[0:1]
	s_waitcnt lgkmcnt(0)
	; wave barrier
	s_waitcnt lgkmcnt(0)
	ds_read2_b64 v[32:35], v40 offset0:21 offset1:22
	ds_read2_b64 v[36:39], v40 offset0:23 offset1:24
	v_cmp_lt_u32_e32 vcc, 3, v0
	ds_read2_b64 v[42:45], v40 offset0:27 offset1:28
	s_waitcnt lgkmcnt(2)
	v_fma_f64 v[46:47], v[12:13], v[32:33], 0
	v_fmac_f64_e32 v[46:47], v[14:15], v[34:35]
	ds_read2_b64 v[32:35], v40 offset0:25 offset1:26
	s_waitcnt lgkmcnt(2)
	v_fmac_f64_e32 v[46:47], v[16:17], v[36:37]
	v_fmac_f64_e32 v[46:47], v[18:19], v[38:39]
	ds_read2_b64 v[36:39], v40 offset0:29 offset1:30
	s_waitcnt lgkmcnt(1)
	v_fmac_f64_e32 v[46:47], v[20:21], v[32:33]
	v_fmac_f64_e32 v[46:47], v[22:23], v[34:35]
	;; [unrolled: 1-line block ×4, first 2 shown]
	s_waitcnt lgkmcnt(0)
	v_fmac_f64_e32 v[46:47], v[28:29], v[36:37]
	v_fmac_f64_e32 v[46:47], v[30:31], v[38:39]
	v_add_f64 v[10:11], v[10:11], -v[46:47]
	s_and_saveexec_b64 s[0:1], vcc
	s_cbranch_execz .LBB78_104
; %bb.103:
	v_mov_b32_e32 v38, 0
	v_mov_b32_e32 v32, v2
	;; [unrolled: 1-line block ×32, first 2 shown]
	ds_write_b64 v1, v[2:3]
	v_pk_mov_b32 v[2:3], v[32:33], v[32:33] op_sel:[0,1]
	v_pk_mov_b32 v[4:5], v[34:35], v[34:35] op_sel:[0,1]
	;; [unrolled: 1-line block ×16, first 2 shown]
.LBB78_104:
	s_or_b64 exec, exec, s[0:1]
	v_mov_b32_e32 v36, 0
	s_waitcnt lgkmcnt(0)
	; wave barrier
	s_waitcnt lgkmcnt(0)
	ds_read_b128 v[32:35], v36 offset:160
	ds_read_b128 v[38:41], v36 offset:176
	;; [unrolled: 1-line block ×4, first 2 shown]
	v_cmp_lt_u32_e32 vcc, 2, v0
	s_waitcnt lgkmcnt(3)
	v_fma_f64 v[50:51], v[10:11], v[32:33], 0
	v_fmac_f64_e32 v[50:51], v[12:13], v[34:35]
	s_waitcnt lgkmcnt(2)
	v_fmac_f64_e32 v[50:51], v[14:15], v[38:39]
	v_fmac_f64_e32 v[50:51], v[16:17], v[40:41]
	ds_read_b128 v[32:35], v36 offset:224
	ds_read_b64 v[38:39], v36 offset:240
	s_waitcnt lgkmcnt(3)
	v_fmac_f64_e32 v[50:51], v[18:19], v[42:43]
	v_fmac_f64_e32 v[50:51], v[20:21], v[44:45]
	s_waitcnt lgkmcnt(2)
	v_fmac_f64_e32 v[50:51], v[22:23], v[46:47]
	v_fmac_f64_e32 v[50:51], v[24:25], v[48:49]
	;; [unrolled: 3-line block ×3, first 2 shown]
	s_waitcnt lgkmcnt(0)
	v_fmac_f64_e32 v[50:51], v[30:31], v[38:39]
	v_add_f64 v[8:9], v[8:9], -v[50:51]
	s_and_saveexec_b64 s[0:1], vcc
	s_cbranch_execz .LBB78_106
; %bb.105:
	v_mov_b32_e32 v32, v2
	v_mov_b32_e32 v33, v3
	;; [unrolled: 1-line block ×31, first 2 shown]
	ds_write_b64 v1, v[2:3]
	v_pk_mov_b32 v[2:3], v[32:33], v[32:33] op_sel:[0,1]
	v_pk_mov_b32 v[4:5], v[34:35], v[34:35] op_sel:[0,1]
	;; [unrolled: 1-line block ×16, first 2 shown]
.LBB78_106:
	s_or_b64 exec, exec, s[0:1]
	s_waitcnt lgkmcnt(0)
	; wave barrier
	s_waitcnt lgkmcnt(0)
	ds_read2_b64 v[32:35], v36 offset0:19 offset1:20
	ds_read2_b64 v[38:41], v36 offset0:21 offset1:22
	;; [unrolled: 1-line block ×3, first 2 shown]
	v_cmp_lt_u32_e32 vcc, 1, v0
	s_waitcnt lgkmcnt(2)
	v_fma_f64 v[46:47], v[8:9], v[32:33], 0
	v_fmac_f64_e32 v[46:47], v[10:11], v[34:35]
	ds_read2_b64 v[32:35], v36 offset0:25 offset1:26
	s_waitcnt lgkmcnt(2)
	v_fmac_f64_e32 v[46:47], v[12:13], v[38:39]
	v_fmac_f64_e32 v[46:47], v[14:15], v[40:41]
	ds_read2_b64 v[38:41], v36 offset0:27 offset1:28
	s_waitcnt lgkmcnt(2)
	v_fmac_f64_e32 v[46:47], v[16:17], v[42:43]
	;; [unrolled: 4-line block ×3, first 2 shown]
	v_fmac_f64_e32 v[46:47], v[22:23], v[34:35]
	s_waitcnt lgkmcnt(1)
	v_fmac_f64_e32 v[46:47], v[24:25], v[38:39]
	v_fmac_f64_e32 v[46:47], v[26:27], v[40:41]
	s_waitcnt lgkmcnt(0)
	v_fmac_f64_e32 v[46:47], v[28:29], v[42:43]
	v_fmac_f64_e32 v[46:47], v[30:31], v[44:45]
	v_add_f64 v[6:7], v[6:7], -v[46:47]
	s_and_saveexec_b64 s[0:1], vcc
	s_cbranch_execz .LBB78_108
; %bb.107:
	v_mov_b32_e32 v34, 0
	v_mov_b32_e32 v32, v2
	;; [unrolled: 1-line block ×32, first 2 shown]
	ds_write_b64 v1, v[2:3]
	v_pk_mov_b32 v[2:3], v[32:33], v[32:33] op_sel:[0,1]
	v_pk_mov_b32 v[4:5], v[34:35], v[34:35] op_sel:[0,1]
	;; [unrolled: 1-line block ×16, first 2 shown]
.LBB78_108:
	s_or_b64 exec, exec, s[0:1]
	v_mov_b32_e32 v34, 0
	s_waitcnt lgkmcnt(0)
	; wave barrier
	s_waitcnt lgkmcnt(0)
	ds_read_b128 v[36:39], v34 offset:144
	ds_read_b128 v[40:43], v34 offset:160
	;; [unrolled: 1-line block ×4, first 2 shown]
	v_cmp_ne_u32_e32 vcc, 0, v0
	s_waitcnt lgkmcnt(3)
	v_fma_f64 v[32:33], v[6:7], v[36:37], 0
	v_fmac_f64_e32 v[32:33], v[8:9], v[38:39]
	s_waitcnt lgkmcnt(2)
	v_fmac_f64_e32 v[32:33], v[10:11], v[40:41]
	v_fmac_f64_e32 v[32:33], v[12:13], v[42:43]
	ds_read_b128 v[36:39], v34 offset:208
	ds_read_b128 v[40:43], v34 offset:224
	s_waitcnt lgkmcnt(3)
	v_fmac_f64_e32 v[32:33], v[14:15], v[44:45]
	v_fmac_f64_e32 v[32:33], v[16:17], v[46:47]
	s_waitcnt lgkmcnt(2)
	v_fmac_f64_e32 v[32:33], v[18:19], v[48:49]
	v_fmac_f64_e32 v[32:33], v[20:21], v[50:51]
	ds_read_b64 v[44:45], v34 offset:240
	s_waitcnt lgkmcnt(2)
	v_fmac_f64_e32 v[32:33], v[22:23], v[36:37]
	v_fmac_f64_e32 v[32:33], v[24:25], v[38:39]
	s_waitcnt lgkmcnt(1)
	v_fmac_f64_e32 v[32:33], v[26:27], v[40:41]
	v_fmac_f64_e32 v[32:33], v[28:29], v[42:43]
	s_waitcnt lgkmcnt(0)
	v_fmac_f64_e32 v[32:33], v[30:31], v[44:45]
	v_add_f64 v[4:5], v[4:5], -v[32:33]
	s_and_saveexec_b64 s[0:1], vcc
	s_cbranch_execz .LBB78_110
; %bb.109:
	v_mov_b32_e32 v35, v34
	v_mov_b32_e32 v37, v5
	;; [unrolled: 1-line block ×29, first 2 shown]
	ds_write_b64 v1, v[2:3]
	v_pk_mov_b32 v[2:3], v[34:35], v[34:35] op_sel:[0,1]
	v_pk_mov_b32 v[4:5], v[36:37], v[36:37] op_sel:[0,1]
	;; [unrolled: 1-line block ×16, first 2 shown]
.LBB78_110:
	s_or_b64 exec, exec, s[0:1]
	s_waitcnt lgkmcnt(0)
	; wave barrier
	s_waitcnt lgkmcnt(0)
	ds_read2_b64 v[36:39], v34 offset0:17 offset1:18
	ds_read2_b64 v[40:43], v34 offset0:19 offset1:20
	;; [unrolled: 1-line block ×3, first 2 shown]
	s_and_b64 vcc, exec, s[42:43]
	s_waitcnt lgkmcnt(2)
	v_fma_f64 v[0:1], v[4:5], v[36:37], 0
	v_fmac_f64_e32 v[0:1], v[6:7], v[38:39]
	ds_read2_b64 v[36:39], v34 offset0:23 offset1:24
	s_waitcnt lgkmcnt(2)
	v_fmac_f64_e32 v[0:1], v[8:9], v[40:41]
	v_fmac_f64_e32 v[0:1], v[10:11], v[42:43]
	ds_read2_b64 v[40:43], v34 offset0:25 offset1:26
	s_waitcnt lgkmcnt(2)
	v_fmac_f64_e32 v[0:1], v[12:13], v[44:45]
	;; [unrolled: 4-line block ×4, first 2 shown]
	v_fmac_f64_e32 v[0:1], v[22:23], v[42:43]
	s_waitcnt lgkmcnt(1)
	v_fmac_f64_e32 v[0:1], v[24:25], v[44:45]
	v_fmac_f64_e32 v[0:1], v[26:27], v[46:47]
	s_waitcnt lgkmcnt(0)
	v_fmac_f64_e32 v[0:1], v[28:29], v[32:33]
	v_fmac_f64_e32 v[0:1], v[30:31], v[34:35]
	v_add_f64 v[2:3], v[2:3], -v[0:1]
	s_cbranch_vccz .LBB78_140
; %bb.111:
	v_pk_mov_b32 v[0:1], s[40:41], s[40:41] op_sel:[0,1]
	flat_load_dword v0, v[0:1] offset:52
	s_waitcnt vmcnt(0) lgkmcnt(0)
	v_add_u32_e32 v0, -1, v0
	v_cmp_ne_u32_e32 vcc, 13, v0
	s_and_saveexec_b64 s[26:27], vcc
	s_cbranch_execz .LBB78_113
; %bb.112:
	v_cmp_eq_u32_e32 vcc, 1, v0
	v_cndmask_b32_e32 v1, v2, v4, vcc
	v_cmp_eq_u32_e64 s[0:1], 2, v0
	v_cndmask_b32_e32 v32, v3, v5, vcc
	v_cndmask_b32_e64 v1, v1, v6, s[0:1]
	v_cmp_eq_u32_e64 s[2:3], 3, v0
	v_cndmask_b32_e64 v32, v32, v7, s[0:1]
	v_cndmask_b32_e64 v1, v1, v8, s[2:3]
	v_cmp_eq_u32_e64 s[4:5], 4, v0
	v_cndmask_b32_e64 v32, v32, v9, s[2:3]
	;; [unrolled: 3-line block ×12, first 2 shown]
	v_cndmask_b32_e64 v1, v1, v30, s[24:25]
	v_cndmask_b32_e64 v32, v32, v31, s[24:25]
	;; [unrolled: 1-line block ×4, first 2 shown]
	v_cndmask_b32_e32 v31, v5, v29, vcc
	v_cndmask_b32_e32 v30, v4, v28, vcc
	v_cmp_eq_u32_e32 vcc, 0, v0
	v_cndmask_b32_e64 v55, v32, v29, s[22:23]
	v_cndmask_b32_e64 v54, v1, v28, s[22:23]
	;; [unrolled: 1-line block ×24, first 2 shown]
	v_cndmask_b32_e32 v29, v3, v29, vcc
	v_cndmask_b32_e32 v28, v2, v28, vcc
	v_pk_mov_b32 v[2:3], v[28:29], v[28:29] op_sel:[0,1]
	v_pk_mov_b32 v[4:5], v[30:31], v[30:31] op_sel:[0,1]
	;; [unrolled: 1-line block ×16, first 2 shown]
.LBB78_113:
	s_or_b64 exec, exec, s[26:27]
	v_pk_mov_b32 v[0:1], s[40:41], s[40:41] op_sel:[0,1]
	flat_load_dword v0, v[0:1] offset:48
	s_waitcnt vmcnt(0) lgkmcnt(0)
	v_add_u32_e32 v0, -1, v0
	v_cmp_ne_u32_e32 vcc, 12, v0
	s_and_saveexec_b64 s[26:27], vcc
	s_cbranch_execz .LBB78_115
; %bb.114:
	v_cmp_eq_u32_e32 vcc, 1, v0
	v_cndmask_b32_e32 v1, v2, v4, vcc
	v_cmp_eq_u32_e64 s[0:1], 2, v0
	v_cndmask_b32_e32 v32, v3, v5, vcc
	v_cndmask_b32_e64 v1, v1, v6, s[0:1]
	v_cmp_eq_u32_e64 s[2:3], 3, v0
	v_cndmask_b32_e64 v32, v32, v7, s[0:1]
	v_cndmask_b32_e64 v1, v1, v8, s[2:3]
	v_cmp_eq_u32_e64 s[4:5], 4, v0
	v_cndmask_b32_e64 v32, v32, v9, s[2:3]
	;; [unrolled: 3-line block ×12, first 2 shown]
	v_cndmask_b32_e64 v1, v1, v30, s[24:25]
	v_cndmask_b32_e64 v32, v32, v31, s[24:25]
	;; [unrolled: 1-line block ×4, first 2 shown]
	v_cndmask_b32_e32 v29, v5, v27, vcc
	v_cndmask_b32_e32 v28, v4, v26, vcc
	v_cmp_eq_u32_e32 vcc, 0, v0
	v_cndmask_b32_e64 v51, v32, v27, s[20:21]
	v_cndmask_b32_e64 v50, v1, v26, s[20:21]
	;; [unrolled: 1-line block ×24, first 2 shown]
	v_cndmask_b32_e32 v27, v3, v27, vcc
	v_cndmask_b32_e32 v26, v2, v26, vcc
	v_pk_mov_b32 v[2:3], v[26:27], v[26:27] op_sel:[0,1]
	v_pk_mov_b32 v[4:5], v[28:29], v[28:29] op_sel:[0,1]
	;; [unrolled: 1-line block ×16, first 2 shown]
.LBB78_115:
	s_or_b64 exec, exec, s[26:27]
	v_pk_mov_b32 v[0:1], s[40:41], s[40:41] op_sel:[0,1]
	flat_load_dword v0, v[0:1] offset:44
	s_waitcnt vmcnt(0) lgkmcnt(0)
	v_add_u32_e32 v0, -1, v0
	v_cmp_ne_u32_e32 vcc, 11, v0
	s_and_saveexec_b64 s[26:27], vcc
	s_cbranch_execz .LBB78_117
; %bb.116:
	v_cmp_eq_u32_e32 vcc, 1, v0
	v_cndmask_b32_e32 v1, v2, v4, vcc
	v_cmp_eq_u32_e64 s[0:1], 2, v0
	v_cndmask_b32_e32 v32, v3, v5, vcc
	v_cndmask_b32_e64 v1, v1, v6, s[0:1]
	v_cmp_eq_u32_e64 s[2:3], 3, v0
	v_cndmask_b32_e64 v32, v32, v7, s[0:1]
	v_cndmask_b32_e64 v1, v1, v8, s[2:3]
	v_cmp_eq_u32_e64 s[4:5], 4, v0
	v_cndmask_b32_e64 v32, v32, v9, s[2:3]
	;; [unrolled: 3-line block ×12, first 2 shown]
	v_cndmask_b32_e64 v1, v1, v30, s[24:25]
	v_cndmask_b32_e64 v32, v32, v31, s[24:25]
	;; [unrolled: 1-line block ×4, first 2 shown]
	v_cndmask_b32_e32 v27, v5, v25, vcc
	v_cndmask_b32_e32 v26, v4, v24, vcc
	v_cmp_eq_u32_e32 vcc, 0, v0
	v_cndmask_b32_e64 v47, v32, v25, s[18:19]
	v_cndmask_b32_e64 v46, v1, v24, s[18:19]
	;; [unrolled: 1-line block ×24, first 2 shown]
	v_cndmask_b32_e32 v25, v3, v25, vcc
	v_cndmask_b32_e32 v24, v2, v24, vcc
	v_pk_mov_b32 v[2:3], v[24:25], v[24:25] op_sel:[0,1]
	v_pk_mov_b32 v[4:5], v[26:27], v[26:27] op_sel:[0,1]
	;; [unrolled: 1-line block ×16, first 2 shown]
.LBB78_117:
	s_or_b64 exec, exec, s[26:27]
	v_pk_mov_b32 v[0:1], s[40:41], s[40:41] op_sel:[0,1]
	flat_load_dword v0, v[0:1] offset:40
	s_waitcnt vmcnt(0) lgkmcnt(0)
	v_add_u32_e32 v0, -1, v0
	v_cmp_ne_u32_e32 vcc, 10, v0
	s_and_saveexec_b64 s[26:27], vcc
	s_cbranch_execz .LBB78_119
; %bb.118:
	v_cmp_eq_u32_e32 vcc, 1, v0
	v_cndmask_b32_e32 v1, v2, v4, vcc
	v_cmp_eq_u32_e64 s[0:1], 2, v0
	v_cndmask_b32_e32 v32, v3, v5, vcc
	v_cndmask_b32_e64 v1, v1, v6, s[0:1]
	v_cmp_eq_u32_e64 s[2:3], 3, v0
	v_cndmask_b32_e64 v32, v32, v7, s[0:1]
	v_cndmask_b32_e64 v1, v1, v8, s[2:3]
	v_cmp_eq_u32_e64 s[4:5], 4, v0
	v_cndmask_b32_e64 v32, v32, v9, s[2:3]
	;; [unrolled: 3-line block ×12, first 2 shown]
	v_cndmask_b32_e64 v1, v1, v30, s[24:25]
	v_cndmask_b32_e64 v32, v32, v31, s[24:25]
	;; [unrolled: 1-line block ×4, first 2 shown]
	v_cndmask_b32_e32 v25, v5, v23, vcc
	v_cndmask_b32_e32 v24, v4, v22, vcc
	v_cmp_eq_u32_e32 vcc, 0, v0
	v_cndmask_b32_e64 v43, v32, v23, s[16:17]
	v_cndmask_b32_e64 v42, v1, v22, s[16:17]
	;; [unrolled: 1-line block ×24, first 2 shown]
	v_cndmask_b32_e32 v23, v3, v23, vcc
	v_cndmask_b32_e32 v22, v2, v22, vcc
	v_pk_mov_b32 v[2:3], v[22:23], v[22:23] op_sel:[0,1]
	v_pk_mov_b32 v[4:5], v[24:25], v[24:25] op_sel:[0,1]
	;; [unrolled: 1-line block ×16, first 2 shown]
.LBB78_119:
	s_or_b64 exec, exec, s[26:27]
	v_pk_mov_b32 v[0:1], s[40:41], s[40:41] op_sel:[0,1]
	flat_load_dword v0, v[0:1] offset:36
	s_waitcnt vmcnt(0) lgkmcnt(0)
	v_add_u32_e32 v0, -1, v0
	v_cmp_ne_u32_e32 vcc, 9, v0
	s_and_saveexec_b64 s[26:27], vcc
	s_cbranch_execz .LBB78_121
; %bb.120:
	v_cmp_eq_u32_e32 vcc, 1, v0
	v_cndmask_b32_e32 v1, v2, v4, vcc
	v_cmp_eq_u32_e64 s[0:1], 2, v0
	v_cndmask_b32_e32 v32, v3, v5, vcc
	v_cndmask_b32_e64 v1, v1, v6, s[0:1]
	v_cmp_eq_u32_e64 s[2:3], 3, v0
	v_cndmask_b32_e64 v32, v32, v7, s[0:1]
	v_cndmask_b32_e64 v1, v1, v8, s[2:3]
	v_cmp_eq_u32_e64 s[4:5], 4, v0
	v_cndmask_b32_e64 v32, v32, v9, s[2:3]
	;; [unrolled: 3-line block ×12, first 2 shown]
	v_cndmask_b32_e64 v1, v1, v30, s[24:25]
	v_cndmask_b32_e64 v32, v32, v31, s[24:25]
	;; [unrolled: 1-line block ×4, first 2 shown]
	v_cndmask_b32_e32 v23, v5, v21, vcc
	v_cndmask_b32_e32 v22, v4, v20, vcc
	v_cmp_eq_u32_e32 vcc, 0, v0
	v_cndmask_b32_e64 v39, v32, v21, s[14:15]
	v_cndmask_b32_e64 v38, v1, v20, s[14:15]
	;; [unrolled: 1-line block ×24, first 2 shown]
	v_cndmask_b32_e32 v21, v3, v21, vcc
	v_cndmask_b32_e32 v20, v2, v20, vcc
	v_pk_mov_b32 v[2:3], v[20:21], v[20:21] op_sel:[0,1]
	v_pk_mov_b32 v[4:5], v[22:23], v[22:23] op_sel:[0,1]
	;; [unrolled: 1-line block ×16, first 2 shown]
.LBB78_121:
	s_or_b64 exec, exec, s[26:27]
	v_pk_mov_b32 v[0:1], s[40:41], s[40:41] op_sel:[0,1]
	flat_load_dword v0, v[0:1] offset:32
	s_waitcnt vmcnt(0) lgkmcnt(0)
	v_add_u32_e32 v0, -1, v0
	v_cmp_ne_u32_e32 vcc, 8, v0
	s_and_saveexec_b64 s[26:27], vcc
	s_cbranch_execz .LBB78_123
; %bb.122:
	v_cmp_eq_u32_e32 vcc, 1, v0
	v_cndmask_b32_e32 v1, v2, v4, vcc
	v_cmp_eq_u32_e64 s[0:1], 2, v0
	v_cndmask_b32_e32 v32, v3, v5, vcc
	v_cndmask_b32_e64 v1, v1, v6, s[0:1]
	v_cmp_eq_u32_e64 s[2:3], 3, v0
	v_cndmask_b32_e64 v32, v32, v7, s[0:1]
	v_cndmask_b32_e64 v1, v1, v8, s[2:3]
	v_cmp_eq_u32_e64 s[4:5], 4, v0
	v_cndmask_b32_e64 v32, v32, v9, s[2:3]
	;; [unrolled: 3-line block ×12, first 2 shown]
	v_cndmask_b32_e64 v1, v1, v30, s[24:25]
	v_cndmask_b32_e64 v32, v32, v31, s[24:25]
	;; [unrolled: 1-line block ×4, first 2 shown]
	v_cndmask_b32_e32 v21, v5, v19, vcc
	v_cndmask_b32_e32 v20, v4, v18, vcc
	v_cmp_eq_u32_e32 vcc, 0, v0
	v_cndmask_b32_e64 v35, v32, v19, s[12:13]
	v_cndmask_b32_e64 v34, v1, v18, s[12:13]
	;; [unrolled: 1-line block ×24, first 2 shown]
	v_cndmask_b32_e32 v19, v3, v19, vcc
	v_cndmask_b32_e32 v18, v2, v18, vcc
	v_pk_mov_b32 v[2:3], v[18:19], v[18:19] op_sel:[0,1]
	v_pk_mov_b32 v[4:5], v[20:21], v[20:21] op_sel:[0,1]
	;; [unrolled: 1-line block ×16, first 2 shown]
.LBB78_123:
	s_or_b64 exec, exec, s[26:27]
	v_pk_mov_b32 v[0:1], s[40:41], s[40:41] op_sel:[0,1]
	flat_load_dword v0, v[0:1] offset:28
	s_waitcnt vmcnt(0) lgkmcnt(0)
	v_add_u32_e32 v0, -1, v0
	v_cmp_ne_u32_e32 vcc, 7, v0
	s_and_saveexec_b64 s[26:27], vcc
	s_cbranch_execz .LBB78_125
; %bb.124:
	v_cmp_eq_u32_e32 vcc, 1, v0
	v_cndmask_b32_e32 v1, v2, v4, vcc
	v_cmp_eq_u32_e64 s[0:1], 2, v0
	v_cndmask_b32_e32 v32, v3, v5, vcc
	v_cndmask_b32_e64 v1, v1, v6, s[0:1]
	v_cmp_eq_u32_e64 s[2:3], 3, v0
	v_cndmask_b32_e64 v32, v32, v7, s[0:1]
	v_cndmask_b32_e64 v1, v1, v8, s[2:3]
	v_cmp_eq_u32_e64 s[4:5], 4, v0
	v_cndmask_b32_e64 v32, v32, v9, s[2:3]
	;; [unrolled: 3-line block ×12, first 2 shown]
	v_cndmask_b32_e64 v1, v1, v30, s[24:25]
	v_cndmask_b32_e64 v32, v32, v31, s[24:25]
	;; [unrolled: 1-line block ×4, first 2 shown]
	v_cndmask_b32_e32 v21, v5, v17, vcc
	v_cndmask_b32_e32 v20, v4, v16, vcc
	v_cmp_eq_u32_e32 vcc, 0, v0
	v_cndmask_b32_e64 v33, v32, v17, s[10:11]
	v_cndmask_b32_e64 v32, v1, v16, s[10:11]
	;; [unrolled: 1-line block ×24, first 2 shown]
	v_cndmask_b32_e32 v19, v3, v17, vcc
	v_cndmask_b32_e32 v18, v2, v16, vcc
	v_pk_mov_b32 v[2:3], v[18:19], v[18:19] op_sel:[0,1]
	v_pk_mov_b32 v[4:5], v[20:21], v[20:21] op_sel:[0,1]
	;; [unrolled: 1-line block ×16, first 2 shown]
.LBB78_125:
	s_or_b64 exec, exec, s[26:27]
	v_pk_mov_b32 v[0:1], s[40:41], s[40:41] op_sel:[0,1]
	flat_load_dword v0, v[0:1] offset:24
	s_waitcnt vmcnt(0) lgkmcnt(0)
	v_add_u32_e32 v0, -1, v0
	v_cmp_ne_u32_e32 vcc, 6, v0
	s_and_saveexec_b64 s[26:27], vcc
	s_cbranch_execz .LBB78_127
; %bb.126:
	v_cmp_eq_u32_e32 vcc, 1, v0
	v_cndmask_b32_e32 v1, v2, v4, vcc
	v_cmp_eq_u32_e64 s[0:1], 2, v0
	v_cndmask_b32_e32 v32, v3, v5, vcc
	v_cndmask_b32_e64 v1, v1, v6, s[0:1]
	v_cmp_eq_u32_e64 s[2:3], 3, v0
	v_cndmask_b32_e64 v32, v32, v7, s[0:1]
	v_cndmask_b32_e64 v1, v1, v8, s[2:3]
	v_cmp_eq_u32_e64 s[4:5], 4, v0
	v_cndmask_b32_e64 v32, v32, v9, s[2:3]
	;; [unrolled: 3-line block ×12, first 2 shown]
	v_cndmask_b32_e64 v1, v1, v30, s[24:25]
	v_cndmask_b32_e64 v32, v32, v31, s[24:25]
	;; [unrolled: 1-line block ×4, first 2 shown]
	v_cndmask_b32_e32 v23, v5, v15, vcc
	v_cndmask_b32_e32 v22, v4, v14, vcc
	v_cmp_eq_u32_e32 vcc, 0, v0
	v_cndmask_b32_e64 v33, v32, v15, s[8:9]
	v_cndmask_b32_e64 v32, v1, v14, s[8:9]
	;; [unrolled: 1-line block ×20, first 2 shown]
	v_cndmask_b32_e32 v21, v3, v15, vcc
	v_cndmask_b32_e32 v20, v2, v14, vcc
	v_cndmask_b32_e64 v37, v19, v15, s[12:13]
	v_cndmask_b32_e64 v36, v18, v14, s[12:13]
	;; [unrolled: 1-line block ×4, first 2 shown]
	v_pk_mov_b32 v[2:3], v[20:21], v[20:21] op_sel:[0,1]
	v_pk_mov_b32 v[4:5], v[22:23], v[22:23] op_sel:[0,1]
	;; [unrolled: 1-line block ×16, first 2 shown]
.LBB78_127:
	s_or_b64 exec, exec, s[26:27]
	v_pk_mov_b32 v[0:1], s[40:41], s[40:41] op_sel:[0,1]
	flat_load_dword v0, v[0:1] offset:20
	s_waitcnt vmcnt(0) lgkmcnt(0)
	v_add_u32_e32 v0, -1, v0
	v_cmp_ne_u32_e32 vcc, 5, v0
	s_and_saveexec_b64 s[26:27], vcc
	s_cbranch_execz .LBB78_129
; %bb.128:
	v_cmp_eq_u32_e32 vcc, 1, v0
	v_cndmask_b32_e32 v1, v2, v4, vcc
	v_cmp_eq_u32_e64 s[0:1], 2, v0
	v_cndmask_b32_e32 v32, v3, v5, vcc
	v_cndmask_b32_e64 v1, v1, v6, s[0:1]
	v_cmp_eq_u32_e64 s[2:3], 3, v0
	v_cndmask_b32_e64 v32, v32, v7, s[0:1]
	v_cndmask_b32_e64 v1, v1, v8, s[2:3]
	v_cmp_eq_u32_e64 s[4:5], 4, v0
	v_cndmask_b32_e64 v32, v32, v9, s[2:3]
	;; [unrolled: 3-line block ×12, first 2 shown]
	v_cndmask_b32_e64 v1, v1, v30, s[24:25]
	v_cndmask_b32_e64 v32, v32, v31, s[24:25]
	;; [unrolled: 1-line block ×4, first 2 shown]
	v_cndmask_b32_e32 v25, v5, v13, vcc
	v_cndmask_b32_e32 v24, v4, v12, vcc
	v_cmp_eq_u32_e32 vcc, 0, v0
	v_cndmask_b32_e64 v33, v32, v13, s[6:7]
	v_cndmask_b32_e64 v32, v1, v12, s[6:7]
	v_cndmask_b32_e64 v51, v31, v13, s[24:25]
	v_cndmask_b32_e64 v50, v30, v12, s[24:25]
	v_cndmask_b32_e64 v49, v29, v13, s[22:23]
	v_cndmask_b32_e64 v48, v28, v12, s[22:23]
	v_cndmask_b32_e64 v47, v27, v13, s[20:21]
	v_cndmask_b32_e64 v46, v26, v12, s[20:21]
	v_cndmask_b32_e64 v43, v23, v13, s[16:17]
	v_cndmask_b32_e64 v42, v22, v12, s[16:17]
	v_cndmask_b32_e64 v31, v11, v13, s[4:5]
	v_cndmask_b32_e64 v30, v10, v12, s[4:5]
	v_cndmask_b32_e64 v29, v9, v13, s[2:3]
	v_cndmask_b32_e64 v28, v8, v12, s[2:3]
	v_cndmask_b32_e64 v27, v7, v13, s[0:1]
	v_cndmask_b32_e64 v26, v6, v12, s[0:1]
	v_cndmask_b32_e32 v23, v3, v13, vcc
	v_cndmask_b32_e32 v22, v2, v12, vcc
	v_cndmask_b32_e64 v41, v21, v13, s[14:15]
	v_cndmask_b32_e64 v40, v20, v12, s[14:15]
	;; [unrolled: 1-line block ×8, first 2 shown]
	v_pk_mov_b32 v[2:3], v[22:23], v[22:23] op_sel:[0,1]
	v_pk_mov_b32 v[4:5], v[24:25], v[24:25] op_sel:[0,1]
	;; [unrolled: 1-line block ×16, first 2 shown]
.LBB78_129:
	s_or_b64 exec, exec, s[26:27]
	v_pk_mov_b32 v[0:1], s[40:41], s[40:41] op_sel:[0,1]
	flat_load_dword v0, v[0:1] offset:16
	s_waitcnt vmcnt(0) lgkmcnt(0)
	v_add_u32_e32 v0, -1, v0
	v_cmp_ne_u32_e32 vcc, 4, v0
	s_and_saveexec_b64 s[26:27], vcc
	s_cbranch_execz .LBB78_131
; %bb.130:
	v_cmp_eq_u32_e32 vcc, 1, v0
	v_cndmask_b32_e32 v1, v2, v4, vcc
	v_cmp_eq_u32_e64 s[0:1], 2, v0
	v_cndmask_b32_e32 v32, v3, v5, vcc
	v_cndmask_b32_e64 v1, v1, v6, s[0:1]
	v_cmp_eq_u32_e64 s[2:3], 3, v0
	v_cndmask_b32_e64 v32, v32, v7, s[0:1]
	v_cndmask_b32_e64 v1, v1, v8, s[2:3]
	v_cmp_eq_u32_e64 s[4:5], 4, v0
	v_cndmask_b32_e64 v32, v32, v9, s[2:3]
	;; [unrolled: 3-line block ×12, first 2 shown]
	v_cndmask_b32_e64 v1, v1, v30, s[24:25]
	v_cndmask_b32_e64 v32, v32, v31, s[24:25]
	;; [unrolled: 1-line block ×4, first 2 shown]
	v_cndmask_b32_e32 v27, v5, v11, vcc
	v_cndmask_b32_e32 v26, v4, v10, vcc
	v_cmp_eq_u32_e32 vcc, 0, v0
	v_cndmask_b32_e64 v33, v32, v11, s[4:5]
	v_cndmask_b32_e64 v32, v1, v10, s[4:5]
	;; [unrolled: 1-line block ×12, first 2 shown]
	v_cndmask_b32_e32 v25, v3, v11, vcc
	v_cndmask_b32_e32 v24, v2, v10, vcc
	v_cndmask_b32_e64 v45, v23, v11, s[16:17]
	v_cndmask_b32_e64 v44, v22, v10, s[16:17]
	;; [unrolled: 1-line block ×12, first 2 shown]
	v_pk_mov_b32 v[2:3], v[24:25], v[24:25] op_sel:[0,1]
	v_pk_mov_b32 v[4:5], v[26:27], v[26:27] op_sel:[0,1]
	;; [unrolled: 1-line block ×16, first 2 shown]
.LBB78_131:
	s_or_b64 exec, exec, s[26:27]
	v_pk_mov_b32 v[0:1], s[40:41], s[40:41] op_sel:[0,1]
	flat_load_dword v0, v[0:1] offset:12
	s_waitcnt vmcnt(0) lgkmcnt(0)
	v_add_u32_e32 v0, -1, v0
	v_cmp_ne_u32_e32 vcc, 3, v0
	s_and_saveexec_b64 s[26:27], vcc
	s_cbranch_execz .LBB78_133
; %bb.132:
	v_cmp_eq_u32_e32 vcc, 1, v0
	v_cndmask_b32_e32 v1, v2, v4, vcc
	v_cmp_eq_u32_e64 s[0:1], 2, v0
	v_cndmask_b32_e32 v32, v3, v5, vcc
	v_cndmask_b32_e64 v1, v1, v6, s[0:1]
	v_cmp_eq_u32_e64 s[2:3], 3, v0
	v_cndmask_b32_e64 v32, v32, v7, s[0:1]
	v_cndmask_b32_e64 v1, v1, v8, s[2:3]
	v_cmp_eq_u32_e64 s[4:5], 4, v0
	v_cndmask_b32_e64 v32, v32, v9, s[2:3]
	;; [unrolled: 3-line block ×12, first 2 shown]
	v_cndmask_b32_e64 v1, v1, v30, s[24:25]
	v_cndmask_b32_e64 v32, v32, v31, s[24:25]
	;; [unrolled: 1-line block ×4, first 2 shown]
	v_cndmask_b32_e32 v29, v5, v9, vcc
	v_cndmask_b32_e32 v28, v4, v8, vcc
	v_cmp_eq_u32_e32 vcc, 0, v0
	v_cndmask_b32_e64 v33, v32, v9, s[2:3]
	v_cndmask_b32_e64 v32, v1, v8, s[2:3]
	v_cndmask_b32_e64 v55, v31, v9, s[24:25]
	v_cndmask_b32_e64 v54, v30, v8, s[24:25]
	v_cndmask_b32_e64 v51, v27, v9, s[20:21]
	v_cndmask_b32_e64 v50, v26, v8, s[20:21]
	v_cndmask_b32_e64 v31, v7, v9, s[0:1]
	v_cndmask_b32_e64 v30, v6, v8, s[0:1]
	v_cndmask_b32_e32 v27, v3, v9, vcc
	v_cndmask_b32_e32 v26, v2, v8, vcc
	v_cndmask_b32_e64 v49, v25, v9, s[18:19]
	v_cndmask_b32_e64 v48, v24, v8, s[18:19]
	;; [unrolled: 1-line block ×16, first 2 shown]
	v_pk_mov_b32 v[2:3], v[26:27], v[26:27] op_sel:[0,1]
	v_pk_mov_b32 v[4:5], v[28:29], v[28:29] op_sel:[0,1]
	;; [unrolled: 1-line block ×16, first 2 shown]
.LBB78_133:
	s_or_b64 exec, exec, s[26:27]
	v_pk_mov_b32 v[0:1], s[40:41], s[40:41] op_sel:[0,1]
	flat_load_dword v0, v[0:1] offset:8
	s_waitcnt vmcnt(0) lgkmcnt(0)
	v_add_u32_e32 v0, -1, v0
	v_cmp_ne_u32_e32 vcc, 2, v0
	s_and_saveexec_b64 s[26:27], vcc
	s_cbranch_execz .LBB78_135
; %bb.134:
	v_cmp_eq_u32_e32 vcc, 1, v0
	v_cndmask_b32_e32 v1, v2, v4, vcc
	v_cmp_eq_u32_e64 s[0:1], 2, v0
	v_cndmask_b32_e32 v32, v3, v5, vcc
	v_cndmask_b32_e64 v1, v1, v6, s[0:1]
	v_cmp_eq_u32_e64 s[2:3], 3, v0
	v_cndmask_b32_e64 v32, v32, v7, s[0:1]
	v_cndmask_b32_e64 v1, v1, v8, s[2:3]
	v_cmp_eq_u32_e64 s[4:5], 4, v0
	v_cndmask_b32_e64 v32, v32, v9, s[2:3]
	;; [unrolled: 3-line block ×12, first 2 shown]
	v_cndmask_b32_e64 v1, v1, v30, s[24:25]
	v_cndmask_b32_e64 v32, v32, v31, s[24:25]
	;; [unrolled: 1-line block ×4, first 2 shown]
	v_cndmask_b32_e32 v31, v5, v7, vcc
	v_cndmask_b32_e32 v30, v4, v6, vcc
	v_cmp_eq_u32_e32 vcc, 0, v0
	v_cndmask_b32_e64 v33, v32, v7, s[0:1]
	v_cndmask_b32_e64 v32, v1, v6, s[0:1]
	;; [unrolled: 1-line block ×4, first 2 shown]
	v_cndmask_b32_e32 v29, v3, v7, vcc
	v_cndmask_b32_e32 v28, v2, v6, vcc
	v_cndmask_b32_e64 v53, v27, v7, s[20:21]
	v_cndmask_b32_e64 v52, v26, v6, s[20:21]
	;; [unrolled: 1-line block ×20, first 2 shown]
	v_pk_mov_b32 v[2:3], v[28:29], v[28:29] op_sel:[0,1]
	v_pk_mov_b32 v[4:5], v[30:31], v[30:31] op_sel:[0,1]
	;; [unrolled: 1-line block ×16, first 2 shown]
.LBB78_135:
	s_or_b64 exec, exec, s[26:27]
	v_pk_mov_b32 v[0:1], s[40:41], s[40:41] op_sel:[0,1]
	flat_load_dword v0, v[0:1] offset:4
	s_waitcnt vmcnt(0) lgkmcnt(0)
	v_add_u32_e32 v0, -1, v0
	v_cmp_ne_u32_e32 vcc, 1, v0
	s_and_saveexec_b64 s[26:27], vcc
	s_cbranch_execz .LBB78_137
; %bb.136:
	v_cmp_eq_u32_e32 vcc, 1, v0
	v_cndmask_b32_e32 v1, v2, v4, vcc
	v_cmp_eq_u32_e64 s[0:1], 2, v0
	v_cndmask_b32_e32 v32, v3, v5, vcc
	v_cndmask_b32_e64 v1, v1, v6, s[0:1]
	v_cmp_eq_u32_e64 s[2:3], 3, v0
	v_cndmask_b32_e64 v32, v32, v7, s[0:1]
	v_cndmask_b32_e64 v1, v1, v8, s[2:3]
	v_cmp_eq_u32_e64 s[4:5], 4, v0
	v_cndmask_b32_e64 v32, v32, v9, s[2:3]
	;; [unrolled: 3-line block ×12, first 2 shown]
	v_cndmask_b32_e64 v1, v1, v30, s[24:25]
	v_cndmask_b32_e64 v32, v32, v31, s[24:25]
	v_cndmask_b32_e32 v33, v32, v5, vcc
	v_cndmask_b32_e32 v32, v1, v4, vcc
	v_cmp_eq_u32_e32 vcc, 0, v0
	v_cndmask_b32_e64 v59, v31, v5, s[24:25]
	v_cndmask_b32_e64 v58, v30, v4, s[24:25]
	v_cndmask_b32_e32 v31, v3, v5, vcc
	v_cndmask_b32_e32 v30, v2, v4, vcc
	v_cndmask_b32_e64 v57, v29, v5, s[22:23]
	v_cndmask_b32_e64 v56, v28, v4, s[22:23]
	;; [unrolled: 1-line block ×24, first 2 shown]
	v_pk_mov_b32 v[2:3], v[30:31], v[30:31] op_sel:[0,1]
	v_pk_mov_b32 v[4:5], v[32:33], v[32:33] op_sel:[0,1]
	;; [unrolled: 1-line block ×16, first 2 shown]
.LBB78_137:
	s_or_b64 exec, exec, s[26:27]
	v_pk_mov_b32 v[0:1], s[40:41], s[40:41] op_sel:[0,1]
	flat_load_dword v0, v[0:1]
	s_waitcnt vmcnt(0) lgkmcnt(0)
	v_add_u32_e32 v0, -1, v0
	v_cmp_ne_u32_e32 vcc, 0, v0
	s_and_saveexec_b64 s[28:29], vcc
	s_cbranch_execz .LBB78_139
; %bb.138:
	v_cmp_eq_u32_e32 vcc, 1, v0
	v_cndmask_b32_e32 v1, v2, v4, vcc
	v_cmp_eq_u32_e64 s[0:1], 2, v0
	v_cndmask_b32_e32 v32, v3, v5, vcc
	v_cndmask_b32_e64 v1, v1, v6, s[0:1]
	v_cmp_eq_u32_e64 s[2:3], 3, v0
	v_cndmask_b32_e64 v32, v32, v7, s[0:1]
	v_cndmask_b32_e64 v1, v1, v8, s[2:3]
	v_cmp_eq_u32_e64 s[4:5], 4, v0
	v_cndmask_b32_e64 v32, v32, v9, s[2:3]
	;; [unrolled: 3-line block ×12, first 2 shown]
	v_cndmask_b32_e64 v1, v1, v30, s[24:25]
	v_cndmask_b32_e64 v32, v32, v31, s[24:25]
	v_cmp_eq_u32_e64 s[26:27], 0, v0
	v_cndmask_b32_e64 v33, v32, v3, s[26:27]
	v_cndmask_b32_e64 v32, v1, v2, s[26:27]
	;; [unrolled: 1-line block ×28, first 2 shown]
	v_cndmask_b32_e32 v35, v5, v3, vcc
	v_cndmask_b32_e32 v34, v4, v2, vcc
	v_pk_mov_b32 v[2:3], v[32:33], v[32:33] op_sel:[0,1]
	v_pk_mov_b32 v[4:5], v[34:35], v[34:35] op_sel:[0,1]
	;; [unrolled: 1-line block ×16, first 2 shown]
.LBB78_139:
	s_or_b64 exec, exec, s[28:29]
.LBB78_140:
	v_mov_b32_e32 v1, v3
	v_mov_b32_e32 v0, v2
	global_store_dwordx2 v[64:65], v[0:1], off
	v_mov_b32_e32 v1, v5
	v_mov_b32_e32 v0, v4
	global_store_dwordx2 v[66:67], v[0:1], off
	;; [unrolled: 3-line block ×15, first 2 shown]
	s_endpgm
	.section	.rodata,"a",@progbits
	.p2align	6, 0x0
	.amdhsa_kernel _ZN9rocsolver6v33100L18getri_kernel_smallILi15EdPKPdEEvT1_iilPiilS6_bb
		.amdhsa_group_segment_fixed_size 248
		.amdhsa_private_segment_fixed_size 0
		.amdhsa_kernarg_size 60
		.amdhsa_user_sgpr_count 6
		.amdhsa_user_sgpr_private_segment_buffer 1
		.amdhsa_user_sgpr_dispatch_ptr 0
		.amdhsa_user_sgpr_queue_ptr 0
		.amdhsa_user_sgpr_kernarg_segment_ptr 1
		.amdhsa_user_sgpr_dispatch_id 0
		.amdhsa_user_sgpr_flat_scratch_init 0
		.amdhsa_user_sgpr_kernarg_preload_length 0
		.amdhsa_user_sgpr_kernarg_preload_offset 0
		.amdhsa_user_sgpr_private_segment_size 0
		.amdhsa_uses_dynamic_stack 0
		.amdhsa_system_sgpr_private_segment_wavefront_offset 0
		.amdhsa_system_sgpr_workgroup_id_x 1
		.amdhsa_system_sgpr_workgroup_id_y 0
		.amdhsa_system_sgpr_workgroup_id_z 0
		.amdhsa_system_sgpr_workgroup_info 0
		.amdhsa_system_vgpr_workitem_id 0
		.amdhsa_next_free_vgpr 94
		.amdhsa_next_free_sgpr 52
		.amdhsa_accum_offset 96
		.amdhsa_reserve_vcc 1
		.amdhsa_reserve_flat_scratch 0
		.amdhsa_float_round_mode_32 0
		.amdhsa_float_round_mode_16_64 0
		.amdhsa_float_denorm_mode_32 3
		.amdhsa_float_denorm_mode_16_64 3
		.amdhsa_dx10_clamp 1
		.amdhsa_ieee_mode 1
		.amdhsa_fp16_overflow 0
		.amdhsa_tg_split 0
		.amdhsa_exception_fp_ieee_invalid_op 0
		.amdhsa_exception_fp_denorm_src 0
		.amdhsa_exception_fp_ieee_div_zero 0
		.amdhsa_exception_fp_ieee_overflow 0
		.amdhsa_exception_fp_ieee_underflow 0
		.amdhsa_exception_fp_ieee_inexact 0
		.amdhsa_exception_int_div_zero 0
	.end_amdhsa_kernel
	.section	.text._ZN9rocsolver6v33100L18getri_kernel_smallILi15EdPKPdEEvT1_iilPiilS6_bb,"axG",@progbits,_ZN9rocsolver6v33100L18getri_kernel_smallILi15EdPKPdEEvT1_iilPiilS6_bb,comdat
.Lfunc_end78:
	.size	_ZN9rocsolver6v33100L18getri_kernel_smallILi15EdPKPdEEvT1_iilPiilS6_bb, .Lfunc_end78-_ZN9rocsolver6v33100L18getri_kernel_smallILi15EdPKPdEEvT1_iilPiilS6_bb
                                        ; -- End function
	.section	.AMDGPU.csdata,"",@progbits
; Kernel info:
; codeLenInByte = 25292
; NumSgprs: 56
; NumVgprs: 94
; NumAgprs: 0
; TotalNumVgprs: 94
; ScratchSize: 0
; MemoryBound: 0
; FloatMode: 240
; IeeeMode: 1
; LDSByteSize: 248 bytes/workgroup (compile time only)
; SGPRBlocks: 6
; VGPRBlocks: 11
; NumSGPRsForWavesPerEU: 56
; NumVGPRsForWavesPerEU: 94
; AccumOffset: 96
; Occupancy: 5
; WaveLimiterHint : 1
; COMPUTE_PGM_RSRC2:SCRATCH_EN: 0
; COMPUTE_PGM_RSRC2:USER_SGPR: 6
; COMPUTE_PGM_RSRC2:TRAP_HANDLER: 0
; COMPUTE_PGM_RSRC2:TGID_X_EN: 1
; COMPUTE_PGM_RSRC2:TGID_Y_EN: 0
; COMPUTE_PGM_RSRC2:TGID_Z_EN: 0
; COMPUTE_PGM_RSRC2:TIDIG_COMP_CNT: 0
; COMPUTE_PGM_RSRC3_GFX90A:ACCUM_OFFSET: 23
; COMPUTE_PGM_RSRC3_GFX90A:TG_SPLIT: 0
	.section	.text._ZN9rocsolver6v33100L18getri_kernel_smallILi16EdPKPdEEvT1_iilPiilS6_bb,"axG",@progbits,_ZN9rocsolver6v33100L18getri_kernel_smallILi16EdPKPdEEvT1_iilPiilS6_bb,comdat
	.globl	_ZN9rocsolver6v33100L18getri_kernel_smallILi16EdPKPdEEvT1_iilPiilS6_bb ; -- Begin function _ZN9rocsolver6v33100L18getri_kernel_smallILi16EdPKPdEEvT1_iilPiilS6_bb
	.p2align	8
	.type	_ZN9rocsolver6v33100L18getri_kernel_smallILi16EdPKPdEEvT1_iilPiilS6_bb,@function
_ZN9rocsolver6v33100L18getri_kernel_smallILi16EdPKPdEEvT1_iilPiilS6_bb: ; @_ZN9rocsolver6v33100L18getri_kernel_smallILi16EdPKPdEEvT1_iilPiilS6_bb
; %bb.0:
	v_cmp_gt_u32_e32 vcc, 16, v0
	s_and_saveexec_b64 s[0:1], vcc
	s_cbranch_execz .LBB79_16
; %bb.1:
	s_load_dword s8, s[4:5], 0x38
	s_load_dwordx2 s[0:1], s[4:5], 0x0
	s_load_dwordx4 s[40:43], s[4:5], 0x28
                                        ; implicit-def: $sgpr44_sgpr45
	s_waitcnt lgkmcnt(0)
	s_bitcmp1_b32 s8, 8
	s_cselect_b64 s[46:47], -1, 0
	s_ashr_i32 s7, s6, 31
	s_lshl_b64 s[2:3], s[6:7], 3
	s_add_u32 s0, s0, s2
	s_addc_u32 s1, s1, s3
	s_load_dwordx2 s[0:1], s[0:1], 0x0
	s_bfe_u32 s2, s8, 0x10008
	s_cmp_eq_u32 s2, 0
	s_cbranch_scc1 .LBB79_3
; %bb.2:
	s_load_dword s2, s[4:5], 0x20
	s_load_dwordx2 s[10:11], s[4:5], 0x18
	s_mul_i32 s3, s6, s41
	s_mul_hi_u32 s9, s6, s40
	s_add_i32 s9, s9, s3
	s_mul_i32 s12, s7, s40
	s_add_i32 s13, s9, s12
	s_mul_i32 s12, s6, s40
	s_waitcnt lgkmcnt(0)
	s_ashr_i32 s3, s2, 31
	s_lshl_b64 s[12:13], s[12:13], 2
	s_add_u32 s9, s10, s12
	s_addc_u32 s10, s11, s13
	s_lshl_b64 s[2:3], s[2:3], 2
	s_add_u32 s44, s9, s2
	s_addc_u32 s45, s10, s3
.LBB79_3:
	s_load_dwordx2 s[2:3], s[4:5], 0x8
	v_lshlrev_b32_e32 v36, 3, v0
	s_waitcnt lgkmcnt(0)
	s_ashr_i32 s5, s2, 31
	s_mov_b32 s4, s2
	s_lshl_b64 s[4:5], s[4:5], 3
	s_add_u32 s0, s0, s4
	s_addc_u32 s1, s1, s5
	v_mov_b32_e32 v1, s1
	v_add_co_u32_e32 v66, vcc, s0, v36
	s_ashr_i32 s5, s3, 31
	s_mov_b32 s4, s3
	s_add_i32 s2, s3, s3
	v_addc_co_u32_e32 v67, vcc, 0, v1, vcc
	s_lshl_b64 s[4:5], s[4:5], 3
	v_add_u32_e32 v2, s2, v0
	v_mov_b32_e32 v1, s5
	v_add_co_u32_e32 v68, vcc, s4, v66
	v_ashrrev_i32_e32 v3, 31, v2
	v_addc_co_u32_e32 v69, vcc, v67, v1, vcc
	v_lshlrev_b64 v[4:5], 3, v[2:3]
	v_add_u32_e32 v2, s3, v2
	v_mov_b32_e32 v1, s1
	v_add_co_u32_e32 v70, vcc, s0, v4
	v_ashrrev_i32_e32 v3, 31, v2
	v_addc_co_u32_e32 v71, vcc, v1, v5, vcc
	v_lshlrev_b64 v[4:5], 3, v[2:3]
	v_add_u32_e32 v2, s3, v2
	v_add_co_u32_e32 v72, vcc, s0, v4
	v_ashrrev_i32_e32 v3, 31, v2
	v_addc_co_u32_e32 v73, vcc, v1, v5, vcc
	v_lshlrev_b64 v[4:5], 3, v[2:3]
	v_add_u32_e32 v2, s3, v2
	;; [unrolled: 5-line block ×12, first 2 shown]
	v_add_co_u32_e32 v94, vcc, s0, v4
	v_ashrrev_i32_e32 v3, 31, v2
	v_addc_co_u32_e32 v95, vcc, v1, v5, vcc
	v_lshlrev_b64 v[2:3], 3, v[2:3]
	v_add_co_u32_e32 v96, vcc, s0, v2
	v_addc_co_u32_e32 v97, vcc, v1, v3, vcc
	global_load_dwordx2 v[4:5], v[68:69], off
	global_load_dwordx2 v[6:7], v[70:71], off
	;; [unrolled: 1-line block ×14, first 2 shown]
	global_load_dwordx2 v[2:3], v36, s[0:1]
                                        ; kill: killed $sgpr0 killed $sgpr1
	global_load_dwordx2 v[32:33], v[96:97], off
	v_mov_b32_e32 v1, 0
	s_bitcmp0_b32 s8, 0
	s_mov_b64 s[0:1], -1
	s_cbranch_scc1 .LBB79_14
; %bb.4:
	v_cmp_eq_u32_e64 s[0:1], 0, v0
	s_and_saveexec_b64 s[2:3], s[0:1]
	s_cbranch_execz .LBB79_6
; %bb.5:
	v_mov_b32_e32 v34, 0
	ds_write_b32 v34, v34 offset:256
.LBB79_6:
	s_or_b64 exec, exec, s[2:3]
	v_cmp_eq_u32_e32 vcc, 1, v0
	s_waitcnt vmcnt(1)
	v_cndmask_b32_e32 v34, v3, v5, vcc
	v_cmp_eq_u32_e64 s[2:3], 2, v0
	v_cndmask_b32_e64 v34, v34, v7, s[2:3]
	v_cmp_eq_u32_e64 s[4:5], 3, v0
	v_cndmask_b32_e64 v34, v34, v9, s[4:5]
	;; [unrolled: 2-line block ×13, first 2 shown]
	v_cmp_eq_u32_e64 s[30:31], 15, v0
	s_waitcnt vmcnt(0)
	v_cndmask_b32_e64 v35, v34, v33, s[30:31]
	v_cndmask_b32_e32 v34, v2, v4, vcc
	v_cndmask_b32_e64 v34, v34, v6, s[2:3]
	v_cndmask_b32_e64 v34, v34, v8, s[4:5]
	;; [unrolled: 1-line block ×14, first 2 shown]
	v_cmp_eq_f64_e32 vcc, 0, v[34:35]
	s_waitcnt lgkmcnt(0)
	; wave barrier
	s_waitcnt lgkmcnt(0)
	s_and_saveexec_b64 s[4:5], vcc
	s_cbranch_execz .LBB79_10
; %bb.7:
	v_mov_b32_e32 v37, 0
	ds_read_b32 v39, v37 offset:256
	v_add_u32_e32 v38, 1, v0
	s_waitcnt lgkmcnt(0)
	v_readfirstlane_b32 s2, v39
	s_cmp_eq_u32 s2, 0
	s_cselect_b64 s[8:9], -1, 0
	v_cmp_gt_i32_e32 vcc, s2, v38
	s_or_b64 s[8:9], s[8:9], vcc
	s_and_b64 exec, exec, s[8:9]
	s_cbranch_execz .LBB79_10
; %bb.8:
	s_mov_b64 s[8:9], 0
	v_mov_b32_e32 v39, s2
.LBB79_9:                               ; =>This Inner Loop Header: Depth=1
	ds_cmpst_rtn_b32 v39, v37, v39, v38 offset:256
	s_waitcnt lgkmcnt(0)
	v_cmp_ne_u32_e32 vcc, 0, v39
	v_cmp_le_i32_e64 s[2:3], v39, v38
	s_and_b64 s[2:3], vcc, s[2:3]
	s_and_b64 s[2:3], exec, s[2:3]
	s_or_b64 s[8:9], s[2:3], s[8:9]
	s_andn2_b64 exec, exec, s[8:9]
	s_cbranch_execnz .LBB79_9
.LBB79_10:
	s_or_b64 exec, exec, s[4:5]
	v_mov_b32_e32 v38, 0
	s_waitcnt lgkmcnt(0)
	; wave barrier
	ds_read_b32 v37, v38 offset:256
	s_and_saveexec_b64 s[2:3], s[0:1]
	s_cbranch_execz .LBB79_12
; %bb.11:
	s_lshl_b64 s[4:5], s[6:7], 2
	s_add_u32 s4, s42, s4
	s_addc_u32 s5, s43, s5
	s_waitcnt lgkmcnt(0)
	global_store_dword v38, v37, s[4:5]
.LBB79_12:
	s_or_b64 exec, exec, s[2:3]
	s_waitcnt lgkmcnt(0)
	v_cmp_ne_u32_e32 vcc, 0, v37
	s_cbranch_vccz .LBB79_17
; %bb.13:
	s_mov_b64 s[0:1], 0
                                        ; implicit-def: $vgpr2_vgpr3_vgpr4_vgpr5_vgpr6_vgpr7_vgpr8_vgpr9_vgpr10_vgpr11_vgpr12_vgpr13_vgpr14_vgpr15_vgpr16_vgpr17_vgpr18_vgpr19_vgpr20_vgpr21_vgpr22_vgpr23_vgpr24_vgpr25_vgpr26_vgpr27_vgpr28_vgpr29_vgpr30_vgpr31_vgpr32_vgpr33
.LBB79_14:
	s_and_b64 vcc, exec, s[0:1]
	s_cbranch_vccz .LBB79_16
.LBB79_15:
	s_lshl_b64 s[0:1], s[6:7], 2
	s_add_u32 s0, s42, s0
	s_addc_u32 s1, s43, s1
	v_mov_b32_e32 v1, 0
	global_load_dword v1, v1, s[0:1]
	s_waitcnt vmcnt(0)
	v_cmp_ne_u32_e32 vcc, 0, v1
	s_cbranch_vccz .LBB79_86
.LBB79_16:
	s_endpgm
.LBB79_17:
	v_div_scale_f64 v[38:39], s[2:3], v[34:35], v[34:35], 1.0
	v_rcp_f64_e32 v[40:41], v[38:39]
	v_div_scale_f64 v[42:43], vcc, 1.0, v[34:35], 1.0
	v_fma_f64 v[44:45], -v[38:39], v[40:41], 1.0
	v_fmac_f64_e32 v[40:41], v[40:41], v[44:45]
	v_fma_f64 v[44:45], -v[38:39], v[40:41], 1.0
	v_fmac_f64_e32 v[40:41], v[40:41], v[44:45]
	v_mul_f64 v[44:45], v[42:43], v[40:41]
	v_fma_f64 v[38:39], -v[38:39], v[44:45], v[42:43]
	v_div_fmas_f64 v[38:39], v[38:39], v[40:41], v[44:45]
	v_div_fixup_f64 v[34:35], v[38:39], v[34:35], 1.0
	v_cmp_eq_u32_e32 vcc, 15, v0
	v_cndmask_b32_e32 v33, v33, v35, vcc
	v_cndmask_b32_e32 v32, v32, v34, vcc
	v_cmp_eq_u32_e32 vcc, 14, v0
	v_cndmask_b32_e32 v31, v31, v35, vcc
	v_cndmask_b32_e32 v30, v30, v34, vcc
	;; [unrolled: 3-line block ×16, first 2 shown]
	v_xor_b32_e32 v41, 0x80000000, v35
	v_mov_b32_e32 v40, v34
	v_add_u32_e32 v38, 0x80, v36
	ds_write2_b64 v36, v[40:41], v[4:5] offset1:16
	s_waitcnt lgkmcnt(0)
	; wave barrier
	s_waitcnt lgkmcnt(0)
	s_and_saveexec_b64 s[2:3], s[0:1]
	s_cbranch_execz .LBB79_19
; %bb.18:
	v_mov_b32_e32 v36, 0
	ds_read_b64 v[4:5], v38
	ds_read_b64 v[36:37], v36 offset:8
	s_waitcnt lgkmcnt(1)
	v_fma_f64 v[4:5], v[34:35], v[4:5], 0
	s_waitcnt lgkmcnt(0)
	v_mul_f64 v[4:5], v[4:5], v[36:37]
.LBB79_19:
	s_or_b64 exec, exec, s[2:3]
	v_cmp_gt_u32_e32 vcc, 2, v0
	s_waitcnt lgkmcnt(0)
	; wave barrier
	ds_write_b64 v38, v[6:7]
	s_waitcnt lgkmcnt(0)
	; wave barrier
	s_waitcnt lgkmcnt(0)
	s_and_saveexec_b64 s[36:37], vcc
	s_cbranch_execz .LBB79_21
; %bb.20:
	v_cmp_eq_u32_e64 s[2:3], 1, v0
	v_cndmask_b32_e64 v34, v3, v5, s[2:3]
	v_cmp_eq_u32_e64 s[4:5], 2, v0
	v_cndmask_b32_e64 v7, v34, v7, s[4:5]
	v_cndmask_b32_e64 v34, v2, v4, s[2:3]
	v_cmp_eq_u32_e64 s[8:9], 3, v0
	v_cndmask_b32_e64 v6, v34, v6, s[4:5]
	;; [unrolled: 3-line block ×11, first 2 shown]
	ds_read_b64 v[40:41], v38
	v_mov_b32_e32 v34, 0
	v_cndmask_b32_e64 v7, v7, v27, s[26:27]
	v_cmp_eq_u32_e64 s[28:29], 13, v0
	v_cndmask_b32_e64 v6, v6, v26, s[26:27]
	ds_read2_b64 v[34:37], v34 offset0:2 offset1:17
	v_cndmask_b32_e64 v7, v7, v29, s[28:29]
	v_cmp_eq_u32_e64 s[30:31], 14, v0
	v_cndmask_b32_e64 v6, v6, v28, s[28:29]
	v_cndmask_b32_e64 v7, v7, v31, s[30:31]
	v_cmp_eq_u32_e64 s[34:35], 15, v0
	v_cndmask_b32_e64 v6, v6, v30, s[30:31]
	v_cndmask_b32_e64 v7, v7, v33, s[34:35]
	;; [unrolled: 1-line block ×3, first 2 shown]
	s_waitcnt lgkmcnt(1)
	v_fma_f64 v[6:7], v[6:7], v[40:41], 0
	s_waitcnt lgkmcnt(0)
	v_fma_f64 v[36:37], v[4:5], v[36:37], v[6:7]
	v_cndmask_b32_e64 v7, v7, v37, s[0:1]
	v_cndmask_b32_e64 v6, v6, v36, s[0:1]
	v_mul_f64 v[6:7], v[6:7], v[34:35]
.LBB79_21:
	s_or_b64 exec, exec, s[36:37]
	v_cmp_gt_u32_e64 s[2:3], 3, v0
	s_waitcnt lgkmcnt(0)
	; wave barrier
	ds_write_b64 v38, v[8:9]
	s_waitcnt lgkmcnt(0)
	; wave barrier
	s_waitcnt lgkmcnt(0)
	s_and_saveexec_b64 s[10:11], s[2:3]
	s_cbranch_execz .LBB79_25
; %bb.22:
	v_mov_b32_e32 v34, 0x80
	v_lshl_add_u32 v39, v0, 3, v34
	s_mov_b64 s[12:13], 0
	v_pk_mov_b32 v[34:35], 0, 0
	v_pk_mov_b32 v[36:37], v[0:1], v[0:1] op_sel:[0,1]
.LBB79_23:                              ; =>This Inner Loop Header: Depth=1
	v_cmp_eq_u32_e64 s[2:3], 1, v36
	v_cndmask_b32_e64 v42, v3, v5, s[2:3]
	v_cmp_eq_u32_e64 s[4:5], 2, v36
	v_cndmask_b32_e64 v42, v42, v7, s[4:5]
	v_cndmask_b32_e64 v43, v2, v4, s[2:3]
	v_cmp_eq_u32_e64 s[2:3], 3, v36
	v_cndmask_b32_e64 v42, v42, v9, s[2:3]
	;; [unrolled: 3-line block ×10, first 2 shown]
	v_cndmask_b32_e64 v43, v43, v22, s[4:5]
	v_cmp_eq_u32_e64 s[4:5], 12, v36
	ds_read_b64 v[40:41], v39
	v_cndmask_b32_e64 v42, v42, v27, s[4:5]
	v_cndmask_b32_e64 v43, v43, v24, s[2:3]
	v_cmp_eq_u32_e64 s[2:3], 13, v36
	v_cndmask_b32_e64 v42, v42, v29, s[2:3]
	v_cndmask_b32_e64 v43, v43, v26, s[4:5]
	v_cmp_eq_u32_e64 s[4:5], 14, v36
	v_cndmask_b32_e64 v42, v42, v31, s[4:5]
	v_cmp_eq_u32_e64 s[8:9], 15, v36
	v_cndmask_b32_e64 v44, v43, v28, s[2:3]
	v_add_co_u32_e64 v36, s[2:3], 1, v36
	v_addc_co_u32_e64 v37, s[2:3], 0, v37, s[2:3]
	v_cndmask_b32_e64 v43, v42, v33, s[8:9]
	v_cndmask_b32_e64 v42, v44, v30, s[4:5]
	v_add_u32_e32 v44, -1, v36
	v_cndmask_b32_e64 v42, v42, v32, s[8:9]
	v_cmp_lt_u32_e64 s[2:3], 1, v44
	v_add_u32_e32 v39, 8, v39
	s_or_b64 s[12:13], s[2:3], s[12:13]
	s_waitcnt lgkmcnt(0)
	v_fmac_f64_e32 v[34:35], v[42:43], v[40:41]
	s_andn2_b64 exec, exec, s[12:13]
	s_cbranch_execnz .LBB79_23
; %bb.24:
	s_or_b64 exec, exec, s[12:13]
	v_mov_b32_e32 v8, 0
	ds_read_b64 v[8:9], v8 offset:24
	s_waitcnt lgkmcnt(0)
	v_mul_f64 v[8:9], v[34:35], v[8:9]
.LBB79_25:
	s_or_b64 exec, exec, s[10:11]
	v_cmp_gt_u32_e64 s[2:3], 4, v0
	s_waitcnt lgkmcnt(0)
	; wave barrier
	ds_write_b64 v38, v[10:11]
	s_waitcnt lgkmcnt(0)
	; wave barrier
	s_waitcnt lgkmcnt(0)
	s_and_saveexec_b64 s[12:13], s[2:3]
	s_cbranch_execz .LBB79_29
; %bb.26:
	v_mov_b32_e32 v34, 0x80
	v_lshl_add_u32 v39, v0, 3, v34
	s_mov_b64 s[14:15], 0
	v_pk_mov_b32 v[34:35], 0, 0
	v_pk_mov_b32 v[36:37], v[0:1], v[0:1] op_sel:[0,1]
.LBB79_27:                              ; =>This Inner Loop Header: Depth=1
	v_cmp_eq_u32_e64 s[4:5], 1, v36
	v_cndmask_b32_e64 v42, v3, v5, s[4:5]
	v_cmp_eq_u32_e64 s[8:9], 2, v36
	v_cndmask_b32_e64 v42, v42, v7, s[8:9]
	v_cndmask_b32_e64 v43, v2, v4, s[4:5]
	v_cmp_eq_u32_e64 s[4:5], 3, v36
	v_cndmask_b32_e64 v42, v42, v9, s[4:5]
	;; [unrolled: 3-line block ×10, first 2 shown]
	v_cndmask_b32_e64 v43, v43, v22, s[8:9]
	v_cmp_eq_u32_e64 s[8:9], 12, v36
	ds_read_b64 v[40:41], v39
	v_cndmask_b32_e64 v42, v42, v27, s[8:9]
	v_cndmask_b32_e64 v43, v43, v24, s[4:5]
	v_cmp_eq_u32_e64 s[4:5], 13, v36
	v_cndmask_b32_e64 v42, v42, v29, s[4:5]
	v_cndmask_b32_e64 v43, v43, v26, s[8:9]
	v_cmp_eq_u32_e64 s[8:9], 14, v36
	v_cndmask_b32_e64 v42, v42, v31, s[8:9]
	v_cmp_eq_u32_e64 s[10:11], 15, v36
	v_cndmask_b32_e64 v44, v43, v28, s[4:5]
	v_add_co_u32_e64 v36, s[4:5], 1, v36
	v_addc_co_u32_e64 v37, s[4:5], 0, v37, s[4:5]
	v_cndmask_b32_e64 v43, v42, v33, s[10:11]
	v_cndmask_b32_e64 v42, v44, v30, s[8:9]
	v_add_u32_e32 v44, -1, v36
	v_cndmask_b32_e64 v42, v42, v32, s[10:11]
	v_cmp_lt_u32_e64 s[4:5], 2, v44
	v_add_u32_e32 v39, 8, v39
	s_or_b64 s[14:15], s[4:5], s[14:15]
	s_waitcnt lgkmcnt(0)
	v_fmac_f64_e32 v[34:35], v[42:43], v[40:41]
	s_andn2_b64 exec, exec, s[14:15]
	s_cbranch_execnz .LBB79_27
; %bb.28:
	s_or_b64 exec, exec, s[14:15]
	v_mov_b32_e32 v10, 0
	ds_read_b64 v[10:11], v10 offset:32
	s_waitcnt lgkmcnt(0)
	v_mul_f64 v[10:11], v[34:35], v[10:11]
.LBB79_29:
	s_or_b64 exec, exec, s[12:13]
	v_cmp_gt_u32_e64 s[4:5], 5, v0
	s_waitcnt lgkmcnt(0)
	; wave barrier
	ds_write_b64 v38, v[12:13]
	s_waitcnt lgkmcnt(0)
	; wave barrier
	s_waitcnt lgkmcnt(0)
	s_and_saveexec_b64 s[12:13], s[4:5]
	s_cbranch_execz .LBB79_33
; %bb.30:
	v_mov_b32_e32 v34, 0x80
	v_lshl_add_u32 v39, v0, 3, v34
	s_mov_b64 s[14:15], 0
	v_pk_mov_b32 v[34:35], 0, 0
	v_pk_mov_b32 v[36:37], v[0:1], v[0:1] op_sel:[0,1]
.LBB79_31:                              ; =>This Inner Loop Header: Depth=1
	v_cmp_eq_u32_e64 s[4:5], 1, v36
	v_cndmask_b32_e64 v42, v3, v5, s[4:5]
	v_cmp_eq_u32_e64 s[8:9], 2, v36
	v_cndmask_b32_e64 v42, v42, v7, s[8:9]
	v_cndmask_b32_e64 v43, v2, v4, s[4:5]
	v_cmp_eq_u32_e64 s[4:5], 3, v36
	v_cndmask_b32_e64 v42, v42, v9, s[4:5]
	;; [unrolled: 3-line block ×10, first 2 shown]
	v_cndmask_b32_e64 v43, v43, v22, s[8:9]
	v_cmp_eq_u32_e64 s[8:9], 12, v36
	ds_read_b64 v[40:41], v39
	v_cndmask_b32_e64 v42, v42, v27, s[8:9]
	v_cndmask_b32_e64 v43, v43, v24, s[4:5]
	v_cmp_eq_u32_e64 s[4:5], 13, v36
	v_cndmask_b32_e64 v42, v42, v29, s[4:5]
	v_cndmask_b32_e64 v43, v43, v26, s[8:9]
	v_cmp_eq_u32_e64 s[8:9], 14, v36
	v_cndmask_b32_e64 v42, v42, v31, s[8:9]
	v_cmp_eq_u32_e64 s[10:11], 15, v36
	v_cndmask_b32_e64 v44, v43, v28, s[4:5]
	v_add_co_u32_e64 v36, s[4:5], 1, v36
	v_addc_co_u32_e64 v37, s[4:5], 0, v37, s[4:5]
	v_cndmask_b32_e64 v43, v42, v33, s[10:11]
	v_cndmask_b32_e64 v42, v44, v30, s[8:9]
	v_add_u32_e32 v44, -1, v36
	v_cndmask_b32_e64 v42, v42, v32, s[10:11]
	v_cmp_lt_u32_e64 s[4:5], 3, v44
	v_add_u32_e32 v39, 8, v39
	s_or_b64 s[14:15], s[4:5], s[14:15]
	s_waitcnt lgkmcnt(0)
	v_fmac_f64_e32 v[34:35], v[42:43], v[40:41]
	s_andn2_b64 exec, exec, s[14:15]
	s_cbranch_execnz .LBB79_31
; %bb.32:
	s_or_b64 exec, exec, s[14:15]
	v_mov_b32_e32 v12, 0
	ds_read_b64 v[12:13], v12 offset:40
	s_waitcnt lgkmcnt(0)
	v_mul_f64 v[12:13], v[34:35], v[12:13]
.LBB79_33:
	s_or_b64 exec, exec, s[12:13]
	v_cmp_gt_u32_e64 s[4:5], 6, v0
	s_waitcnt lgkmcnt(0)
	; wave barrier
	ds_write_b64 v38, v[14:15]
	s_waitcnt lgkmcnt(0)
	; wave barrier
	s_waitcnt lgkmcnt(0)
	s_and_saveexec_b64 s[14:15], s[4:5]
	s_cbranch_execz .LBB79_37
; %bb.34:
	v_mov_b32_e32 v34, 0x80
	v_lshl_add_u32 v39, v0, 3, v34
	s_mov_b64 s[16:17], 0
	v_pk_mov_b32 v[34:35], 0, 0
	v_pk_mov_b32 v[36:37], v[0:1], v[0:1] op_sel:[0,1]
.LBB79_35:                              ; =>This Inner Loop Header: Depth=1
	v_cmp_eq_u32_e64 s[8:9], 1, v36
	v_cndmask_b32_e64 v42, v3, v5, s[8:9]
	v_cmp_eq_u32_e64 s[10:11], 2, v36
	v_cndmask_b32_e64 v42, v42, v7, s[10:11]
	v_cndmask_b32_e64 v43, v2, v4, s[8:9]
	v_cmp_eq_u32_e64 s[8:9], 3, v36
	v_cndmask_b32_e64 v42, v42, v9, s[8:9]
	;; [unrolled: 3-line block ×10, first 2 shown]
	v_cndmask_b32_e64 v43, v43, v22, s[10:11]
	v_cmp_eq_u32_e64 s[10:11], 12, v36
	ds_read_b64 v[40:41], v39
	v_cndmask_b32_e64 v42, v42, v27, s[10:11]
	v_cndmask_b32_e64 v43, v43, v24, s[8:9]
	v_cmp_eq_u32_e64 s[8:9], 13, v36
	v_cndmask_b32_e64 v42, v42, v29, s[8:9]
	v_cndmask_b32_e64 v43, v43, v26, s[10:11]
	v_cmp_eq_u32_e64 s[10:11], 14, v36
	v_cndmask_b32_e64 v42, v42, v31, s[10:11]
	v_cmp_eq_u32_e64 s[12:13], 15, v36
	v_cndmask_b32_e64 v44, v43, v28, s[8:9]
	v_add_co_u32_e64 v36, s[8:9], 1, v36
	v_addc_co_u32_e64 v37, s[8:9], 0, v37, s[8:9]
	v_cndmask_b32_e64 v43, v42, v33, s[12:13]
	v_cndmask_b32_e64 v42, v44, v30, s[10:11]
	v_add_u32_e32 v44, -1, v36
	v_cndmask_b32_e64 v42, v42, v32, s[12:13]
	v_cmp_lt_u32_e64 s[8:9], 4, v44
	v_add_u32_e32 v39, 8, v39
	s_or_b64 s[16:17], s[8:9], s[16:17]
	s_waitcnt lgkmcnt(0)
	v_fmac_f64_e32 v[34:35], v[42:43], v[40:41]
	s_andn2_b64 exec, exec, s[16:17]
	s_cbranch_execnz .LBB79_35
; %bb.36:
	s_or_b64 exec, exec, s[16:17]
	v_mov_b32_e32 v14, 0
	ds_read_b64 v[14:15], v14 offset:48
	s_waitcnt lgkmcnt(0)
	v_mul_f64 v[14:15], v[34:35], v[14:15]
.LBB79_37:
	s_or_b64 exec, exec, s[14:15]
	v_cmp_gt_u32_e64 s[8:9], 7, v0
	s_waitcnt lgkmcnt(0)
	; wave barrier
	ds_write_b64 v38, v[16:17]
	s_waitcnt lgkmcnt(0)
	; wave barrier
	s_waitcnt lgkmcnt(0)
	s_and_saveexec_b64 s[14:15], s[8:9]
	s_cbranch_execz .LBB79_41
; %bb.38:
	v_mov_b32_e32 v34, 0x80
	v_lshl_add_u32 v39, v0, 3, v34
	s_mov_b64 s[16:17], 0
	v_pk_mov_b32 v[34:35], 0, 0
	v_pk_mov_b32 v[36:37], v[0:1], v[0:1] op_sel:[0,1]
.LBB79_39:                              ; =>This Inner Loop Header: Depth=1
	v_cmp_eq_u32_e64 s[8:9], 1, v36
	v_cndmask_b32_e64 v42, v3, v5, s[8:9]
	v_cmp_eq_u32_e64 s[10:11], 2, v36
	v_cndmask_b32_e64 v42, v42, v7, s[10:11]
	v_cndmask_b32_e64 v43, v2, v4, s[8:9]
	v_cmp_eq_u32_e64 s[8:9], 3, v36
	v_cndmask_b32_e64 v42, v42, v9, s[8:9]
	;; [unrolled: 3-line block ×10, first 2 shown]
	v_cndmask_b32_e64 v43, v43, v22, s[10:11]
	v_cmp_eq_u32_e64 s[10:11], 12, v36
	ds_read_b64 v[40:41], v39
	v_cndmask_b32_e64 v42, v42, v27, s[10:11]
	v_cndmask_b32_e64 v43, v43, v24, s[8:9]
	v_cmp_eq_u32_e64 s[8:9], 13, v36
	v_cndmask_b32_e64 v42, v42, v29, s[8:9]
	v_cndmask_b32_e64 v43, v43, v26, s[10:11]
	v_cmp_eq_u32_e64 s[10:11], 14, v36
	v_cndmask_b32_e64 v42, v42, v31, s[10:11]
	v_cmp_eq_u32_e64 s[12:13], 15, v36
	v_cndmask_b32_e64 v44, v43, v28, s[8:9]
	v_add_co_u32_e64 v36, s[8:9], 1, v36
	v_addc_co_u32_e64 v37, s[8:9], 0, v37, s[8:9]
	v_cndmask_b32_e64 v43, v42, v33, s[12:13]
	v_cndmask_b32_e64 v42, v44, v30, s[10:11]
	v_add_u32_e32 v44, -1, v36
	v_cndmask_b32_e64 v42, v42, v32, s[12:13]
	v_cmp_lt_u32_e64 s[8:9], 5, v44
	v_add_u32_e32 v39, 8, v39
	s_or_b64 s[16:17], s[8:9], s[16:17]
	s_waitcnt lgkmcnt(0)
	v_fmac_f64_e32 v[34:35], v[42:43], v[40:41]
	s_andn2_b64 exec, exec, s[16:17]
	s_cbranch_execnz .LBB79_39
; %bb.40:
	s_or_b64 exec, exec, s[16:17]
	v_mov_b32_e32 v16, 0
	ds_read_b64 v[16:17], v16 offset:56
	s_waitcnt lgkmcnt(0)
	v_mul_f64 v[16:17], v[34:35], v[16:17]
.LBB79_41:
	s_or_b64 exec, exec, s[14:15]
	v_cmp_gt_u32_e64 s[8:9], 8, v0
	s_waitcnt lgkmcnt(0)
	; wave barrier
	ds_write_b64 v38, v[18:19]
	s_waitcnt lgkmcnt(0)
	; wave barrier
	s_waitcnt lgkmcnt(0)
	s_and_saveexec_b64 s[40:41], s[8:9]
	s_cbranch_execz .LBB79_57
; %bb.42:
	v_cmp_eq_u32_e64 s[8:9], 1, v0
	v_cndmask_b32_e64 v34, v3, v5, s[8:9]
	v_cmp_eq_u32_e64 s[10:11], 2, v0
	v_cndmask_b32_e64 v34, v34, v7, s[10:11]
	;; [unrolled: 2-line block ×15, first 2 shown]
	v_cndmask_b32_e64 v34, v2, v4, s[8:9]
	v_cndmask_b32_e64 v34, v34, v6, s[10:11]
	;; [unrolled: 1-line block ×11, first 2 shown]
	ds_read_b64 v[36:37], v38
	v_cndmask_b32_e64 v34, v34, v26, s[30:31]
	v_cndmask_b32_e64 v34, v34, v28, s[34:35]
	;; [unrolled: 1-line block ×4, first 2 shown]
	s_waitcnt lgkmcnt(0)
	v_fma_f64 v[34:35], v[34:35], v[36:37], 0
	v_cmp_ne_u32_e64 s[8:9], 7, v0
	s_and_saveexec_b64 s[48:49], s[8:9]
	s_cbranch_execz .LBB79_56
; %bb.43:
	v_add_u32_e32 v36, 1, v0
	v_cmp_eq_u32_e64 s[8:9], 1, v36
	v_cndmask_b32_e64 v37, v3, v5, s[8:9]
	v_cmp_eq_u32_e64 s[10:11], 2, v36
	v_cmp_eq_u32_e64 s[12:13], 3, v36
	;; [unrolled: 1-line block ×14, first 2 shown]
	v_cndmask_b32_e64 v36, v2, v4, s[8:9]
	v_cndmask_b32_e64 v37, v37, v7, s[10:11]
	;; [unrolled: 1-line block ×21, first 2 shown]
	ds_read_b64 v[40:41], v38 offset:8
	v_cndmask_b32_e64 v37, v37, v27, s[30:31]
	v_cndmask_b32_e64 v36, v36, v26, s[30:31]
	;; [unrolled: 1-line block ×8, first 2 shown]
	s_waitcnt lgkmcnt(0)
	v_fmac_f64_e32 v[34:35], v[36:37], v[40:41]
	s_and_saveexec_b64 s[38:39], s[4:5]
	s_cbranch_execz .LBB79_55
; %bb.44:
	v_add_u32_e32 v36, 2, v0
	v_cmp_eq_u32_e64 s[4:5], 1, v36
	v_cndmask_b32_e64 v37, v3, v5, s[4:5]
	v_cmp_eq_u32_e64 s[8:9], 2, v36
	v_cmp_eq_u32_e64 s[10:11], 3, v36
	;; [unrolled: 1-line block ×14, first 2 shown]
	v_cndmask_b32_e64 v36, v2, v4, s[4:5]
	v_cndmask_b32_e64 v37, v37, v7, s[8:9]
	;; [unrolled: 1-line block ×21, first 2 shown]
	ds_read_b64 v[40:41], v38 offset:16
	v_cndmask_b32_e64 v37, v37, v27, s[28:29]
	v_cndmask_b32_e64 v36, v36, v26, s[28:29]
	;; [unrolled: 1-line block ×8, first 2 shown]
	s_waitcnt lgkmcnt(0)
	v_fmac_f64_e32 v[34:35], v[36:37], v[40:41]
	v_cmp_ne_u32_e64 s[4:5], 5, v0
	s_and_saveexec_b64 s[50:51], s[4:5]
	s_cbranch_execz .LBB79_54
; %bb.45:
	v_add_u32_e32 v36, 3, v0
	v_cmp_eq_u32_e64 s[4:5], 1, v36
	v_cndmask_b32_e64 v37, v3, v5, s[4:5]
	v_cmp_eq_u32_e64 s[8:9], 2, v36
	v_cmp_eq_u32_e64 s[10:11], 3, v36
	;; [unrolled: 1-line block ×14, first 2 shown]
	v_cndmask_b32_e64 v36, v2, v4, s[4:5]
	v_cndmask_b32_e64 v37, v37, v7, s[8:9]
	;; [unrolled: 1-line block ×21, first 2 shown]
	ds_read_b64 v[40:41], v38 offset:24
	v_cndmask_b32_e64 v37, v37, v27, s[28:29]
	v_cndmask_b32_e64 v36, v36, v26, s[28:29]
	;; [unrolled: 1-line block ×8, first 2 shown]
	s_waitcnt lgkmcnt(0)
	v_fmac_f64_e32 v[34:35], v[36:37], v[40:41]
	s_and_saveexec_b64 s[36:37], s[2:3]
	s_cbranch_execz .LBB79_53
; %bb.46:
	v_or_b32_e32 v36, 4, v0
	v_cmp_eq_u32_e64 s[2:3], 1, v36
	v_cndmask_b32_e64 v37, v3, v5, s[2:3]
	v_cmp_eq_u32_e64 s[4:5], 2, v36
	v_cmp_eq_u32_e64 s[8:9], 3, v36
	;; [unrolled: 1-line block ×14, first 2 shown]
	v_cndmask_b32_e64 v36, v2, v4, s[2:3]
	v_cndmask_b32_e64 v37, v37, v7, s[4:5]
	;; [unrolled: 1-line block ×21, first 2 shown]
	ds_read_b64 v[40:41], v38 offset:32
	v_cndmask_b32_e64 v37, v37, v27, s[26:27]
	v_cndmask_b32_e64 v36, v36, v26, s[26:27]
	;; [unrolled: 1-line block ×8, first 2 shown]
	s_waitcnt lgkmcnt(0)
	v_fmac_f64_e32 v[34:35], v[36:37], v[40:41]
	v_cmp_ne_u32_e64 s[2:3], 3, v0
	s_and_saveexec_b64 s[52:53], s[2:3]
	s_cbranch_execz .LBB79_52
; %bb.47:
	v_add_u32_e32 v36, 5, v0
	v_cmp_eq_u32_e64 s[2:3], 1, v36
	v_cndmask_b32_e64 v37, v3, v5, s[2:3]
	v_cmp_eq_u32_e64 s[4:5], 2, v36
	v_cmp_eq_u32_e64 s[8:9], 3, v36
	;; [unrolled: 1-line block ×14, first 2 shown]
	v_cndmask_b32_e64 v36, v2, v4, s[2:3]
	v_cndmask_b32_e64 v37, v37, v7, s[4:5]
	;; [unrolled: 1-line block ×21, first 2 shown]
	ds_read_b64 v[40:41], v38 offset:40
	v_cndmask_b32_e64 v37, v37, v27, s[26:27]
	v_cndmask_b32_e64 v36, v36, v26, s[26:27]
	;; [unrolled: 1-line block ×8, first 2 shown]
	s_waitcnt lgkmcnt(0)
	v_fmac_f64_e32 v[34:35], v[36:37], v[40:41]
	s_and_saveexec_b64 s[34:35], vcc
	s_cbranch_execz .LBB79_51
; %bb.48:
	v_or_b32_e32 v36, 6, v0
	v_cmp_eq_u32_e32 vcc, 1, v36
	v_cndmask_b32_e32 v37, v3, v5, vcc
	v_cmp_eq_u32_e64 s[2:3], 2, v36
	v_cmp_eq_u32_e64 s[4:5], 3, v36
	;; [unrolled: 1-line block ×14, first 2 shown]
	v_cndmask_b32_e32 v36, v2, v4, vcc
	v_cndmask_b32_e64 v37, v37, v7, s[2:3]
	v_cndmask_b32_e64 v36, v36, v6, s[2:3]
	;; [unrolled: 1-line block ×20, first 2 shown]
	ds_read_b64 v[36:37], v38 offset:48
	v_cndmask_b32_e64 v19, v19, v27, s[24:25]
	v_cndmask_b32_e64 v18, v18, v26, s[24:25]
	;; [unrolled: 1-line block ×8, first 2 shown]
	s_waitcnt lgkmcnt(0)
	v_fmac_f64_e32 v[34:35], v[18:19], v[36:37]
	s_and_saveexec_b64 s[2:3], s[0:1]
	s_cbranch_execz .LBB79_50
; %bb.49:
	ds_read_b64 v[18:19], v38 offset:56
	s_waitcnt lgkmcnt(0)
	v_fmac_f64_e32 v[34:35], v[16:17], v[18:19]
.LBB79_50:
	s_or_b64 exec, exec, s[2:3]
.LBB79_51:
	s_or_b64 exec, exec, s[34:35]
.LBB79_52:
	s_or_b64 exec, exec, s[52:53]
.LBB79_53:
	s_or_b64 exec, exec, s[36:37]
.LBB79_54:
	s_or_b64 exec, exec, s[50:51]
.LBB79_55:
	s_or_b64 exec, exec, s[38:39]
.LBB79_56:
	s_or_b64 exec, exec, s[48:49]
	v_mov_b32_e32 v18, 0
	ds_read_b64 v[18:19], v18 offset:64
	s_waitcnt lgkmcnt(0)
	v_mul_f64 v[18:19], v[34:35], v[18:19]
.LBB79_57:
	s_or_b64 exec, exec, s[40:41]
	v_cmp_gt_u32_e32 vcc, 9, v0
	s_waitcnt lgkmcnt(0)
	; wave barrier
	ds_write_b64 v38, v[20:21]
	s_waitcnt lgkmcnt(0)
	; wave barrier
	s_waitcnt lgkmcnt(0)
	s_and_saveexec_b64 s[4:5], vcc
	s_cbranch_execz .LBB79_61
; %bb.58:
	v_mov_b32_e32 v34, 0x80
	v_lshl_add_u32 v39, v0, 3, v34
	s_mov_b64 s[8:9], 0
	v_pk_mov_b32 v[34:35], 0, 0
	v_pk_mov_b32 v[36:37], v[0:1], v[0:1] op_sel:[0,1]
.LBB79_59:                              ; =>This Inner Loop Header: Depth=1
	v_cmp_eq_u32_e32 vcc, 1, v36
	v_cndmask_b32_e32 v42, v3, v5, vcc
	v_cmp_eq_u32_e64 s[0:1], 2, v36
	v_cndmask_b32_e64 v42, v42, v7, s[0:1]
	v_cndmask_b32_e32 v43, v2, v4, vcc
	v_cmp_eq_u32_e32 vcc, 3, v36
	v_cndmask_b32_e32 v42, v42, v9, vcc
	v_cndmask_b32_e64 v43, v43, v6, s[0:1]
	v_cmp_eq_u32_e64 s[0:1], 4, v36
	v_cndmask_b32_e64 v42, v42, v11, s[0:1]
	v_cndmask_b32_e32 v43, v43, v8, vcc
	v_cmp_eq_u32_e32 vcc, 5, v36
	v_cndmask_b32_e32 v42, v42, v13, vcc
	v_cndmask_b32_e64 v43, v43, v10, s[0:1]
	;; [unrolled: 6-line block ×5, first 2 shown]
	v_cmp_eq_u32_e64 s[0:1], 12, v36
	ds_read_b64 v[40:41], v39
	v_cndmask_b32_e64 v42, v42, v27, s[0:1]
	v_cndmask_b32_e32 v43, v43, v24, vcc
	v_cmp_eq_u32_e32 vcc, 13, v36
	v_cndmask_b32_e32 v42, v42, v29, vcc
	v_cndmask_b32_e64 v43, v43, v26, s[0:1]
	v_cmp_eq_u32_e64 s[0:1], 14, v36
	v_cndmask_b32_e64 v42, v42, v31, s[0:1]
	v_cmp_eq_u32_e64 s[2:3], 15, v36
	v_cndmask_b32_e32 v44, v43, v28, vcc
	v_add_co_u32_e32 v36, vcc, 1, v36
	v_addc_co_u32_e32 v37, vcc, 0, v37, vcc
	v_cndmask_b32_e64 v43, v42, v33, s[2:3]
	v_cndmask_b32_e64 v42, v44, v30, s[0:1]
	v_add_u32_e32 v44, -1, v36
	v_cndmask_b32_e64 v42, v42, v32, s[2:3]
	v_cmp_lt_u32_e32 vcc, 7, v44
	v_add_u32_e32 v39, 8, v39
	s_or_b64 s[8:9], vcc, s[8:9]
	s_waitcnt lgkmcnt(0)
	v_fmac_f64_e32 v[34:35], v[42:43], v[40:41]
	s_andn2_b64 exec, exec, s[8:9]
	s_cbranch_execnz .LBB79_59
; %bb.60:
	s_or_b64 exec, exec, s[8:9]
	v_mov_b32_e32 v20, 0
	ds_read_b64 v[20:21], v20 offset:72
	s_waitcnt lgkmcnt(0)
	v_mul_f64 v[20:21], v[34:35], v[20:21]
.LBB79_61:
	s_or_b64 exec, exec, s[4:5]
	v_cmp_gt_u32_e32 vcc, 10, v0
	s_waitcnt lgkmcnt(0)
	; wave barrier
	ds_write_b64 v38, v[22:23]
	s_waitcnt lgkmcnt(0)
	; wave barrier
	s_waitcnt lgkmcnt(0)
	s_and_saveexec_b64 s[4:5], vcc
	s_cbranch_execz .LBB79_65
; %bb.62:
	v_mov_b32_e32 v34, 0x80
	v_lshl_add_u32 v39, v0, 3, v34
	s_mov_b64 s[8:9], 0
	v_pk_mov_b32 v[34:35], 0, 0
	v_pk_mov_b32 v[36:37], v[0:1], v[0:1] op_sel:[0,1]
.LBB79_63:                              ; =>This Inner Loop Header: Depth=1
	v_cmp_eq_u32_e32 vcc, 1, v36
	v_cndmask_b32_e32 v42, v3, v5, vcc
	v_cmp_eq_u32_e64 s[0:1], 2, v36
	v_cndmask_b32_e64 v42, v42, v7, s[0:1]
	v_cndmask_b32_e32 v43, v2, v4, vcc
	v_cmp_eq_u32_e32 vcc, 3, v36
	v_cndmask_b32_e32 v42, v42, v9, vcc
	v_cndmask_b32_e64 v43, v43, v6, s[0:1]
	v_cmp_eq_u32_e64 s[0:1], 4, v36
	v_cndmask_b32_e64 v42, v42, v11, s[0:1]
	v_cndmask_b32_e32 v43, v43, v8, vcc
	v_cmp_eq_u32_e32 vcc, 5, v36
	v_cndmask_b32_e32 v42, v42, v13, vcc
	v_cndmask_b32_e64 v43, v43, v10, s[0:1]
	;; [unrolled: 6-line block ×5, first 2 shown]
	v_cmp_eq_u32_e64 s[0:1], 12, v36
	ds_read_b64 v[40:41], v39
	v_cndmask_b32_e64 v42, v42, v27, s[0:1]
	v_cndmask_b32_e32 v43, v43, v24, vcc
	v_cmp_eq_u32_e32 vcc, 13, v36
	v_cndmask_b32_e32 v42, v42, v29, vcc
	v_cndmask_b32_e64 v43, v43, v26, s[0:1]
	v_cmp_eq_u32_e64 s[0:1], 14, v36
	v_cndmask_b32_e64 v42, v42, v31, s[0:1]
	v_cmp_eq_u32_e64 s[2:3], 15, v36
	v_cndmask_b32_e32 v44, v43, v28, vcc
	v_add_co_u32_e32 v36, vcc, 1, v36
	v_addc_co_u32_e32 v37, vcc, 0, v37, vcc
	v_cndmask_b32_e64 v43, v42, v33, s[2:3]
	v_cndmask_b32_e64 v42, v44, v30, s[0:1]
	v_add_u32_e32 v44, -1, v36
	v_cndmask_b32_e64 v42, v42, v32, s[2:3]
	v_cmp_lt_u32_e32 vcc, 8, v44
	v_add_u32_e32 v39, 8, v39
	s_or_b64 s[8:9], vcc, s[8:9]
	s_waitcnt lgkmcnt(0)
	v_fmac_f64_e32 v[34:35], v[42:43], v[40:41]
	s_andn2_b64 exec, exec, s[8:9]
	s_cbranch_execnz .LBB79_63
; %bb.64:
	s_or_b64 exec, exec, s[8:9]
	v_mov_b32_e32 v22, 0
	ds_read_b64 v[22:23], v22 offset:80
	s_waitcnt lgkmcnt(0)
	v_mul_f64 v[22:23], v[34:35], v[22:23]
.LBB79_65:
	s_or_b64 exec, exec, s[4:5]
	v_cmp_gt_u32_e32 vcc, 11, v0
	s_waitcnt lgkmcnt(0)
	; wave barrier
	ds_write_b64 v38, v[24:25]
	s_waitcnt lgkmcnt(0)
	; wave barrier
	s_waitcnt lgkmcnt(0)
	s_and_saveexec_b64 s[4:5], vcc
	s_cbranch_execz .LBB79_69
; %bb.66:
	v_mov_b32_e32 v34, 0x80
	v_lshl_add_u32 v39, v0, 3, v34
	s_mov_b64 s[8:9], 0
	v_pk_mov_b32 v[34:35], 0, 0
	v_pk_mov_b32 v[36:37], v[0:1], v[0:1] op_sel:[0,1]
.LBB79_67:                              ; =>This Inner Loop Header: Depth=1
	v_cmp_eq_u32_e32 vcc, 1, v36
	v_cndmask_b32_e32 v42, v3, v5, vcc
	v_cmp_eq_u32_e64 s[0:1], 2, v36
	v_cndmask_b32_e64 v42, v42, v7, s[0:1]
	v_cndmask_b32_e32 v43, v2, v4, vcc
	v_cmp_eq_u32_e32 vcc, 3, v36
	v_cndmask_b32_e32 v42, v42, v9, vcc
	v_cndmask_b32_e64 v43, v43, v6, s[0:1]
	v_cmp_eq_u32_e64 s[0:1], 4, v36
	v_cndmask_b32_e64 v42, v42, v11, s[0:1]
	v_cndmask_b32_e32 v43, v43, v8, vcc
	v_cmp_eq_u32_e32 vcc, 5, v36
	v_cndmask_b32_e32 v42, v42, v13, vcc
	v_cndmask_b32_e64 v43, v43, v10, s[0:1]
	;; [unrolled: 6-line block ×5, first 2 shown]
	v_cmp_eq_u32_e64 s[0:1], 12, v36
	ds_read_b64 v[40:41], v39
	v_cndmask_b32_e64 v42, v42, v27, s[0:1]
	v_cndmask_b32_e32 v43, v43, v24, vcc
	v_cmp_eq_u32_e32 vcc, 13, v36
	v_cndmask_b32_e32 v42, v42, v29, vcc
	v_cndmask_b32_e64 v43, v43, v26, s[0:1]
	v_cmp_eq_u32_e64 s[0:1], 14, v36
	v_cndmask_b32_e64 v42, v42, v31, s[0:1]
	v_cmp_eq_u32_e64 s[2:3], 15, v36
	v_cndmask_b32_e32 v44, v43, v28, vcc
	v_add_co_u32_e32 v36, vcc, 1, v36
	v_addc_co_u32_e32 v37, vcc, 0, v37, vcc
	v_cndmask_b32_e64 v43, v42, v33, s[2:3]
	v_cndmask_b32_e64 v42, v44, v30, s[0:1]
	v_add_u32_e32 v44, -1, v36
	v_cndmask_b32_e64 v42, v42, v32, s[2:3]
	v_cmp_lt_u32_e32 vcc, 9, v44
	v_add_u32_e32 v39, 8, v39
	s_or_b64 s[8:9], vcc, s[8:9]
	s_waitcnt lgkmcnt(0)
	v_fmac_f64_e32 v[34:35], v[42:43], v[40:41]
	s_andn2_b64 exec, exec, s[8:9]
	s_cbranch_execnz .LBB79_67
; %bb.68:
	s_or_b64 exec, exec, s[8:9]
	v_mov_b32_e32 v24, 0
	ds_read_b64 v[24:25], v24 offset:88
	s_waitcnt lgkmcnt(0)
	v_mul_f64 v[24:25], v[34:35], v[24:25]
.LBB79_69:
	s_or_b64 exec, exec, s[4:5]
	v_cmp_gt_u32_e32 vcc, 12, v0
	s_waitcnt lgkmcnt(0)
	; wave barrier
	ds_write_b64 v38, v[26:27]
	s_waitcnt lgkmcnt(0)
	; wave barrier
	s_waitcnt lgkmcnt(0)
	s_and_saveexec_b64 s[4:5], vcc
	s_cbranch_execz .LBB79_73
; %bb.70:
	v_mov_b32_e32 v34, 0x80
	v_lshl_add_u32 v39, v0, 3, v34
	s_mov_b64 s[8:9], 0
	v_pk_mov_b32 v[34:35], 0, 0
	v_pk_mov_b32 v[36:37], v[0:1], v[0:1] op_sel:[0,1]
.LBB79_71:                              ; =>This Inner Loop Header: Depth=1
	v_cmp_eq_u32_e32 vcc, 1, v36
	v_cndmask_b32_e32 v42, v3, v5, vcc
	v_cmp_eq_u32_e64 s[0:1], 2, v36
	v_cndmask_b32_e64 v42, v42, v7, s[0:1]
	v_cndmask_b32_e32 v43, v2, v4, vcc
	v_cmp_eq_u32_e32 vcc, 3, v36
	v_cndmask_b32_e32 v42, v42, v9, vcc
	v_cndmask_b32_e64 v43, v43, v6, s[0:1]
	v_cmp_eq_u32_e64 s[0:1], 4, v36
	v_cndmask_b32_e64 v42, v42, v11, s[0:1]
	v_cndmask_b32_e32 v43, v43, v8, vcc
	v_cmp_eq_u32_e32 vcc, 5, v36
	v_cndmask_b32_e32 v42, v42, v13, vcc
	v_cndmask_b32_e64 v43, v43, v10, s[0:1]
	;; [unrolled: 6-line block ×5, first 2 shown]
	v_cmp_eq_u32_e64 s[0:1], 12, v36
	ds_read_b64 v[40:41], v39
	v_cndmask_b32_e64 v42, v42, v27, s[0:1]
	v_cndmask_b32_e32 v43, v43, v24, vcc
	v_cmp_eq_u32_e32 vcc, 13, v36
	v_cndmask_b32_e32 v42, v42, v29, vcc
	v_cndmask_b32_e64 v43, v43, v26, s[0:1]
	v_cmp_eq_u32_e64 s[0:1], 14, v36
	v_cndmask_b32_e64 v42, v42, v31, s[0:1]
	v_cmp_eq_u32_e64 s[2:3], 15, v36
	v_cndmask_b32_e32 v44, v43, v28, vcc
	v_add_co_u32_e32 v36, vcc, 1, v36
	v_addc_co_u32_e32 v37, vcc, 0, v37, vcc
	v_cndmask_b32_e64 v43, v42, v33, s[2:3]
	v_cndmask_b32_e64 v42, v44, v30, s[0:1]
	v_add_u32_e32 v44, -1, v36
	v_cndmask_b32_e64 v42, v42, v32, s[2:3]
	v_cmp_lt_u32_e32 vcc, 10, v44
	v_add_u32_e32 v39, 8, v39
	s_or_b64 s[8:9], vcc, s[8:9]
	s_waitcnt lgkmcnt(0)
	v_fmac_f64_e32 v[34:35], v[42:43], v[40:41]
	s_andn2_b64 exec, exec, s[8:9]
	s_cbranch_execnz .LBB79_71
; %bb.72:
	s_or_b64 exec, exec, s[8:9]
	v_mov_b32_e32 v26, 0
	ds_read_b64 v[26:27], v26 offset:96
	s_waitcnt lgkmcnt(0)
	v_mul_f64 v[26:27], v[34:35], v[26:27]
.LBB79_73:
	s_or_b64 exec, exec, s[4:5]
	v_cmp_gt_u32_e32 vcc, 13, v0
	s_waitcnt lgkmcnt(0)
	; wave barrier
	ds_write_b64 v38, v[28:29]
	s_waitcnt lgkmcnt(0)
	; wave barrier
	s_waitcnt lgkmcnt(0)
	s_and_saveexec_b64 s[4:5], vcc
	s_cbranch_execz .LBB79_77
; %bb.74:
	v_mov_b32_e32 v34, 0x80
	v_lshl_add_u32 v39, v0, 3, v34
	s_mov_b64 s[8:9], 0
	v_pk_mov_b32 v[34:35], 0, 0
	v_pk_mov_b32 v[36:37], v[0:1], v[0:1] op_sel:[0,1]
.LBB79_75:                              ; =>This Inner Loop Header: Depth=1
	v_cmp_eq_u32_e32 vcc, 1, v36
	v_cndmask_b32_e32 v42, v3, v5, vcc
	v_cmp_eq_u32_e64 s[0:1], 2, v36
	v_cndmask_b32_e64 v42, v42, v7, s[0:1]
	v_cndmask_b32_e32 v43, v2, v4, vcc
	v_cmp_eq_u32_e32 vcc, 3, v36
	v_cndmask_b32_e32 v42, v42, v9, vcc
	v_cndmask_b32_e64 v43, v43, v6, s[0:1]
	v_cmp_eq_u32_e64 s[0:1], 4, v36
	v_cndmask_b32_e64 v42, v42, v11, s[0:1]
	v_cndmask_b32_e32 v43, v43, v8, vcc
	v_cmp_eq_u32_e32 vcc, 5, v36
	v_cndmask_b32_e32 v42, v42, v13, vcc
	v_cndmask_b32_e64 v43, v43, v10, s[0:1]
	;; [unrolled: 6-line block ×5, first 2 shown]
	v_cmp_eq_u32_e64 s[0:1], 12, v36
	ds_read_b64 v[40:41], v39
	v_cndmask_b32_e64 v42, v42, v27, s[0:1]
	v_cndmask_b32_e32 v43, v43, v24, vcc
	v_cmp_eq_u32_e32 vcc, 13, v36
	v_cndmask_b32_e32 v42, v42, v29, vcc
	v_cndmask_b32_e64 v43, v43, v26, s[0:1]
	v_cmp_eq_u32_e64 s[0:1], 14, v36
	v_cndmask_b32_e64 v42, v42, v31, s[0:1]
	v_cmp_eq_u32_e64 s[2:3], 15, v36
	v_cndmask_b32_e32 v44, v43, v28, vcc
	v_add_co_u32_e32 v36, vcc, 1, v36
	v_addc_co_u32_e32 v37, vcc, 0, v37, vcc
	v_cndmask_b32_e64 v43, v42, v33, s[2:3]
	v_cndmask_b32_e64 v42, v44, v30, s[0:1]
	v_add_u32_e32 v44, -1, v36
	v_cndmask_b32_e64 v42, v42, v32, s[2:3]
	v_cmp_lt_u32_e32 vcc, 11, v44
	v_add_u32_e32 v39, 8, v39
	s_or_b64 s[8:9], vcc, s[8:9]
	s_waitcnt lgkmcnt(0)
	v_fmac_f64_e32 v[34:35], v[42:43], v[40:41]
	s_andn2_b64 exec, exec, s[8:9]
	s_cbranch_execnz .LBB79_75
; %bb.76:
	s_or_b64 exec, exec, s[8:9]
	v_mov_b32_e32 v28, 0
	ds_read_b64 v[28:29], v28 offset:104
	s_waitcnt lgkmcnt(0)
	v_mul_f64 v[28:29], v[34:35], v[28:29]
.LBB79_77:
	s_or_b64 exec, exec, s[4:5]
	v_cmp_gt_u32_e32 vcc, 14, v0
	s_waitcnt lgkmcnt(0)
	; wave barrier
	ds_write_b64 v38, v[30:31]
	s_waitcnt lgkmcnt(0)
	; wave barrier
	s_waitcnt lgkmcnt(0)
	s_and_saveexec_b64 s[4:5], vcc
	s_cbranch_execz .LBB79_81
; %bb.78:
	v_mov_b32_e32 v34, 0x80
	v_lshl_add_u32 v39, v0, 3, v34
	s_mov_b64 s[8:9], 0
	v_pk_mov_b32 v[34:35], 0, 0
	v_pk_mov_b32 v[36:37], v[0:1], v[0:1] op_sel:[0,1]
.LBB79_79:                              ; =>This Inner Loop Header: Depth=1
	v_cmp_eq_u32_e32 vcc, 1, v36
	v_cndmask_b32_e32 v42, v3, v5, vcc
	v_cmp_eq_u32_e64 s[0:1], 2, v36
	v_cndmask_b32_e64 v42, v42, v7, s[0:1]
	v_cndmask_b32_e32 v43, v2, v4, vcc
	v_cmp_eq_u32_e32 vcc, 3, v36
	v_cndmask_b32_e32 v42, v42, v9, vcc
	v_cndmask_b32_e64 v43, v43, v6, s[0:1]
	v_cmp_eq_u32_e64 s[0:1], 4, v36
	v_cndmask_b32_e64 v42, v42, v11, s[0:1]
	v_cndmask_b32_e32 v43, v43, v8, vcc
	v_cmp_eq_u32_e32 vcc, 5, v36
	v_cndmask_b32_e32 v42, v42, v13, vcc
	v_cndmask_b32_e64 v43, v43, v10, s[0:1]
	;; [unrolled: 6-line block ×5, first 2 shown]
	v_cmp_eq_u32_e64 s[0:1], 12, v36
	ds_read_b64 v[40:41], v39
	v_cndmask_b32_e64 v42, v42, v27, s[0:1]
	v_cndmask_b32_e32 v43, v43, v24, vcc
	v_cmp_eq_u32_e32 vcc, 13, v36
	v_cndmask_b32_e32 v42, v42, v29, vcc
	v_cndmask_b32_e64 v43, v43, v26, s[0:1]
	v_cmp_eq_u32_e64 s[0:1], 14, v36
	v_cndmask_b32_e64 v42, v42, v31, s[0:1]
	v_cmp_eq_u32_e64 s[2:3], 15, v36
	v_cndmask_b32_e32 v44, v43, v28, vcc
	v_add_co_u32_e32 v36, vcc, 1, v36
	v_addc_co_u32_e32 v37, vcc, 0, v37, vcc
	v_cndmask_b32_e64 v43, v42, v33, s[2:3]
	v_cndmask_b32_e64 v42, v44, v30, s[0:1]
	v_add_u32_e32 v44, -1, v36
	v_cndmask_b32_e64 v42, v42, v32, s[2:3]
	v_cmp_lt_u32_e32 vcc, 12, v44
	v_add_u32_e32 v39, 8, v39
	s_or_b64 s[8:9], vcc, s[8:9]
	s_waitcnt lgkmcnt(0)
	v_fmac_f64_e32 v[34:35], v[42:43], v[40:41]
	s_andn2_b64 exec, exec, s[8:9]
	s_cbranch_execnz .LBB79_79
; %bb.80:
	s_or_b64 exec, exec, s[8:9]
	v_mov_b32_e32 v30, 0
	ds_read_b64 v[30:31], v30 offset:112
	s_waitcnt lgkmcnt(0)
	v_mul_f64 v[30:31], v[34:35], v[30:31]
.LBB79_81:
	s_or_b64 exec, exec, s[4:5]
	v_cmp_ne_u32_e32 vcc, 15, v0
	s_waitcnt lgkmcnt(0)
	; wave barrier
	ds_write_b64 v38, v[32:33]
	s_waitcnt lgkmcnt(0)
	; wave barrier
	s_waitcnt lgkmcnt(0)
	s_and_saveexec_b64 s[4:5], vcc
	s_cbranch_execz .LBB79_85
; %bb.82:
	v_mov_b32_e32 v34, 0x80
	v_lshl_add_u32 v38, v0, 3, v34
	s_mov_b64 s[8:9], 0
	v_pk_mov_b32 v[34:35], 0, 0
	v_pk_mov_b32 v[36:37], v[0:1], v[0:1] op_sel:[0,1]
.LBB79_83:                              ; =>This Inner Loop Header: Depth=1
	v_cmp_eq_u32_e32 vcc, 1, v36
	v_cndmask_b32_e32 v1, v3, v5, vcc
	v_cmp_eq_u32_e64 s[0:1], 2, v36
	v_cndmask_b32_e64 v1, v1, v7, s[0:1]
	v_cndmask_b32_e32 v39, v2, v4, vcc
	v_cmp_eq_u32_e32 vcc, 3, v36
	v_cndmask_b32_e32 v1, v1, v9, vcc
	v_cndmask_b32_e64 v39, v39, v6, s[0:1]
	v_cmp_eq_u32_e64 s[0:1], 4, v36
	v_cndmask_b32_e64 v1, v1, v11, s[0:1]
	v_cndmask_b32_e32 v39, v39, v8, vcc
	v_cmp_eq_u32_e32 vcc, 5, v36
	v_cndmask_b32_e32 v1, v1, v13, vcc
	v_cndmask_b32_e64 v39, v39, v10, s[0:1]
	;; [unrolled: 6-line block ×5, first 2 shown]
	v_cmp_eq_u32_e64 s[0:1], 12, v36
	ds_read_b64 v[40:41], v38
	v_cndmask_b32_e64 v1, v1, v27, s[0:1]
	v_cndmask_b32_e32 v39, v39, v24, vcc
	v_cmp_eq_u32_e32 vcc, 13, v36
	v_cndmask_b32_e32 v1, v1, v29, vcc
	v_cndmask_b32_e64 v39, v39, v26, s[0:1]
	v_cmp_eq_u32_e64 s[0:1], 14, v36
	v_cndmask_b32_e64 v1, v1, v31, s[0:1]
	v_cmp_eq_u32_e64 s[2:3], 15, v36
	v_cndmask_b32_e32 v39, v39, v28, vcc
	v_add_co_u32_e32 v36, vcc, 1, v36
	v_addc_co_u32_e32 v37, vcc, 0, v37, vcc
	v_cndmask_b32_e64 v43, v1, v33, s[2:3]
	v_cndmask_b32_e64 v1, v39, v30, s[0:1]
	v_add_u32_e32 v39, -1, v36
	v_cndmask_b32_e64 v42, v1, v32, s[2:3]
	v_cmp_lt_u32_e32 vcc, 13, v39
	v_add_u32_e32 v38, 8, v38
	s_or_b64 s[8:9], vcc, s[8:9]
	s_waitcnt lgkmcnt(0)
	v_fmac_f64_e32 v[34:35], v[42:43], v[40:41]
	s_andn2_b64 exec, exec, s[8:9]
	s_cbranch_execnz .LBB79_83
; %bb.84:
	s_or_b64 exec, exec, s[8:9]
	v_mov_b32_e32 v1, 0
	ds_read_b64 v[32:33], v1 offset:120
	s_waitcnt lgkmcnt(0)
	v_mul_f64 v[32:33], v[34:35], v[32:33]
.LBB79_85:
	s_or_b64 exec, exec, s[4:5]
	s_waitcnt lgkmcnt(0)
	; wave barrier
	s_cbranch_execnz .LBB79_15
	s_branch .LBB79_16
.LBB79_86:
	v_mov_b32_e32 v1, 0x80
	v_lshl_add_u32 v1, v0, 3, v1
	v_cmp_eq_u32_e32 vcc, 15, v0
	s_and_saveexec_b64 s[0:1], vcc
	s_cbranch_execz .LBB79_88
; %bb.87:
	v_pk_mov_b32 v[62:63], v[32:33], v[32:33] op_sel:[0,1]
	s_mov_b32 s2, 0
	v_pk_mov_b32 v[60:61], v[30:31], v[30:31] op_sel:[0,1]
	v_pk_mov_b32 v[58:59], v[28:29], v[28:29] op_sel:[0,1]
	;; [unrolled: 1-line block ×15, first 2 shown]
	v_mov_b32_e32 v60, s2
	v_mov_b32_e32 v61, s2
	ds_write_b64 v1, v[30:31]
	v_pk_mov_b32 v[2:3], v[32:33], v[32:33] op_sel:[0,1]
	v_pk_mov_b32 v[4:5], v[34:35], v[34:35] op_sel:[0,1]
	;; [unrolled: 1-line block ×16, first 2 shown]
.LBB79_88:
	s_or_b64 exec, exec, s[0:1]
	v_mov_b32_e32 v62, 0
	s_waitcnt lgkmcnt(0)
	; wave barrier
	s_waitcnt lgkmcnt(0)
	ds_read_b64 v[34:35], v62 offset:248
	v_cmp_lt_u32_e32 vcc, 13, v0
	s_waitcnt lgkmcnt(0)
	v_fma_f64 v[34:35], v[32:33], v[34:35], 0
	v_add_f64 v[30:31], v[30:31], -v[34:35]
	s_and_saveexec_b64 s[0:1], vcc
	s_cbranch_execz .LBB79_90
; %bb.89:
	v_pk_mov_b32 v[60:61], v[32:33], v[32:33] op_sel:[0,1]
	s_mov_b32 s2, 0
	v_pk_mov_b32 v[58:59], v[30:31], v[30:31] op_sel:[0,1]
	v_pk_mov_b32 v[56:57], v[28:29], v[28:29] op_sel:[0,1]
	;; [unrolled: 1-line block ×15, first 2 shown]
	v_mov_b32_e32 v56, s2
	v_mov_b32_e32 v57, s2
	ds_write_b64 v1, v[28:29]
	v_pk_mov_b32 v[2:3], v[30:31], v[30:31] op_sel:[0,1]
	v_pk_mov_b32 v[4:5], v[32:33], v[32:33] op_sel:[0,1]
	;; [unrolled: 1-line block ×16, first 2 shown]
.LBB79_90:
	s_or_b64 exec, exec, s[0:1]
	s_waitcnt lgkmcnt(0)
	; wave barrier
	s_waitcnt lgkmcnt(0)
	ds_read_b128 v[34:37], v62 offset:240
	v_cmp_lt_u32_e32 vcc, 12, v0
	s_waitcnt lgkmcnt(0)
	v_fma_f64 v[34:35], v[30:31], v[34:35], 0
	v_fmac_f64_e32 v[34:35], v[32:33], v[36:37]
	v_add_f64 v[28:29], v[28:29], -v[34:35]
	s_and_saveexec_b64 s[0:1], vcc
	s_cbranch_execz .LBB79_92
; %bb.91:
	v_pk_mov_b32 v[58:59], v[32:33], v[32:33] op_sel:[0,1]
	s_mov_b32 s2, 0
	v_pk_mov_b32 v[56:57], v[30:31], v[30:31] op_sel:[0,1]
	v_pk_mov_b32 v[54:55], v[28:29], v[28:29] op_sel:[0,1]
	;; [unrolled: 1-line block ×15, first 2 shown]
	v_mov_b32_e32 v52, s2
	v_mov_b32_e32 v53, s2
	ds_write_b64 v1, v[26:27]
	v_pk_mov_b32 v[2:3], v[28:29], v[28:29] op_sel:[0,1]
	v_pk_mov_b32 v[4:5], v[30:31], v[30:31] op_sel:[0,1]
	;; [unrolled: 1-line block ×16, first 2 shown]
.LBB79_92:
	s_or_b64 exec, exec, s[0:1]
	v_mov_b32_e32 v58, 0
	s_waitcnt lgkmcnt(0)
	; wave barrier
	s_waitcnt lgkmcnt(0)
	ds_read2_b64 v[34:37], v58 offset0:29 offset1:30
	ds_read_b64 v[38:39], v58 offset:248
	v_cmp_lt_u32_e32 vcc, 11, v0
	s_waitcnt lgkmcnt(1)
	v_fma_f64 v[34:35], v[28:29], v[34:35], 0
	v_fmac_f64_e32 v[34:35], v[30:31], v[36:37]
	s_waitcnt lgkmcnt(0)
	v_fmac_f64_e32 v[34:35], v[32:33], v[38:39]
	v_add_f64 v[26:27], v[26:27], -v[34:35]
	s_and_saveexec_b64 s[0:1], vcc
	s_cbranch_execz .LBB79_94
; %bb.93:
	v_pk_mov_b32 v[56:57], v[32:33], v[32:33] op_sel:[0,1]
	s_mov_b32 s2, 0
	v_pk_mov_b32 v[54:55], v[30:31], v[30:31] op_sel:[0,1]
	v_pk_mov_b32 v[52:53], v[28:29], v[28:29] op_sel:[0,1]
	;; [unrolled: 1-line block ×15, first 2 shown]
	v_mov_b32_e32 v48, s2
	v_mov_b32_e32 v49, s2
	ds_write_b64 v1, v[24:25]
	v_pk_mov_b32 v[2:3], v[26:27], v[26:27] op_sel:[0,1]
	v_pk_mov_b32 v[4:5], v[28:29], v[28:29] op_sel:[0,1]
	;; [unrolled: 1-line block ×16, first 2 shown]
.LBB79_94:
	s_or_b64 exec, exec, s[0:1]
	s_waitcnt lgkmcnt(0)
	; wave barrier
	s_waitcnt lgkmcnt(0)
	ds_read_b128 v[34:37], v58 offset:224
	ds_read_b128 v[38:41], v58 offset:240
	v_cmp_lt_u32_e32 vcc, 10, v0
	s_waitcnt lgkmcnt(1)
	v_fma_f64 v[34:35], v[26:27], v[34:35], 0
	v_fmac_f64_e32 v[34:35], v[28:29], v[36:37]
	s_waitcnt lgkmcnt(0)
	v_fmac_f64_e32 v[34:35], v[30:31], v[38:39]
	v_fmac_f64_e32 v[34:35], v[32:33], v[40:41]
	v_add_f64 v[24:25], v[24:25], -v[34:35]
	s_and_saveexec_b64 s[0:1], vcc
	s_cbranch_execz .LBB79_96
; %bb.95:
	v_pk_mov_b32 v[54:55], v[32:33], v[32:33] op_sel:[0,1]
	s_mov_b32 s2, 0
	v_pk_mov_b32 v[52:53], v[30:31], v[30:31] op_sel:[0,1]
	v_pk_mov_b32 v[50:51], v[28:29], v[28:29] op_sel:[0,1]
	;; [unrolled: 1-line block ×15, first 2 shown]
	v_mov_b32_e32 v44, s2
	v_mov_b32_e32 v45, s2
	ds_write_b64 v1, v[22:23]
	v_pk_mov_b32 v[2:3], v[24:25], v[24:25] op_sel:[0,1]
	v_pk_mov_b32 v[4:5], v[26:27], v[26:27] op_sel:[0,1]
	v_pk_mov_b32 v[6:7], v[28:29], v[28:29] op_sel:[0,1]
	v_pk_mov_b32 v[8:9], v[30:31], v[30:31] op_sel:[0,1]
	v_pk_mov_b32 v[10:11], v[32:33], v[32:33] op_sel:[0,1]
	v_pk_mov_b32 v[12:13], v[34:35], v[34:35] op_sel:[0,1]
	v_pk_mov_b32 v[14:15], v[36:37], v[36:37] op_sel:[0,1]
	v_pk_mov_b32 v[16:17], v[38:39], v[38:39] op_sel:[0,1]
	v_pk_mov_b32 v[18:19], v[40:41], v[40:41] op_sel:[0,1]
	v_pk_mov_b32 v[20:21], v[42:43], v[42:43] op_sel:[0,1]
	v_pk_mov_b32 v[22:23], v[44:45], v[44:45] op_sel:[0,1]
	v_pk_mov_b32 v[24:25], v[46:47], v[46:47] op_sel:[0,1]
	v_pk_mov_b32 v[26:27], v[48:49], v[48:49] op_sel:[0,1]
	v_pk_mov_b32 v[28:29], v[50:51], v[50:51] op_sel:[0,1]
	v_pk_mov_b32 v[30:31], v[52:53], v[52:53] op_sel:[0,1]
	v_pk_mov_b32 v[32:33], v[54:55], v[54:55] op_sel:[0,1]
.LBB79_96:
	s_or_b64 exec, exec, s[0:1]
	v_mov_b32_e32 v54, 0
	s_waitcnt lgkmcnt(0)
	; wave barrier
	s_waitcnt lgkmcnt(0)
	ds_read2_b64 v[34:37], v54 offset0:27 offset1:28
	ds_read2_b64 v[38:41], v54 offset0:29 offset1:30
	ds_read_b64 v[42:43], v54 offset:248
	v_cmp_lt_u32_e32 vcc, 9, v0
	s_waitcnt lgkmcnt(2)
	v_fma_f64 v[34:35], v[24:25], v[34:35], 0
	v_fmac_f64_e32 v[34:35], v[26:27], v[36:37]
	s_waitcnt lgkmcnt(1)
	v_fmac_f64_e32 v[34:35], v[28:29], v[38:39]
	v_fmac_f64_e32 v[34:35], v[30:31], v[40:41]
	s_waitcnt lgkmcnt(0)
	v_fmac_f64_e32 v[34:35], v[32:33], v[42:43]
	v_add_f64 v[22:23], v[22:23], -v[34:35]
	s_and_saveexec_b64 s[0:1], vcc
	s_cbranch_execz .LBB79_98
; %bb.97:
	v_pk_mov_b32 v[52:53], v[32:33], v[32:33] op_sel:[0,1]
	s_mov_b32 s2, 0
	v_pk_mov_b32 v[50:51], v[30:31], v[30:31] op_sel:[0,1]
	v_pk_mov_b32 v[48:49], v[28:29], v[28:29] op_sel:[0,1]
	v_pk_mov_b32 v[46:47], v[26:27], v[26:27] op_sel:[0,1]
	v_pk_mov_b32 v[44:45], v[24:25], v[24:25] op_sel:[0,1]
	v_pk_mov_b32 v[42:43], v[22:23], v[22:23] op_sel:[0,1]
	v_pk_mov_b32 v[40:41], v[20:21], v[20:21] op_sel:[0,1]
	v_pk_mov_b32 v[38:39], v[18:19], v[18:19] op_sel:[0,1]
	v_pk_mov_b32 v[36:37], v[16:17], v[16:17] op_sel:[0,1]
	v_pk_mov_b32 v[34:35], v[14:15], v[14:15] op_sel:[0,1]
	v_pk_mov_b32 v[32:33], v[12:13], v[12:13] op_sel:[0,1]
	v_pk_mov_b32 v[30:31], v[10:11], v[10:11] op_sel:[0,1]
	v_pk_mov_b32 v[28:29], v[8:9], v[8:9] op_sel:[0,1]
	v_pk_mov_b32 v[26:27], v[6:7], v[6:7] op_sel:[0,1]
	v_pk_mov_b32 v[24:25], v[4:5], v[4:5] op_sel:[0,1]
	v_pk_mov_b32 v[22:23], v[2:3], v[2:3] op_sel:[0,1]
	v_mov_b32_e32 v40, s2
	v_mov_b32_e32 v41, s2
	ds_write_b64 v1, v[20:21]
	v_pk_mov_b32 v[2:3], v[22:23], v[22:23] op_sel:[0,1]
	v_pk_mov_b32 v[4:5], v[24:25], v[24:25] op_sel:[0,1]
	;; [unrolled: 1-line block ×16, first 2 shown]
.LBB79_98:
	s_or_b64 exec, exec, s[0:1]
	s_waitcnt lgkmcnt(0)
	; wave barrier
	s_waitcnt lgkmcnt(0)
	ds_read_b128 v[34:37], v54 offset:208
	ds_read_b128 v[38:41], v54 offset:224
	;; [unrolled: 1-line block ×3, first 2 shown]
	v_cmp_lt_u32_e32 vcc, 8, v0
	s_waitcnt lgkmcnt(2)
	v_fma_f64 v[34:35], v[22:23], v[34:35], 0
	v_fmac_f64_e32 v[34:35], v[24:25], v[36:37]
	s_waitcnt lgkmcnt(1)
	v_fmac_f64_e32 v[34:35], v[26:27], v[38:39]
	v_fmac_f64_e32 v[34:35], v[28:29], v[40:41]
	s_waitcnt lgkmcnt(0)
	v_fmac_f64_e32 v[34:35], v[30:31], v[42:43]
	v_fmac_f64_e32 v[34:35], v[32:33], v[44:45]
	v_add_f64 v[20:21], v[20:21], -v[34:35]
	s_and_saveexec_b64 s[0:1], vcc
	s_cbranch_execz .LBB79_100
; %bb.99:
	v_pk_mov_b32 v[50:51], v[32:33], v[32:33] op_sel:[0,1]
	s_mov_b32 s2, 0
	v_pk_mov_b32 v[48:49], v[30:31], v[30:31] op_sel:[0,1]
	v_pk_mov_b32 v[46:47], v[28:29], v[28:29] op_sel:[0,1]
	v_pk_mov_b32 v[44:45], v[26:27], v[26:27] op_sel:[0,1]
	v_pk_mov_b32 v[42:43], v[24:25], v[24:25] op_sel:[0,1]
	v_pk_mov_b32 v[40:41], v[22:23], v[22:23] op_sel:[0,1]
	v_pk_mov_b32 v[38:39], v[20:21], v[20:21] op_sel:[0,1]
	v_pk_mov_b32 v[36:37], v[18:19], v[18:19] op_sel:[0,1]
	v_pk_mov_b32 v[34:35], v[16:17], v[16:17] op_sel:[0,1]
	v_pk_mov_b32 v[32:33], v[14:15], v[14:15] op_sel:[0,1]
	v_pk_mov_b32 v[30:31], v[12:13], v[12:13] op_sel:[0,1]
	v_pk_mov_b32 v[28:29], v[10:11], v[10:11] op_sel:[0,1]
	v_pk_mov_b32 v[26:27], v[8:9], v[8:9] op_sel:[0,1]
	v_pk_mov_b32 v[24:25], v[6:7], v[6:7] op_sel:[0,1]
	v_pk_mov_b32 v[22:23], v[4:5], v[4:5] op_sel:[0,1]
	v_pk_mov_b32 v[20:21], v[2:3], v[2:3] op_sel:[0,1]
	v_mov_b32_e32 v36, s2
	v_mov_b32_e32 v37, s2
	ds_write_b64 v1, v[18:19]
	v_pk_mov_b32 v[2:3], v[20:21], v[20:21] op_sel:[0,1]
	v_pk_mov_b32 v[4:5], v[22:23], v[22:23] op_sel:[0,1]
	;; [unrolled: 1-line block ×16, first 2 shown]
.LBB79_100:
	s_or_b64 exec, exec, s[0:1]
	v_mov_b32_e32 v50, 0
	s_waitcnt lgkmcnt(0)
	; wave barrier
	s_waitcnt lgkmcnt(0)
	ds_read2_b64 v[34:37], v50 offset0:25 offset1:26
	ds_read2_b64 v[38:41], v50 offset0:27 offset1:28
	;; [unrolled: 1-line block ×3, first 2 shown]
	v_cmp_lt_u32_e32 vcc, 7, v0
	s_waitcnt lgkmcnt(2)
	v_fma_f64 v[34:35], v[20:21], v[34:35], 0
	v_fmac_f64_e32 v[34:35], v[22:23], v[36:37]
	ds_read_b64 v[36:37], v50 offset:248
	s_waitcnt lgkmcnt(2)
	v_fmac_f64_e32 v[34:35], v[24:25], v[38:39]
	v_fmac_f64_e32 v[34:35], v[26:27], v[40:41]
	s_waitcnt lgkmcnt(1)
	v_fmac_f64_e32 v[34:35], v[28:29], v[42:43]
	v_fmac_f64_e32 v[34:35], v[30:31], v[44:45]
	s_waitcnt lgkmcnt(0)
	v_fmac_f64_e32 v[34:35], v[32:33], v[36:37]
	v_add_f64 v[18:19], v[18:19], -v[34:35]
	s_and_saveexec_b64 s[0:1], vcc
	s_cbranch_execz .LBB79_102
; %bb.101:
	v_pk_mov_b32 v[48:49], v[32:33], v[32:33] op_sel:[0,1]
	s_mov_b32 s2, 0
	v_pk_mov_b32 v[46:47], v[30:31], v[30:31] op_sel:[0,1]
	v_pk_mov_b32 v[44:45], v[28:29], v[28:29] op_sel:[0,1]
	;; [unrolled: 1-line block ×15, first 2 shown]
	v_mov_b32_e32 v32, s2
	v_mov_b32_e32 v33, s2
	ds_write_b64 v1, v[16:17]
	v_pk_mov_b32 v[2:3], v[18:19], v[18:19] op_sel:[0,1]
	v_pk_mov_b32 v[4:5], v[20:21], v[20:21] op_sel:[0,1]
	;; [unrolled: 1-line block ×16, first 2 shown]
.LBB79_102:
	s_or_b64 exec, exec, s[0:1]
	s_waitcnt lgkmcnt(0)
	; wave barrier
	s_waitcnt lgkmcnt(0)
	ds_read_b128 v[34:37], v50 offset:192
	ds_read_b128 v[38:41], v50 offset:208
	;; [unrolled: 1-line block ×4, first 2 shown]
	v_cmp_lt_u32_e32 vcc, 6, v0
	s_waitcnt lgkmcnt(3)
	v_fma_f64 v[34:35], v[18:19], v[34:35], 0
	v_fmac_f64_e32 v[34:35], v[20:21], v[36:37]
	s_waitcnt lgkmcnt(2)
	v_fmac_f64_e32 v[34:35], v[22:23], v[38:39]
	v_fmac_f64_e32 v[34:35], v[24:25], v[40:41]
	s_waitcnt lgkmcnt(1)
	v_fmac_f64_e32 v[34:35], v[26:27], v[42:43]
	v_fmac_f64_e32 v[34:35], v[28:29], v[44:45]
	s_waitcnt lgkmcnt(0)
	v_fmac_f64_e32 v[34:35], v[30:31], v[46:47]
	v_fmac_f64_e32 v[34:35], v[32:33], v[48:49]
	v_add_f64 v[16:17], v[16:17], -v[34:35]
	s_and_saveexec_b64 s[0:1], vcc
	s_cbranch_execz .LBB79_104
; %bb.103:
	v_pk_mov_b32 v[46:47], v[32:33], v[32:33] op_sel:[0,1]
	s_mov_b32 s2, 0
	v_pk_mov_b32 v[44:45], v[30:31], v[30:31] op_sel:[0,1]
	v_pk_mov_b32 v[42:43], v[28:29], v[28:29] op_sel:[0,1]
	;; [unrolled: 1-line block ×15, first 2 shown]
	v_mov_b32_e32 v28, s2
	v_mov_b32_e32 v29, s2
	ds_write_b64 v1, v[14:15]
	v_pk_mov_b32 v[2:3], v[16:17], v[16:17] op_sel:[0,1]
	v_pk_mov_b32 v[4:5], v[18:19], v[18:19] op_sel:[0,1]
	;; [unrolled: 1-line block ×16, first 2 shown]
.LBB79_104:
	s_or_b64 exec, exec, s[0:1]
	v_mov_b32_e32 v46, 0
	s_waitcnt lgkmcnt(0)
	; wave barrier
	s_waitcnt lgkmcnt(0)
	ds_read2_b64 v[34:37], v46 offset0:23 offset1:24
	ds_read2_b64 v[38:41], v46 offset0:25 offset1:26
	v_cmp_lt_u32_e32 vcc, 5, v0
	ds_read2_b64 v[42:45], v46 offset0:29 offset1:30
	s_waitcnt lgkmcnt(2)
	v_fma_f64 v[48:49], v[16:17], v[34:35], 0
	v_fmac_f64_e32 v[48:49], v[18:19], v[36:37]
	ds_read2_b64 v[34:37], v46 offset0:27 offset1:28
	s_waitcnt lgkmcnt(2)
	v_fmac_f64_e32 v[48:49], v[20:21], v[38:39]
	v_fmac_f64_e32 v[48:49], v[22:23], v[40:41]
	ds_read_b64 v[38:39], v46 offset:248
	s_waitcnt lgkmcnt(1)
	v_fmac_f64_e32 v[48:49], v[24:25], v[34:35]
	v_fmac_f64_e32 v[48:49], v[26:27], v[36:37]
	;; [unrolled: 1-line block ×4, first 2 shown]
	s_waitcnt lgkmcnt(0)
	v_fmac_f64_e32 v[48:49], v[32:33], v[38:39]
	v_add_f64 v[14:15], v[14:15], -v[48:49]
	s_and_saveexec_b64 s[0:1], vcc
	s_cbranch_execz .LBB79_106
; %bb.105:
	v_pk_mov_b32 v[44:45], v[32:33], v[32:33] op_sel:[0,1]
	s_mov_b32 s2, 0
	v_pk_mov_b32 v[42:43], v[30:31], v[30:31] op_sel:[0,1]
	v_pk_mov_b32 v[40:41], v[28:29], v[28:29] op_sel:[0,1]
	;; [unrolled: 1-line block ×15, first 2 shown]
	v_mov_b32_e32 v24, s2
	v_mov_b32_e32 v25, s2
	ds_write_b64 v1, v[12:13]
	v_pk_mov_b32 v[2:3], v[14:15], v[14:15] op_sel:[0,1]
	v_pk_mov_b32 v[4:5], v[16:17], v[16:17] op_sel:[0,1]
	;; [unrolled: 1-line block ×16, first 2 shown]
.LBB79_106:
	s_or_b64 exec, exec, s[0:1]
	s_waitcnt lgkmcnt(0)
	; wave barrier
	s_waitcnt lgkmcnt(0)
	ds_read_b128 v[34:37], v46 offset:176
	ds_read_b128 v[38:41], v46 offset:192
	;; [unrolled: 1-line block ×4, first 2 shown]
	v_cmp_lt_u32_e32 vcc, 4, v0
	s_waitcnt lgkmcnt(3)
	v_fma_f64 v[52:53], v[14:15], v[34:35], 0
	v_fmac_f64_e32 v[52:53], v[16:17], v[36:37]
	s_waitcnt lgkmcnt(2)
	v_fmac_f64_e32 v[52:53], v[18:19], v[38:39]
	v_fmac_f64_e32 v[52:53], v[20:21], v[40:41]
	ds_read_b128 v[34:37], v46 offset:240
	s_waitcnt lgkmcnt(2)
	v_fmac_f64_e32 v[52:53], v[22:23], v[42:43]
	v_fmac_f64_e32 v[52:53], v[24:25], v[44:45]
	s_waitcnt lgkmcnt(1)
	v_fmac_f64_e32 v[52:53], v[26:27], v[48:49]
	v_fmac_f64_e32 v[52:53], v[28:29], v[50:51]
	;; [unrolled: 3-line block ×3, first 2 shown]
	v_add_f64 v[12:13], v[12:13], -v[52:53]
	s_and_saveexec_b64 s[0:1], vcc
	s_cbranch_execz .LBB79_108
; %bb.107:
	v_pk_mov_b32 v[42:43], v[32:33], v[32:33] op_sel:[0,1]
	s_mov_b32 s2, 0
	v_pk_mov_b32 v[40:41], v[30:31], v[30:31] op_sel:[0,1]
	v_pk_mov_b32 v[38:39], v[28:29], v[28:29] op_sel:[0,1]
	v_pk_mov_b32 v[36:37], v[26:27], v[26:27] op_sel:[0,1]
	v_pk_mov_b32 v[34:35], v[24:25], v[24:25] op_sel:[0,1]
	v_pk_mov_b32 v[32:33], v[22:23], v[22:23] op_sel:[0,1]
	v_pk_mov_b32 v[30:31], v[20:21], v[20:21] op_sel:[0,1]
	v_pk_mov_b32 v[28:29], v[18:19], v[18:19] op_sel:[0,1]
	v_pk_mov_b32 v[26:27], v[16:17], v[16:17] op_sel:[0,1]
	v_pk_mov_b32 v[24:25], v[14:15], v[14:15] op_sel:[0,1]
	v_pk_mov_b32 v[22:23], v[12:13], v[12:13] op_sel:[0,1]
	v_pk_mov_b32 v[20:21], v[10:11], v[10:11] op_sel:[0,1]
	v_pk_mov_b32 v[18:19], v[8:9], v[8:9] op_sel:[0,1]
	v_pk_mov_b32 v[16:17], v[6:7], v[6:7] op_sel:[0,1]
	v_pk_mov_b32 v[14:15], v[4:5], v[4:5] op_sel:[0,1]
	v_pk_mov_b32 v[12:13], v[2:3], v[2:3] op_sel:[0,1]
	v_mov_b32_e32 v20, s2
	v_mov_b32_e32 v21, s2
	ds_write_b64 v1, v[10:11]
	v_pk_mov_b32 v[2:3], v[12:13], v[12:13] op_sel:[0,1]
	v_pk_mov_b32 v[4:5], v[14:15], v[14:15] op_sel:[0,1]
	;; [unrolled: 1-line block ×16, first 2 shown]
.LBB79_108:
	s_or_b64 exec, exec, s[0:1]
	v_mov_b32_e32 v42, 0
	s_waitcnt lgkmcnt(0)
	; wave barrier
	s_waitcnt lgkmcnt(0)
	ds_read2_b64 v[34:37], v42 offset0:21 offset1:22
	ds_read2_b64 v[38:41], v42 offset0:23 offset1:24
	;; [unrolled: 1-line block ×3, first 2 shown]
	v_cmp_lt_u32_e32 vcc, 3, v0
	s_waitcnt lgkmcnt(2)
	v_fma_f64 v[48:49], v[12:13], v[34:35], 0
	v_fmac_f64_e32 v[48:49], v[14:15], v[36:37]
	ds_read2_b64 v[34:37], v42 offset0:27 offset1:28
	s_waitcnt lgkmcnt(2)
	v_fmac_f64_e32 v[48:49], v[16:17], v[38:39]
	v_fmac_f64_e32 v[48:49], v[18:19], v[40:41]
	ds_read2_b64 v[38:41], v42 offset0:29 offset1:30
	s_waitcnt lgkmcnt(2)
	v_fmac_f64_e32 v[48:49], v[20:21], v[44:45]
	ds_read_b64 v[44:45], v42 offset:248
	v_fmac_f64_e32 v[48:49], v[22:23], v[46:47]
	s_waitcnt lgkmcnt(2)
	v_fmac_f64_e32 v[48:49], v[24:25], v[34:35]
	v_fmac_f64_e32 v[48:49], v[26:27], v[36:37]
	s_waitcnt lgkmcnt(1)
	v_fmac_f64_e32 v[48:49], v[28:29], v[38:39]
	v_fmac_f64_e32 v[48:49], v[30:31], v[40:41]
	s_waitcnt lgkmcnt(0)
	v_fmac_f64_e32 v[48:49], v[32:33], v[44:45]
	v_add_f64 v[10:11], v[10:11], -v[48:49]
	s_and_saveexec_b64 s[0:1], vcc
	s_cbranch_execz .LBB79_110
; %bb.109:
	v_pk_mov_b32 v[40:41], v[32:33], v[32:33] op_sel:[0,1]
	s_mov_b32 s2, 0
	v_pk_mov_b32 v[38:39], v[30:31], v[30:31] op_sel:[0,1]
	v_pk_mov_b32 v[36:37], v[28:29], v[28:29] op_sel:[0,1]
	;; [unrolled: 1-line block ×15, first 2 shown]
	v_mov_b32_e32 v16, s2
	v_mov_b32_e32 v17, s2
	ds_write_b64 v1, v[8:9]
	v_pk_mov_b32 v[2:3], v[10:11], v[10:11] op_sel:[0,1]
	v_pk_mov_b32 v[4:5], v[12:13], v[12:13] op_sel:[0,1]
	;; [unrolled: 1-line block ×16, first 2 shown]
.LBB79_110:
	s_or_b64 exec, exec, s[0:1]
	s_waitcnt lgkmcnt(0)
	; wave barrier
	s_waitcnt lgkmcnt(0)
	ds_read_b128 v[34:37], v42 offset:160
	ds_read_b128 v[38:41], v42 offset:176
	;; [unrolled: 1-line block ×4, first 2 shown]
	v_cmp_lt_u32_e32 vcc, 2, v0
	s_waitcnt lgkmcnt(3)
	v_fma_f64 v[52:53], v[10:11], v[34:35], 0
	v_fmac_f64_e32 v[52:53], v[12:13], v[36:37]
	s_waitcnt lgkmcnt(2)
	v_fmac_f64_e32 v[52:53], v[14:15], v[38:39]
	v_fmac_f64_e32 v[52:53], v[16:17], v[40:41]
	ds_read_b128 v[34:37], v42 offset:224
	ds_read_b128 v[38:41], v42 offset:240
	s_waitcnt lgkmcnt(3)
	v_fmac_f64_e32 v[52:53], v[18:19], v[44:45]
	v_fmac_f64_e32 v[52:53], v[20:21], v[46:47]
	s_waitcnt lgkmcnt(2)
	v_fmac_f64_e32 v[52:53], v[22:23], v[48:49]
	v_fmac_f64_e32 v[52:53], v[24:25], v[50:51]
	;; [unrolled: 3-line block ×4, first 2 shown]
	v_add_f64 v[8:9], v[8:9], -v[52:53]
	s_and_saveexec_b64 s[0:1], vcc
	s_cbranch_execz .LBB79_112
; %bb.111:
	v_pk_mov_b32 v[38:39], v[32:33], v[32:33] op_sel:[0,1]
	s_mov_b32 s2, 0
	v_pk_mov_b32 v[36:37], v[30:31], v[30:31] op_sel:[0,1]
	v_pk_mov_b32 v[34:35], v[28:29], v[28:29] op_sel:[0,1]
	;; [unrolled: 1-line block ×15, first 2 shown]
	v_mov_b32_e32 v12, s2
	v_mov_b32_e32 v13, s2
	ds_write_b64 v1, v[6:7]
	v_pk_mov_b32 v[2:3], v[8:9], v[8:9] op_sel:[0,1]
	v_pk_mov_b32 v[4:5], v[10:11], v[10:11] op_sel:[0,1]
	;; [unrolled: 1-line block ×16, first 2 shown]
.LBB79_112:
	s_or_b64 exec, exec, s[0:1]
	v_mov_b32_e32 v38, 0
	s_waitcnt lgkmcnt(0)
	; wave barrier
	s_waitcnt lgkmcnt(0)
	ds_read2_b64 v[34:37], v38 offset0:19 offset1:20
	ds_read2_b64 v[40:43], v38 offset0:21 offset1:22
	;; [unrolled: 1-line block ×3, first 2 shown]
	v_cmp_lt_u32_e32 vcc, 1, v0
	s_waitcnt lgkmcnt(2)
	v_fma_f64 v[48:49], v[8:9], v[34:35], 0
	v_fmac_f64_e32 v[48:49], v[10:11], v[36:37]
	ds_read2_b64 v[34:37], v38 offset0:25 offset1:26
	s_waitcnt lgkmcnt(2)
	v_fmac_f64_e32 v[48:49], v[12:13], v[40:41]
	v_fmac_f64_e32 v[48:49], v[14:15], v[42:43]
	ds_read2_b64 v[40:43], v38 offset0:27 offset1:28
	s_waitcnt lgkmcnt(2)
	v_fmac_f64_e32 v[48:49], v[16:17], v[44:45]
	;; [unrolled: 4-line block ×3, first 2 shown]
	v_fmac_f64_e32 v[48:49], v[22:23], v[36:37]
	ds_read_b64 v[34:35], v38 offset:248
	s_waitcnt lgkmcnt(2)
	v_fmac_f64_e32 v[48:49], v[24:25], v[40:41]
	v_fmac_f64_e32 v[48:49], v[26:27], v[42:43]
	s_waitcnt lgkmcnt(1)
	v_fmac_f64_e32 v[48:49], v[28:29], v[44:45]
	v_fmac_f64_e32 v[48:49], v[30:31], v[46:47]
	s_waitcnt lgkmcnt(0)
	v_fmac_f64_e32 v[48:49], v[32:33], v[34:35]
	v_add_f64 v[6:7], v[6:7], -v[48:49]
	s_and_saveexec_b64 s[0:1], vcc
	s_cbranch_execz .LBB79_114
; %bb.113:
	v_pk_mov_b32 v[36:37], v[32:33], v[32:33] op_sel:[0,1]
	s_mov_b32 s2, 0
	v_pk_mov_b32 v[34:35], v[30:31], v[30:31] op_sel:[0,1]
	v_pk_mov_b32 v[32:33], v[28:29], v[28:29] op_sel:[0,1]
	;; [unrolled: 1-line block ×15, first 2 shown]
	v_mov_b32_e32 v8, s2
	v_mov_b32_e32 v9, s2
	ds_write_b64 v1, v[4:5]
	v_pk_mov_b32 v[2:3], v[6:7], v[6:7] op_sel:[0,1]
	v_pk_mov_b32 v[4:5], v[8:9], v[8:9] op_sel:[0,1]
	;; [unrolled: 1-line block ×16, first 2 shown]
.LBB79_114:
	s_or_b64 exec, exec, s[0:1]
	s_waitcnt lgkmcnt(0)
	; wave barrier
	s_waitcnt lgkmcnt(0)
	ds_read_b128 v[34:37], v38 offset:144
	ds_read_b128 v[40:43], v38 offset:160
	;; [unrolled: 1-line block ×4, first 2 shown]
	s_mov_b32 s2, 0
	s_waitcnt lgkmcnt(3)
	v_fma_f64 v[52:53], v[6:7], v[34:35], 0
	v_fmac_f64_e32 v[52:53], v[8:9], v[36:37]
	s_waitcnt lgkmcnt(2)
	v_fmac_f64_e32 v[52:53], v[10:11], v[40:41]
	v_fmac_f64_e32 v[52:53], v[12:13], v[42:43]
	ds_read_b128 v[34:37], v38 offset:208
	ds_read_b128 v[40:43], v38 offset:224
	s_waitcnt lgkmcnt(3)
	v_fmac_f64_e32 v[52:53], v[14:15], v[44:45]
	v_fmac_f64_e32 v[52:53], v[16:17], v[46:47]
	s_waitcnt lgkmcnt(2)
	v_fmac_f64_e32 v[52:53], v[18:19], v[48:49]
	v_fmac_f64_e32 v[52:53], v[20:21], v[50:51]
	ds_read_b128 v[44:47], v38 offset:240
	s_waitcnt lgkmcnt(2)
	v_fmac_f64_e32 v[52:53], v[22:23], v[34:35]
	v_fmac_f64_e32 v[52:53], v[24:25], v[36:37]
	s_waitcnt lgkmcnt(1)
	v_fmac_f64_e32 v[52:53], v[26:27], v[40:41]
	v_fmac_f64_e32 v[52:53], v[28:29], v[42:43]
	;; [unrolled: 3-line block ×3, first 2 shown]
	v_add_f64 v[4:5], v[4:5], -v[52:53]
	v_cmp_ne_u32_e32 vcc, 0, v0
	s_and_saveexec_b64 s[0:1], vcc
	s_cbranch_execz .LBB79_116
; %bb.115:
	v_pk_mov_b32 v[34:35], v[32:33], v[32:33] op_sel:[0,1]
	v_pk_mov_b32 v[32:33], v[30:31], v[30:31] op_sel:[0,1]
	;; [unrolled: 1-line block ×16, first 2 shown]
	v_mov_b32_e32 v4, s2
	v_mov_b32_e32 v5, s2
	ds_write_b64 v1, v[2:3]
	v_pk_mov_b32 v[2:3], v[4:5], v[4:5] op_sel:[0,1]
	v_pk_mov_b32 v[4:5], v[6:7], v[6:7] op_sel:[0,1]
	;; [unrolled: 1-line block ×16, first 2 shown]
.LBB79_116:
	s_or_b64 exec, exec, s[0:1]
	v_mov_b32_e32 v46, 0
	s_waitcnt lgkmcnt(0)
	; wave barrier
	s_waitcnt lgkmcnt(0)
	ds_read2_b64 v[34:37], v46 offset0:17 offset1:18
	ds_read2_b64 v[38:41], v46 offset0:19 offset1:20
	;; [unrolled: 1-line block ×3, first 2 shown]
	s_and_b64 vcc, exec, s[46:47]
	s_waitcnt lgkmcnt(2)
	v_fma_f64 v[0:1], v[4:5], v[34:35], 0
	v_fmac_f64_e32 v[0:1], v[6:7], v[36:37]
	ds_read2_b64 v[34:37], v46 offset0:23 offset1:24
	s_waitcnt lgkmcnt(2)
	v_fmac_f64_e32 v[0:1], v[8:9], v[38:39]
	v_fmac_f64_e32 v[0:1], v[10:11], v[40:41]
	s_waitcnt lgkmcnt(1)
	v_fmac_f64_e32 v[0:1], v[12:13], v[42:43]
	ds_read2_b64 v[38:41], v46 offset0:25 offset1:26
	v_fmac_f64_e32 v[0:1], v[14:15], v[44:45]
	s_waitcnt lgkmcnt(1)
	v_fmac_f64_e32 v[0:1], v[16:17], v[34:35]
	v_fmac_f64_e32 v[0:1], v[18:19], v[36:37]
	ds_read2_b64 v[34:37], v46 offset0:27 offset1:28
	ds_read2_b64 v[42:45], v46 offset0:29 offset1:30
	s_waitcnt lgkmcnt(2)
	v_fmac_f64_e32 v[0:1], v[20:21], v[38:39]
	ds_read_b64 v[38:39], v46 offset:248
	v_fmac_f64_e32 v[0:1], v[22:23], v[40:41]
	s_waitcnt lgkmcnt(2)
	v_fmac_f64_e32 v[0:1], v[24:25], v[34:35]
	v_fmac_f64_e32 v[0:1], v[26:27], v[36:37]
	s_waitcnt lgkmcnt(1)
	v_fmac_f64_e32 v[0:1], v[28:29], v[42:43]
	;; [unrolled: 3-line block ×3, first 2 shown]
	v_add_f64 v[2:3], v[2:3], -v[0:1]
	s_cbranch_vccz .LBB79_148
; %bb.117:
	v_pk_mov_b32 v[0:1], s[44:45], s[44:45] op_sel:[0,1]
	flat_load_dword v0, v[0:1] offset:56
	s_waitcnt vmcnt(0) lgkmcnt(0)
	v_add_u32_e32 v0, -1, v0
	v_cmp_ne_u32_e32 vcc, 14, v0
	s_and_saveexec_b64 s[28:29], vcc
	s_cbranch_execz .LBB79_119
; %bb.118:
	v_cmp_eq_u32_e32 vcc, 1, v0
	v_cndmask_b32_e32 v1, v2, v4, vcc
	v_cmp_eq_u32_e64 s[0:1], 2, v0
	v_cndmask_b32_e32 v34, v3, v5, vcc
	v_cndmask_b32_e64 v1, v1, v6, s[0:1]
	v_cmp_eq_u32_e64 s[2:3], 3, v0
	v_cndmask_b32_e64 v34, v34, v7, s[0:1]
	v_cndmask_b32_e64 v1, v1, v8, s[2:3]
	v_cmp_eq_u32_e64 s[4:5], 4, v0
	v_cndmask_b32_e64 v34, v34, v9, s[2:3]
	;; [unrolled: 3-line block ×13, first 2 shown]
	v_cndmask_b32_e64 v1, v1, v32, s[26:27]
	v_cndmask_b32_e64 v34, v34, v33, s[26:27]
	;; [unrolled: 1-line block ×4, first 2 shown]
	v_cndmask_b32_e32 v33, v5, v31, vcc
	v_cndmask_b32_e32 v32, v4, v30, vcc
	v_cmp_eq_u32_e32 vcc, 0, v0
	v_cndmask_b32_e64 v59, v34, v31, s[24:25]
	v_cndmask_b32_e64 v58, v1, v30, s[24:25]
	;; [unrolled: 1-line block ×26, first 2 shown]
	v_cndmask_b32_e32 v31, v3, v31, vcc
	v_cndmask_b32_e32 v30, v2, v30, vcc
	v_pk_mov_b32 v[2:3], v[30:31], v[30:31] op_sel:[0,1]
	v_pk_mov_b32 v[4:5], v[32:33], v[32:33] op_sel:[0,1]
	;; [unrolled: 1-line block ×16, first 2 shown]
.LBB79_119:
	s_or_b64 exec, exec, s[28:29]
	v_pk_mov_b32 v[0:1], s[44:45], s[44:45] op_sel:[0,1]
	flat_load_dword v0, v[0:1] offset:52
	s_waitcnt vmcnt(0) lgkmcnt(0)
	v_add_u32_e32 v0, -1, v0
	v_cmp_ne_u32_e32 vcc, 13, v0
	s_and_saveexec_b64 s[28:29], vcc
	s_cbranch_execz .LBB79_121
; %bb.120:
	v_cmp_eq_u32_e32 vcc, 1, v0
	v_cndmask_b32_e32 v1, v2, v4, vcc
	v_cmp_eq_u32_e64 s[0:1], 2, v0
	v_cndmask_b32_e32 v34, v3, v5, vcc
	v_cndmask_b32_e64 v1, v1, v6, s[0:1]
	v_cmp_eq_u32_e64 s[2:3], 3, v0
	v_cndmask_b32_e64 v34, v34, v7, s[0:1]
	v_cndmask_b32_e64 v1, v1, v8, s[2:3]
	v_cmp_eq_u32_e64 s[4:5], 4, v0
	v_cndmask_b32_e64 v34, v34, v9, s[2:3]
	;; [unrolled: 3-line block ×13, first 2 shown]
	v_cndmask_b32_e64 v1, v1, v32, s[26:27]
	v_cndmask_b32_e64 v34, v34, v33, s[26:27]
	;; [unrolled: 1-line block ×4, first 2 shown]
	v_cndmask_b32_e32 v31, v5, v29, vcc
	v_cndmask_b32_e32 v30, v4, v28, vcc
	v_cmp_eq_u32_e32 vcc, 0, v0
	v_cndmask_b32_e64 v55, v34, v29, s[22:23]
	v_cndmask_b32_e64 v54, v1, v28, s[22:23]
	;; [unrolled: 1-line block ×26, first 2 shown]
	v_cndmask_b32_e32 v29, v3, v29, vcc
	v_cndmask_b32_e32 v28, v2, v28, vcc
	v_pk_mov_b32 v[2:3], v[28:29], v[28:29] op_sel:[0,1]
	v_pk_mov_b32 v[4:5], v[30:31], v[30:31] op_sel:[0,1]
	;; [unrolled: 1-line block ×16, first 2 shown]
.LBB79_121:
	s_or_b64 exec, exec, s[28:29]
	v_pk_mov_b32 v[0:1], s[44:45], s[44:45] op_sel:[0,1]
	flat_load_dword v0, v[0:1] offset:48
	s_waitcnt vmcnt(0) lgkmcnt(0)
	v_add_u32_e32 v0, -1, v0
	v_cmp_ne_u32_e32 vcc, 12, v0
	s_and_saveexec_b64 s[28:29], vcc
	s_cbranch_execz .LBB79_123
; %bb.122:
	v_cmp_eq_u32_e32 vcc, 1, v0
	v_cndmask_b32_e32 v1, v2, v4, vcc
	v_cmp_eq_u32_e64 s[0:1], 2, v0
	v_cndmask_b32_e32 v34, v3, v5, vcc
	v_cndmask_b32_e64 v1, v1, v6, s[0:1]
	v_cmp_eq_u32_e64 s[2:3], 3, v0
	v_cndmask_b32_e64 v34, v34, v7, s[0:1]
	v_cndmask_b32_e64 v1, v1, v8, s[2:3]
	v_cmp_eq_u32_e64 s[4:5], 4, v0
	v_cndmask_b32_e64 v34, v34, v9, s[2:3]
	v_cndmask_b32_e64 v1, v1, v10, s[4:5]
	v_cmp_eq_u32_e64 s[6:7], 5, v0
	v_cndmask_b32_e64 v34, v34, v11, s[4:5]
	v_cndmask_b32_e64 v1, v1, v12, s[6:7]
	v_cmp_eq_u32_e64 s[8:9], 6, v0
	v_cndmask_b32_e64 v34, v34, v13, s[6:7]
	v_cndmask_b32_e64 v1, v1, v14, s[8:9]
	v_cmp_eq_u32_e64 s[10:11], 7, v0
	v_cndmask_b32_e64 v34, v34, v15, s[8:9]
	v_cndmask_b32_e64 v1, v1, v16, s[10:11]
	v_cmp_eq_u32_e64 s[12:13], 8, v0
	v_cndmask_b32_e64 v34, v34, v17, s[10:11]
	v_cndmask_b32_e64 v1, v1, v18, s[12:13]
	v_cmp_eq_u32_e64 s[14:15], 9, v0
	v_cndmask_b32_e64 v34, v34, v19, s[12:13]
	v_cndmask_b32_e64 v1, v1, v20, s[14:15]
	v_cmp_eq_u32_e64 s[16:17], 10, v0
	v_cndmask_b32_e64 v34, v34, v21, s[14:15]
	v_cndmask_b32_e64 v1, v1, v22, s[16:17]
	v_cmp_eq_u32_e64 s[18:19], 11, v0
	v_cndmask_b32_e64 v34, v34, v23, s[16:17]
	v_cndmask_b32_e64 v1, v1, v24, s[18:19]
	v_cmp_eq_u32_e64 s[20:21], 12, v0
	v_cndmask_b32_e64 v34, v34, v25, s[18:19]
	v_cndmask_b32_e64 v1, v1, v26, s[20:21]
	v_cmp_eq_u32_e64 s[22:23], 13, v0
	v_cndmask_b32_e64 v34, v34, v27, s[20:21]
	v_cndmask_b32_e64 v1, v1, v28, s[22:23]
	v_cmp_eq_u32_e64 s[24:25], 14, v0
	v_cndmask_b32_e64 v34, v34, v29, s[22:23]
	v_cndmask_b32_e64 v1, v1, v30, s[24:25]
	v_cmp_eq_u32_e64 s[26:27], 15, v0
	v_cndmask_b32_e64 v34, v34, v31, s[24:25]
	v_cndmask_b32_e64 v1, v1, v32, s[26:27]
	v_cndmask_b32_e64 v34, v34, v33, s[26:27]
	;; [unrolled: 1-line block ×4, first 2 shown]
	v_cndmask_b32_e32 v29, v5, v27, vcc
	v_cndmask_b32_e32 v28, v4, v26, vcc
	v_cmp_eq_u32_e32 vcc, 0, v0
	v_cndmask_b32_e64 v51, v34, v27, s[20:21]
	v_cndmask_b32_e64 v50, v1, v26, s[20:21]
	v_cndmask_b32_e64 v57, v33, v27, s[26:27]
	v_cndmask_b32_e64 v56, v32, v26, s[26:27]
	v_cndmask_b32_e64 v55, v31, v27, s[24:25]
	v_cndmask_b32_e64 v54, v30, v26, s[24:25]
	v_cndmask_b32_e64 v49, v25, v27, s[18:19]
	v_cndmask_b32_e64 v48, v24, v26, s[18:19]
	v_cndmask_b32_e64 v47, v23, v27, s[16:17]
	v_cndmask_b32_e64 v46, v22, v26, s[16:17]
	v_cndmask_b32_e64 v45, v21, v27, s[14:15]
	v_cndmask_b32_e64 v44, v20, v26, s[14:15]
	v_cndmask_b32_e64 v43, v19, v27, s[12:13]
	v_cndmask_b32_e64 v42, v18, v26, s[12:13]
	v_cndmask_b32_e64 v41, v17, v27, s[10:11]
	v_cndmask_b32_e64 v40, v16, v26, s[10:11]
	v_cndmask_b32_e64 v39, v15, v27, s[8:9]
	v_cndmask_b32_e64 v38, v14, v26, s[8:9]
	v_cndmask_b32_e64 v37, v13, v27, s[6:7]
	v_cndmask_b32_e64 v36, v12, v26, s[6:7]
	v_cndmask_b32_e64 v35, v11, v27, s[4:5]
	v_cndmask_b32_e64 v34, v10, v26, s[4:5]
	v_cndmask_b32_e64 v33, v9, v27, s[2:3]
	v_cndmask_b32_e64 v32, v8, v26, s[2:3]
	v_cndmask_b32_e64 v31, v7, v27, s[0:1]
	v_cndmask_b32_e64 v30, v6, v26, s[0:1]
	v_cndmask_b32_e32 v27, v3, v27, vcc
	v_cndmask_b32_e32 v26, v2, v26, vcc
	v_pk_mov_b32 v[2:3], v[26:27], v[26:27] op_sel:[0,1]
	v_pk_mov_b32 v[4:5], v[28:29], v[28:29] op_sel:[0,1]
	;; [unrolled: 1-line block ×16, first 2 shown]
.LBB79_123:
	s_or_b64 exec, exec, s[28:29]
	v_pk_mov_b32 v[0:1], s[44:45], s[44:45] op_sel:[0,1]
	flat_load_dword v0, v[0:1] offset:44
	s_waitcnt vmcnt(0) lgkmcnt(0)
	v_add_u32_e32 v0, -1, v0
	v_cmp_ne_u32_e32 vcc, 11, v0
	s_and_saveexec_b64 s[28:29], vcc
	s_cbranch_execz .LBB79_125
; %bb.124:
	v_cmp_eq_u32_e32 vcc, 1, v0
	v_cndmask_b32_e32 v1, v2, v4, vcc
	v_cmp_eq_u32_e64 s[0:1], 2, v0
	v_cndmask_b32_e32 v34, v3, v5, vcc
	v_cndmask_b32_e64 v1, v1, v6, s[0:1]
	v_cmp_eq_u32_e64 s[2:3], 3, v0
	v_cndmask_b32_e64 v34, v34, v7, s[0:1]
	v_cndmask_b32_e64 v1, v1, v8, s[2:3]
	v_cmp_eq_u32_e64 s[4:5], 4, v0
	v_cndmask_b32_e64 v34, v34, v9, s[2:3]
	;; [unrolled: 3-line block ×13, first 2 shown]
	v_cndmask_b32_e64 v1, v1, v32, s[26:27]
	v_cndmask_b32_e64 v34, v34, v33, s[26:27]
	;; [unrolled: 1-line block ×4, first 2 shown]
	v_cndmask_b32_e32 v27, v5, v25, vcc
	v_cndmask_b32_e32 v26, v4, v24, vcc
	v_cmp_eq_u32_e32 vcc, 0, v0
	v_cndmask_b32_e64 v47, v34, v25, s[18:19]
	v_cndmask_b32_e64 v46, v1, v24, s[18:19]
	;; [unrolled: 1-line block ×26, first 2 shown]
	v_cndmask_b32_e32 v25, v3, v25, vcc
	v_cndmask_b32_e32 v24, v2, v24, vcc
	v_pk_mov_b32 v[2:3], v[24:25], v[24:25] op_sel:[0,1]
	v_pk_mov_b32 v[4:5], v[26:27], v[26:27] op_sel:[0,1]
	;; [unrolled: 1-line block ×16, first 2 shown]
.LBB79_125:
	s_or_b64 exec, exec, s[28:29]
	v_pk_mov_b32 v[0:1], s[44:45], s[44:45] op_sel:[0,1]
	flat_load_dword v0, v[0:1] offset:40
	s_waitcnt vmcnt(0) lgkmcnt(0)
	v_add_u32_e32 v0, -1, v0
	v_cmp_ne_u32_e32 vcc, 10, v0
	s_and_saveexec_b64 s[28:29], vcc
	s_cbranch_execz .LBB79_127
; %bb.126:
	v_cmp_eq_u32_e32 vcc, 1, v0
	v_cndmask_b32_e32 v1, v2, v4, vcc
	v_cmp_eq_u32_e64 s[0:1], 2, v0
	v_cndmask_b32_e32 v34, v3, v5, vcc
	v_cndmask_b32_e64 v1, v1, v6, s[0:1]
	v_cmp_eq_u32_e64 s[2:3], 3, v0
	v_cndmask_b32_e64 v34, v34, v7, s[0:1]
	v_cndmask_b32_e64 v1, v1, v8, s[2:3]
	v_cmp_eq_u32_e64 s[4:5], 4, v0
	v_cndmask_b32_e64 v34, v34, v9, s[2:3]
	;; [unrolled: 3-line block ×13, first 2 shown]
	v_cndmask_b32_e64 v1, v1, v32, s[26:27]
	v_cndmask_b32_e64 v34, v34, v33, s[26:27]
	;; [unrolled: 1-line block ×4, first 2 shown]
	v_cndmask_b32_e32 v25, v5, v23, vcc
	v_cndmask_b32_e32 v24, v4, v22, vcc
	v_cmp_eq_u32_e32 vcc, 0, v0
	v_cndmask_b32_e64 v43, v34, v23, s[16:17]
	v_cndmask_b32_e64 v42, v1, v22, s[16:17]
	;; [unrolled: 1-line block ×26, first 2 shown]
	v_cndmask_b32_e32 v23, v3, v23, vcc
	v_cndmask_b32_e32 v22, v2, v22, vcc
	v_pk_mov_b32 v[2:3], v[22:23], v[22:23] op_sel:[0,1]
	v_pk_mov_b32 v[4:5], v[24:25], v[24:25] op_sel:[0,1]
	;; [unrolled: 1-line block ×16, first 2 shown]
.LBB79_127:
	s_or_b64 exec, exec, s[28:29]
	v_pk_mov_b32 v[0:1], s[44:45], s[44:45] op_sel:[0,1]
	flat_load_dword v0, v[0:1] offset:36
	s_waitcnt vmcnt(0) lgkmcnt(0)
	v_add_u32_e32 v0, -1, v0
	v_cmp_ne_u32_e32 vcc, 9, v0
	s_and_saveexec_b64 s[28:29], vcc
	s_cbranch_execz .LBB79_129
; %bb.128:
	v_cmp_eq_u32_e32 vcc, 1, v0
	v_cndmask_b32_e32 v1, v2, v4, vcc
	v_cmp_eq_u32_e64 s[0:1], 2, v0
	v_cndmask_b32_e32 v34, v3, v5, vcc
	v_cndmask_b32_e64 v1, v1, v6, s[0:1]
	v_cmp_eq_u32_e64 s[2:3], 3, v0
	v_cndmask_b32_e64 v34, v34, v7, s[0:1]
	v_cndmask_b32_e64 v1, v1, v8, s[2:3]
	v_cmp_eq_u32_e64 s[4:5], 4, v0
	v_cndmask_b32_e64 v34, v34, v9, s[2:3]
	;; [unrolled: 3-line block ×13, first 2 shown]
	v_cndmask_b32_e64 v1, v1, v32, s[26:27]
	v_cndmask_b32_e64 v34, v34, v33, s[26:27]
	;; [unrolled: 1-line block ×4, first 2 shown]
	v_cndmask_b32_e32 v23, v5, v21, vcc
	v_cndmask_b32_e32 v22, v4, v20, vcc
	v_cmp_eq_u32_e32 vcc, 0, v0
	v_cndmask_b32_e64 v39, v34, v21, s[14:15]
	v_cndmask_b32_e64 v38, v1, v20, s[14:15]
	;; [unrolled: 1-line block ×26, first 2 shown]
	v_cndmask_b32_e32 v21, v3, v21, vcc
	v_cndmask_b32_e32 v20, v2, v20, vcc
	v_pk_mov_b32 v[2:3], v[20:21], v[20:21] op_sel:[0,1]
	v_pk_mov_b32 v[4:5], v[22:23], v[22:23] op_sel:[0,1]
	;; [unrolled: 1-line block ×16, first 2 shown]
.LBB79_129:
	s_or_b64 exec, exec, s[28:29]
	v_pk_mov_b32 v[0:1], s[44:45], s[44:45] op_sel:[0,1]
	flat_load_dword v0, v[0:1] offset:32
	s_waitcnt vmcnt(0) lgkmcnt(0)
	v_add_u32_e32 v0, -1, v0
	v_cmp_ne_u32_e32 vcc, 8, v0
	s_and_saveexec_b64 s[28:29], vcc
	s_cbranch_execz .LBB79_131
; %bb.130:
	v_cmp_eq_u32_e32 vcc, 1, v0
	v_cndmask_b32_e32 v1, v2, v4, vcc
	v_cmp_eq_u32_e64 s[0:1], 2, v0
	v_cndmask_b32_e32 v34, v3, v5, vcc
	v_cndmask_b32_e64 v1, v1, v6, s[0:1]
	v_cmp_eq_u32_e64 s[2:3], 3, v0
	v_cndmask_b32_e64 v34, v34, v7, s[0:1]
	v_cndmask_b32_e64 v1, v1, v8, s[2:3]
	v_cmp_eq_u32_e64 s[4:5], 4, v0
	v_cndmask_b32_e64 v34, v34, v9, s[2:3]
	;; [unrolled: 3-line block ×13, first 2 shown]
	v_cndmask_b32_e64 v1, v1, v32, s[26:27]
	v_cndmask_b32_e64 v34, v34, v33, s[26:27]
	;; [unrolled: 1-line block ×4, first 2 shown]
	v_cndmask_b32_e32 v21, v5, v19, vcc
	v_cndmask_b32_e32 v20, v4, v18, vcc
	v_cmp_eq_u32_e32 vcc, 0, v0
	v_cndmask_b32_e64 v35, v34, v19, s[12:13]
	v_cndmask_b32_e64 v34, v1, v18, s[12:13]
	;; [unrolled: 1-line block ×26, first 2 shown]
	v_cndmask_b32_e32 v19, v3, v19, vcc
	v_cndmask_b32_e32 v18, v2, v18, vcc
	v_pk_mov_b32 v[2:3], v[18:19], v[18:19] op_sel:[0,1]
	v_pk_mov_b32 v[4:5], v[20:21], v[20:21] op_sel:[0,1]
	;; [unrolled: 1-line block ×16, first 2 shown]
.LBB79_131:
	s_or_b64 exec, exec, s[28:29]
	v_pk_mov_b32 v[0:1], s[44:45], s[44:45] op_sel:[0,1]
	flat_load_dword v0, v[0:1] offset:28
	s_waitcnt vmcnt(0) lgkmcnt(0)
	v_add_u32_e32 v0, -1, v0
	v_cmp_ne_u32_e32 vcc, 7, v0
	s_and_saveexec_b64 s[28:29], vcc
	s_cbranch_execz .LBB79_133
; %bb.132:
	v_cmp_eq_u32_e32 vcc, 1, v0
	v_cndmask_b32_e32 v1, v2, v4, vcc
	v_cmp_eq_u32_e64 s[0:1], 2, v0
	v_cndmask_b32_e32 v34, v3, v5, vcc
	v_cndmask_b32_e64 v1, v1, v6, s[0:1]
	v_cmp_eq_u32_e64 s[2:3], 3, v0
	v_cndmask_b32_e64 v34, v34, v7, s[0:1]
	v_cndmask_b32_e64 v1, v1, v8, s[2:3]
	v_cmp_eq_u32_e64 s[4:5], 4, v0
	v_cndmask_b32_e64 v34, v34, v9, s[2:3]
	;; [unrolled: 3-line block ×13, first 2 shown]
	v_cndmask_b32_e64 v41, v23, v17, s[16:17]
	v_cndmask_b32_e64 v40, v22, v16, s[16:17]
	v_cndmask_b32_e32 v23, v5, v17, vcc
	v_cndmask_b32_e32 v22, v4, v16, vcc
	v_cmp_eq_u32_e32 vcc, 0, v0
	v_cndmask_b32_e64 v1, v1, v32, s[26:27]
	v_cndmask_b32_e64 v34, v34, v33, s[26:27]
	;; [unrolled: 1-line block ×24, first 2 shown]
	v_cndmask_b32_e32 v21, v3, v17, vcc
	v_cndmask_b32_e32 v20, v2, v16, vcc
	v_cndmask_b32_e64 v35, v34, v17, s[10:11]
	v_cndmask_b32_e64 v34, v1, v16, s[10:11]
	;; [unrolled: 1-line block ×4, first 2 shown]
	v_pk_mov_b32 v[2:3], v[20:21], v[20:21] op_sel:[0,1]
	v_pk_mov_b32 v[4:5], v[22:23], v[22:23] op_sel:[0,1]
	;; [unrolled: 1-line block ×16, first 2 shown]
.LBB79_133:
	s_or_b64 exec, exec, s[28:29]
	v_pk_mov_b32 v[0:1], s[44:45], s[44:45] op_sel:[0,1]
	flat_load_dword v0, v[0:1] offset:24
	s_waitcnt vmcnt(0) lgkmcnt(0)
	v_add_u32_e32 v0, -1, v0
	v_cmp_ne_u32_e32 vcc, 6, v0
	s_and_saveexec_b64 s[28:29], vcc
	s_cbranch_execz .LBB79_135
; %bb.134:
	v_cmp_eq_u32_e32 vcc, 1, v0
	v_cndmask_b32_e32 v1, v2, v4, vcc
	v_cmp_eq_u32_e64 s[0:1], 2, v0
	v_cndmask_b32_e32 v34, v3, v5, vcc
	v_cndmask_b32_e64 v1, v1, v6, s[0:1]
	v_cmp_eq_u32_e64 s[2:3], 3, v0
	v_cndmask_b32_e64 v34, v34, v7, s[0:1]
	v_cndmask_b32_e64 v1, v1, v8, s[2:3]
	v_cmp_eq_u32_e64 s[4:5], 4, v0
	v_cndmask_b32_e64 v34, v34, v9, s[2:3]
	;; [unrolled: 3-line block ×13, first 2 shown]
	v_cndmask_b32_e64 v45, v25, v15, s[18:19]
	v_cndmask_b32_e64 v44, v24, v14, s[18:19]
	v_cndmask_b32_e32 v25, v5, v15, vcc
	v_cndmask_b32_e32 v24, v4, v14, vcc
	v_cmp_eq_u32_e32 vcc, 0, v0
	v_cndmask_b32_e64 v1, v1, v32, s[26:27]
	v_cndmask_b32_e64 v34, v34, v33, s[26:27]
	;; [unrolled: 1-line block ×20, first 2 shown]
	v_cndmask_b32_e32 v23, v3, v15, vcc
	v_cndmask_b32_e32 v22, v2, v14, vcc
	v_cndmask_b32_e64 v35, v34, v15, s[8:9]
	v_cndmask_b32_e64 v34, v1, v14, s[8:9]
	;; [unrolled: 1-line block ×8, first 2 shown]
	v_pk_mov_b32 v[2:3], v[22:23], v[22:23] op_sel:[0,1]
	v_pk_mov_b32 v[4:5], v[24:25], v[24:25] op_sel:[0,1]
	;; [unrolled: 1-line block ×16, first 2 shown]
.LBB79_135:
	s_or_b64 exec, exec, s[28:29]
	v_pk_mov_b32 v[0:1], s[44:45], s[44:45] op_sel:[0,1]
	flat_load_dword v0, v[0:1] offset:20
	s_waitcnt vmcnt(0) lgkmcnt(0)
	v_add_u32_e32 v0, -1, v0
	v_cmp_ne_u32_e32 vcc, 5, v0
	s_and_saveexec_b64 s[28:29], vcc
	s_cbranch_execz .LBB79_137
; %bb.136:
	v_cmp_eq_u32_e32 vcc, 1, v0
	v_cndmask_b32_e32 v1, v2, v4, vcc
	v_cmp_eq_u32_e64 s[0:1], 2, v0
	v_cndmask_b32_e32 v34, v3, v5, vcc
	v_cndmask_b32_e64 v1, v1, v6, s[0:1]
	v_cmp_eq_u32_e64 s[2:3], 3, v0
	v_cndmask_b32_e64 v34, v34, v7, s[0:1]
	v_cndmask_b32_e64 v1, v1, v8, s[2:3]
	v_cmp_eq_u32_e64 s[4:5], 4, v0
	v_cndmask_b32_e64 v34, v34, v9, s[2:3]
	v_cndmask_b32_e64 v1, v1, v10, s[4:5]
	v_cmp_eq_u32_e64 s[6:7], 5, v0
	v_cndmask_b32_e64 v34, v34, v11, s[4:5]
	v_cndmask_b32_e64 v1, v1, v12, s[6:7]
	v_cmp_eq_u32_e64 s[8:9], 6, v0
	v_cndmask_b32_e64 v34, v34, v13, s[6:7]
	v_cndmask_b32_e64 v1, v1, v14, s[8:9]
	v_cmp_eq_u32_e64 s[10:11], 7, v0
	v_cndmask_b32_e64 v34, v34, v15, s[8:9]
	v_cndmask_b32_e64 v1, v1, v16, s[10:11]
	v_cmp_eq_u32_e64 s[12:13], 8, v0
	v_cndmask_b32_e64 v34, v34, v17, s[10:11]
	v_cndmask_b32_e64 v1, v1, v18, s[12:13]
	v_cmp_eq_u32_e64 s[14:15], 9, v0
	v_cndmask_b32_e64 v34, v34, v19, s[12:13]
	v_cndmask_b32_e64 v1, v1, v20, s[14:15]
	v_cmp_eq_u32_e64 s[16:17], 10, v0
	v_cndmask_b32_e64 v34, v34, v21, s[14:15]
	v_cndmask_b32_e64 v1, v1, v22, s[16:17]
	v_cmp_eq_u32_e64 s[18:19], 11, v0
	v_cndmask_b32_e64 v34, v34, v23, s[16:17]
	v_cndmask_b32_e64 v1, v1, v24, s[18:19]
	v_cmp_eq_u32_e64 s[20:21], 12, v0
	v_cndmask_b32_e64 v34, v34, v25, s[18:19]
	v_cndmask_b32_e64 v1, v1, v26, s[20:21]
	v_cmp_eq_u32_e64 s[22:23], 13, v0
	v_cndmask_b32_e64 v34, v34, v27, s[20:21]
	v_cndmask_b32_e64 v1, v1, v28, s[22:23]
	v_cmp_eq_u32_e64 s[24:25], 14, v0
	v_cndmask_b32_e64 v34, v34, v29, s[22:23]
	v_cndmask_b32_e64 v1, v1, v30, s[24:25]
	v_cmp_eq_u32_e64 s[26:27], 15, v0
	v_cndmask_b32_e64 v34, v34, v31, s[24:25]
	v_cndmask_b32_e64 v49, v27, v13, s[20:21]
	v_cndmask_b32_e64 v48, v26, v12, s[20:21]
	v_cndmask_b32_e32 v27, v5, v13, vcc
	v_cndmask_b32_e32 v26, v4, v12, vcc
	v_cmp_eq_u32_e32 vcc, 0, v0
	v_cndmask_b32_e64 v1, v1, v32, s[26:27]
	v_cndmask_b32_e64 v34, v34, v33, s[26:27]
	;; [unrolled: 1-line block ×16, first 2 shown]
	v_cndmask_b32_e32 v25, v3, v13, vcc
	v_cndmask_b32_e32 v24, v2, v12, vcc
	v_cndmask_b32_e64 v35, v34, v13, s[6:7]
	v_cndmask_b32_e64 v34, v1, v12, s[6:7]
	v_cndmask_b32_e64 v45, v23, v13, s[16:17]
	v_cndmask_b32_e64 v44, v22, v12, s[16:17]
	v_cndmask_b32_e64 v43, v21, v13, s[14:15]
	v_cndmask_b32_e64 v42, v20, v12, s[14:15]
	v_cndmask_b32_e64 v41, v19, v13, s[12:13]
	v_cndmask_b32_e64 v40, v18, v12, s[12:13]
	v_cndmask_b32_e64 v39, v17, v13, s[10:11]
	v_cndmask_b32_e64 v38, v16, v12, s[10:11]
	v_cndmask_b32_e64 v37, v15, v13, s[8:9]
	v_cndmask_b32_e64 v36, v14, v12, s[8:9]
	v_pk_mov_b32 v[2:3], v[24:25], v[24:25] op_sel:[0,1]
	v_pk_mov_b32 v[4:5], v[26:27], v[26:27] op_sel:[0,1]
	;; [unrolled: 1-line block ×16, first 2 shown]
.LBB79_137:
	s_or_b64 exec, exec, s[28:29]
	v_pk_mov_b32 v[0:1], s[44:45], s[44:45] op_sel:[0,1]
	flat_load_dword v0, v[0:1] offset:16
	s_waitcnt vmcnt(0) lgkmcnt(0)
	v_add_u32_e32 v0, -1, v0
	v_cmp_ne_u32_e32 vcc, 4, v0
	s_and_saveexec_b64 s[28:29], vcc
	s_cbranch_execz .LBB79_139
; %bb.138:
	v_cmp_eq_u32_e32 vcc, 1, v0
	v_cndmask_b32_e32 v1, v2, v4, vcc
	v_cmp_eq_u32_e64 s[0:1], 2, v0
	v_cndmask_b32_e32 v34, v3, v5, vcc
	v_cndmask_b32_e64 v1, v1, v6, s[0:1]
	v_cmp_eq_u32_e64 s[2:3], 3, v0
	v_cndmask_b32_e64 v34, v34, v7, s[0:1]
	v_cndmask_b32_e64 v1, v1, v8, s[2:3]
	v_cmp_eq_u32_e64 s[4:5], 4, v0
	v_cndmask_b32_e64 v34, v34, v9, s[2:3]
	;; [unrolled: 3-line block ×13, first 2 shown]
	v_cndmask_b32_e64 v53, v29, v11, s[22:23]
	v_cndmask_b32_e64 v52, v28, v10, s[22:23]
	v_cndmask_b32_e32 v29, v5, v11, vcc
	v_cndmask_b32_e32 v28, v4, v10, vcc
	v_cmp_eq_u32_e32 vcc, 0, v0
	v_cndmask_b32_e64 v1, v1, v32, s[26:27]
	v_cndmask_b32_e64 v34, v34, v33, s[26:27]
	;; [unrolled: 1-line block ×12, first 2 shown]
	v_cndmask_b32_e32 v27, v3, v11, vcc
	v_cndmask_b32_e32 v26, v2, v10, vcc
	v_cndmask_b32_e64 v35, v34, v11, s[4:5]
	v_cndmask_b32_e64 v34, v1, v10, s[4:5]
	;; [unrolled: 1-line block ×16, first 2 shown]
	v_pk_mov_b32 v[2:3], v[26:27], v[26:27] op_sel:[0,1]
	v_pk_mov_b32 v[4:5], v[28:29], v[28:29] op_sel:[0,1]
	;; [unrolled: 1-line block ×16, first 2 shown]
.LBB79_139:
	s_or_b64 exec, exec, s[28:29]
	v_pk_mov_b32 v[0:1], s[44:45], s[44:45] op_sel:[0,1]
	flat_load_dword v0, v[0:1] offset:12
	s_waitcnt vmcnt(0) lgkmcnt(0)
	v_add_u32_e32 v0, -1, v0
	v_cmp_ne_u32_e32 vcc, 3, v0
	s_and_saveexec_b64 s[28:29], vcc
	s_cbranch_execz .LBB79_141
; %bb.140:
	v_cmp_eq_u32_e32 vcc, 1, v0
	v_cndmask_b32_e32 v1, v2, v4, vcc
	v_cmp_eq_u32_e64 s[0:1], 2, v0
	v_cndmask_b32_e32 v34, v3, v5, vcc
	v_cndmask_b32_e64 v1, v1, v6, s[0:1]
	v_cmp_eq_u32_e64 s[2:3], 3, v0
	v_cndmask_b32_e64 v34, v34, v7, s[0:1]
	v_cndmask_b32_e64 v1, v1, v8, s[2:3]
	v_cmp_eq_u32_e64 s[4:5], 4, v0
	v_cndmask_b32_e64 v34, v34, v9, s[2:3]
	;; [unrolled: 3-line block ×13, first 2 shown]
	v_cndmask_b32_e64 v57, v31, v9, s[24:25]
	v_cndmask_b32_e64 v56, v30, v8, s[24:25]
	v_cndmask_b32_e32 v31, v5, v9, vcc
	v_cndmask_b32_e32 v30, v4, v8, vcc
	v_cmp_eq_u32_e32 vcc, 0, v0
	v_cndmask_b32_e64 v1, v1, v32, s[26:27]
	v_cndmask_b32_e64 v34, v34, v33, s[26:27]
	;; [unrolled: 1-line block ×8, first 2 shown]
	v_cndmask_b32_e32 v29, v3, v9, vcc
	v_cndmask_b32_e32 v28, v2, v8, vcc
	v_cndmask_b32_e64 v35, v34, v9, s[2:3]
	v_cndmask_b32_e64 v34, v1, v8, s[2:3]
	;; [unrolled: 1-line block ×20, first 2 shown]
	v_pk_mov_b32 v[2:3], v[28:29], v[28:29] op_sel:[0,1]
	v_pk_mov_b32 v[4:5], v[30:31], v[30:31] op_sel:[0,1]
	;; [unrolled: 1-line block ×16, first 2 shown]
.LBB79_141:
	s_or_b64 exec, exec, s[28:29]
	v_pk_mov_b32 v[0:1], s[44:45], s[44:45] op_sel:[0,1]
	flat_load_dword v0, v[0:1] offset:8
	s_waitcnt vmcnt(0) lgkmcnt(0)
	v_add_u32_e32 v0, -1, v0
	v_cmp_ne_u32_e32 vcc, 2, v0
	s_and_saveexec_b64 s[28:29], vcc
	s_cbranch_execz .LBB79_143
; %bb.142:
	v_cmp_eq_u32_e32 vcc, 1, v0
	v_cndmask_b32_e32 v1, v2, v4, vcc
	v_cmp_eq_u32_e64 s[0:1], 2, v0
	v_cndmask_b32_e32 v34, v3, v5, vcc
	v_cndmask_b32_e64 v1, v1, v6, s[0:1]
	v_cmp_eq_u32_e64 s[2:3], 3, v0
	v_cndmask_b32_e64 v34, v34, v7, s[0:1]
	v_cndmask_b32_e64 v1, v1, v8, s[2:3]
	v_cmp_eq_u32_e64 s[4:5], 4, v0
	v_cndmask_b32_e64 v34, v34, v9, s[2:3]
	;; [unrolled: 3-line block ×13, first 2 shown]
	v_cndmask_b32_e64 v1, v1, v32, s[26:27]
	v_cndmask_b32_e64 v34, v34, v33, s[26:27]
	;; [unrolled: 1-line block ×4, first 2 shown]
	v_cndmask_b32_e32 v33, v5, v7, vcc
	v_cndmask_b32_e32 v32, v4, v6, vcc
	v_cmp_eq_u32_e32 vcc, 0, v0
	v_cndmask_b32_e64 v59, v31, v7, s[24:25]
	v_cndmask_b32_e64 v58, v30, v6, s[24:25]
	v_cndmask_b32_e32 v31, v3, v7, vcc
	v_cndmask_b32_e32 v30, v2, v6, vcc
	v_cndmask_b32_e64 v35, v34, v7, s[0:1]
	v_cndmask_b32_e64 v34, v1, v6, s[0:1]
	;; [unrolled: 1-line block ×24, first 2 shown]
	v_pk_mov_b32 v[2:3], v[30:31], v[30:31] op_sel:[0,1]
	v_pk_mov_b32 v[4:5], v[32:33], v[32:33] op_sel:[0,1]
	;; [unrolled: 1-line block ×16, first 2 shown]
.LBB79_143:
	s_or_b64 exec, exec, s[28:29]
	v_pk_mov_b32 v[0:1], s[44:45], s[44:45] op_sel:[0,1]
	flat_load_dword v0, v[0:1] offset:4
	s_waitcnt vmcnt(0) lgkmcnt(0)
	v_add_u32_e32 v0, -1, v0
	v_cmp_ne_u32_e32 vcc, 1, v0
	s_and_saveexec_b64 s[28:29], vcc
	s_cbranch_execz .LBB79_145
; %bb.144:
	v_cmp_eq_u32_e32 vcc, 1, v0
	v_cndmask_b32_e32 v1, v2, v4, vcc
	v_cmp_eq_u32_e64 s[0:1], 2, v0
	v_cndmask_b32_e32 v34, v3, v5, vcc
	v_cndmask_b32_e64 v1, v1, v6, s[0:1]
	v_cmp_eq_u32_e64 s[2:3], 3, v0
	v_cndmask_b32_e64 v34, v34, v7, s[0:1]
	v_cndmask_b32_e64 v1, v1, v8, s[2:3]
	v_cmp_eq_u32_e64 s[4:5], 4, v0
	v_cndmask_b32_e64 v34, v34, v9, s[2:3]
	;; [unrolled: 3-line block ×13, first 2 shown]
	v_cndmask_b32_e64 v1, v1, v32, s[26:27]
	v_cndmask_b32_e64 v34, v34, v33, s[26:27]
	v_cndmask_b32_e32 v35, v34, v5, vcc
	v_cndmask_b32_e32 v34, v1, v4, vcc
	v_cmp_eq_u32_e32 vcc, 0, v0
	v_cndmask_b32_e64 v63, v33, v5, s[26:27]
	v_cndmask_b32_e64 v62, v32, v4, s[26:27]
	v_cndmask_b32_e32 v33, v3, v5, vcc
	v_cndmask_b32_e32 v32, v2, v4, vcc
	v_cndmask_b32_e64 v61, v31, v5, s[24:25]
	v_cndmask_b32_e64 v60, v30, v4, s[24:25]
	v_cndmask_b32_e64 v59, v29, v5, s[22:23]
	v_cndmask_b32_e64 v58, v28, v4, s[22:23]
	v_cndmask_b32_e64 v57, v27, v5, s[20:21]
	v_cndmask_b32_e64 v56, v26, v4, s[20:21]
	v_cndmask_b32_e64 v55, v25, v5, s[18:19]
	v_cndmask_b32_e64 v54, v24, v4, s[18:19]
	v_cndmask_b32_e64 v53, v23, v5, s[16:17]
	v_cndmask_b32_e64 v52, v22, v4, s[16:17]
	v_cndmask_b32_e64 v51, v21, v5, s[14:15]
	v_cndmask_b32_e64 v50, v20, v4, s[14:15]
	v_cndmask_b32_e64 v49, v19, v5, s[12:13]
	v_cndmask_b32_e64 v48, v18, v4, s[12:13]
	v_cndmask_b32_e64 v47, v17, v5, s[10:11]
	v_cndmask_b32_e64 v46, v16, v4, s[10:11]
	v_cndmask_b32_e64 v45, v15, v5, s[8:9]
	v_cndmask_b32_e64 v44, v14, v4, s[8:9]
	v_cndmask_b32_e64 v43, v13, v5, s[6:7]
	v_cndmask_b32_e64 v42, v12, v4, s[6:7]
	v_cndmask_b32_e64 v41, v11, v5, s[4:5]
	v_cndmask_b32_e64 v40, v10, v4, s[4:5]
	v_cndmask_b32_e64 v39, v9, v5, s[2:3]
	v_cndmask_b32_e64 v38, v8, v4, s[2:3]
	v_cndmask_b32_e64 v37, v7, v5, s[0:1]
	v_cndmask_b32_e64 v36, v6, v4, s[0:1]
	v_pk_mov_b32 v[2:3], v[32:33], v[32:33] op_sel:[0,1]
	v_pk_mov_b32 v[4:5], v[34:35], v[34:35] op_sel:[0,1]
	;; [unrolled: 1-line block ×16, first 2 shown]
.LBB79_145:
	s_or_b64 exec, exec, s[28:29]
	v_pk_mov_b32 v[0:1], s[44:45], s[44:45] op_sel:[0,1]
	flat_load_dword v0, v[0:1]
	s_waitcnt vmcnt(0) lgkmcnt(0)
	v_add_u32_e32 v0, -1, v0
	v_cmp_ne_u32_e32 vcc, 0, v0
	s_and_saveexec_b64 s[30:31], vcc
	s_cbranch_execz .LBB79_147
; %bb.146:
	v_cmp_eq_u32_e32 vcc, 1, v0
	v_cndmask_b32_e32 v1, v2, v4, vcc
	v_cmp_eq_u32_e64 s[0:1], 2, v0
	v_cndmask_b32_e32 v34, v3, v5, vcc
	v_cndmask_b32_e64 v1, v1, v6, s[0:1]
	v_cmp_eq_u32_e64 s[2:3], 3, v0
	v_cndmask_b32_e64 v34, v34, v7, s[0:1]
	v_cndmask_b32_e64 v1, v1, v8, s[2:3]
	v_cmp_eq_u32_e64 s[4:5], 4, v0
	v_cndmask_b32_e64 v34, v34, v9, s[2:3]
	;; [unrolled: 3-line block ×13, first 2 shown]
	v_cndmask_b32_e64 v1, v1, v32, s[26:27]
	v_cndmask_b32_e64 v34, v34, v33, s[26:27]
	v_cmp_eq_u32_e64 s[28:29], 0, v0
	v_cndmask_b32_e64 v35, v34, v3, s[28:29]
	v_cndmask_b32_e64 v34, v1, v2, s[28:29]
	;; [unrolled: 1-line block ×30, first 2 shown]
	v_cndmask_b32_e32 v37, v5, v3, vcc
	v_cndmask_b32_e32 v36, v4, v2, vcc
	v_pk_mov_b32 v[2:3], v[34:35], v[34:35] op_sel:[0,1]
	v_pk_mov_b32 v[4:5], v[36:37], v[36:37] op_sel:[0,1]
	;; [unrolled: 1-line block ×16, first 2 shown]
.LBB79_147:
	s_or_b64 exec, exec, s[30:31]
.LBB79_148:
	global_store_dwordx2 v[66:67], v[2:3], off
	global_store_dwordx2 v[68:69], v[4:5], off
	;; [unrolled: 1-line block ×16, first 2 shown]
	s_endpgm
	.section	.rodata,"a",@progbits
	.p2align	6, 0x0
	.amdhsa_kernel _ZN9rocsolver6v33100L18getri_kernel_smallILi16EdPKPdEEvT1_iilPiilS6_bb
		.amdhsa_group_segment_fixed_size 264
		.amdhsa_private_segment_fixed_size 0
		.amdhsa_kernarg_size 60
		.amdhsa_user_sgpr_count 6
		.amdhsa_user_sgpr_private_segment_buffer 1
		.amdhsa_user_sgpr_dispatch_ptr 0
		.amdhsa_user_sgpr_queue_ptr 0
		.amdhsa_user_sgpr_kernarg_segment_ptr 1
		.amdhsa_user_sgpr_dispatch_id 0
		.amdhsa_user_sgpr_flat_scratch_init 0
		.amdhsa_user_sgpr_kernarg_preload_length 0
		.amdhsa_user_sgpr_kernarg_preload_offset 0
		.amdhsa_user_sgpr_private_segment_size 0
		.amdhsa_uses_dynamic_stack 0
		.amdhsa_system_sgpr_private_segment_wavefront_offset 0
		.amdhsa_system_sgpr_workgroup_id_x 1
		.amdhsa_system_sgpr_workgroup_id_y 0
		.amdhsa_system_sgpr_workgroup_id_z 0
		.amdhsa_system_sgpr_workgroup_info 0
		.amdhsa_system_vgpr_workitem_id 0
		.amdhsa_next_free_vgpr 98
		.amdhsa_next_free_sgpr 54
		.amdhsa_accum_offset 100
		.amdhsa_reserve_vcc 1
		.amdhsa_reserve_flat_scratch 0
		.amdhsa_float_round_mode_32 0
		.amdhsa_float_round_mode_16_64 0
		.amdhsa_float_denorm_mode_32 3
		.amdhsa_float_denorm_mode_16_64 3
		.amdhsa_dx10_clamp 1
		.amdhsa_ieee_mode 1
		.amdhsa_fp16_overflow 0
		.amdhsa_tg_split 0
		.amdhsa_exception_fp_ieee_invalid_op 0
		.amdhsa_exception_fp_denorm_src 0
		.amdhsa_exception_fp_ieee_div_zero 0
		.amdhsa_exception_fp_ieee_overflow 0
		.amdhsa_exception_fp_ieee_underflow 0
		.amdhsa_exception_fp_ieee_inexact 0
		.amdhsa_exception_int_div_zero 0
	.end_amdhsa_kernel
	.section	.text._ZN9rocsolver6v33100L18getri_kernel_smallILi16EdPKPdEEvT1_iilPiilS6_bb,"axG",@progbits,_ZN9rocsolver6v33100L18getri_kernel_smallILi16EdPKPdEEvT1_iilPiilS6_bb,comdat
.Lfunc_end79:
	.size	_ZN9rocsolver6v33100L18getri_kernel_smallILi16EdPKPdEEvT1_iilPiilS6_bb, .Lfunc_end79-_ZN9rocsolver6v33100L18getri_kernel_smallILi16EdPKPdEEvT1_iilPiilS6_bb
                                        ; -- End function
	.section	.AMDGPU.csdata,"",@progbits
; Kernel info:
; codeLenInByte = 28132
; NumSgprs: 58
; NumVgprs: 98
; NumAgprs: 0
; TotalNumVgprs: 98
; ScratchSize: 0
; MemoryBound: 0
; FloatMode: 240
; IeeeMode: 1
; LDSByteSize: 264 bytes/workgroup (compile time only)
; SGPRBlocks: 7
; VGPRBlocks: 12
; NumSGPRsForWavesPerEU: 58
; NumVGPRsForWavesPerEU: 98
; AccumOffset: 100
; Occupancy: 4
; WaveLimiterHint : 1
; COMPUTE_PGM_RSRC2:SCRATCH_EN: 0
; COMPUTE_PGM_RSRC2:USER_SGPR: 6
; COMPUTE_PGM_RSRC2:TRAP_HANDLER: 0
; COMPUTE_PGM_RSRC2:TGID_X_EN: 1
; COMPUTE_PGM_RSRC2:TGID_Y_EN: 0
; COMPUTE_PGM_RSRC2:TGID_Z_EN: 0
; COMPUTE_PGM_RSRC2:TIDIG_COMP_CNT: 0
; COMPUTE_PGM_RSRC3_GFX90A:ACCUM_OFFSET: 24
; COMPUTE_PGM_RSRC3_GFX90A:TG_SPLIT: 0
	.section	.text._ZN9rocsolver6v33100L18getri_kernel_smallILi17EdPKPdEEvT1_iilPiilS6_bb,"axG",@progbits,_ZN9rocsolver6v33100L18getri_kernel_smallILi17EdPKPdEEvT1_iilPiilS6_bb,comdat
	.globl	_ZN9rocsolver6v33100L18getri_kernel_smallILi17EdPKPdEEvT1_iilPiilS6_bb ; -- Begin function _ZN9rocsolver6v33100L18getri_kernel_smallILi17EdPKPdEEvT1_iilPiilS6_bb
	.p2align	8
	.type	_ZN9rocsolver6v33100L18getri_kernel_smallILi17EdPKPdEEvT1_iilPiilS6_bb,@function
_ZN9rocsolver6v33100L18getri_kernel_smallILi17EdPKPdEEvT1_iilPiilS6_bb: ; @_ZN9rocsolver6v33100L18getri_kernel_smallILi17EdPKPdEEvT1_iilPiilS6_bb
; %bb.0:
	s_add_u32 flat_scratch_lo, s6, s9
	s_addc_u32 flat_scratch_hi, s7, 0
	s_add_u32 s0, s0, s9
	s_addc_u32 s1, s1, 0
	v_cmp_gt_u32_e32 vcc, 17, v0
	s_and_saveexec_b64 s[6:7], vcc
	s_cbranch_execz .LBB80_76
; %bb.1:
	s_load_dword s18, s[4:5], 0x38
	s_load_dwordx2 s[6:7], s[4:5], 0x0
	s_load_dwordx4 s[12:15], s[4:5], 0x28
	s_waitcnt lgkmcnt(0)
	s_bitcmp1_b32 s18, 8
	s_cselect_b64 s[16:17], -1, 0
	s_ashr_i32 s9, s8, 31
	s_lshl_b64 s[10:11], s[8:9], 3
	s_add_u32 s6, s6, s10
	s_addc_u32 s7, s7, s11
	s_load_dwordx2 s[6:7], s[6:7], 0x0
	s_bfe_u32 s10, s18, 0x10008
	s_cmp_eq_u32 s10, 0
                                        ; implicit-def: $sgpr10_sgpr11
	s_cbranch_scc1 .LBB80_3
; %bb.2:
	s_load_dword s10, s[4:5], 0x20
	s_load_dwordx2 s[20:21], s[4:5], 0x18
	s_mul_i32 s11, s8, s13
	s_mul_hi_u32 s13, s8, s12
	s_add_i32 s13, s13, s11
	s_mul_i32 s19, s9, s12
	s_add_i32 s13, s13, s19
	s_mul_i32 s12, s8, s12
	s_waitcnt lgkmcnt(0)
	s_ashr_i32 s11, s10, 31
	s_lshl_b64 s[12:13], s[12:13], 2
	s_add_u32 s12, s20, s12
	s_addc_u32 s13, s21, s13
	s_lshl_b64 s[10:11], s[10:11], 2
	s_add_u32 s10, s12, s10
	s_addc_u32 s11, s13, s11
.LBB80_3:
	s_load_dwordx2 s[4:5], s[4:5], 0x8
	v_lshlrev_b32_e32 v1, 3, v0
	s_waitcnt lgkmcnt(0)
	s_ashr_i32 s13, s4, 31
	s_mov_b32 s12, s4
	s_lshl_b64 s[12:13], s[12:13], 3
	s_add_u32 s6, s6, s12
	s_addc_u32 s7, s7, s13
	v_mov_b32_e32 v3, s7
	v_add_co_u32_e32 v2, vcc, s6, v1
	s_ashr_i32 s13, s5, 31
	s_mov_b32 s12, s5
	s_add_i32 s4, s5, s5
	v_addc_co_u32_e32 v3, vcc, 0, v3, vcc
	s_lshl_b64 s[12:13], s[12:13], 3
	v_add_u32_e32 v8, s4, v0
	v_mov_b32_e32 v5, s13
	v_add_co_u32_e32 v4, vcc, s12, v2
	v_ashrrev_i32_e32 v9, 31, v8
	v_addc_co_u32_e32 v5, vcc, v3, v5, vcc
	v_lshlrev_b64 v[6:7], 3, v[8:9]
	v_add_u32_e32 v10, s5, v8
	v_mov_b32_e32 v9, s7
	v_add_co_u32_e32 v6, vcc, s6, v6
	v_ashrrev_i32_e32 v11, 31, v10
	v_addc_co_u32_e32 v7, vcc, v9, v7, vcc
	v_lshlrev_b64 v[8:9], 3, v[10:11]
	v_mov_b32_e32 v11, s7
	v_add_co_u32_e32 v8, vcc, s6, v8
	v_add_u32_e32 v10, s5, v10
	v_addc_co_u32_e32 v9, vcc, v11, v9, vcc
	v_ashrrev_i32_e32 v11, 31, v10
	v_add_u32_e32 v12, s5, v10
	v_lshlrev_b64 v[10:11], 3, v[10:11]
	v_mov_b32_e32 v15, s7
	v_ashrrev_i32_e32 v13, 31, v12
	v_add_co_u32_e32 v10, vcc, s6, v10
	v_add_u32_e32 v14, s5, v12
	v_addc_co_u32_e32 v11, vcc, v15, v11, vcc
	v_lshlrev_b64 v[12:13], 3, v[12:13]
	v_mov_b32_e32 v17, s7
	v_ashrrev_i32_e32 v15, 31, v14
	v_add_co_u32_e32 v12, vcc, s6, v12
	v_add_u32_e32 v16, s5, v14
	v_addc_co_u32_e32 v13, vcc, v17, v13, vcc
	;; [unrolled: 6-line block ×4, first 2 shown]
	v_lshlrev_b64 v[18:19], 3, v[18:19]
	v_mov_b32_e32 v21, s7
	v_add_co_u32_e32 v18, vcc, s6, v18
	v_ashrrev_i32_e32 v23, 31, v22
	v_addc_co_u32_e32 v19, vcc, v21, v19, vcc
	v_lshlrev_b64 v[20:21], 3, v[22:23]
	v_add_u32_e32 v24, s5, v22
	v_mov_b32_e32 v23, s7
	v_add_co_u32_e32 v20, vcc, s6, v20
	v_ashrrev_i32_e32 v25, 31, v24
	v_addc_co_u32_e32 v21, vcc, v23, v21, vcc
	v_lshlrev_b64 v[22:23], 3, v[24:25]
	v_add_u32_e32 v26, s5, v24
	;; [unrolled: 6-line block ×6, first 2 shown]
	v_mov_b32_e32 v33, s7
	v_add_co_u32_e32 v30, vcc, s6, v30
	v_ashrrev_i32_e32 v35, 31, v34
	v_addc_co_u32_e32 v31, vcc, v33, v31, vcc
	v_lshlrev_b64 v[32:33], 3, v[34:35]
	v_mov_b32_e32 v35, s7
	v_add_co_u32_e32 v32, vcc, s6, v32
	global_load_dwordx2 v[36:37], v1, s[6:7]
	global_load_dwordx2 v[38:39], v[4:5], off
	global_load_dwordx2 v[40:41], v[6:7], off
	;; [unrolled: 1-line block ×12, first 2 shown]
	v_addc_co_u32_e32 v33, vcc, v35, v33, vcc
	global_load_dwordx2 v[62:63], v[28:29], off
	global_load_dwordx2 v[64:65], v[30:31], off
	;; [unrolled: 1-line block ×3, first 2 shown]
	v_add_u32_e32 v34, s5, v34
	v_ashrrev_i32_e32 v35, 31, v34
	v_lshlrev_b64 v[34:35], 3, v[34:35]
	v_mov_b32_e32 v68, s7
	v_add_co_u32_e32 v34, vcc, s6, v34
	v_addc_co_u32_e32 v35, vcc, v68, v35, vcc
	global_load_dwordx2 v[68:69], v[34:35], off
	s_bitcmp0_b32 s18, 0
	s_mov_b64 s[6:7], -1
	s_waitcnt vmcnt(16)
	buffer_store_dword v37, off, s[0:3], 0 offset:4
	buffer_store_dword v36, off, s[0:3], 0
	s_waitcnt vmcnt(17)
	buffer_store_dword v39, off, s[0:3], 0 offset:12
	buffer_store_dword v38, off, s[0:3], 0 offset:8
	s_waitcnt vmcnt(18)
	buffer_store_dword v41, off, s[0:3], 0 offset:20
	buffer_store_dword v40, off, s[0:3], 0 offset:16
	;; [unrolled: 3-line block ×16, first 2 shown]
	s_cbranch_scc1 .LBB80_74
; %bb.4:
	v_cmp_eq_u32_e64 s[4:5], 0, v0
	s_and_saveexec_b64 s[6:7], s[4:5]
	s_cbranch_execz .LBB80_6
; %bb.5:
	v_mov_b32_e32 v36, 0
	ds_write_b32 v36, v36 offset:136
.LBB80_6:
	s_or_b64 exec, exec, s[6:7]
	v_mov_b32_e32 v36, 0
	v_lshl_add_u32 v36, v0, 3, v36
	s_waitcnt lgkmcnt(0)
	; wave barrier
	s_waitcnt lgkmcnt(0)
	buffer_load_dword v38, v36, s[0:3], 0 offen
	buffer_load_dword v39, v36, s[0:3], 0 offen offset:4
	s_waitcnt vmcnt(0)
	v_cmp_eq_f64_e32 vcc, 0, v[38:39]
	s_and_saveexec_b64 s[12:13], vcc
	s_cbranch_execz .LBB80_10
; %bb.7:
	v_mov_b32_e32 v37, 0
	ds_read_b32 v39, v37 offset:136
	v_add_u32_e32 v38, 1, v0
	s_waitcnt lgkmcnt(0)
	v_readfirstlane_b32 s6, v39
	s_cmp_eq_u32 s6, 0
	s_cselect_b64 s[18:19], -1, 0
	v_cmp_gt_i32_e32 vcc, s6, v38
	s_or_b64 s[18:19], s[18:19], vcc
	s_and_b64 exec, exec, s[18:19]
	s_cbranch_execz .LBB80_10
; %bb.8:
	s_mov_b64 s[18:19], 0
	v_mov_b32_e32 v39, s6
.LBB80_9:                               ; =>This Inner Loop Header: Depth=1
	ds_cmpst_rtn_b32 v39, v37, v39, v38 offset:136
	s_waitcnt lgkmcnt(0)
	v_cmp_ne_u32_e32 vcc, 0, v39
	v_cmp_le_i32_e64 s[6:7], v39, v38
	s_and_b64 s[6:7], vcc, s[6:7]
	s_and_b64 s[6:7], exec, s[6:7]
	s_or_b64 s[18:19], s[6:7], s[18:19]
	s_andn2_b64 exec, exec, s[18:19]
	s_cbranch_execnz .LBB80_9
.LBB80_10:
	s_or_b64 exec, exec, s[12:13]
	v_mov_b32_e32 v38, 0
	s_waitcnt lgkmcnt(0)
	; wave barrier
	ds_read_b32 v37, v38 offset:136
	s_and_saveexec_b64 s[6:7], s[4:5]
	s_cbranch_execz .LBB80_12
; %bb.11:
	s_lshl_b64 s[12:13], s[8:9], 2
	s_add_u32 s12, s14, s12
	s_addc_u32 s13, s15, s13
	s_waitcnt lgkmcnt(0)
	global_store_dword v38, v37, s[12:13]
.LBB80_12:
	s_or_b64 exec, exec, s[6:7]
	s_waitcnt lgkmcnt(0)
	v_cmp_ne_u32_e32 vcc, 0, v37
	s_mov_b64 s[6:7], 0
	s_cbranch_vccnz .LBB80_74
; %bb.13:
	buffer_load_dword v38, v36, s[0:3], 0 offen
	buffer_load_dword v39, v36, s[0:3], 0 offen offset:4
	s_waitcnt vmcnt(0)
	v_div_scale_f64 v[40:41], s[6:7], v[38:39], v[38:39], 1.0
	v_rcp_f64_e32 v[42:43], v[40:41]
	v_div_scale_f64 v[44:45], vcc, 1.0, v[38:39], 1.0
	v_fma_f64 v[46:47], -v[40:41], v[42:43], 1.0
	v_fmac_f64_e32 v[42:43], v[42:43], v[46:47]
	v_fma_f64 v[46:47], -v[40:41], v[42:43], 1.0
	v_fmac_f64_e32 v[42:43], v[42:43], v[46:47]
	v_mul_f64 v[46:47], v[44:45], v[42:43]
	v_fma_f64 v[40:41], -v[40:41], v[46:47], v[44:45]
	v_div_fmas_f64 v[40:41], v[40:41], v[42:43], v[46:47]
	v_div_fixup_f64 v[40:41], v[40:41], v[38:39], 1.0
	buffer_store_dword v41, v36, s[0:3], 0 offen offset:4
	buffer_store_dword v40, v36, s[0:3], 0 offen
	buffer_load_dword v43, off, s[0:3], 0 offset:12
	buffer_load_dword v42, off, s[0:3], 0 offset:8
	v_add_u32_e32 v38, 0x90, v1
	v_xor_b32_e32 v41, 0x80000000, v41
	s_waitcnt vmcnt(0)
	ds_write2_b64 v1, v[40:41], v[42:43] offset1:18
	s_waitcnt lgkmcnt(0)
	; wave barrier
	s_waitcnt lgkmcnt(0)
	s_and_saveexec_b64 s[6:7], s[4:5]
	s_cbranch_execz .LBB80_15
; %bb.14:
	buffer_load_dword v40, v36, s[0:3], 0 offen
	buffer_load_dword v41, v36, s[0:3], 0 offen offset:4
	v_mov_b32_e32 v37, 0
	ds_read_b64 v[42:43], v38
	ds_read_b64 v[44:45], v37 offset:8
	s_waitcnt vmcnt(0) lgkmcnt(1)
	v_fma_f64 v[40:41], v[40:41], v[42:43], 0
	s_waitcnt lgkmcnt(0)
	v_mul_f64 v[40:41], v[40:41], v[44:45]
	buffer_store_dword v40, off, s[0:3], 0 offset:8
	buffer_store_dword v41, off, s[0:3], 0 offset:12
.LBB80_15:
	s_or_b64 exec, exec, s[6:7]
	s_waitcnt lgkmcnt(0)
	; wave barrier
	buffer_load_dword v40, off, s[0:3], 0 offset:16
	buffer_load_dword v41, off, s[0:3], 0 offset:20
	v_cmp_gt_u32_e32 vcc, 2, v0
	s_waitcnt vmcnt(0)
	ds_write_b64 v38, v[40:41]
	s_waitcnt lgkmcnt(0)
	; wave barrier
	s_waitcnt lgkmcnt(0)
	s_and_saveexec_b64 s[6:7], vcc
	s_cbranch_execz .LBB80_17
; %bb.16:
	buffer_load_dword v37, v36, s[0:3], 0 offen offset:4
	buffer_load_dword v44, off, s[0:3], 0 offset:8
	s_nop 0
	buffer_load_dword v36, v36, s[0:3], 0 offen
	s_nop 0
	buffer_load_dword v45, off, s[0:3], 0 offset:12
	ds_read_b64 v[46:47], v38
	v_mov_b32_e32 v39, 0
	ds_read2_b64 v[40:43], v39 offset0:2 offset1:19
	s_waitcnt vmcnt(1) lgkmcnt(1)
	v_fma_f64 v[36:37], v[36:37], v[46:47], 0
	s_waitcnt vmcnt(0) lgkmcnt(0)
	v_fma_f64 v[42:43], v[44:45], v[42:43], v[36:37]
	v_cndmask_b32_e64 v37, v37, v43, s[4:5]
	v_cndmask_b32_e64 v36, v36, v42, s[4:5]
	v_mul_f64 v[36:37], v[36:37], v[40:41]
	buffer_store_dword v37, off, s[0:3], 0 offset:20
	buffer_store_dword v36, off, s[0:3], 0 offset:16
.LBB80_17:
	s_or_b64 exec, exec, s[6:7]
	s_waitcnt lgkmcnt(0)
	; wave barrier
	buffer_load_dword v36, off, s[0:3], 0 offset:24
	buffer_load_dword v37, off, s[0:3], 0 offset:28
	v_cmp_gt_u32_e32 vcc, 3, v0
	v_add_u32_e32 v39, -1, v0
	s_waitcnt vmcnt(0)
	ds_write_b64 v38, v[36:37]
	s_waitcnt lgkmcnt(0)
	; wave barrier
	s_waitcnt lgkmcnt(0)
	s_and_saveexec_b64 s[4:5], vcc
	s_cbranch_execz .LBB80_21
; %bb.18:
	v_add_u32_e32 v40, -1, v0
	v_add_u32_e32 v41, 0x90, v1
	v_add_u32_e32 v42, 0, v1
	s_mov_b64 s[6:7], 0
	v_pk_mov_b32 v[36:37], 0, 0
.LBB80_19:                              ; =>This Inner Loop Header: Depth=1
	buffer_load_dword v44, v42, s[0:3], 0 offen
	buffer_load_dword v45, v42, s[0:3], 0 offen offset:4
	ds_read_b64 v[46:47], v41
	v_add_u32_e32 v40, 1, v40
	v_cmp_lt_u32_e32 vcc, 1, v40
	v_add_u32_e32 v41, 8, v41
	v_add_u32_e32 v42, 8, v42
	s_or_b64 s[6:7], vcc, s[6:7]
	s_waitcnt vmcnt(0) lgkmcnt(0)
	v_fmac_f64_e32 v[36:37], v[44:45], v[46:47]
	s_andn2_b64 exec, exec, s[6:7]
	s_cbranch_execnz .LBB80_19
; %bb.20:
	s_or_b64 exec, exec, s[6:7]
	v_mov_b32_e32 v40, 0
	ds_read_b64 v[40:41], v40 offset:24
	s_waitcnt lgkmcnt(0)
	v_mul_f64 v[36:37], v[36:37], v[40:41]
	buffer_store_dword v37, off, s[0:3], 0 offset:28
	buffer_store_dword v36, off, s[0:3], 0 offset:24
.LBB80_21:
	s_or_b64 exec, exec, s[4:5]
	s_waitcnt lgkmcnt(0)
	; wave barrier
	buffer_load_dword v36, off, s[0:3], 0 offset:32
	buffer_load_dword v37, off, s[0:3], 0 offset:36
	v_cmp_gt_u32_e32 vcc, 4, v0
	s_waitcnt vmcnt(0)
	ds_write_b64 v38, v[36:37]
	s_waitcnt lgkmcnt(0)
	; wave barrier
	s_waitcnt lgkmcnt(0)
	s_and_saveexec_b64 s[4:5], vcc
	s_cbranch_execz .LBB80_25
; %bb.22:
	v_add_u32_e32 v40, -1, v0
	v_add_u32_e32 v41, 0x90, v1
	v_add_u32_e32 v42, 0, v1
	s_mov_b64 s[6:7], 0
	v_pk_mov_b32 v[36:37], 0, 0
.LBB80_23:                              ; =>This Inner Loop Header: Depth=1
	buffer_load_dword v44, v42, s[0:3], 0 offen
	buffer_load_dword v45, v42, s[0:3], 0 offen offset:4
	ds_read_b64 v[46:47], v41
	v_add_u32_e32 v40, 1, v40
	v_cmp_lt_u32_e32 vcc, 2, v40
	v_add_u32_e32 v41, 8, v41
	v_add_u32_e32 v42, 8, v42
	s_or_b64 s[6:7], vcc, s[6:7]
	s_waitcnt vmcnt(0) lgkmcnt(0)
	v_fmac_f64_e32 v[36:37], v[44:45], v[46:47]
	s_andn2_b64 exec, exec, s[6:7]
	s_cbranch_execnz .LBB80_23
; %bb.24:
	s_or_b64 exec, exec, s[6:7]
	v_mov_b32_e32 v40, 0
	ds_read_b64 v[40:41], v40 offset:32
	s_waitcnt lgkmcnt(0)
	v_mul_f64 v[36:37], v[36:37], v[40:41]
	buffer_store_dword v37, off, s[0:3], 0 offset:36
	buffer_store_dword v36, off, s[0:3], 0 offset:32
.LBB80_25:
	s_or_b64 exec, exec, s[4:5]
	s_waitcnt lgkmcnt(0)
	; wave barrier
	buffer_load_dword v36, off, s[0:3], 0 offset:40
	buffer_load_dword v37, off, s[0:3], 0 offset:44
	v_cmp_gt_u32_e32 vcc, 5, v0
	;; [unrolled: 41-line block ×12, first 2 shown]
	s_waitcnt vmcnt(0)
	ds_write_b64 v38, v[36:37]
	s_waitcnt lgkmcnt(0)
	; wave barrier
	s_waitcnt lgkmcnt(0)
	s_and_saveexec_b64 s[4:5], vcc
	s_cbranch_execz .LBB80_69
; %bb.66:
	v_add_u32_e32 v40, -1, v0
	v_add_u32_e32 v41, 0x90, v1
	v_add_u32_e32 v42, 0, v1
	s_mov_b64 s[6:7], 0
	v_pk_mov_b32 v[36:37], 0, 0
.LBB80_67:                              ; =>This Inner Loop Header: Depth=1
	buffer_load_dword v44, v42, s[0:3], 0 offen
	buffer_load_dword v45, v42, s[0:3], 0 offen offset:4
	ds_read_b64 v[46:47], v41
	v_add_u32_e32 v40, 1, v40
	v_cmp_lt_u32_e32 vcc, 13, v40
	v_add_u32_e32 v41, 8, v41
	v_add_u32_e32 v42, 8, v42
	s_or_b64 s[6:7], vcc, s[6:7]
	s_waitcnt vmcnt(0) lgkmcnt(0)
	v_fmac_f64_e32 v[36:37], v[44:45], v[46:47]
	s_andn2_b64 exec, exec, s[6:7]
	s_cbranch_execnz .LBB80_67
; %bb.68:
	s_or_b64 exec, exec, s[6:7]
	v_mov_b32_e32 v40, 0
	ds_read_b64 v[40:41], v40 offset:120
	s_waitcnt lgkmcnt(0)
	v_mul_f64 v[36:37], v[36:37], v[40:41]
	buffer_store_dword v37, off, s[0:3], 0 offset:124
	buffer_store_dword v36, off, s[0:3], 0 offset:120
.LBB80_69:
	s_or_b64 exec, exec, s[4:5]
	s_waitcnt lgkmcnt(0)
	; wave barrier
	buffer_load_dword v36, off, s[0:3], 0 offset:128
	buffer_load_dword v37, off, s[0:3], 0 offset:132
	v_cmp_ne_u32_e32 vcc, 16, v0
	s_waitcnt vmcnt(0)
	ds_write_b64 v38, v[36:37]
	s_waitcnt lgkmcnt(0)
	; wave barrier
	s_waitcnt lgkmcnt(0)
	s_and_saveexec_b64 s[4:5], vcc
	s_cbranch_execz .LBB80_73
; %bb.70:
	v_add_u32_e32 v38, 0x90, v1
	v_add_u32_e32 v1, 0, v1
	s_mov_b64 s[6:7], 0
	v_pk_mov_b32 v[36:37], 0, 0
.LBB80_71:                              ; =>This Inner Loop Header: Depth=1
	buffer_load_dword v40, v1, s[0:3], 0 offen
	buffer_load_dword v41, v1, s[0:3], 0 offen offset:4
	ds_read_b64 v[42:43], v38
	v_add_u32_e32 v39, 1, v39
	v_cmp_lt_u32_e32 vcc, 14, v39
	v_add_u32_e32 v38, 8, v38
	v_add_u32_e32 v1, 8, v1
	s_or_b64 s[6:7], vcc, s[6:7]
	s_waitcnt vmcnt(0) lgkmcnt(0)
	v_fmac_f64_e32 v[36:37], v[40:41], v[42:43]
	s_andn2_b64 exec, exec, s[6:7]
	s_cbranch_execnz .LBB80_71
; %bb.72:
	s_or_b64 exec, exec, s[6:7]
	v_mov_b32_e32 v1, 0
	ds_read_b64 v[38:39], v1 offset:128
	s_waitcnt lgkmcnt(0)
	v_mul_f64 v[36:37], v[36:37], v[38:39]
	buffer_store_dword v37, off, s[0:3], 0 offset:132
	buffer_store_dword v36, off, s[0:3], 0 offset:128
.LBB80_73:
	s_or_b64 exec, exec, s[4:5]
	s_mov_b64 s[6:7], -1
	s_waitcnt lgkmcnt(0)
	; wave barrier
.LBB80_74:
	s_and_b64 vcc, exec, s[6:7]
	s_cbranch_vccz .LBB80_76
; %bb.75:
	s_lshl_b64 s[4:5], s[8:9], 2
	s_add_u32 s4, s14, s4
	s_addc_u32 s5, s15, s5
	v_mov_b32_e32 v1, 0
	global_load_dword v1, v1, s[4:5]
	s_waitcnt vmcnt(0)
	v_cmp_ne_u32_e32 vcc, 0, v1
	s_cbranch_vccz .LBB80_77
.LBB80_76:
	s_endpgm
.LBB80_77:
	v_mov_b32_e32 v1, 0x90
	v_lshl_add_u32 v1, v0, 3, v1
	v_cmp_eq_u32_e32 vcc, 16, v0
	s_and_saveexec_b64 s[4:5], vcc
	s_cbranch_execz .LBB80_79
; %bb.78:
	buffer_load_dword v36, off, s[0:3], 0 offset:120
	buffer_load_dword v37, off, s[0:3], 0 offset:124
	v_mov_b32_e32 v38, 0
	buffer_store_dword v38, off, s[0:3], 0 offset:120
	buffer_store_dword v38, off, s[0:3], 0 offset:124
	s_waitcnt vmcnt(2)
	ds_write_b64 v1, v[36:37]
.LBB80_79:
	s_or_b64 exec, exec, s[4:5]
	s_waitcnt lgkmcnt(0)
	; wave barrier
	s_waitcnt lgkmcnt(0)
	buffer_load_dword v38, off, s[0:3], 0 offset:128
	buffer_load_dword v39, off, s[0:3], 0 offset:132
	;; [unrolled: 1-line block ×4, first 2 shown]
	v_mov_b32_e32 v36, 0
	ds_read_b64 v[42:43], v36 offset:272
	v_cmp_lt_u32_e32 vcc, 14, v0
	s_waitcnt vmcnt(2) lgkmcnt(0)
	v_fma_f64 v[38:39], v[38:39], v[42:43], 0
	s_waitcnt vmcnt(0)
	v_add_f64 v[38:39], v[40:41], -v[38:39]
	buffer_store_dword v38, off, s[0:3], 0 offset:120
	buffer_store_dword v39, off, s[0:3], 0 offset:124
	s_and_saveexec_b64 s[4:5], vcc
	s_cbranch_execz .LBB80_81
; %bb.80:
	buffer_load_dword v38, off, s[0:3], 0 offset:112
	buffer_load_dword v39, off, s[0:3], 0 offset:116
	s_waitcnt vmcnt(0)
	ds_write_b64 v1, v[38:39]
	buffer_store_dword v36, off, s[0:3], 0 offset:112
	buffer_store_dword v36, off, s[0:3], 0 offset:116
.LBB80_81:
	s_or_b64 exec, exec, s[4:5]
	s_waitcnt lgkmcnt(0)
	; wave barrier
	s_waitcnt lgkmcnt(0)
	buffer_load_dword v40, off, s[0:3], 0 offset:120
	buffer_load_dword v41, off, s[0:3], 0 offset:124
	;; [unrolled: 1-line block ×6, first 2 shown]
	ds_read2_b64 v[36:39], v36 offset0:33 offset1:34
	v_cmp_lt_u32_e32 vcc, 13, v0
	s_waitcnt vmcnt(4) lgkmcnt(0)
	v_fma_f64 v[36:37], v[40:41], v[36:37], 0
	s_waitcnt vmcnt(2)
	v_fmac_f64_e32 v[36:37], v[42:43], v[38:39]
	s_waitcnt vmcnt(0)
	v_add_f64 v[36:37], v[44:45], -v[36:37]
	buffer_store_dword v36, off, s[0:3], 0 offset:112
	buffer_store_dword v37, off, s[0:3], 0 offset:116
	s_and_saveexec_b64 s[4:5], vcc
	s_cbranch_execz .LBB80_83
; %bb.82:
	buffer_load_dword v36, off, s[0:3], 0 offset:104
	buffer_load_dword v37, off, s[0:3], 0 offset:108
	v_mov_b32_e32 v38, 0
	buffer_store_dword v38, off, s[0:3], 0 offset:104
	buffer_store_dword v38, off, s[0:3], 0 offset:108
	s_waitcnt vmcnt(2)
	ds_write_b64 v1, v[36:37]
.LBB80_83:
	s_or_b64 exec, exec, s[4:5]
	s_waitcnt lgkmcnt(0)
	; wave barrier
	s_waitcnt lgkmcnt(0)
	buffer_load_dword v42, off, s[0:3], 0 offset:112
	buffer_load_dword v43, off, s[0:3], 0 offset:116
	;; [unrolled: 1-line block ×8, first 2 shown]
	v_mov_b32_e32 v36, 0
	ds_read_b128 v[38:41], v36 offset:256
	ds_read_b64 v[50:51], v36 offset:272
	v_cmp_lt_u32_e32 vcc, 12, v0
	s_waitcnt vmcnt(6) lgkmcnt(1)
	v_fma_f64 v[38:39], v[42:43], v[38:39], 0
	s_waitcnt vmcnt(4)
	v_fmac_f64_e32 v[38:39], v[44:45], v[40:41]
	s_waitcnt vmcnt(2) lgkmcnt(0)
	v_fmac_f64_e32 v[38:39], v[46:47], v[50:51]
	s_waitcnt vmcnt(0)
	v_add_f64 v[38:39], v[48:49], -v[38:39]
	buffer_store_dword v38, off, s[0:3], 0 offset:104
	buffer_store_dword v39, off, s[0:3], 0 offset:108
	s_and_saveexec_b64 s[4:5], vcc
	s_cbranch_execz .LBB80_85
; %bb.84:
	buffer_load_dword v38, off, s[0:3], 0 offset:96
	buffer_load_dword v39, off, s[0:3], 0 offset:100
	s_waitcnt vmcnt(0)
	ds_write_b64 v1, v[38:39]
	buffer_store_dword v36, off, s[0:3], 0 offset:96
	buffer_store_dword v36, off, s[0:3], 0 offset:100
.LBB80_85:
	s_or_b64 exec, exec, s[4:5]
	s_waitcnt lgkmcnt(0)
	; wave barrier
	s_waitcnt lgkmcnt(0)
	buffer_load_dword v46, off, s[0:3], 0 offset:104
	buffer_load_dword v47, off, s[0:3], 0 offset:108
	buffer_load_dword v48, off, s[0:3], 0 offset:112
	buffer_load_dword v49, off, s[0:3], 0 offset:116
	buffer_load_dword v50, off, s[0:3], 0 offset:120
	buffer_load_dword v51, off, s[0:3], 0 offset:124
	buffer_load_dword v52, off, s[0:3], 0 offset:128
	buffer_load_dword v53, off, s[0:3], 0 offset:132
	buffer_load_dword v54, off, s[0:3], 0 offset:96
	buffer_load_dword v55, off, s[0:3], 0 offset:100
	ds_read2_b64 v[38:41], v36 offset0:31 offset1:32
	ds_read2_b64 v[42:45], v36 offset0:33 offset1:34
	v_cmp_lt_u32_e32 vcc, 11, v0
	s_waitcnt vmcnt(8) lgkmcnt(1)
	v_fma_f64 v[36:37], v[46:47], v[38:39], 0
	s_waitcnt vmcnt(6)
	v_fmac_f64_e32 v[36:37], v[48:49], v[40:41]
	s_waitcnt vmcnt(4) lgkmcnt(0)
	v_fmac_f64_e32 v[36:37], v[50:51], v[42:43]
	s_waitcnt vmcnt(2)
	v_fmac_f64_e32 v[36:37], v[52:53], v[44:45]
	s_waitcnt vmcnt(0)
	v_add_f64 v[36:37], v[54:55], -v[36:37]
	buffer_store_dword v36, off, s[0:3], 0 offset:96
	buffer_store_dword v37, off, s[0:3], 0 offset:100
	s_and_saveexec_b64 s[4:5], vcc
	s_cbranch_execz .LBB80_87
; %bb.86:
	buffer_load_dword v36, off, s[0:3], 0 offset:88
	buffer_load_dword v37, off, s[0:3], 0 offset:92
	v_mov_b32_e32 v38, 0
	buffer_store_dword v38, off, s[0:3], 0 offset:88
	buffer_store_dword v38, off, s[0:3], 0 offset:92
	s_waitcnt vmcnt(2)
	ds_write_b64 v1, v[36:37]
.LBB80_87:
	s_or_b64 exec, exec, s[4:5]
	s_waitcnt lgkmcnt(0)
	; wave barrier
	s_waitcnt lgkmcnt(0)
	buffer_load_dword v46, off, s[0:3], 0 offset:96
	buffer_load_dword v47, off, s[0:3], 0 offset:100
	buffer_load_dword v48, off, s[0:3], 0 offset:104
	buffer_load_dword v49, off, s[0:3], 0 offset:108
	buffer_load_dword v50, off, s[0:3], 0 offset:112
	buffer_load_dword v51, off, s[0:3], 0 offset:116
	buffer_load_dword v52, off, s[0:3], 0 offset:120
	buffer_load_dword v53, off, s[0:3], 0 offset:124
	buffer_load_dword v54, off, s[0:3], 0 offset:128
	buffer_load_dword v55, off, s[0:3], 0 offset:132
	buffer_load_dword v56, off, s[0:3], 0 offset:88
	buffer_load_dword v57, off, s[0:3], 0 offset:92
	v_mov_b32_e32 v36, 0
	ds_read_b128 v[38:41], v36 offset:240
	ds_read_b128 v[42:45], v36 offset:256
	ds_read_b64 v[58:59], v36 offset:272
	v_cmp_lt_u32_e32 vcc, 10, v0
	s_waitcnt vmcnt(10) lgkmcnt(2)
	v_fma_f64 v[38:39], v[46:47], v[38:39], 0
	s_waitcnt vmcnt(8)
	v_fmac_f64_e32 v[38:39], v[48:49], v[40:41]
	s_waitcnt vmcnt(6) lgkmcnt(1)
	v_fmac_f64_e32 v[38:39], v[50:51], v[42:43]
	s_waitcnt vmcnt(4)
	v_fmac_f64_e32 v[38:39], v[52:53], v[44:45]
	s_waitcnt vmcnt(2) lgkmcnt(0)
	v_fmac_f64_e32 v[38:39], v[54:55], v[58:59]
	s_waitcnt vmcnt(0)
	v_add_f64 v[38:39], v[56:57], -v[38:39]
	buffer_store_dword v38, off, s[0:3], 0 offset:88
	buffer_store_dword v39, off, s[0:3], 0 offset:92
	s_and_saveexec_b64 s[4:5], vcc
	s_cbranch_execz .LBB80_89
; %bb.88:
	buffer_load_dword v38, off, s[0:3], 0 offset:80
	buffer_load_dword v39, off, s[0:3], 0 offset:84
	s_waitcnt vmcnt(0)
	ds_write_b64 v1, v[38:39]
	buffer_store_dword v36, off, s[0:3], 0 offset:80
	buffer_store_dword v36, off, s[0:3], 0 offset:84
.LBB80_89:
	s_or_b64 exec, exec, s[4:5]
	s_waitcnt lgkmcnt(0)
	; wave barrier
	s_waitcnt lgkmcnt(0)
	buffer_load_dword v50, off, s[0:3], 0 offset:88
	buffer_load_dword v51, off, s[0:3], 0 offset:92
	;; [unrolled: 1-line block ×14, first 2 shown]
	ds_read2_b64 v[38:41], v36 offset0:29 offset1:30
	ds_read2_b64 v[42:45], v36 offset0:31 offset1:32
	;; [unrolled: 1-line block ×3, first 2 shown]
	v_cmp_lt_u32_e32 vcc, 9, v0
	s_waitcnt vmcnt(12) lgkmcnt(2)
	v_fma_f64 v[36:37], v[50:51], v[38:39], 0
	s_waitcnt vmcnt(10)
	v_fmac_f64_e32 v[36:37], v[52:53], v[40:41]
	s_waitcnt vmcnt(8) lgkmcnt(1)
	v_fmac_f64_e32 v[36:37], v[54:55], v[42:43]
	s_waitcnt vmcnt(6)
	v_fmac_f64_e32 v[36:37], v[56:57], v[44:45]
	s_waitcnt vmcnt(4) lgkmcnt(0)
	v_fmac_f64_e32 v[36:37], v[58:59], v[46:47]
	s_waitcnt vmcnt(2)
	v_fmac_f64_e32 v[36:37], v[60:61], v[48:49]
	s_waitcnt vmcnt(0)
	v_add_f64 v[36:37], v[62:63], -v[36:37]
	buffer_store_dword v36, off, s[0:3], 0 offset:80
	buffer_store_dword v37, off, s[0:3], 0 offset:84
	s_and_saveexec_b64 s[4:5], vcc
	s_cbranch_execz .LBB80_91
; %bb.90:
	buffer_load_dword v36, off, s[0:3], 0 offset:72
	buffer_load_dword v37, off, s[0:3], 0 offset:76
	v_mov_b32_e32 v38, 0
	buffer_store_dword v38, off, s[0:3], 0 offset:72
	buffer_store_dword v38, off, s[0:3], 0 offset:76
	s_waitcnt vmcnt(2)
	ds_write_b64 v1, v[36:37]
.LBB80_91:
	s_or_b64 exec, exec, s[4:5]
	s_waitcnt lgkmcnt(0)
	; wave barrier
	s_waitcnt lgkmcnt(0)
	buffer_load_dword v50, off, s[0:3], 0 offset:80
	buffer_load_dword v51, off, s[0:3], 0 offset:84
	buffer_load_dword v52, off, s[0:3], 0 offset:88
	buffer_load_dword v53, off, s[0:3], 0 offset:92
	buffer_load_dword v54, off, s[0:3], 0 offset:96
	buffer_load_dword v55, off, s[0:3], 0 offset:100
	buffer_load_dword v56, off, s[0:3], 0 offset:104
	buffer_load_dword v57, off, s[0:3], 0 offset:108
	buffer_load_dword v58, off, s[0:3], 0 offset:112
	buffer_load_dword v59, off, s[0:3], 0 offset:116
	buffer_load_dword v60, off, s[0:3], 0 offset:120
	buffer_load_dword v61, off, s[0:3], 0 offset:124
	buffer_load_dword v62, off, s[0:3], 0 offset:128
	buffer_load_dword v63, off, s[0:3], 0 offset:132
	buffer_load_dword v64, off, s[0:3], 0 offset:72
	buffer_load_dword v65, off, s[0:3], 0 offset:76
	v_mov_b32_e32 v36, 0
	ds_read_b128 v[38:41], v36 offset:224
	ds_read_b128 v[42:45], v36 offset:240
	ds_read_b128 v[46:49], v36 offset:256
	ds_read_b64 v[66:67], v36 offset:272
	v_cmp_lt_u32_e32 vcc, 8, v0
	s_waitcnt vmcnt(14) lgkmcnt(3)
	v_fma_f64 v[38:39], v[50:51], v[38:39], 0
	s_waitcnt vmcnt(12)
	v_fmac_f64_e32 v[38:39], v[52:53], v[40:41]
	s_waitcnt vmcnt(10) lgkmcnt(2)
	v_fmac_f64_e32 v[38:39], v[54:55], v[42:43]
	s_waitcnt vmcnt(8)
	v_fmac_f64_e32 v[38:39], v[56:57], v[44:45]
	s_waitcnt vmcnt(6) lgkmcnt(1)
	v_fmac_f64_e32 v[38:39], v[58:59], v[46:47]
	;; [unrolled: 4-line block ×3, first 2 shown]
	s_waitcnt vmcnt(0)
	v_add_f64 v[38:39], v[64:65], -v[38:39]
	buffer_store_dword v38, off, s[0:3], 0 offset:72
	buffer_store_dword v39, off, s[0:3], 0 offset:76
	s_and_saveexec_b64 s[4:5], vcc
	s_cbranch_execz .LBB80_93
; %bb.92:
	buffer_load_dword v38, off, s[0:3], 0 offset:64
	buffer_load_dword v39, off, s[0:3], 0 offset:68
	s_waitcnt vmcnt(0)
	ds_write_b64 v1, v[38:39]
	buffer_store_dword v36, off, s[0:3], 0 offset:64
	buffer_store_dword v36, off, s[0:3], 0 offset:68
.LBB80_93:
	s_or_b64 exec, exec, s[4:5]
	s_waitcnt lgkmcnt(0)
	; wave barrier
	s_waitcnt lgkmcnt(0)
	buffer_load_dword v54, off, s[0:3], 0 offset:72
	buffer_load_dword v55, off, s[0:3], 0 offset:76
	;; [unrolled: 1-line block ×18, first 2 shown]
	ds_read2_b64 v[38:41], v36 offset0:27 offset1:28
	ds_read2_b64 v[42:45], v36 offset0:29 offset1:30
	;; [unrolled: 1-line block ×4, first 2 shown]
	v_cmp_lt_u32_e32 vcc, 7, v0
	s_waitcnt vmcnt(16) lgkmcnt(3)
	v_fma_f64 v[36:37], v[54:55], v[38:39], 0
	s_waitcnt vmcnt(14)
	v_fmac_f64_e32 v[36:37], v[56:57], v[40:41]
	s_waitcnt vmcnt(12) lgkmcnt(2)
	v_fmac_f64_e32 v[36:37], v[58:59], v[42:43]
	s_waitcnt vmcnt(10)
	v_fmac_f64_e32 v[36:37], v[60:61], v[44:45]
	s_waitcnt vmcnt(8) lgkmcnt(1)
	v_fmac_f64_e32 v[36:37], v[62:63], v[46:47]
	;; [unrolled: 4-line block ×3, first 2 shown]
	s_waitcnt vmcnt(2)
	v_fmac_f64_e32 v[36:37], v[68:69], v[52:53]
	s_waitcnt vmcnt(0)
	v_add_f64 v[36:37], v[70:71], -v[36:37]
	buffer_store_dword v36, off, s[0:3], 0 offset:64
	buffer_store_dword v37, off, s[0:3], 0 offset:68
	s_and_saveexec_b64 s[4:5], vcc
	s_cbranch_execz .LBB80_95
; %bb.94:
	buffer_load_dword v36, off, s[0:3], 0 offset:56
	buffer_load_dword v37, off, s[0:3], 0 offset:60
	v_mov_b32_e32 v38, 0
	buffer_store_dword v38, off, s[0:3], 0 offset:56
	buffer_store_dword v38, off, s[0:3], 0 offset:60
	s_waitcnt vmcnt(2)
	ds_write_b64 v1, v[36:37]
.LBB80_95:
	s_or_b64 exec, exec, s[4:5]
	s_waitcnt lgkmcnt(0)
	; wave barrier
	s_waitcnt lgkmcnt(0)
	buffer_load_dword v54, off, s[0:3], 0 offset:64
	buffer_load_dword v55, off, s[0:3], 0 offset:68
	;; [unrolled: 1-line block ×20, first 2 shown]
	v_mov_b32_e32 v36, 0
	ds_read_b128 v[38:41], v36 offset:208
	ds_read_b128 v[42:45], v36 offset:224
	;; [unrolled: 1-line block ×4, first 2 shown]
	ds_read_b64 v[74:75], v36 offset:272
	v_cmp_lt_u32_e32 vcc, 6, v0
	s_waitcnt vmcnt(18) lgkmcnt(4)
	v_fma_f64 v[38:39], v[54:55], v[38:39], 0
	s_waitcnt vmcnt(16)
	v_fmac_f64_e32 v[38:39], v[56:57], v[40:41]
	s_waitcnt vmcnt(14) lgkmcnt(3)
	v_fmac_f64_e32 v[38:39], v[58:59], v[42:43]
	s_waitcnt vmcnt(12)
	v_fmac_f64_e32 v[38:39], v[60:61], v[44:45]
	s_waitcnt vmcnt(10) lgkmcnt(2)
	v_fmac_f64_e32 v[38:39], v[62:63], v[46:47]
	;; [unrolled: 4-line block ×3, first 2 shown]
	s_waitcnt vmcnt(2)
	v_fmac_f64_e32 v[38:39], v[70:71], v[52:53]
	s_waitcnt lgkmcnt(0)
	v_fmac_f64_e32 v[38:39], v[68:69], v[74:75]
	s_waitcnt vmcnt(0)
	v_add_f64 v[38:39], v[72:73], -v[38:39]
	buffer_store_dword v38, off, s[0:3], 0 offset:56
	buffer_store_dword v39, off, s[0:3], 0 offset:60
	s_and_saveexec_b64 s[4:5], vcc
	s_cbranch_execz .LBB80_97
; %bb.96:
	buffer_load_dword v38, off, s[0:3], 0 offset:48
	buffer_load_dword v39, off, s[0:3], 0 offset:52
	s_waitcnt vmcnt(0)
	ds_write_b64 v1, v[38:39]
	buffer_store_dword v36, off, s[0:3], 0 offset:48
	buffer_store_dword v36, off, s[0:3], 0 offset:52
.LBB80_97:
	s_or_b64 exec, exec, s[4:5]
	s_waitcnt lgkmcnt(0)
	; wave barrier
	s_waitcnt lgkmcnt(0)
	buffer_load_dword v58, off, s[0:3], 0 offset:56
	buffer_load_dword v59, off, s[0:3], 0 offset:60
	;; [unrolled: 1-line block ×22, first 2 shown]
	ds_read2_b64 v[38:41], v36 offset0:25 offset1:26
	ds_read2_b64 v[42:45], v36 offset0:27 offset1:28
	;; [unrolled: 1-line block ×5, first 2 shown]
	v_cmp_lt_u32_e32 vcc, 5, v0
	s_waitcnt vmcnt(20) lgkmcnt(4)
	v_fma_f64 v[36:37], v[58:59], v[38:39], 0
	s_waitcnt vmcnt(18)
	v_fmac_f64_e32 v[36:37], v[60:61], v[40:41]
	s_waitcnt vmcnt(16) lgkmcnt(3)
	v_fmac_f64_e32 v[36:37], v[62:63], v[42:43]
	s_waitcnt vmcnt(14)
	v_fmac_f64_e32 v[36:37], v[64:65], v[44:45]
	s_waitcnt vmcnt(12) lgkmcnt(2)
	v_fmac_f64_e32 v[36:37], v[66:67], v[46:47]
	;; [unrolled: 4-line block ×3, first 2 shown]
	s_waitcnt vmcnt(3)
	v_fmac_f64_e32 v[36:37], v[76:77], v[52:53]
	s_waitcnt lgkmcnt(0)
	v_fmac_f64_e32 v[36:37], v[74:75], v[54:55]
	s_waitcnt vmcnt(2)
	v_fmac_f64_e32 v[36:37], v[72:73], v[56:57]
	s_waitcnt vmcnt(0)
	v_add_f64 v[36:37], v[78:79], -v[36:37]
	buffer_store_dword v36, off, s[0:3], 0 offset:48
	buffer_store_dword v37, off, s[0:3], 0 offset:52
	s_and_saveexec_b64 s[4:5], vcc
	s_cbranch_execz .LBB80_99
; %bb.98:
	buffer_load_dword v36, off, s[0:3], 0 offset:40
	buffer_load_dword v37, off, s[0:3], 0 offset:44
	v_mov_b32_e32 v38, 0
	buffer_store_dword v38, off, s[0:3], 0 offset:40
	buffer_store_dword v38, off, s[0:3], 0 offset:44
	s_waitcnt vmcnt(2)
	ds_write_b64 v1, v[36:37]
.LBB80_99:
	s_or_b64 exec, exec, s[4:5]
	s_waitcnt lgkmcnt(0)
	; wave barrier
	s_waitcnt lgkmcnt(0)
	buffer_load_dword v58, off, s[0:3], 0 offset:48
	buffer_load_dword v59, off, s[0:3], 0 offset:52
	;; [unrolled: 1-line block ×24, first 2 shown]
	v_mov_b32_e32 v36, 0
	ds_read_b128 v[38:41], v36 offset:192
	ds_read_b128 v[42:45], v36 offset:208
	;; [unrolled: 1-line block ×5, first 2 shown]
	ds_read_b64 v[82:83], v36 offset:272
	v_cmp_lt_u32_e32 vcc, 4, v0
	s_waitcnt vmcnt(22) lgkmcnt(5)
	v_fma_f64 v[38:39], v[58:59], v[38:39], 0
	s_waitcnt vmcnt(20)
	v_fmac_f64_e32 v[38:39], v[60:61], v[40:41]
	s_waitcnt vmcnt(18) lgkmcnt(4)
	v_fmac_f64_e32 v[38:39], v[62:63], v[42:43]
	s_waitcnt vmcnt(16)
	v_fmac_f64_e32 v[38:39], v[64:65], v[44:45]
	s_waitcnt vmcnt(14) lgkmcnt(3)
	v_fmac_f64_e32 v[38:39], v[66:67], v[46:47]
	;; [unrolled: 4-line block ×3, first 2 shown]
	s_waitcnt vmcnt(4)
	v_fmac_f64_e32 v[38:39], v[78:79], v[52:53]
	s_waitcnt lgkmcnt(1)
	v_fmac_f64_e32 v[38:39], v[76:77], v[54:55]
	s_waitcnt vmcnt(3)
	v_fmac_f64_e32 v[38:39], v[74:75], v[56:57]
	s_waitcnt vmcnt(2) lgkmcnt(0)
	v_fmac_f64_e32 v[38:39], v[72:73], v[82:83]
	s_waitcnt vmcnt(0)
	v_add_f64 v[38:39], v[80:81], -v[38:39]
	buffer_store_dword v39, off, s[0:3], 0 offset:44
	buffer_store_dword v38, off, s[0:3], 0 offset:40
	s_and_saveexec_b64 s[4:5], vcc
	s_cbranch_execz .LBB80_101
; %bb.100:
	buffer_load_dword v38, off, s[0:3], 0 offset:32
	buffer_load_dword v39, off, s[0:3], 0 offset:36
	s_waitcnt vmcnt(0)
	ds_write_b64 v1, v[38:39]
	buffer_store_dword v36, off, s[0:3], 0 offset:32
	buffer_store_dword v36, off, s[0:3], 0 offset:36
.LBB80_101:
	s_or_b64 exec, exec, s[4:5]
	s_waitcnt lgkmcnt(0)
	; wave barrier
	s_waitcnt lgkmcnt(0)
	buffer_load_dword v62, off, s[0:3], 0 offset:40
	buffer_load_dword v63, off, s[0:3], 0 offset:44
	;; [unrolled: 1-line block ×26, first 2 shown]
	ds_read2_b64 v[38:41], v36 offset0:23 offset1:24
	ds_read2_b64 v[42:45], v36 offset0:25 offset1:26
	ds_read2_b64 v[46:49], v36 offset0:27 offset1:28
	ds_read2_b64 v[50:53], v36 offset0:29 offset1:30
	ds_read2_b64 v[54:57], v36 offset0:31 offset1:32
	ds_read2_b64 v[58:61], v36 offset0:33 offset1:34
	v_cmp_lt_u32_e32 vcc, 3, v0
	s_waitcnt vmcnt(24) lgkmcnt(5)
	v_fma_f64 v[36:37], v[62:63], v[38:39], 0
	s_waitcnt vmcnt(22)
	v_fmac_f64_e32 v[36:37], v[64:65], v[40:41]
	s_waitcnt vmcnt(20) lgkmcnt(4)
	v_fmac_f64_e32 v[36:37], v[66:67], v[42:43]
	s_waitcnt vmcnt(18)
	v_fmac_f64_e32 v[36:37], v[68:69], v[44:45]
	s_waitcnt vmcnt(16) lgkmcnt(3)
	v_fmac_f64_e32 v[36:37], v[70:71], v[46:47]
	;; [unrolled: 4-line block ×3, first 2 shown]
	s_waitcnt vmcnt(5)
	v_fmac_f64_e32 v[36:37], v[82:83], v[52:53]
	s_waitcnt lgkmcnt(1)
	v_fmac_f64_e32 v[36:37], v[80:81], v[54:55]
	v_fmac_f64_e32 v[36:37], v[78:79], v[56:57]
	s_waitcnt vmcnt(4) lgkmcnt(0)
	v_fmac_f64_e32 v[36:37], v[76:77], v[58:59]
	s_waitcnt vmcnt(2)
	v_fmac_f64_e32 v[36:37], v[84:85], v[60:61]
	s_waitcnt vmcnt(0)
	v_add_f64 v[36:37], v[86:87], -v[36:37]
	buffer_store_dword v37, off, s[0:3], 0 offset:36
	buffer_store_dword v36, off, s[0:3], 0 offset:32
	s_and_saveexec_b64 s[4:5], vcc
	s_cbranch_execz .LBB80_103
; %bb.102:
	buffer_load_dword v36, off, s[0:3], 0 offset:24
	buffer_load_dword v37, off, s[0:3], 0 offset:28
	v_mov_b32_e32 v38, 0
	buffer_store_dword v38, off, s[0:3], 0 offset:24
	buffer_store_dword v38, off, s[0:3], 0 offset:28
	s_waitcnt vmcnt(2)
	ds_write_b64 v1, v[36:37]
.LBB80_103:
	s_or_b64 exec, exec, s[4:5]
	s_waitcnt lgkmcnt(0)
	; wave barrier
	s_waitcnt lgkmcnt(0)
	buffer_load_dword v62, off, s[0:3], 0 offset:32
	buffer_load_dword v63, off, s[0:3], 0 offset:36
	;; [unrolled: 1-line block ×28, first 2 shown]
	v_mov_b32_e32 v36, 0
	ds_read_b128 v[38:41], v36 offset:176
	ds_read_b128 v[42:45], v36 offset:192
	;; [unrolled: 1-line block ×6, first 2 shown]
	ds_read_b64 v[90:91], v36 offset:272
	v_cmp_lt_u32_e32 vcc, 2, v0
	s_waitcnt vmcnt(26) lgkmcnt(6)
	v_fma_f64 v[38:39], v[62:63], v[38:39], 0
	s_waitcnt vmcnt(24)
	v_fmac_f64_e32 v[38:39], v[64:65], v[40:41]
	s_waitcnt vmcnt(22) lgkmcnt(5)
	v_fmac_f64_e32 v[38:39], v[66:67], v[42:43]
	s_waitcnt vmcnt(20)
	v_fmac_f64_e32 v[38:39], v[68:69], v[44:45]
	s_waitcnt vmcnt(18) lgkmcnt(4)
	v_fmac_f64_e32 v[38:39], v[70:71], v[46:47]
	;; [unrolled: 4-line block ×3, first 2 shown]
	s_waitcnt vmcnt(6)
	v_fmac_f64_e32 v[38:39], v[82:83], v[52:53]
	s_waitcnt lgkmcnt(2)
	v_fmac_f64_e32 v[38:39], v[80:81], v[54:55]
	v_fmac_f64_e32 v[38:39], v[78:79], v[56:57]
	s_waitcnt lgkmcnt(1)
	v_fmac_f64_e32 v[38:39], v[76:77], v[58:59]
	s_waitcnt vmcnt(2)
	v_fmac_f64_e32 v[38:39], v[86:87], v[60:61]
	s_waitcnt lgkmcnt(0)
	v_fmac_f64_e32 v[38:39], v[84:85], v[90:91]
	s_waitcnt vmcnt(0)
	v_add_f64 v[38:39], v[88:89], -v[38:39]
	buffer_store_dword v39, off, s[0:3], 0 offset:28
	buffer_store_dword v38, off, s[0:3], 0 offset:24
	s_and_saveexec_b64 s[4:5], vcc
	s_cbranch_execz .LBB80_105
; %bb.104:
	buffer_load_dword v38, off, s[0:3], 0 offset:16
	buffer_load_dword v39, off, s[0:3], 0 offset:20
	s_waitcnt vmcnt(0)
	ds_write_b64 v1, v[38:39]
	buffer_store_dword v36, off, s[0:3], 0 offset:16
	buffer_store_dword v36, off, s[0:3], 0 offset:20
.LBB80_105:
	s_or_b64 exec, exec, s[4:5]
	s_waitcnt lgkmcnt(0)
	; wave barrier
	s_waitcnt lgkmcnt(0)
	buffer_load_dword v66, off, s[0:3], 0 offset:24
	buffer_load_dword v67, off, s[0:3], 0 offset:28
	;; [unrolled: 1-line block ×30, first 2 shown]
	ds_read2_b64 v[38:41], v36 offset0:21 offset1:22
	ds_read2_b64 v[42:45], v36 offset0:23 offset1:24
	;; [unrolled: 1-line block ×7, first 2 shown]
	v_cmp_lt_u32_e32 vcc, 1, v0
	s_waitcnt vmcnt(28) lgkmcnt(6)
	v_fma_f64 v[36:37], v[66:67], v[38:39], 0
	s_waitcnt vmcnt(26)
	v_fmac_f64_e32 v[36:37], v[68:69], v[40:41]
	s_waitcnt vmcnt(24) lgkmcnt(5)
	v_fmac_f64_e32 v[36:37], v[70:71], v[42:43]
	s_waitcnt vmcnt(22)
	v_fmac_f64_e32 v[36:37], v[72:73], v[44:45]
	s_waitcnt vmcnt(20) lgkmcnt(4)
	v_fmac_f64_e32 v[36:37], v[74:75], v[46:47]
	;; [unrolled: 4-line block ×3, first 2 shown]
	s_waitcnt vmcnt(8)
	v_fmac_f64_e32 v[36:37], v[86:87], v[52:53]
	s_waitcnt lgkmcnt(2)
	v_fmac_f64_e32 v[36:37], v[84:85], v[54:55]
	v_fmac_f64_e32 v[36:37], v[82:83], v[56:57]
	s_waitcnt lgkmcnt(1)
	v_fmac_f64_e32 v[36:37], v[80:81], v[58:59]
	s_waitcnt vmcnt(3)
	v_fmac_f64_e32 v[36:37], v[92:93], v[60:61]
	s_waitcnt lgkmcnt(0)
	v_fmac_f64_e32 v[36:37], v[90:91], v[62:63]
	s_waitcnt vmcnt(2)
	v_fmac_f64_e32 v[36:37], v[88:89], v[64:65]
	s_waitcnt vmcnt(0)
	v_add_f64 v[36:37], v[94:95], -v[36:37]
	buffer_store_dword v37, off, s[0:3], 0 offset:20
	buffer_store_dword v36, off, s[0:3], 0 offset:16
	s_and_saveexec_b64 s[4:5], vcc
	s_cbranch_execz .LBB80_107
; %bb.106:
	buffer_load_dword v36, off, s[0:3], 0 offset:8
	buffer_load_dword v37, off, s[0:3], 0 offset:12
	v_mov_b32_e32 v38, 0
	buffer_store_dword v38, off, s[0:3], 0 offset:8
	buffer_store_dword v38, off, s[0:3], 0 offset:12
	s_waitcnt vmcnt(2)
	ds_write_b64 v1, v[36:37]
.LBB80_107:
	s_or_b64 exec, exec, s[4:5]
	s_waitcnt lgkmcnt(0)
	; wave barrier
	s_waitcnt lgkmcnt(0)
	buffer_load_dword v36, off, s[0:3], 0 offset:16
	buffer_load_dword v37, off, s[0:3], 0 offset:20
	;; [unrolled: 1-line block ×32, first 2 shown]
	v_mov_b32_e32 v38, 0
	ds_read_b128 v[40:43], v38 offset:160
	ds_read_b128 v[44:47], v38 offset:176
	;; [unrolled: 1-line block ×7, first 2 shown]
	ds_read_b64 v[98:99], v38 offset:272
	v_cmp_ne_u32_e32 vcc, 0, v0
	s_waitcnt vmcnt(30) lgkmcnt(7)
	v_fma_f64 v[36:37], v[36:37], v[40:41], 0
	s_waitcnt vmcnt(28)
	v_fmac_f64_e32 v[36:37], v[68:69], v[42:43]
	s_waitcnt vmcnt(26) lgkmcnt(6)
	v_fmac_f64_e32 v[36:37], v[70:71], v[44:45]
	s_waitcnt vmcnt(24)
	v_fmac_f64_e32 v[36:37], v[72:73], v[46:47]
	s_waitcnt vmcnt(22) lgkmcnt(5)
	v_fmac_f64_e32 v[36:37], v[74:75], v[48:49]
	;; [unrolled: 4-line block ×3, first 2 shown]
	s_waitcnt vmcnt(10)
	v_fmac_f64_e32 v[36:37], v[86:87], v[54:55]
	s_waitcnt lgkmcnt(3)
	v_fmac_f64_e32 v[36:37], v[84:85], v[56:57]
	v_fmac_f64_e32 v[36:37], v[82:83], v[58:59]
	s_waitcnt lgkmcnt(2)
	v_fmac_f64_e32 v[36:37], v[80:81], v[60:61]
	s_waitcnt vmcnt(4)
	v_fmac_f64_e32 v[36:37], v[94:95], v[62:63]
	s_waitcnt lgkmcnt(1)
	v_fmac_f64_e32 v[36:37], v[92:93], v[64:65]
	s_waitcnt vmcnt(3)
	v_fmac_f64_e32 v[36:37], v[90:91], v[66:67]
	s_waitcnt vmcnt(2) lgkmcnt(0)
	v_fmac_f64_e32 v[36:37], v[88:89], v[98:99]
	s_waitcnt vmcnt(0)
	v_add_f64 v[36:37], v[96:97], -v[36:37]
	buffer_store_dword v37, off, s[0:3], 0 offset:12
	buffer_store_dword v36, off, s[0:3], 0 offset:8
	s_and_saveexec_b64 s[4:5], vcc
	s_cbranch_execz .LBB80_109
; %bb.108:
	buffer_load_dword v36, off, s[0:3], 0
	buffer_load_dword v37, off, s[0:3], 0 offset:4
	s_waitcnt vmcnt(0)
	ds_write_b64 v1, v[36:37]
	buffer_store_dword v38, off, s[0:3], 0
	buffer_store_dword v38, off, s[0:3], 0 offset:4
.LBB80_109:
	s_or_b64 exec, exec, s[4:5]
	s_waitcnt lgkmcnt(0)
	; wave barrier
	s_waitcnt lgkmcnt(0)
	buffer_load_dword v0, off, s[0:3], 0 offset:8
	buffer_load_dword v1, off, s[0:3], 0 offset:12
	;; [unrolled: 1-line block ×32, first 2 shown]
	buffer_load_dword v100, off, s[0:3], 0
	buffer_load_dword v101, off, s[0:3], 0 offset:4
	ds_read2_b64 v[40:43], v38 offset0:19 offset1:20
	ds_read2_b64 v[44:47], v38 offset0:21 offset1:22
	ds_read2_b64 v[48:51], v38 offset0:23 offset1:24
	ds_read2_b64 v[52:55], v38 offset0:25 offset1:26
	ds_read2_b64 v[56:59], v38 offset0:27 offset1:28
	ds_read2_b64 v[60:63], v38 offset0:29 offset1:30
	ds_read2_b64 v[64:67], v38 offset0:31 offset1:32
	ds_read2_b64 v[68:71], v38 offset0:33 offset1:34
	s_and_b64 vcc, exec, s[16:17]
	s_waitcnt vmcnt(32) lgkmcnt(7)
	v_fma_f64 v[0:1], v[0:1], v[40:41], 0
	s_waitcnt vmcnt(30)
	v_fmac_f64_e32 v[0:1], v[72:73], v[42:43]
	s_waitcnt vmcnt(28) lgkmcnt(6)
	v_fmac_f64_e32 v[0:1], v[74:75], v[44:45]
	s_waitcnt vmcnt(26)
	v_fmac_f64_e32 v[0:1], v[76:77], v[46:47]
	s_waitcnt vmcnt(24) lgkmcnt(5)
	v_fmac_f64_e32 v[0:1], v[78:79], v[48:49]
	;; [unrolled: 4-line block ×3, first 2 shown]
	s_waitcnt vmcnt(12)
	v_fmac_f64_e32 v[0:1], v[90:91], v[54:55]
	s_waitcnt lgkmcnt(3)
	v_fmac_f64_e32 v[0:1], v[88:89], v[56:57]
	v_fmac_f64_e32 v[0:1], v[86:87], v[58:59]
	s_waitcnt lgkmcnt(2)
	v_fmac_f64_e32 v[0:1], v[84:85], v[60:61]
	s_waitcnt vmcnt(5)
	v_fmac_f64_e32 v[0:1], v[96:97], v[62:63]
	s_waitcnt lgkmcnt(1)
	v_fmac_f64_e32 v[0:1], v[94:95], v[64:65]
	v_fmac_f64_e32 v[0:1], v[92:93], v[66:67]
	s_waitcnt vmcnt(4) lgkmcnt(0)
	v_fmac_f64_e32 v[0:1], v[36:37], v[68:69]
	s_waitcnt vmcnt(2)
	v_fmac_f64_e32 v[0:1], v[98:99], v[70:71]
	s_waitcnt vmcnt(0)
	v_add_f64 v[0:1], v[100:101], -v[0:1]
	buffer_store_dword v1, off, s[0:3], 0 offset:4
	buffer_store_dword v0, off, s[0:3], 0
	s_cbranch_vccz .LBB80_143
; %bb.110:
	v_pk_mov_b32 v[0:1], s[10:11], s[10:11] op_sel:[0,1]
	flat_load_dword v0, v[0:1] offset:60
	s_waitcnt vmcnt(0) lgkmcnt(0)
	v_add_u32_e32 v0, -1, v0
	v_cmp_ne_u32_e32 vcc, 15, v0
	s_and_saveexec_b64 s[4:5], vcc
	s_cbranch_execz .LBB80_112
; %bb.111:
	v_mov_b32_e32 v1, 0
	v_lshl_add_u32 v0, v0, 3, v1
	buffer_load_dword v1, v0, s[0:3], 0 offen
	buffer_load_dword v38, v0, s[0:3], 0 offen offset:4
	s_waitcnt vmcnt(1)
	buffer_store_dword v1, off, s[0:3], 0 offset:120
	s_waitcnt vmcnt(1)
	buffer_store_dword v38, off, s[0:3], 0 offset:124
	buffer_store_dword v36, v0, s[0:3], 0 offen
	buffer_store_dword v37, v0, s[0:3], 0 offen offset:4
.LBB80_112:
	s_or_b64 exec, exec, s[4:5]
	v_pk_mov_b32 v[0:1], s[10:11], s[10:11] op_sel:[0,1]
	flat_load_dword v0, v[0:1] offset:56
	s_waitcnt vmcnt(0) lgkmcnt(0)
	v_add_u32_e32 v0, -1, v0
	v_cmp_ne_u32_e32 vcc, 14, v0
	s_and_saveexec_b64 s[4:5], vcc
	s_cbranch_execz .LBB80_114
; %bb.113:
	v_mov_b32_e32 v1, 0
	v_lshl_add_u32 v0, v0, 3, v1
	buffer_load_dword v1, v0, s[0:3], 0 offen
	buffer_load_dword v36, v0, s[0:3], 0 offen offset:4
	buffer_load_dword v37, off, s[0:3], 0 offset:116
	buffer_load_dword v38, off, s[0:3], 0 offset:112
	s_waitcnt vmcnt(3)
	buffer_store_dword v1, off, s[0:3], 0 offset:112
	s_waitcnt vmcnt(3)
	buffer_store_dword v36, off, s[0:3], 0 offset:116
	s_waitcnt vmcnt(3)
	buffer_store_dword v37, v0, s[0:3], 0 offen offset:4
	s_waitcnt vmcnt(3)
	buffer_store_dword v38, v0, s[0:3], 0 offen
.LBB80_114:
	s_or_b64 exec, exec, s[4:5]
	v_pk_mov_b32 v[0:1], s[10:11], s[10:11] op_sel:[0,1]
	flat_load_dword v0, v[0:1] offset:52
	s_waitcnt vmcnt(0) lgkmcnt(0)
	v_add_u32_e32 v0, -1, v0
	v_cmp_ne_u32_e32 vcc, 13, v0
	s_and_saveexec_b64 s[4:5], vcc
	s_cbranch_execz .LBB80_116
; %bb.115:
	v_mov_b32_e32 v1, 0
	v_lshl_add_u32 v0, v0, 3, v1
	buffer_load_dword v1, v0, s[0:3], 0 offen
	buffer_load_dword v36, v0, s[0:3], 0 offen offset:4
	buffer_load_dword v37, off, s[0:3], 0 offset:104
	buffer_load_dword v38, off, s[0:3], 0 offset:108
	s_waitcnt vmcnt(3)
	buffer_store_dword v1, off, s[0:3], 0 offset:104
	s_waitcnt vmcnt(3)
	buffer_store_dword v36, off, s[0:3], 0 offset:108
	s_waitcnt vmcnt(3)
	buffer_store_dword v37, v0, s[0:3], 0 offen
	s_waitcnt vmcnt(3)
	buffer_store_dword v38, v0, s[0:3], 0 offen offset:4
.LBB80_116:
	s_or_b64 exec, exec, s[4:5]
	v_pk_mov_b32 v[0:1], s[10:11], s[10:11] op_sel:[0,1]
	flat_load_dword v0, v[0:1] offset:48
	s_waitcnt vmcnt(0) lgkmcnt(0)
	v_add_u32_e32 v0, -1, v0
	v_cmp_ne_u32_e32 vcc, 12, v0
	s_and_saveexec_b64 s[4:5], vcc
	s_cbranch_execz .LBB80_118
; %bb.117:
	v_mov_b32_e32 v1, 0
	v_lshl_add_u32 v0, v0, 3, v1
	buffer_load_dword v1, v0, s[0:3], 0 offen
	buffer_load_dword v36, v0, s[0:3], 0 offen offset:4
	buffer_load_dword v37, off, s[0:3], 0 offset:100
	buffer_load_dword v38, off, s[0:3], 0 offset:96
	s_waitcnt vmcnt(3)
	buffer_store_dword v1, off, s[0:3], 0 offset:96
	s_waitcnt vmcnt(3)
	buffer_store_dword v36, off, s[0:3], 0 offset:100
	s_waitcnt vmcnt(3)
	buffer_store_dword v37, v0, s[0:3], 0 offen offset:4
	s_waitcnt vmcnt(3)
	buffer_store_dword v38, v0, s[0:3], 0 offen
.LBB80_118:
	s_or_b64 exec, exec, s[4:5]
	v_pk_mov_b32 v[0:1], s[10:11], s[10:11] op_sel:[0,1]
	flat_load_dword v0, v[0:1] offset:44
	s_waitcnt vmcnt(0) lgkmcnt(0)
	v_add_u32_e32 v0, -1, v0
	v_cmp_ne_u32_e32 vcc, 11, v0
	s_and_saveexec_b64 s[4:5], vcc
	s_cbranch_execz .LBB80_120
; %bb.119:
	v_mov_b32_e32 v1, 0
	v_lshl_add_u32 v0, v0, 3, v1
	buffer_load_dword v1, v0, s[0:3], 0 offen
	buffer_load_dword v36, v0, s[0:3], 0 offen offset:4
	buffer_load_dword v37, off, s[0:3], 0 offset:88
	buffer_load_dword v38, off, s[0:3], 0 offset:92
	s_waitcnt vmcnt(3)
	buffer_store_dword v1, off, s[0:3], 0 offset:88
	s_waitcnt vmcnt(3)
	buffer_store_dword v36, off, s[0:3], 0 offset:92
	s_waitcnt vmcnt(3)
	buffer_store_dword v37, v0, s[0:3], 0 offen
	s_waitcnt vmcnt(3)
	buffer_store_dword v38, v0, s[0:3], 0 offen offset:4
.LBB80_120:
	;; [unrolled: 48-line block ×7, first 2 shown]
	s_or_b64 exec, exec, s[4:5]
	v_pk_mov_b32 v[0:1], s[10:11], s[10:11] op_sel:[0,1]
	flat_load_dword v36, v[0:1]
	s_nop 0
	buffer_load_dword v0, off, s[0:3], 0
	buffer_load_dword v1, off, s[0:3], 0 offset:4
	s_waitcnt vmcnt(0) lgkmcnt(0)
	v_add_u32_e32 v36, -1, v36
	v_cmp_ne_u32_e32 vcc, 0, v36
	s_and_saveexec_b64 s[4:5], vcc
	s_cbranch_execz .LBB80_142
; %bb.141:
	v_mov_b32_e32 v37, 0
	v_lshl_add_u32 v36, v36, 3, v37
	buffer_load_dword v37, v36, s[0:3], 0 offen offset:4
	buffer_load_dword v38, v36, s[0:3], 0 offen
	s_waitcnt vmcnt(1)
	buffer_store_dword v37, off, s[0:3], 0 offset:4
	s_waitcnt vmcnt(1)
	buffer_store_dword v38, off, s[0:3], 0
	buffer_store_dword v1, v36, s[0:3], 0 offen offset:4
	buffer_store_dword v0, v36, s[0:3], 0 offen
	buffer_load_dword v0, off, s[0:3], 0
	s_nop 0
	buffer_load_dword v1, off, s[0:3], 0 offset:4
.LBB80_142:
	s_or_b64 exec, exec, s[4:5]
.LBB80_143:
	buffer_load_dword v36, off, s[0:3], 0 offset:8
	buffer_load_dword v37, off, s[0:3], 0 offset:12
	;; [unrolled: 1-line block ×32, first 2 shown]
	s_waitcnt vmcnt(32)
	global_store_dwordx2 v[2:3], v[0:1], off
	s_waitcnt vmcnt(31)
	global_store_dwordx2 v[4:5], v[36:37], off
	;; [unrolled: 2-line block ×17, first 2 shown]
	s_endpgm
	.section	.rodata,"a",@progbits
	.p2align	6, 0x0
	.amdhsa_kernel _ZN9rocsolver6v33100L18getri_kernel_smallILi17EdPKPdEEvT1_iilPiilS6_bb
		.amdhsa_group_segment_fixed_size 280
		.amdhsa_private_segment_fixed_size 144
		.amdhsa_kernarg_size 60
		.amdhsa_user_sgpr_count 8
		.amdhsa_user_sgpr_private_segment_buffer 1
		.amdhsa_user_sgpr_dispatch_ptr 0
		.amdhsa_user_sgpr_queue_ptr 0
		.amdhsa_user_sgpr_kernarg_segment_ptr 1
		.amdhsa_user_sgpr_dispatch_id 0
		.amdhsa_user_sgpr_flat_scratch_init 1
		.amdhsa_user_sgpr_kernarg_preload_length 0
		.amdhsa_user_sgpr_kernarg_preload_offset 0
		.amdhsa_user_sgpr_private_segment_size 0
		.amdhsa_uses_dynamic_stack 0
		.amdhsa_system_sgpr_private_segment_wavefront_offset 1
		.amdhsa_system_sgpr_workgroup_id_x 1
		.amdhsa_system_sgpr_workgroup_id_y 0
		.amdhsa_system_sgpr_workgroup_id_z 0
		.amdhsa_system_sgpr_workgroup_info 0
		.amdhsa_system_vgpr_workitem_id 0
		.amdhsa_next_free_vgpr 102
		.amdhsa_next_free_sgpr 22
		.amdhsa_accum_offset 104
		.amdhsa_reserve_vcc 1
		.amdhsa_reserve_flat_scratch 1
		.amdhsa_float_round_mode_32 0
		.amdhsa_float_round_mode_16_64 0
		.amdhsa_float_denorm_mode_32 3
		.amdhsa_float_denorm_mode_16_64 3
		.amdhsa_dx10_clamp 1
		.amdhsa_ieee_mode 1
		.amdhsa_fp16_overflow 0
		.amdhsa_tg_split 0
		.amdhsa_exception_fp_ieee_invalid_op 0
		.amdhsa_exception_fp_denorm_src 0
		.amdhsa_exception_fp_ieee_div_zero 0
		.amdhsa_exception_fp_ieee_overflow 0
		.amdhsa_exception_fp_ieee_underflow 0
		.amdhsa_exception_fp_ieee_inexact 0
		.amdhsa_exception_int_div_zero 0
	.end_amdhsa_kernel
	.section	.text._ZN9rocsolver6v33100L18getri_kernel_smallILi17EdPKPdEEvT1_iilPiilS6_bb,"axG",@progbits,_ZN9rocsolver6v33100L18getri_kernel_smallILi17EdPKPdEEvT1_iilPiilS6_bb,comdat
.Lfunc_end80:
	.size	_ZN9rocsolver6v33100L18getri_kernel_smallILi17EdPKPdEEvT1_iilPiilS6_bb, .Lfunc_end80-_ZN9rocsolver6v33100L18getri_kernel_smallILi17EdPKPdEEvT1_iilPiilS6_bb
                                        ; -- End function
	.section	.AMDGPU.csdata,"",@progbits
; Kernel info:
; codeLenInByte = 12864
; NumSgprs: 28
; NumVgprs: 102
; NumAgprs: 0
; TotalNumVgprs: 102
; ScratchSize: 144
; MemoryBound: 0
; FloatMode: 240
; IeeeMode: 1
; LDSByteSize: 280 bytes/workgroup (compile time only)
; SGPRBlocks: 3
; VGPRBlocks: 12
; NumSGPRsForWavesPerEU: 28
; NumVGPRsForWavesPerEU: 102
; AccumOffset: 104
; Occupancy: 4
; WaveLimiterHint : 1
; COMPUTE_PGM_RSRC2:SCRATCH_EN: 1
; COMPUTE_PGM_RSRC2:USER_SGPR: 8
; COMPUTE_PGM_RSRC2:TRAP_HANDLER: 0
; COMPUTE_PGM_RSRC2:TGID_X_EN: 1
; COMPUTE_PGM_RSRC2:TGID_Y_EN: 0
; COMPUTE_PGM_RSRC2:TGID_Z_EN: 0
; COMPUTE_PGM_RSRC2:TIDIG_COMP_CNT: 0
; COMPUTE_PGM_RSRC3_GFX90A:ACCUM_OFFSET: 25
; COMPUTE_PGM_RSRC3_GFX90A:TG_SPLIT: 0
	.section	.text._ZN9rocsolver6v33100L18getri_kernel_smallILi18EdPKPdEEvT1_iilPiilS6_bb,"axG",@progbits,_ZN9rocsolver6v33100L18getri_kernel_smallILi18EdPKPdEEvT1_iilPiilS6_bb,comdat
	.globl	_ZN9rocsolver6v33100L18getri_kernel_smallILi18EdPKPdEEvT1_iilPiilS6_bb ; -- Begin function _ZN9rocsolver6v33100L18getri_kernel_smallILi18EdPKPdEEvT1_iilPiilS6_bb
	.p2align	8
	.type	_ZN9rocsolver6v33100L18getri_kernel_smallILi18EdPKPdEEvT1_iilPiilS6_bb,@function
_ZN9rocsolver6v33100L18getri_kernel_smallILi18EdPKPdEEvT1_iilPiilS6_bb: ; @_ZN9rocsolver6v33100L18getri_kernel_smallILi18EdPKPdEEvT1_iilPiilS6_bb
; %bb.0:
	s_add_u32 flat_scratch_lo, s6, s9
	s_addc_u32 flat_scratch_hi, s7, 0
	s_add_u32 s0, s0, s9
	s_addc_u32 s1, s1, 0
	v_cmp_gt_u32_e32 vcc, 18, v0
	s_and_saveexec_b64 s[6:7], vcc
	s_cbranch_execz .LBB81_80
; %bb.1:
	s_load_dword s20, s[4:5], 0x38
	s_load_dwordx2 s[6:7], s[4:5], 0x0
	s_load_dwordx4 s[12:15], s[4:5], 0x28
	s_waitcnt lgkmcnt(0)
	s_bitcmp1_b32 s20, 8
	s_cselect_b64 s[16:17], -1, 0
	s_ashr_i32 s9, s8, 31
	s_lshl_b64 s[10:11], s[8:9], 3
	s_add_u32 s6, s6, s10
	s_addc_u32 s7, s7, s11
	s_load_dwordx2 s[18:19], s[6:7], 0x0
	s_bfe_u32 s6, s20, 0x10008
	s_cmp_eq_u32 s6, 0
                                        ; implicit-def: $sgpr10_sgpr11
	s_cbranch_scc1 .LBB81_3
; %bb.2:
	s_load_dword s6, s[4:5], 0x20
	s_load_dwordx2 s[10:11], s[4:5], 0x18
	s_mul_i32 s7, s8, s13
	s_mul_hi_u32 s13, s8, s12
	s_add_i32 s13, s13, s7
	s_mul_i32 s21, s9, s12
	s_add_i32 s13, s13, s21
	s_mul_i32 s12, s8, s12
	s_waitcnt lgkmcnt(0)
	s_ashr_i32 s7, s6, 31
	s_lshl_b64 s[12:13], s[12:13], 2
	s_add_u32 s10, s10, s12
	s_addc_u32 s11, s11, s13
	s_lshl_b64 s[6:7], s[6:7], 2
	s_add_u32 s10, s10, s6
	s_addc_u32 s11, s11, s7
.LBB81_3:
	s_load_dwordx2 s[6:7], s[4:5], 0x8
	v_lshlrev_b32_e32 v1, 3, v0
	s_waitcnt lgkmcnt(0)
	s_ashr_i32 s5, s6, 31
	s_mov_b32 s4, s6
	s_lshl_b64 s[4:5], s[4:5], 3
	s_add_u32 s4, s18, s4
	s_addc_u32 s5, s19, s5
	v_mov_b32_e32 v3, s5
	v_add_co_u32_e32 v2, vcc, s4, v1
	s_ashr_i32 s13, s7, 31
	s_mov_b32 s12, s7
	s_add_i32 s6, s7, s7
	v_addc_co_u32_e32 v3, vcc, 0, v3, vcc
	s_lshl_b64 s[12:13], s[12:13], 3
	v_add_u32_e32 v8, s6, v0
	v_mov_b32_e32 v5, s13
	v_add_co_u32_e32 v4, vcc, s12, v2
	v_ashrrev_i32_e32 v9, 31, v8
	v_addc_co_u32_e32 v5, vcc, v3, v5, vcc
	v_lshlrev_b64 v[6:7], 3, v[8:9]
	v_add_u32_e32 v10, s7, v8
	v_mov_b32_e32 v9, s5
	v_add_co_u32_e32 v6, vcc, s4, v6
	v_ashrrev_i32_e32 v11, 31, v10
	v_addc_co_u32_e32 v7, vcc, v9, v7, vcc
	v_lshlrev_b64 v[8:9], 3, v[10:11]
	;; [unrolled: 6-line block ×4, first 2 shown]
	v_mov_b32_e32 v15, s5
	v_add_co_u32_e32 v12, vcc, s4, v12
	v_add_u32_e32 v14, s7, v14
	v_addc_co_u32_e32 v13, vcc, v15, v13, vcc
	v_ashrrev_i32_e32 v15, 31, v14
	v_add_u32_e32 v16, s7, v14
	v_lshlrev_b64 v[14:15], 3, v[14:15]
	v_mov_b32_e32 v17, s5
	v_add_co_u32_e32 v14, vcc, s4, v14
	v_addc_co_u32_e32 v15, vcc, v17, v15, vcc
	v_ashrrev_i32_e32 v17, 31, v16
	v_add_u32_e32 v18, s7, v16
	v_lshlrev_b64 v[16:17], 3, v[16:17]
	v_mov_b32_e32 v19, s5
	v_add_co_u32_e32 v16, vcc, s4, v16
	;; [unrolled: 6-line block ×11, first 2 shown]
	global_load_dwordx2 v[38:39], v1, s[4:5]
	global_load_dwordx2 v[46:47], v[4:5], off
	global_load_dwordx2 v[42:43], v[6:7], off
	;; [unrolled: 1-line block ×12, first 2 shown]
	v_addc_co_u32_e32 v35, vcc, v64, v35, vcc
	global_load_dwordx2 v[64:65], v[28:29], off
	global_load_dwordx2 v[66:67], v[30:31], off
	;; [unrolled: 1-line block ×4, first 2 shown]
	v_ashrrev_i32_e32 v37, 31, v36
	v_lshlrev_b64 v[36:37], 3, v[36:37]
	v_mov_b32_e32 v72, s5
	v_add_co_u32_e32 v36, vcc, s4, v36
	v_addc_co_u32_e32 v37, vcc, v72, v37, vcc
	global_load_dwordx2 v[72:73], v[36:37], off
	s_bitcmp0_b32 s20, 0
	s_mov_b64 s[6:7], -1
	s_waitcnt vmcnt(17)
	buffer_store_dword v39, off, s[0:3], 0 offset:4
	buffer_store_dword v38, off, s[0:3], 0
	s_waitcnt vmcnt(18)
	buffer_store_dword v47, off, s[0:3], 0 offset:12
	buffer_store_dword v46, off, s[0:3], 0 offset:8
	s_waitcnt vmcnt(19)
	buffer_store_dword v43, off, s[0:3], 0 offset:20
	buffer_store_dword v42, off, s[0:3], 0 offset:16
	;; [unrolled: 3-line block ×17, first 2 shown]
	s_cbranch_scc1 .LBB81_78
; %bb.4:
	v_cmp_eq_u32_e64 s[4:5], 0, v0
	s_and_saveexec_b64 s[6:7], s[4:5]
	s_cbranch_execz .LBB81_6
; %bb.5:
	v_mov_b32_e32 v38, 0
	ds_write_b32 v38, v38 offset:288
.LBB81_6:
	s_or_b64 exec, exec, s[6:7]
	v_mov_b32_e32 v38, 0
	v_lshl_add_u32 v38, v0, 3, v38
	s_waitcnt lgkmcnt(0)
	; wave barrier
	s_waitcnt lgkmcnt(0)
	buffer_load_dword v40, v38, s[0:3], 0 offen
	buffer_load_dword v41, v38, s[0:3], 0 offen offset:4
	s_waitcnt vmcnt(0)
	v_cmp_eq_f64_e32 vcc, 0, v[40:41]
	s_and_saveexec_b64 s[12:13], vcc
	s_cbranch_execz .LBB81_10
; %bb.7:
	v_mov_b32_e32 v39, 0
	ds_read_b32 v41, v39 offset:288
	v_add_u32_e32 v40, 1, v0
	s_waitcnt lgkmcnt(0)
	v_readfirstlane_b32 s6, v41
	s_cmp_eq_u32 s6, 0
	s_cselect_b64 s[18:19], -1, 0
	v_cmp_gt_i32_e32 vcc, s6, v40
	s_or_b64 s[18:19], s[18:19], vcc
	s_and_b64 exec, exec, s[18:19]
	s_cbranch_execz .LBB81_10
; %bb.8:
	s_mov_b64 s[18:19], 0
	v_mov_b32_e32 v41, s6
.LBB81_9:                               ; =>This Inner Loop Header: Depth=1
	ds_cmpst_rtn_b32 v41, v39, v41, v40 offset:288
	s_waitcnt lgkmcnt(0)
	v_cmp_ne_u32_e32 vcc, 0, v41
	v_cmp_le_i32_e64 s[6:7], v41, v40
	s_and_b64 s[6:7], vcc, s[6:7]
	s_and_b64 s[6:7], exec, s[6:7]
	s_or_b64 s[18:19], s[6:7], s[18:19]
	s_andn2_b64 exec, exec, s[18:19]
	s_cbranch_execnz .LBB81_9
.LBB81_10:
	s_or_b64 exec, exec, s[12:13]
	v_mov_b32_e32 v40, 0
	s_waitcnt lgkmcnt(0)
	; wave barrier
	ds_read_b32 v39, v40 offset:288
	s_and_saveexec_b64 s[6:7], s[4:5]
	s_cbranch_execz .LBB81_12
; %bb.11:
	s_lshl_b64 s[12:13], s[8:9], 2
	s_add_u32 s12, s14, s12
	s_addc_u32 s13, s15, s13
	s_waitcnt lgkmcnt(0)
	global_store_dword v40, v39, s[12:13]
.LBB81_12:
	s_or_b64 exec, exec, s[6:7]
	s_waitcnt lgkmcnt(0)
	v_cmp_ne_u32_e32 vcc, 0, v39
	s_mov_b64 s[6:7], 0
	s_cbranch_vccnz .LBB81_78
; %bb.13:
	buffer_load_dword v40, v38, s[0:3], 0 offen
	buffer_load_dword v41, v38, s[0:3], 0 offen offset:4
	s_waitcnt vmcnt(0)
	v_div_scale_f64 v[42:43], s[6:7], v[40:41], v[40:41], 1.0
	v_rcp_f64_e32 v[44:45], v[42:43]
	v_div_scale_f64 v[46:47], vcc, 1.0, v[40:41], 1.0
	v_fma_f64 v[48:49], -v[42:43], v[44:45], 1.0
	v_fmac_f64_e32 v[44:45], v[44:45], v[48:49]
	v_fma_f64 v[48:49], -v[42:43], v[44:45], 1.0
	v_fmac_f64_e32 v[44:45], v[44:45], v[48:49]
	v_mul_f64 v[48:49], v[46:47], v[44:45]
	v_fma_f64 v[42:43], -v[42:43], v[48:49], v[46:47]
	v_div_fmas_f64 v[42:43], v[42:43], v[44:45], v[48:49]
	v_div_fixup_f64 v[42:43], v[42:43], v[40:41], 1.0
	buffer_store_dword v43, v38, s[0:3], 0 offen offset:4
	buffer_store_dword v42, v38, s[0:3], 0 offen
	buffer_load_dword v45, off, s[0:3], 0 offset:12
	buffer_load_dword v44, off, s[0:3], 0 offset:8
	v_add_u32_e32 v40, 0x90, v1
	v_xor_b32_e32 v43, 0x80000000, v43
	s_waitcnt vmcnt(0)
	ds_write2_b64 v1, v[42:43], v[44:45] offset1:18
	s_waitcnt lgkmcnt(0)
	; wave barrier
	s_waitcnt lgkmcnt(0)
	s_and_saveexec_b64 s[6:7], s[4:5]
	s_cbranch_execz .LBB81_15
; %bb.14:
	buffer_load_dword v42, v38, s[0:3], 0 offen
	buffer_load_dword v43, v38, s[0:3], 0 offen offset:4
	v_mov_b32_e32 v39, 0
	ds_read_b64 v[44:45], v40
	ds_read_b64 v[46:47], v39 offset:8
	s_waitcnt vmcnt(0) lgkmcnt(1)
	v_fma_f64 v[42:43], v[42:43], v[44:45], 0
	s_waitcnt lgkmcnt(0)
	v_mul_f64 v[42:43], v[42:43], v[46:47]
	buffer_store_dword v42, off, s[0:3], 0 offset:8
	buffer_store_dword v43, off, s[0:3], 0 offset:12
.LBB81_15:
	s_or_b64 exec, exec, s[6:7]
	s_waitcnt lgkmcnt(0)
	; wave barrier
	buffer_load_dword v42, off, s[0:3], 0 offset:16
	buffer_load_dword v43, off, s[0:3], 0 offset:20
	v_cmp_gt_u32_e32 vcc, 2, v0
	s_waitcnt vmcnt(0)
	ds_write_b64 v40, v[42:43]
	s_waitcnt lgkmcnt(0)
	; wave barrier
	s_waitcnt lgkmcnt(0)
	s_and_saveexec_b64 s[6:7], vcc
	s_cbranch_execz .LBB81_17
; %bb.16:
	buffer_load_dword v39, v38, s[0:3], 0 offen offset:4
	buffer_load_dword v46, off, s[0:3], 0 offset:8
	s_nop 0
	buffer_load_dword v38, v38, s[0:3], 0 offen
	s_nop 0
	buffer_load_dword v47, off, s[0:3], 0 offset:12
	ds_read_b64 v[48:49], v40
	v_mov_b32_e32 v41, 0
	ds_read2_b64 v[42:45], v41 offset0:2 offset1:19
	s_waitcnt vmcnt(1) lgkmcnt(1)
	v_fma_f64 v[38:39], v[38:39], v[48:49], 0
	s_waitcnt vmcnt(0) lgkmcnt(0)
	v_fma_f64 v[44:45], v[46:47], v[44:45], v[38:39]
	v_cndmask_b32_e64 v39, v39, v45, s[4:5]
	v_cndmask_b32_e64 v38, v38, v44, s[4:5]
	v_mul_f64 v[38:39], v[38:39], v[42:43]
	buffer_store_dword v39, off, s[0:3], 0 offset:20
	buffer_store_dword v38, off, s[0:3], 0 offset:16
.LBB81_17:
	s_or_b64 exec, exec, s[6:7]
	s_waitcnt lgkmcnt(0)
	; wave barrier
	buffer_load_dword v38, off, s[0:3], 0 offset:24
	buffer_load_dword v39, off, s[0:3], 0 offset:28
	v_cmp_gt_u32_e32 vcc, 3, v0
	v_add_u32_e32 v41, -1, v0
	s_waitcnt vmcnt(0)
	ds_write_b64 v40, v[38:39]
	s_waitcnt lgkmcnt(0)
	; wave barrier
	s_waitcnt lgkmcnt(0)
	s_and_saveexec_b64 s[4:5], vcc
	s_cbranch_execz .LBB81_21
; %bb.18:
	v_add_u32_e32 v42, -1, v0
	v_add_u32_e32 v43, 0x90, v1
	v_add_u32_e32 v44, 0, v1
	s_mov_b64 s[6:7], 0
	v_pk_mov_b32 v[38:39], 0, 0
.LBB81_19:                              ; =>This Inner Loop Header: Depth=1
	buffer_load_dword v46, v44, s[0:3], 0 offen
	buffer_load_dword v47, v44, s[0:3], 0 offen offset:4
	ds_read_b64 v[48:49], v43
	v_add_u32_e32 v42, 1, v42
	v_cmp_lt_u32_e32 vcc, 1, v42
	v_add_u32_e32 v43, 8, v43
	v_add_u32_e32 v44, 8, v44
	s_or_b64 s[6:7], vcc, s[6:7]
	s_waitcnt vmcnt(0) lgkmcnt(0)
	v_fmac_f64_e32 v[38:39], v[46:47], v[48:49]
	s_andn2_b64 exec, exec, s[6:7]
	s_cbranch_execnz .LBB81_19
; %bb.20:
	s_or_b64 exec, exec, s[6:7]
	v_mov_b32_e32 v42, 0
	ds_read_b64 v[42:43], v42 offset:24
	s_waitcnt lgkmcnt(0)
	v_mul_f64 v[38:39], v[38:39], v[42:43]
	buffer_store_dword v39, off, s[0:3], 0 offset:28
	buffer_store_dword v38, off, s[0:3], 0 offset:24
.LBB81_21:
	s_or_b64 exec, exec, s[4:5]
	s_waitcnt lgkmcnt(0)
	; wave barrier
	buffer_load_dword v38, off, s[0:3], 0 offset:32
	buffer_load_dword v39, off, s[0:3], 0 offset:36
	v_cmp_gt_u32_e32 vcc, 4, v0
	s_waitcnt vmcnt(0)
	ds_write_b64 v40, v[38:39]
	s_waitcnt lgkmcnt(0)
	; wave barrier
	s_waitcnt lgkmcnt(0)
	s_and_saveexec_b64 s[4:5], vcc
	s_cbranch_execz .LBB81_25
; %bb.22:
	v_add_u32_e32 v42, -1, v0
	v_add_u32_e32 v43, 0x90, v1
	v_add_u32_e32 v44, 0, v1
	s_mov_b64 s[6:7], 0
	v_pk_mov_b32 v[38:39], 0, 0
.LBB81_23:                              ; =>This Inner Loop Header: Depth=1
	buffer_load_dword v46, v44, s[0:3], 0 offen
	buffer_load_dword v47, v44, s[0:3], 0 offen offset:4
	ds_read_b64 v[48:49], v43
	v_add_u32_e32 v42, 1, v42
	v_cmp_lt_u32_e32 vcc, 2, v42
	v_add_u32_e32 v43, 8, v43
	v_add_u32_e32 v44, 8, v44
	s_or_b64 s[6:7], vcc, s[6:7]
	s_waitcnt vmcnt(0) lgkmcnt(0)
	v_fmac_f64_e32 v[38:39], v[46:47], v[48:49]
	s_andn2_b64 exec, exec, s[6:7]
	s_cbranch_execnz .LBB81_23
; %bb.24:
	s_or_b64 exec, exec, s[6:7]
	v_mov_b32_e32 v42, 0
	ds_read_b64 v[42:43], v42 offset:32
	s_waitcnt lgkmcnt(0)
	v_mul_f64 v[38:39], v[38:39], v[42:43]
	buffer_store_dword v39, off, s[0:3], 0 offset:36
	buffer_store_dword v38, off, s[0:3], 0 offset:32
.LBB81_25:
	s_or_b64 exec, exec, s[4:5]
	s_waitcnt lgkmcnt(0)
	; wave barrier
	buffer_load_dword v38, off, s[0:3], 0 offset:40
	buffer_load_dword v39, off, s[0:3], 0 offset:44
	v_cmp_gt_u32_e32 vcc, 5, v0
	;; [unrolled: 41-line block ×13, first 2 shown]
	s_waitcnt vmcnt(0)
	ds_write_b64 v40, v[38:39]
	s_waitcnt lgkmcnt(0)
	; wave barrier
	s_waitcnt lgkmcnt(0)
	s_and_saveexec_b64 s[4:5], vcc
	s_cbranch_execz .LBB81_73
; %bb.70:
	v_add_u32_e32 v42, -1, v0
	v_add_u32_e32 v43, 0x90, v1
	v_add_u32_e32 v44, 0, v1
	s_mov_b64 s[6:7], 0
	v_pk_mov_b32 v[38:39], 0, 0
.LBB81_71:                              ; =>This Inner Loop Header: Depth=1
	buffer_load_dword v46, v44, s[0:3], 0 offen
	buffer_load_dword v47, v44, s[0:3], 0 offen offset:4
	ds_read_b64 v[48:49], v43
	v_add_u32_e32 v42, 1, v42
	v_cmp_lt_u32_e32 vcc, 14, v42
	v_add_u32_e32 v43, 8, v43
	v_add_u32_e32 v44, 8, v44
	s_or_b64 s[6:7], vcc, s[6:7]
	s_waitcnt vmcnt(0) lgkmcnt(0)
	v_fmac_f64_e32 v[38:39], v[46:47], v[48:49]
	s_andn2_b64 exec, exec, s[6:7]
	s_cbranch_execnz .LBB81_71
; %bb.72:
	s_or_b64 exec, exec, s[6:7]
	v_mov_b32_e32 v42, 0
	ds_read_b64 v[42:43], v42 offset:128
	s_waitcnt lgkmcnt(0)
	v_mul_f64 v[38:39], v[38:39], v[42:43]
	buffer_store_dword v39, off, s[0:3], 0 offset:132
	buffer_store_dword v38, off, s[0:3], 0 offset:128
.LBB81_73:
	s_or_b64 exec, exec, s[4:5]
	s_waitcnt lgkmcnt(0)
	; wave barrier
	buffer_load_dword v38, off, s[0:3], 0 offset:136
	buffer_load_dword v39, off, s[0:3], 0 offset:140
	v_cmp_ne_u32_e32 vcc, 17, v0
	s_waitcnt vmcnt(0)
	ds_write_b64 v40, v[38:39]
	s_waitcnt lgkmcnt(0)
	; wave barrier
	s_waitcnt lgkmcnt(0)
	s_and_saveexec_b64 s[4:5], vcc
	s_cbranch_execz .LBB81_77
; %bb.74:
	v_add_u32_e32 v40, 0x90, v1
	v_add_u32_e32 v1, 0, v1
	s_mov_b64 s[6:7], 0
	v_pk_mov_b32 v[38:39], 0, 0
.LBB81_75:                              ; =>This Inner Loop Header: Depth=1
	buffer_load_dword v42, v1, s[0:3], 0 offen
	buffer_load_dword v43, v1, s[0:3], 0 offen offset:4
	ds_read_b64 v[44:45], v40
	v_add_u32_e32 v41, 1, v41
	v_cmp_lt_u32_e32 vcc, 15, v41
	v_add_u32_e32 v40, 8, v40
	v_add_u32_e32 v1, 8, v1
	s_or_b64 s[6:7], vcc, s[6:7]
	s_waitcnt vmcnt(0) lgkmcnt(0)
	v_fmac_f64_e32 v[38:39], v[42:43], v[44:45]
	s_andn2_b64 exec, exec, s[6:7]
	s_cbranch_execnz .LBB81_75
; %bb.76:
	s_or_b64 exec, exec, s[6:7]
	v_mov_b32_e32 v1, 0
	ds_read_b64 v[40:41], v1 offset:136
	s_waitcnt lgkmcnt(0)
	v_mul_f64 v[38:39], v[38:39], v[40:41]
	buffer_store_dword v39, off, s[0:3], 0 offset:140
	buffer_store_dword v38, off, s[0:3], 0 offset:136
.LBB81_77:
	s_or_b64 exec, exec, s[4:5]
	s_mov_b64 s[6:7], -1
	s_waitcnt lgkmcnt(0)
	; wave barrier
.LBB81_78:
	s_and_b64 vcc, exec, s[6:7]
	s_cbranch_vccz .LBB81_80
; %bb.79:
	s_lshl_b64 s[4:5], s[8:9], 2
	s_add_u32 s4, s14, s4
	s_addc_u32 s5, s15, s5
	v_mov_b32_e32 v1, 0
	global_load_dword v1, v1, s[4:5]
	s_waitcnt vmcnt(0)
	v_cmp_ne_u32_e32 vcc, 0, v1
	s_cbranch_vccz .LBB81_81
.LBB81_80:
	s_endpgm
.LBB81_81:
	v_mov_b32_e32 v1, 0x90
	v_lshl_add_u32 v1, v0, 3, v1
	v_cmp_eq_u32_e32 vcc, 17, v0
	s_and_saveexec_b64 s[4:5], vcc
	s_cbranch_execz .LBB81_83
; %bb.82:
	buffer_load_dword v38, off, s[0:3], 0 offset:128
	buffer_load_dword v39, off, s[0:3], 0 offset:132
	v_mov_b32_e32 v40, 0
	buffer_store_dword v40, off, s[0:3], 0 offset:128
	buffer_store_dword v40, off, s[0:3], 0 offset:132
	s_waitcnt vmcnt(2)
	ds_write_b64 v1, v[38:39]
.LBB81_83:
	s_or_b64 exec, exec, s[4:5]
	s_waitcnt lgkmcnt(0)
	; wave barrier
	s_waitcnt lgkmcnt(0)
	buffer_load_dword v40, off, s[0:3], 0 offset:136
	buffer_load_dword v41, off, s[0:3], 0 offset:140
	;; [unrolled: 1-line block ×4, first 2 shown]
	v_mov_b32_e32 v38, 0
	ds_read_b64 v[44:45], v38 offset:280
	v_cmp_lt_u32_e32 vcc, 15, v0
	s_waitcnt vmcnt(2) lgkmcnt(0)
	v_fma_f64 v[40:41], v[40:41], v[44:45], 0
	s_waitcnt vmcnt(0)
	v_add_f64 v[40:41], v[42:43], -v[40:41]
	buffer_store_dword v40, off, s[0:3], 0 offset:128
	buffer_store_dword v41, off, s[0:3], 0 offset:132
	s_and_saveexec_b64 s[4:5], vcc
	s_cbranch_execz .LBB81_85
; %bb.84:
	buffer_load_dword v40, off, s[0:3], 0 offset:120
	buffer_load_dword v41, off, s[0:3], 0 offset:124
	s_waitcnt vmcnt(0)
	ds_write_b64 v1, v[40:41]
	buffer_store_dword v38, off, s[0:3], 0 offset:120
	buffer_store_dword v38, off, s[0:3], 0 offset:124
.LBB81_85:
	s_or_b64 exec, exec, s[4:5]
	s_waitcnt lgkmcnt(0)
	; wave barrier
	s_waitcnt lgkmcnt(0)
	buffer_load_dword v42, off, s[0:3], 0 offset:128
	buffer_load_dword v43, off, s[0:3], 0 offset:132
	;; [unrolled: 1-line block ×6, first 2 shown]
	ds_read_b128 v[38:41], v38 offset:272
	v_cmp_lt_u32_e32 vcc, 14, v0
	s_waitcnt vmcnt(4) lgkmcnt(0)
	v_fma_f64 v[38:39], v[42:43], v[38:39], 0
	s_waitcnt vmcnt(2)
	v_fmac_f64_e32 v[38:39], v[44:45], v[40:41]
	s_waitcnt vmcnt(0)
	v_add_f64 v[38:39], v[46:47], -v[38:39]
	buffer_store_dword v38, off, s[0:3], 0 offset:120
	buffer_store_dword v39, off, s[0:3], 0 offset:124
	s_and_saveexec_b64 s[4:5], vcc
	s_cbranch_execz .LBB81_87
; %bb.86:
	buffer_load_dword v38, off, s[0:3], 0 offset:112
	buffer_load_dword v39, off, s[0:3], 0 offset:116
	v_mov_b32_e32 v40, 0
	buffer_store_dword v40, off, s[0:3], 0 offset:112
	buffer_store_dword v40, off, s[0:3], 0 offset:116
	s_waitcnt vmcnt(2)
	ds_write_b64 v1, v[38:39]
.LBB81_87:
	s_or_b64 exec, exec, s[4:5]
	s_waitcnt lgkmcnt(0)
	; wave barrier
	s_waitcnt lgkmcnt(0)
	buffer_load_dword v44, off, s[0:3], 0 offset:120
	buffer_load_dword v45, off, s[0:3], 0 offset:124
	;; [unrolled: 1-line block ×8, first 2 shown]
	v_mov_b32_e32 v38, 0
	ds_read2_b64 v[40:43], v38 offset0:33 offset1:34
	ds_read_b64 v[52:53], v38 offset:280
	v_cmp_lt_u32_e32 vcc, 13, v0
	s_waitcnt vmcnt(6) lgkmcnt(1)
	v_fma_f64 v[40:41], v[44:45], v[40:41], 0
	s_waitcnt vmcnt(4)
	v_fmac_f64_e32 v[40:41], v[46:47], v[42:43]
	s_waitcnt vmcnt(2) lgkmcnt(0)
	v_fmac_f64_e32 v[40:41], v[48:49], v[52:53]
	s_waitcnt vmcnt(0)
	v_add_f64 v[40:41], v[50:51], -v[40:41]
	buffer_store_dword v40, off, s[0:3], 0 offset:112
	buffer_store_dword v41, off, s[0:3], 0 offset:116
	s_and_saveexec_b64 s[4:5], vcc
	s_cbranch_execz .LBB81_89
; %bb.88:
	buffer_load_dword v40, off, s[0:3], 0 offset:104
	buffer_load_dword v41, off, s[0:3], 0 offset:108
	s_waitcnt vmcnt(0)
	ds_write_b64 v1, v[40:41]
	buffer_store_dword v38, off, s[0:3], 0 offset:104
	buffer_store_dword v38, off, s[0:3], 0 offset:108
.LBB81_89:
	s_or_b64 exec, exec, s[4:5]
	s_waitcnt lgkmcnt(0)
	; wave barrier
	s_waitcnt lgkmcnt(0)
	buffer_load_dword v48, off, s[0:3], 0 offset:112
	buffer_load_dword v49, off, s[0:3], 0 offset:116
	;; [unrolled: 1-line block ×10, first 2 shown]
	ds_read_b128 v[40:43], v38 offset:256
	ds_read_b128 v[44:47], v38 offset:272
	v_cmp_lt_u32_e32 vcc, 12, v0
	s_waitcnt vmcnt(8) lgkmcnt(1)
	v_fma_f64 v[38:39], v[48:49], v[40:41], 0
	s_waitcnt vmcnt(6)
	v_fmac_f64_e32 v[38:39], v[50:51], v[42:43]
	s_waitcnt vmcnt(4) lgkmcnt(0)
	v_fmac_f64_e32 v[38:39], v[52:53], v[44:45]
	s_waitcnt vmcnt(2)
	v_fmac_f64_e32 v[38:39], v[54:55], v[46:47]
	s_waitcnt vmcnt(0)
	v_add_f64 v[38:39], v[56:57], -v[38:39]
	buffer_store_dword v38, off, s[0:3], 0 offset:104
	buffer_store_dword v39, off, s[0:3], 0 offset:108
	s_and_saveexec_b64 s[4:5], vcc
	s_cbranch_execz .LBB81_91
; %bb.90:
	buffer_load_dword v38, off, s[0:3], 0 offset:96
	buffer_load_dword v39, off, s[0:3], 0 offset:100
	v_mov_b32_e32 v40, 0
	buffer_store_dword v40, off, s[0:3], 0 offset:96
	buffer_store_dword v40, off, s[0:3], 0 offset:100
	s_waitcnt vmcnt(2)
	ds_write_b64 v1, v[38:39]
.LBB81_91:
	s_or_b64 exec, exec, s[4:5]
	s_waitcnt lgkmcnt(0)
	; wave barrier
	s_waitcnt lgkmcnt(0)
	buffer_load_dword v48, off, s[0:3], 0 offset:104
	buffer_load_dword v49, off, s[0:3], 0 offset:108
	;; [unrolled: 1-line block ×12, first 2 shown]
	v_mov_b32_e32 v38, 0
	ds_read2_b64 v[40:43], v38 offset0:31 offset1:32
	ds_read2_b64 v[44:47], v38 offset0:33 offset1:34
	ds_read_b64 v[60:61], v38 offset:280
	v_cmp_lt_u32_e32 vcc, 11, v0
	s_waitcnt vmcnt(10) lgkmcnt(2)
	v_fma_f64 v[40:41], v[48:49], v[40:41], 0
	s_waitcnt vmcnt(8)
	v_fmac_f64_e32 v[40:41], v[50:51], v[42:43]
	s_waitcnt vmcnt(6) lgkmcnt(1)
	v_fmac_f64_e32 v[40:41], v[52:53], v[44:45]
	s_waitcnt vmcnt(4)
	v_fmac_f64_e32 v[40:41], v[54:55], v[46:47]
	s_waitcnt vmcnt(2) lgkmcnt(0)
	v_fmac_f64_e32 v[40:41], v[56:57], v[60:61]
	s_waitcnt vmcnt(0)
	v_add_f64 v[40:41], v[58:59], -v[40:41]
	buffer_store_dword v40, off, s[0:3], 0 offset:96
	buffer_store_dword v41, off, s[0:3], 0 offset:100
	s_and_saveexec_b64 s[4:5], vcc
	s_cbranch_execz .LBB81_93
; %bb.92:
	buffer_load_dword v40, off, s[0:3], 0 offset:88
	buffer_load_dword v41, off, s[0:3], 0 offset:92
	s_waitcnt vmcnt(0)
	ds_write_b64 v1, v[40:41]
	buffer_store_dword v38, off, s[0:3], 0 offset:88
	buffer_store_dword v38, off, s[0:3], 0 offset:92
.LBB81_93:
	s_or_b64 exec, exec, s[4:5]
	s_waitcnt lgkmcnt(0)
	; wave barrier
	s_waitcnt lgkmcnt(0)
	buffer_load_dword v52, off, s[0:3], 0 offset:96
	buffer_load_dword v53, off, s[0:3], 0 offset:100
	;; [unrolled: 1-line block ×14, first 2 shown]
	ds_read_b128 v[40:43], v38 offset:240
	ds_read_b128 v[44:47], v38 offset:256
	;; [unrolled: 1-line block ×3, first 2 shown]
	v_cmp_lt_u32_e32 vcc, 10, v0
	s_waitcnt vmcnt(12) lgkmcnt(2)
	v_fma_f64 v[38:39], v[52:53], v[40:41], 0
	s_waitcnt vmcnt(10)
	v_fmac_f64_e32 v[38:39], v[54:55], v[42:43]
	s_waitcnt vmcnt(8) lgkmcnt(1)
	v_fmac_f64_e32 v[38:39], v[56:57], v[44:45]
	s_waitcnt vmcnt(6)
	v_fmac_f64_e32 v[38:39], v[58:59], v[46:47]
	s_waitcnt vmcnt(4) lgkmcnt(0)
	v_fmac_f64_e32 v[38:39], v[60:61], v[48:49]
	s_waitcnt vmcnt(2)
	v_fmac_f64_e32 v[38:39], v[62:63], v[50:51]
	s_waitcnt vmcnt(0)
	v_add_f64 v[38:39], v[64:65], -v[38:39]
	buffer_store_dword v38, off, s[0:3], 0 offset:88
	buffer_store_dword v39, off, s[0:3], 0 offset:92
	s_and_saveexec_b64 s[4:5], vcc
	s_cbranch_execz .LBB81_95
; %bb.94:
	buffer_load_dword v38, off, s[0:3], 0 offset:80
	buffer_load_dword v39, off, s[0:3], 0 offset:84
	v_mov_b32_e32 v40, 0
	buffer_store_dword v40, off, s[0:3], 0 offset:80
	buffer_store_dword v40, off, s[0:3], 0 offset:84
	s_waitcnt vmcnt(2)
	ds_write_b64 v1, v[38:39]
.LBB81_95:
	s_or_b64 exec, exec, s[4:5]
	s_waitcnt lgkmcnt(0)
	; wave barrier
	s_waitcnt lgkmcnt(0)
	buffer_load_dword v52, off, s[0:3], 0 offset:88
	buffer_load_dword v53, off, s[0:3], 0 offset:92
	;; [unrolled: 1-line block ×16, first 2 shown]
	v_mov_b32_e32 v38, 0
	ds_read2_b64 v[40:43], v38 offset0:29 offset1:30
	ds_read2_b64 v[44:47], v38 offset0:31 offset1:32
	;; [unrolled: 1-line block ×3, first 2 shown]
	ds_read_b64 v[68:69], v38 offset:280
	v_cmp_lt_u32_e32 vcc, 9, v0
	s_waitcnt vmcnt(14) lgkmcnt(3)
	v_fma_f64 v[40:41], v[52:53], v[40:41], 0
	s_waitcnt vmcnt(12)
	v_fmac_f64_e32 v[40:41], v[54:55], v[42:43]
	s_waitcnt vmcnt(10) lgkmcnt(2)
	v_fmac_f64_e32 v[40:41], v[56:57], v[44:45]
	s_waitcnt vmcnt(8)
	v_fmac_f64_e32 v[40:41], v[58:59], v[46:47]
	s_waitcnt vmcnt(6) lgkmcnt(1)
	v_fmac_f64_e32 v[40:41], v[60:61], v[48:49]
	;; [unrolled: 4-line block ×3, first 2 shown]
	s_waitcnt vmcnt(0)
	v_add_f64 v[40:41], v[66:67], -v[40:41]
	buffer_store_dword v40, off, s[0:3], 0 offset:80
	buffer_store_dword v41, off, s[0:3], 0 offset:84
	s_and_saveexec_b64 s[4:5], vcc
	s_cbranch_execz .LBB81_97
; %bb.96:
	buffer_load_dword v40, off, s[0:3], 0 offset:72
	buffer_load_dword v41, off, s[0:3], 0 offset:76
	s_waitcnt vmcnt(0)
	ds_write_b64 v1, v[40:41]
	buffer_store_dword v38, off, s[0:3], 0 offset:72
	buffer_store_dword v38, off, s[0:3], 0 offset:76
.LBB81_97:
	s_or_b64 exec, exec, s[4:5]
	s_waitcnt lgkmcnt(0)
	; wave barrier
	s_waitcnt lgkmcnt(0)
	buffer_load_dword v56, off, s[0:3], 0 offset:80
	buffer_load_dword v57, off, s[0:3], 0 offset:84
	;; [unrolled: 1-line block ×18, first 2 shown]
	ds_read_b128 v[40:43], v38 offset:224
	ds_read_b128 v[44:47], v38 offset:240
	;; [unrolled: 1-line block ×4, first 2 shown]
	v_cmp_lt_u32_e32 vcc, 8, v0
	s_waitcnt vmcnt(16) lgkmcnt(3)
	v_fma_f64 v[38:39], v[56:57], v[40:41], 0
	s_waitcnt vmcnt(14)
	v_fmac_f64_e32 v[38:39], v[58:59], v[42:43]
	s_waitcnt vmcnt(12) lgkmcnt(2)
	v_fmac_f64_e32 v[38:39], v[60:61], v[44:45]
	s_waitcnt vmcnt(10)
	v_fmac_f64_e32 v[38:39], v[62:63], v[46:47]
	s_waitcnt vmcnt(8) lgkmcnt(1)
	v_fmac_f64_e32 v[38:39], v[64:65], v[48:49]
	;; [unrolled: 4-line block ×3, first 2 shown]
	s_waitcnt vmcnt(2)
	v_fmac_f64_e32 v[38:39], v[70:71], v[54:55]
	s_waitcnt vmcnt(0)
	v_add_f64 v[38:39], v[72:73], -v[38:39]
	buffer_store_dword v38, off, s[0:3], 0 offset:72
	buffer_store_dword v39, off, s[0:3], 0 offset:76
	s_and_saveexec_b64 s[4:5], vcc
	s_cbranch_execz .LBB81_99
; %bb.98:
	buffer_load_dword v38, off, s[0:3], 0 offset:64
	buffer_load_dword v39, off, s[0:3], 0 offset:68
	v_mov_b32_e32 v40, 0
	buffer_store_dword v40, off, s[0:3], 0 offset:64
	buffer_store_dword v40, off, s[0:3], 0 offset:68
	s_waitcnt vmcnt(2)
	ds_write_b64 v1, v[38:39]
.LBB81_99:
	s_or_b64 exec, exec, s[4:5]
	s_waitcnt lgkmcnt(0)
	; wave barrier
	s_waitcnt lgkmcnt(0)
	buffer_load_dword v56, off, s[0:3], 0 offset:72
	buffer_load_dword v57, off, s[0:3], 0 offset:76
	;; [unrolled: 1-line block ×20, first 2 shown]
	v_mov_b32_e32 v38, 0
	ds_read2_b64 v[40:43], v38 offset0:27 offset1:28
	ds_read2_b64 v[44:47], v38 offset0:29 offset1:30
	;; [unrolled: 1-line block ×4, first 2 shown]
	ds_read_b64 v[76:77], v38 offset:280
	v_cmp_lt_u32_e32 vcc, 7, v0
	s_waitcnt vmcnt(18) lgkmcnt(4)
	v_fma_f64 v[40:41], v[56:57], v[40:41], 0
	s_waitcnt vmcnt(16)
	v_fmac_f64_e32 v[40:41], v[58:59], v[42:43]
	s_waitcnt vmcnt(14) lgkmcnt(3)
	v_fmac_f64_e32 v[40:41], v[60:61], v[44:45]
	s_waitcnt vmcnt(12)
	v_fmac_f64_e32 v[40:41], v[62:63], v[46:47]
	s_waitcnt vmcnt(10) lgkmcnt(2)
	v_fmac_f64_e32 v[40:41], v[64:65], v[48:49]
	;; [unrolled: 4-line block ×3, first 2 shown]
	s_waitcnt vmcnt(2)
	v_fmac_f64_e32 v[40:41], v[72:73], v[54:55]
	s_waitcnt lgkmcnt(0)
	v_fmac_f64_e32 v[40:41], v[70:71], v[76:77]
	s_waitcnt vmcnt(0)
	v_add_f64 v[40:41], v[74:75], -v[40:41]
	buffer_store_dword v40, off, s[0:3], 0 offset:64
	buffer_store_dword v41, off, s[0:3], 0 offset:68
	s_and_saveexec_b64 s[4:5], vcc
	s_cbranch_execz .LBB81_101
; %bb.100:
	buffer_load_dword v40, off, s[0:3], 0 offset:56
	buffer_load_dword v41, off, s[0:3], 0 offset:60
	s_waitcnt vmcnt(0)
	ds_write_b64 v1, v[40:41]
	buffer_store_dword v38, off, s[0:3], 0 offset:56
	buffer_store_dword v38, off, s[0:3], 0 offset:60
.LBB81_101:
	s_or_b64 exec, exec, s[4:5]
	s_waitcnt lgkmcnt(0)
	; wave barrier
	s_waitcnt lgkmcnt(0)
	buffer_load_dword v60, off, s[0:3], 0 offset:64
	buffer_load_dword v61, off, s[0:3], 0 offset:68
	;; [unrolled: 1-line block ×22, first 2 shown]
	ds_read_b128 v[40:43], v38 offset:208
	ds_read_b128 v[44:47], v38 offset:224
	;; [unrolled: 1-line block ×5, first 2 shown]
	v_cmp_lt_u32_e32 vcc, 6, v0
	s_waitcnt vmcnt(20) lgkmcnt(4)
	v_fma_f64 v[38:39], v[60:61], v[40:41], 0
	s_waitcnt vmcnt(18)
	v_fmac_f64_e32 v[38:39], v[62:63], v[42:43]
	s_waitcnt vmcnt(16) lgkmcnt(3)
	v_fmac_f64_e32 v[38:39], v[64:65], v[44:45]
	s_waitcnt vmcnt(14)
	v_fmac_f64_e32 v[38:39], v[66:67], v[46:47]
	s_waitcnt vmcnt(12) lgkmcnt(2)
	v_fmac_f64_e32 v[38:39], v[68:69], v[48:49]
	;; [unrolled: 4-line block ×3, first 2 shown]
	s_waitcnt vmcnt(3)
	v_fmac_f64_e32 v[38:39], v[78:79], v[54:55]
	s_waitcnt lgkmcnt(0)
	v_fmac_f64_e32 v[38:39], v[76:77], v[56:57]
	s_waitcnt vmcnt(2)
	v_fmac_f64_e32 v[38:39], v[74:75], v[58:59]
	s_waitcnt vmcnt(0)
	v_add_f64 v[38:39], v[80:81], -v[38:39]
	buffer_store_dword v38, off, s[0:3], 0 offset:56
	buffer_store_dword v39, off, s[0:3], 0 offset:60
	s_and_saveexec_b64 s[4:5], vcc
	s_cbranch_execz .LBB81_103
; %bb.102:
	buffer_load_dword v38, off, s[0:3], 0 offset:48
	buffer_load_dword v39, off, s[0:3], 0 offset:52
	v_mov_b32_e32 v40, 0
	buffer_store_dword v40, off, s[0:3], 0 offset:48
	buffer_store_dword v40, off, s[0:3], 0 offset:52
	s_waitcnt vmcnt(2)
	ds_write_b64 v1, v[38:39]
.LBB81_103:
	s_or_b64 exec, exec, s[4:5]
	s_waitcnt lgkmcnt(0)
	; wave barrier
	s_waitcnt lgkmcnt(0)
	buffer_load_dword v60, off, s[0:3], 0 offset:56
	buffer_load_dword v61, off, s[0:3], 0 offset:60
	;; [unrolled: 1-line block ×24, first 2 shown]
	v_mov_b32_e32 v38, 0
	ds_read2_b64 v[40:43], v38 offset0:25 offset1:26
	ds_read2_b64 v[44:47], v38 offset0:27 offset1:28
	;; [unrolled: 1-line block ×5, first 2 shown]
	ds_read_b64 v[84:85], v38 offset:280
	v_cmp_lt_u32_e32 vcc, 5, v0
	s_waitcnt vmcnt(22) lgkmcnt(5)
	v_fma_f64 v[40:41], v[60:61], v[40:41], 0
	s_waitcnt vmcnt(20)
	v_fmac_f64_e32 v[40:41], v[62:63], v[42:43]
	s_waitcnt vmcnt(18) lgkmcnt(4)
	v_fmac_f64_e32 v[40:41], v[64:65], v[44:45]
	s_waitcnt vmcnt(16)
	v_fmac_f64_e32 v[40:41], v[66:67], v[46:47]
	s_waitcnt vmcnt(14) lgkmcnt(3)
	v_fmac_f64_e32 v[40:41], v[68:69], v[48:49]
	;; [unrolled: 4-line block ×3, first 2 shown]
	s_waitcnt vmcnt(4)
	v_fmac_f64_e32 v[40:41], v[80:81], v[54:55]
	s_waitcnt lgkmcnt(1)
	v_fmac_f64_e32 v[40:41], v[78:79], v[56:57]
	s_waitcnt vmcnt(3)
	v_fmac_f64_e32 v[40:41], v[76:77], v[58:59]
	s_waitcnt vmcnt(2) lgkmcnt(0)
	v_fmac_f64_e32 v[40:41], v[74:75], v[84:85]
	s_waitcnt vmcnt(0)
	v_add_f64 v[40:41], v[82:83], -v[40:41]
	buffer_store_dword v41, off, s[0:3], 0 offset:52
	buffer_store_dword v40, off, s[0:3], 0 offset:48
	s_and_saveexec_b64 s[4:5], vcc
	s_cbranch_execz .LBB81_105
; %bb.104:
	buffer_load_dword v40, off, s[0:3], 0 offset:40
	buffer_load_dword v41, off, s[0:3], 0 offset:44
	s_waitcnt vmcnt(0)
	ds_write_b64 v1, v[40:41]
	buffer_store_dword v38, off, s[0:3], 0 offset:40
	buffer_store_dword v38, off, s[0:3], 0 offset:44
.LBB81_105:
	s_or_b64 exec, exec, s[4:5]
	s_waitcnt lgkmcnt(0)
	; wave barrier
	s_waitcnt lgkmcnt(0)
	buffer_load_dword v64, off, s[0:3], 0 offset:48
	buffer_load_dword v65, off, s[0:3], 0 offset:52
	;; [unrolled: 1-line block ×26, first 2 shown]
	ds_read_b128 v[40:43], v38 offset:192
	ds_read_b128 v[44:47], v38 offset:208
	;; [unrolled: 1-line block ×6, first 2 shown]
	v_cmp_lt_u32_e32 vcc, 4, v0
	s_waitcnt vmcnt(24) lgkmcnt(5)
	v_fma_f64 v[38:39], v[64:65], v[40:41], 0
	s_waitcnt vmcnt(22)
	v_fmac_f64_e32 v[38:39], v[66:67], v[42:43]
	s_waitcnt vmcnt(20) lgkmcnt(4)
	v_fmac_f64_e32 v[38:39], v[68:69], v[44:45]
	s_waitcnt vmcnt(18)
	v_fmac_f64_e32 v[38:39], v[70:71], v[46:47]
	s_waitcnt vmcnt(16) lgkmcnt(3)
	v_fmac_f64_e32 v[38:39], v[72:73], v[48:49]
	;; [unrolled: 4-line block ×3, first 2 shown]
	s_waitcnt vmcnt(5)
	v_fmac_f64_e32 v[38:39], v[84:85], v[54:55]
	s_waitcnt lgkmcnt(1)
	v_fmac_f64_e32 v[38:39], v[82:83], v[56:57]
	v_fmac_f64_e32 v[38:39], v[80:81], v[58:59]
	s_waitcnt vmcnt(4) lgkmcnt(0)
	v_fmac_f64_e32 v[38:39], v[78:79], v[60:61]
	s_waitcnt vmcnt(2)
	v_fmac_f64_e32 v[38:39], v[86:87], v[62:63]
	s_waitcnt vmcnt(0)
	v_add_f64 v[38:39], v[88:89], -v[38:39]
	buffer_store_dword v39, off, s[0:3], 0 offset:44
	buffer_store_dword v38, off, s[0:3], 0 offset:40
	s_and_saveexec_b64 s[4:5], vcc
	s_cbranch_execz .LBB81_107
; %bb.106:
	buffer_load_dword v38, off, s[0:3], 0 offset:32
	buffer_load_dword v39, off, s[0:3], 0 offset:36
	v_mov_b32_e32 v40, 0
	buffer_store_dword v40, off, s[0:3], 0 offset:32
	buffer_store_dword v40, off, s[0:3], 0 offset:36
	s_waitcnt vmcnt(2)
	ds_write_b64 v1, v[38:39]
.LBB81_107:
	s_or_b64 exec, exec, s[4:5]
	s_waitcnt lgkmcnt(0)
	; wave barrier
	s_waitcnt lgkmcnt(0)
	buffer_load_dword v64, off, s[0:3], 0 offset:40
	buffer_load_dword v65, off, s[0:3], 0 offset:44
	buffer_load_dword v66, off, s[0:3], 0 offset:48
	buffer_load_dword v67, off, s[0:3], 0 offset:52
	buffer_load_dword v68, off, s[0:3], 0 offset:56
	buffer_load_dword v69, off, s[0:3], 0 offset:60
	buffer_load_dword v70, off, s[0:3], 0 offset:64
	buffer_load_dword v71, off, s[0:3], 0 offset:68
	buffer_load_dword v72, off, s[0:3], 0 offset:72
	buffer_load_dword v73, off, s[0:3], 0 offset:76
	buffer_load_dword v74, off, s[0:3], 0 offset:80
	buffer_load_dword v75, off, s[0:3], 0 offset:84
	buffer_load_dword v76, off, s[0:3], 0 offset:88
	buffer_load_dword v77, off, s[0:3], 0 offset:92
	buffer_load_dword v79, off, s[0:3], 0 offset:124
	buffer_load_dword v78, off, s[0:3], 0 offset:120
	buffer_load_dword v81, off, s[0:3], 0 offset:116
	buffer_load_dword v80, off, s[0:3], 0 offset:112
	buffer_load_dword v83, off, s[0:3], 0 offset:108
	buffer_load_dword v82, off, s[0:3], 0 offset:104
	buffer_load_dword v85, off, s[0:3], 0 offset:100
	buffer_load_dword v84, off, s[0:3], 0 offset:96
	buffer_load_dword v87, off, s[0:3], 0 offset:140
	buffer_load_dword v86, off, s[0:3], 0 offset:136
	buffer_load_dword v89, off, s[0:3], 0 offset:132
	buffer_load_dword v88, off, s[0:3], 0 offset:128
	buffer_load_dword v90, off, s[0:3], 0 offset:32
	buffer_load_dword v91, off, s[0:3], 0 offset:36
	v_mov_b32_e32 v38, 0
	ds_read2_b64 v[40:43], v38 offset0:23 offset1:24
	ds_read2_b64 v[44:47], v38 offset0:25 offset1:26
	;; [unrolled: 1-line block ×6, first 2 shown]
	ds_read_b64 v[92:93], v38 offset:280
	v_cmp_lt_u32_e32 vcc, 3, v0
	s_waitcnt vmcnt(26) lgkmcnt(6)
	v_fma_f64 v[40:41], v[64:65], v[40:41], 0
	s_waitcnt vmcnt(24)
	v_fmac_f64_e32 v[40:41], v[66:67], v[42:43]
	s_waitcnt vmcnt(22) lgkmcnt(5)
	v_fmac_f64_e32 v[40:41], v[68:69], v[44:45]
	s_waitcnt vmcnt(20)
	v_fmac_f64_e32 v[40:41], v[70:71], v[46:47]
	s_waitcnt vmcnt(18) lgkmcnt(4)
	v_fmac_f64_e32 v[40:41], v[72:73], v[48:49]
	;; [unrolled: 4-line block ×3, first 2 shown]
	s_waitcnt vmcnt(6)
	v_fmac_f64_e32 v[40:41], v[84:85], v[54:55]
	s_waitcnt lgkmcnt(2)
	v_fmac_f64_e32 v[40:41], v[82:83], v[56:57]
	v_fmac_f64_e32 v[40:41], v[80:81], v[58:59]
	s_waitcnt lgkmcnt(1)
	v_fmac_f64_e32 v[40:41], v[78:79], v[60:61]
	s_waitcnt vmcnt(2)
	v_fmac_f64_e32 v[40:41], v[88:89], v[62:63]
	s_waitcnt lgkmcnt(0)
	v_fmac_f64_e32 v[40:41], v[86:87], v[92:93]
	s_waitcnt vmcnt(0)
	v_add_f64 v[40:41], v[90:91], -v[40:41]
	buffer_store_dword v41, off, s[0:3], 0 offset:36
	buffer_store_dword v40, off, s[0:3], 0 offset:32
	s_and_saveexec_b64 s[4:5], vcc
	s_cbranch_execz .LBB81_109
; %bb.108:
	buffer_load_dword v40, off, s[0:3], 0 offset:24
	buffer_load_dword v41, off, s[0:3], 0 offset:28
	s_waitcnt vmcnt(0)
	ds_write_b64 v1, v[40:41]
	buffer_store_dword v38, off, s[0:3], 0 offset:24
	buffer_store_dword v38, off, s[0:3], 0 offset:28
.LBB81_109:
	s_or_b64 exec, exec, s[4:5]
	s_waitcnt lgkmcnt(0)
	; wave barrier
	s_waitcnt lgkmcnt(0)
	buffer_load_dword v68, off, s[0:3], 0 offset:32
	buffer_load_dword v69, off, s[0:3], 0 offset:36
	;; [unrolled: 1-line block ×30, first 2 shown]
	ds_read_b128 v[40:43], v38 offset:176
	ds_read_b128 v[44:47], v38 offset:192
	;; [unrolled: 1-line block ×7, first 2 shown]
	v_cmp_lt_u32_e32 vcc, 2, v0
	s_waitcnt vmcnt(28) lgkmcnt(6)
	v_fma_f64 v[38:39], v[68:69], v[40:41], 0
	s_waitcnt vmcnt(26)
	v_fmac_f64_e32 v[38:39], v[70:71], v[42:43]
	s_waitcnt vmcnt(24) lgkmcnt(5)
	v_fmac_f64_e32 v[38:39], v[72:73], v[44:45]
	s_waitcnt vmcnt(22)
	v_fmac_f64_e32 v[38:39], v[74:75], v[46:47]
	s_waitcnt vmcnt(20) lgkmcnt(4)
	v_fmac_f64_e32 v[38:39], v[76:77], v[48:49]
	;; [unrolled: 4-line block ×3, first 2 shown]
	s_waitcnt vmcnt(8)
	v_fmac_f64_e32 v[38:39], v[88:89], v[54:55]
	s_waitcnt lgkmcnt(2)
	v_fmac_f64_e32 v[38:39], v[86:87], v[56:57]
	v_fmac_f64_e32 v[38:39], v[84:85], v[58:59]
	s_waitcnt lgkmcnt(1)
	v_fmac_f64_e32 v[38:39], v[82:83], v[60:61]
	s_waitcnt vmcnt(3)
	v_fmac_f64_e32 v[38:39], v[94:95], v[62:63]
	s_waitcnt lgkmcnt(0)
	v_fmac_f64_e32 v[38:39], v[92:93], v[64:65]
	s_waitcnt vmcnt(2)
	v_fmac_f64_e32 v[38:39], v[90:91], v[66:67]
	s_waitcnt vmcnt(0)
	v_add_f64 v[38:39], v[96:97], -v[38:39]
	buffer_store_dword v39, off, s[0:3], 0 offset:28
	buffer_store_dword v38, off, s[0:3], 0 offset:24
	s_and_saveexec_b64 s[4:5], vcc
	s_cbranch_execz .LBB81_111
; %bb.110:
	buffer_load_dword v38, off, s[0:3], 0 offset:16
	buffer_load_dword v39, off, s[0:3], 0 offset:20
	v_mov_b32_e32 v40, 0
	buffer_store_dword v40, off, s[0:3], 0 offset:16
	buffer_store_dword v40, off, s[0:3], 0 offset:20
	s_waitcnt vmcnt(2)
	ds_write_b64 v1, v[38:39]
.LBB81_111:
	s_or_b64 exec, exec, s[4:5]
	s_waitcnt lgkmcnt(0)
	; wave barrier
	s_waitcnt lgkmcnt(0)
	buffer_load_dword v68, off, s[0:3], 0 offset:24
	buffer_load_dword v69, off, s[0:3], 0 offset:28
	;; [unrolled: 1-line block ×32, first 2 shown]
	v_mov_b32_e32 v38, 0
	ds_read2_b64 v[40:43], v38 offset0:21 offset1:22
	ds_read2_b64 v[44:47], v38 offset0:23 offset1:24
	;; [unrolled: 1-line block ×7, first 2 shown]
	ds_read_b64 v[100:101], v38 offset:280
	v_cmp_lt_u32_e32 vcc, 1, v0
	s_waitcnt vmcnt(30) lgkmcnt(7)
	v_fma_f64 v[40:41], v[68:69], v[40:41], 0
	s_waitcnt vmcnt(28)
	v_fmac_f64_e32 v[40:41], v[70:71], v[42:43]
	s_waitcnt vmcnt(26) lgkmcnt(6)
	v_fmac_f64_e32 v[40:41], v[72:73], v[44:45]
	s_waitcnt vmcnt(24)
	v_fmac_f64_e32 v[40:41], v[74:75], v[46:47]
	s_waitcnt vmcnt(22) lgkmcnt(5)
	v_fmac_f64_e32 v[40:41], v[76:77], v[48:49]
	;; [unrolled: 4-line block ×3, first 2 shown]
	s_waitcnt vmcnt(10)
	v_fmac_f64_e32 v[40:41], v[88:89], v[54:55]
	s_waitcnt lgkmcnt(3)
	v_fmac_f64_e32 v[40:41], v[86:87], v[56:57]
	v_fmac_f64_e32 v[40:41], v[84:85], v[58:59]
	s_waitcnt lgkmcnt(2)
	v_fmac_f64_e32 v[40:41], v[82:83], v[60:61]
	s_waitcnt vmcnt(4)
	v_fmac_f64_e32 v[40:41], v[96:97], v[62:63]
	s_waitcnt lgkmcnt(1)
	v_fmac_f64_e32 v[40:41], v[94:95], v[64:65]
	s_waitcnt vmcnt(3)
	v_fmac_f64_e32 v[40:41], v[92:93], v[66:67]
	s_waitcnt vmcnt(2) lgkmcnt(0)
	v_fmac_f64_e32 v[40:41], v[90:91], v[100:101]
	s_waitcnt vmcnt(0)
	v_add_f64 v[40:41], v[98:99], -v[40:41]
	buffer_store_dword v41, off, s[0:3], 0 offset:20
	buffer_store_dword v40, off, s[0:3], 0 offset:16
	s_and_saveexec_b64 s[4:5], vcc
	s_cbranch_execz .LBB81_113
; %bb.112:
	buffer_load_dword v40, off, s[0:3], 0 offset:8
	buffer_load_dword v41, off, s[0:3], 0 offset:12
	s_waitcnt vmcnt(0)
	ds_write_b64 v1, v[40:41]
	buffer_store_dword v38, off, s[0:3], 0 offset:8
	buffer_store_dword v38, off, s[0:3], 0 offset:12
.LBB81_113:
	s_or_b64 exec, exec, s[4:5]
	s_waitcnt lgkmcnt(0)
	; wave barrier
	s_waitcnt lgkmcnt(0)
	buffer_load_dword v72, off, s[0:3], 0 offset:16
	buffer_load_dword v73, off, s[0:3], 0 offset:20
	;; [unrolled: 1-line block ×34, first 2 shown]
	ds_read_b128 v[40:43], v38 offset:160
	ds_read_b128 v[44:47], v38 offset:176
	ds_read_b128 v[48:51], v38 offset:192
	ds_read_b128 v[52:55], v38 offset:208
	ds_read_b128 v[56:59], v38 offset:224
	ds_read_b128 v[60:63], v38 offset:240
	ds_read_b128 v[64:67], v38 offset:256
	ds_read_b128 v[68:71], v38 offset:272
	v_cmp_ne_u32_e32 vcc, 0, v0
	s_waitcnt vmcnt(32) lgkmcnt(7)
	v_fma_f64 v[38:39], v[72:73], v[40:41], 0
	s_waitcnt vmcnt(30)
	v_fmac_f64_e32 v[38:39], v[74:75], v[42:43]
	s_waitcnt vmcnt(28) lgkmcnt(6)
	v_fmac_f64_e32 v[38:39], v[76:77], v[44:45]
	s_waitcnt vmcnt(26)
	v_fmac_f64_e32 v[38:39], v[78:79], v[46:47]
	s_waitcnt vmcnt(24) lgkmcnt(5)
	v_fmac_f64_e32 v[38:39], v[80:81], v[48:49]
	;; [unrolled: 4-line block ×3, first 2 shown]
	s_waitcnt vmcnt(12)
	v_fmac_f64_e32 v[38:39], v[92:93], v[54:55]
	s_waitcnt lgkmcnt(3)
	v_fmac_f64_e32 v[38:39], v[90:91], v[56:57]
	v_fmac_f64_e32 v[38:39], v[88:89], v[58:59]
	s_waitcnt lgkmcnt(2)
	v_fmac_f64_e32 v[38:39], v[86:87], v[60:61]
	s_waitcnt vmcnt(5)
	v_fmac_f64_e32 v[38:39], v[100:101], v[62:63]
	s_waitcnt lgkmcnt(1)
	v_fmac_f64_e32 v[38:39], v[98:99], v[64:65]
	v_fmac_f64_e32 v[38:39], v[96:97], v[66:67]
	s_waitcnt vmcnt(4) lgkmcnt(0)
	v_fmac_f64_e32 v[38:39], v[94:95], v[68:69]
	s_waitcnt vmcnt(2)
	v_fmac_f64_e32 v[38:39], v[102:103], v[70:71]
	s_waitcnt vmcnt(0)
	v_add_f64 v[38:39], v[104:105], -v[38:39]
	buffer_store_dword v39, off, s[0:3], 0 offset:12
	buffer_store_dword v38, off, s[0:3], 0 offset:8
	s_and_saveexec_b64 s[4:5], vcc
	s_cbranch_execz .LBB81_115
; %bb.114:
	buffer_load_dword v38, off, s[0:3], 0
	buffer_load_dword v39, off, s[0:3], 0 offset:4
	v_mov_b32_e32 v0, 0
	buffer_store_dword v0, off, s[0:3], 0
	buffer_store_dword v0, off, s[0:3], 0 offset:4
	s_waitcnt vmcnt(2)
	ds_write_b64 v1, v[38:39]
.LBB81_115:
	s_or_b64 exec, exec, s[4:5]
	s_waitcnt lgkmcnt(0)
	; wave barrier
	s_waitcnt lgkmcnt(0)
	buffer_load_dword v0, off, s[0:3], 0 offset:8
	buffer_load_dword v1, off, s[0:3], 0 offset:12
	;; [unrolled: 1-line block ×34, first 2 shown]
	buffer_load_dword v102, off, s[0:3], 0
	buffer_load_dword v103, off, s[0:3], 0 offset:4
	v_mov_b32_e32 v104, 0
	ds_read2_b64 v[40:43], v104 offset0:19 offset1:20
	ds_read2_b64 v[44:47], v104 offset0:21 offset1:22
	;; [unrolled: 1-line block ×8, first 2 shown]
	ds_read_b64 v[104:105], v104 offset:280
	s_and_b64 vcc, exec, s[16:17]
	s_waitcnt vmcnt(34) lgkmcnt(8)
	v_fma_f64 v[0:1], v[0:1], v[40:41], 0
	s_waitcnt vmcnt(32)
	v_fmac_f64_e32 v[0:1], v[72:73], v[42:43]
	s_waitcnt vmcnt(30) lgkmcnt(7)
	v_fmac_f64_e32 v[0:1], v[74:75], v[44:45]
	s_waitcnt vmcnt(28)
	v_fmac_f64_e32 v[0:1], v[76:77], v[46:47]
	s_waitcnt vmcnt(26) lgkmcnt(6)
	v_fmac_f64_e32 v[0:1], v[78:79], v[48:49]
	;; [unrolled: 4-line block ×3, first 2 shown]
	s_waitcnt vmcnt(14)
	v_fmac_f64_e32 v[0:1], v[90:91], v[54:55]
	s_waitcnt lgkmcnt(4)
	v_fmac_f64_e32 v[0:1], v[88:89], v[56:57]
	v_fmac_f64_e32 v[0:1], v[86:87], v[58:59]
	s_waitcnt lgkmcnt(3)
	v_fmac_f64_e32 v[0:1], v[84:85], v[60:61]
	s_waitcnt vmcnt(6)
	v_fmac_f64_e32 v[0:1], v[98:99], v[62:63]
	s_waitcnt lgkmcnt(2)
	v_fmac_f64_e32 v[0:1], v[96:97], v[64:65]
	v_fmac_f64_e32 v[0:1], v[94:95], v[66:67]
	s_waitcnt lgkmcnt(1)
	v_fmac_f64_e32 v[0:1], v[92:93], v[68:69]
	s_waitcnt vmcnt(2)
	v_fmac_f64_e32 v[0:1], v[38:39], v[70:71]
	s_waitcnt lgkmcnt(0)
	v_fmac_f64_e32 v[0:1], v[100:101], v[104:105]
	s_waitcnt vmcnt(0)
	v_add_f64 v[0:1], v[102:103], -v[0:1]
	buffer_store_dword v1, off, s[0:3], 0 offset:4
	buffer_store_dword v0, off, s[0:3], 0
	s_cbranch_vccz .LBB81_151
; %bb.116:
	v_pk_mov_b32 v[0:1], s[10:11], s[10:11] op_sel:[0,1]
	flat_load_dword v0, v[0:1] offset:64
	s_waitcnt vmcnt(0) lgkmcnt(0)
	v_add_u32_e32 v0, -1, v0
	v_cmp_ne_u32_e32 vcc, 16, v0
	s_and_saveexec_b64 s[4:5], vcc
	s_cbranch_execz .LBB81_118
; %bb.117:
	v_mov_b32_e32 v1, 0
	v_lshl_add_u32 v0, v0, 3, v1
	buffer_load_dword v1, v0, s[0:3], 0 offen offset:4
	buffer_load_dword v40, v0, s[0:3], 0 offen
	s_waitcnt vmcnt(1)
	buffer_store_dword v1, off, s[0:3], 0 offset:132
	s_waitcnt vmcnt(1)
	buffer_store_dword v40, off, s[0:3], 0 offset:128
	buffer_store_dword v39, v0, s[0:3], 0 offen offset:4
	buffer_store_dword v38, v0, s[0:3], 0 offen
.LBB81_118:
	s_or_b64 exec, exec, s[4:5]
	v_pk_mov_b32 v[0:1], s[10:11], s[10:11] op_sel:[0,1]
	flat_load_dword v0, v[0:1] offset:60
	s_waitcnt vmcnt(0) lgkmcnt(0)
	v_add_u32_e32 v0, -1, v0
	v_cmp_ne_u32_e32 vcc, 15, v0
	s_and_saveexec_b64 s[4:5], vcc
	s_cbranch_execz .LBB81_120
; %bb.119:
	v_mov_b32_e32 v1, 0
	v_lshl_add_u32 v0, v0, 3, v1
	buffer_load_dword v1, v0, s[0:3], 0 offen
	buffer_load_dword v38, v0, s[0:3], 0 offen offset:4
	buffer_load_dword v39, off, s[0:3], 0 offset:120
	buffer_load_dword v40, off, s[0:3], 0 offset:124
	s_waitcnt vmcnt(3)
	buffer_store_dword v1, off, s[0:3], 0 offset:120
	s_waitcnt vmcnt(3)
	buffer_store_dword v38, off, s[0:3], 0 offset:124
	s_waitcnt vmcnt(3)
	buffer_store_dword v39, v0, s[0:3], 0 offen
	s_waitcnt vmcnt(3)
	buffer_store_dword v40, v0, s[0:3], 0 offen offset:4
.LBB81_120:
	s_or_b64 exec, exec, s[4:5]
	v_pk_mov_b32 v[0:1], s[10:11], s[10:11] op_sel:[0,1]
	flat_load_dword v0, v[0:1] offset:56
	s_waitcnt vmcnt(0) lgkmcnt(0)
	v_add_u32_e32 v0, -1, v0
	v_cmp_ne_u32_e32 vcc, 14, v0
	s_and_saveexec_b64 s[4:5], vcc
	s_cbranch_execz .LBB81_122
; %bb.121:
	v_mov_b32_e32 v1, 0
	v_lshl_add_u32 v0, v0, 3, v1
	buffer_load_dword v1, v0, s[0:3], 0 offen
	buffer_load_dword v38, v0, s[0:3], 0 offen offset:4
	buffer_load_dword v39, off, s[0:3], 0 offset:116
	buffer_load_dword v40, off, s[0:3], 0 offset:112
	s_waitcnt vmcnt(3)
	buffer_store_dword v1, off, s[0:3], 0 offset:112
	s_waitcnt vmcnt(3)
	buffer_store_dword v38, off, s[0:3], 0 offset:116
	s_waitcnt vmcnt(3)
	buffer_store_dword v39, v0, s[0:3], 0 offen offset:4
	s_waitcnt vmcnt(3)
	buffer_store_dword v40, v0, s[0:3], 0 offen
.LBB81_122:
	s_or_b64 exec, exec, s[4:5]
	v_pk_mov_b32 v[0:1], s[10:11], s[10:11] op_sel:[0,1]
	flat_load_dword v0, v[0:1] offset:52
	s_waitcnt vmcnt(0) lgkmcnt(0)
	v_add_u32_e32 v0, -1, v0
	v_cmp_ne_u32_e32 vcc, 13, v0
	s_and_saveexec_b64 s[4:5], vcc
	s_cbranch_execz .LBB81_124
; %bb.123:
	v_mov_b32_e32 v1, 0
	v_lshl_add_u32 v0, v0, 3, v1
	buffer_load_dword v1, v0, s[0:3], 0 offen
	buffer_load_dword v38, v0, s[0:3], 0 offen offset:4
	buffer_load_dword v39, off, s[0:3], 0 offset:104
	buffer_load_dword v40, off, s[0:3], 0 offset:108
	s_waitcnt vmcnt(3)
	buffer_store_dword v1, off, s[0:3], 0 offset:104
	s_waitcnt vmcnt(3)
	buffer_store_dword v38, off, s[0:3], 0 offset:108
	s_waitcnt vmcnt(3)
	buffer_store_dword v39, v0, s[0:3], 0 offen
	s_waitcnt vmcnt(3)
	buffer_store_dword v40, v0, s[0:3], 0 offen offset:4
.LBB81_124:
	s_or_b64 exec, exec, s[4:5]
	v_pk_mov_b32 v[0:1], s[10:11], s[10:11] op_sel:[0,1]
	flat_load_dword v0, v[0:1] offset:48
	s_waitcnt vmcnt(0) lgkmcnt(0)
	v_add_u32_e32 v0, -1, v0
	v_cmp_ne_u32_e32 vcc, 12, v0
	s_and_saveexec_b64 s[4:5], vcc
	s_cbranch_execz .LBB81_126
; %bb.125:
	v_mov_b32_e32 v1, 0
	v_lshl_add_u32 v0, v0, 3, v1
	buffer_load_dword v1, v0, s[0:3], 0 offen
	buffer_load_dword v38, v0, s[0:3], 0 offen offset:4
	buffer_load_dword v39, off, s[0:3], 0 offset:100
	buffer_load_dword v40, off, s[0:3], 0 offset:96
	s_waitcnt vmcnt(3)
	buffer_store_dword v1, off, s[0:3], 0 offset:96
	s_waitcnt vmcnt(3)
	buffer_store_dword v38, off, s[0:3], 0 offset:100
	s_waitcnt vmcnt(3)
	buffer_store_dword v39, v0, s[0:3], 0 offen offset:4
	s_waitcnt vmcnt(3)
	buffer_store_dword v40, v0, s[0:3], 0 offen
.LBB81_126:
	;; [unrolled: 48-line block ×7, first 2 shown]
	s_or_b64 exec, exec, s[4:5]
	v_pk_mov_b32 v[0:1], s[10:11], s[10:11] op_sel:[0,1]
	flat_load_dword v0, v[0:1] offset:4
	s_waitcnt vmcnt(0) lgkmcnt(0)
	v_add_u32_e32 v0, -1, v0
	v_cmp_ne_u32_e32 vcc, 1, v0
	s_and_saveexec_b64 s[4:5], vcc
	s_cbranch_execz .LBB81_148
; %bb.147:
	v_mov_b32_e32 v1, 0
	v_lshl_add_u32 v0, v0, 3, v1
	buffer_load_dword v1, v0, s[0:3], 0 offen
	buffer_load_dword v38, v0, s[0:3], 0 offen offset:4
	buffer_load_dword v39, off, s[0:3], 0 offset:8
	buffer_load_dword v40, off, s[0:3], 0 offset:12
	s_waitcnt vmcnt(3)
	buffer_store_dword v1, off, s[0:3], 0 offset:8
	s_waitcnt vmcnt(3)
	buffer_store_dword v38, off, s[0:3], 0 offset:12
	s_waitcnt vmcnt(3)
	buffer_store_dword v39, v0, s[0:3], 0 offen
	s_waitcnt vmcnt(3)
	buffer_store_dword v40, v0, s[0:3], 0 offen offset:4
.LBB81_148:
	s_or_b64 exec, exec, s[4:5]
	v_pk_mov_b32 v[0:1], s[10:11], s[10:11] op_sel:[0,1]
	flat_load_dword v38, v[0:1]
	s_nop 0
	buffer_load_dword v0, off, s[0:3], 0
	buffer_load_dword v1, off, s[0:3], 0 offset:4
	s_waitcnt vmcnt(0) lgkmcnt(0)
	v_add_u32_e32 v38, -1, v38
	v_cmp_ne_u32_e32 vcc, 0, v38
	s_and_saveexec_b64 s[4:5], vcc
	s_cbranch_execz .LBB81_150
; %bb.149:
	v_mov_b32_e32 v39, 0
	v_lshl_add_u32 v38, v38, 3, v39
	buffer_load_dword v39, v38, s[0:3], 0 offen offset:4
	buffer_load_dword v40, v38, s[0:3], 0 offen
	s_waitcnt vmcnt(1)
	buffer_store_dword v39, off, s[0:3], 0 offset:4
	s_waitcnt vmcnt(1)
	buffer_store_dword v40, off, s[0:3], 0
	buffer_store_dword v1, v38, s[0:3], 0 offen offset:4
	buffer_store_dword v0, v38, s[0:3], 0 offen
	buffer_load_dword v0, off, s[0:3], 0
	s_nop 0
	buffer_load_dword v1, off, s[0:3], 0 offset:4
.LBB81_150:
	s_or_b64 exec, exec, s[4:5]
.LBB81_151:
	buffer_load_dword v38, off, s[0:3], 0 offset:8
	buffer_load_dword v39, off, s[0:3], 0 offset:12
	;; [unrolled: 1-line block ×34, first 2 shown]
	s_waitcnt vmcnt(34)
	global_store_dwordx2 v[2:3], v[0:1], off
	s_waitcnt vmcnt(33)
	global_store_dwordx2 v[4:5], v[38:39], off
	;; [unrolled: 2-line block ×18, first 2 shown]
	s_endpgm
	.section	.rodata,"a",@progbits
	.p2align	6, 0x0
	.amdhsa_kernel _ZN9rocsolver6v33100L18getri_kernel_smallILi18EdPKPdEEvT1_iilPiilS6_bb
		.amdhsa_group_segment_fixed_size 296
		.amdhsa_private_segment_fixed_size 160
		.amdhsa_kernarg_size 60
		.amdhsa_user_sgpr_count 8
		.amdhsa_user_sgpr_private_segment_buffer 1
		.amdhsa_user_sgpr_dispatch_ptr 0
		.amdhsa_user_sgpr_queue_ptr 0
		.amdhsa_user_sgpr_kernarg_segment_ptr 1
		.amdhsa_user_sgpr_dispatch_id 0
		.amdhsa_user_sgpr_flat_scratch_init 1
		.amdhsa_user_sgpr_kernarg_preload_length 0
		.amdhsa_user_sgpr_kernarg_preload_offset 0
		.amdhsa_user_sgpr_private_segment_size 0
		.amdhsa_uses_dynamic_stack 0
		.amdhsa_system_sgpr_private_segment_wavefront_offset 1
		.amdhsa_system_sgpr_workgroup_id_x 1
		.amdhsa_system_sgpr_workgroup_id_y 0
		.amdhsa_system_sgpr_workgroup_id_z 0
		.amdhsa_system_sgpr_workgroup_info 0
		.amdhsa_system_vgpr_workitem_id 0
		.amdhsa_next_free_vgpr 106
		.amdhsa_next_free_sgpr 22
		.amdhsa_accum_offset 108
		.amdhsa_reserve_vcc 1
		.amdhsa_reserve_flat_scratch 1
		.amdhsa_float_round_mode_32 0
		.amdhsa_float_round_mode_16_64 0
		.amdhsa_float_denorm_mode_32 3
		.amdhsa_float_denorm_mode_16_64 3
		.amdhsa_dx10_clamp 1
		.amdhsa_ieee_mode 1
		.amdhsa_fp16_overflow 0
		.amdhsa_tg_split 0
		.amdhsa_exception_fp_ieee_invalid_op 0
		.amdhsa_exception_fp_denorm_src 0
		.amdhsa_exception_fp_ieee_div_zero 0
		.amdhsa_exception_fp_ieee_overflow 0
		.amdhsa_exception_fp_ieee_underflow 0
		.amdhsa_exception_fp_ieee_inexact 0
		.amdhsa_exception_int_div_zero 0
	.end_amdhsa_kernel
	.section	.text._ZN9rocsolver6v33100L18getri_kernel_smallILi18EdPKPdEEvT1_iilPiilS6_bb,"axG",@progbits,_ZN9rocsolver6v33100L18getri_kernel_smallILi18EdPKPdEEvT1_iilPiilS6_bb,comdat
.Lfunc_end81:
	.size	_ZN9rocsolver6v33100L18getri_kernel_smallILi18EdPKPdEEvT1_iilPiilS6_bb, .Lfunc_end81-_ZN9rocsolver6v33100L18getri_kernel_smallILi18EdPKPdEEvT1_iilPiilS6_bb
                                        ; -- End function
	.section	.AMDGPU.csdata,"",@progbits
; Kernel info:
; codeLenInByte = 13864
; NumSgprs: 28
; NumVgprs: 106
; NumAgprs: 0
; TotalNumVgprs: 106
; ScratchSize: 160
; MemoryBound: 0
; FloatMode: 240
; IeeeMode: 1
; LDSByteSize: 296 bytes/workgroup (compile time only)
; SGPRBlocks: 3
; VGPRBlocks: 13
; NumSGPRsForWavesPerEU: 28
; NumVGPRsForWavesPerEU: 106
; AccumOffset: 108
; Occupancy: 4
; WaveLimiterHint : 1
; COMPUTE_PGM_RSRC2:SCRATCH_EN: 1
; COMPUTE_PGM_RSRC2:USER_SGPR: 8
; COMPUTE_PGM_RSRC2:TRAP_HANDLER: 0
; COMPUTE_PGM_RSRC2:TGID_X_EN: 1
; COMPUTE_PGM_RSRC2:TGID_Y_EN: 0
; COMPUTE_PGM_RSRC2:TGID_Z_EN: 0
; COMPUTE_PGM_RSRC2:TIDIG_COMP_CNT: 0
; COMPUTE_PGM_RSRC3_GFX90A:ACCUM_OFFSET: 26
; COMPUTE_PGM_RSRC3_GFX90A:TG_SPLIT: 0
	.section	.text._ZN9rocsolver6v33100L18getri_kernel_smallILi19EdPKPdEEvT1_iilPiilS6_bb,"axG",@progbits,_ZN9rocsolver6v33100L18getri_kernel_smallILi19EdPKPdEEvT1_iilPiilS6_bb,comdat
	.globl	_ZN9rocsolver6v33100L18getri_kernel_smallILi19EdPKPdEEvT1_iilPiilS6_bb ; -- Begin function _ZN9rocsolver6v33100L18getri_kernel_smallILi19EdPKPdEEvT1_iilPiilS6_bb
	.p2align	8
	.type	_ZN9rocsolver6v33100L18getri_kernel_smallILi19EdPKPdEEvT1_iilPiilS6_bb,@function
_ZN9rocsolver6v33100L18getri_kernel_smallILi19EdPKPdEEvT1_iilPiilS6_bb: ; @_ZN9rocsolver6v33100L18getri_kernel_smallILi19EdPKPdEEvT1_iilPiilS6_bb
; %bb.0:
	s_add_u32 flat_scratch_lo, s6, s9
	s_addc_u32 flat_scratch_hi, s7, 0
	s_add_u32 s0, s0, s9
	s_addc_u32 s1, s1, 0
	v_cmp_gt_u32_e32 vcc, 19, v0
	s_and_saveexec_b64 s[6:7], vcc
	s_cbranch_execz .LBB82_84
; %bb.1:
	s_load_dword s20, s[4:5], 0x38
	s_load_dwordx2 s[6:7], s[4:5], 0x0
	s_load_dwordx4 s[12:15], s[4:5], 0x28
	s_waitcnt lgkmcnt(0)
	s_bitcmp1_b32 s20, 8
	s_cselect_b64 s[16:17], -1, 0
	s_ashr_i32 s9, s8, 31
	s_lshl_b64 s[10:11], s[8:9], 3
	s_add_u32 s6, s6, s10
	s_addc_u32 s7, s7, s11
	s_load_dwordx2 s[18:19], s[6:7], 0x0
	s_bfe_u32 s6, s20, 0x10008
	s_cmp_eq_u32 s6, 0
                                        ; implicit-def: $sgpr10_sgpr11
	s_cbranch_scc1 .LBB82_3
; %bb.2:
	s_load_dword s6, s[4:5], 0x20
	s_load_dwordx2 s[10:11], s[4:5], 0x18
	s_mul_i32 s7, s8, s13
	s_mul_hi_u32 s13, s8, s12
	s_add_i32 s13, s13, s7
	s_mul_i32 s21, s9, s12
	s_add_i32 s13, s13, s21
	s_mul_i32 s12, s8, s12
	s_waitcnt lgkmcnt(0)
	s_ashr_i32 s7, s6, 31
	s_lshl_b64 s[12:13], s[12:13], 2
	s_add_u32 s10, s10, s12
	s_addc_u32 s11, s11, s13
	s_lshl_b64 s[6:7], s[6:7], 2
	s_add_u32 s10, s10, s6
	s_addc_u32 s11, s11, s7
.LBB82_3:
	s_load_dwordx2 s[6:7], s[4:5], 0x8
	v_lshlrev_b32_e32 v1, 3, v0
	s_waitcnt lgkmcnt(0)
	s_ashr_i32 s5, s6, 31
	s_mov_b32 s4, s6
	s_lshl_b64 s[4:5], s[4:5], 3
	s_add_u32 s4, s18, s4
	s_addc_u32 s5, s19, s5
	v_mov_b32_e32 v3, s5
	v_add_co_u32_e32 v2, vcc, s4, v1
	s_ashr_i32 s13, s7, 31
	s_mov_b32 s12, s7
	s_add_i32 s6, s7, s7
	v_addc_co_u32_e32 v3, vcc, 0, v3, vcc
	s_lshl_b64 s[12:13], s[12:13], 3
	v_add_u32_e32 v8, s6, v0
	v_mov_b32_e32 v5, s13
	v_add_co_u32_e32 v4, vcc, s12, v2
	v_ashrrev_i32_e32 v9, 31, v8
	v_addc_co_u32_e32 v5, vcc, v3, v5, vcc
	v_lshlrev_b64 v[6:7], 3, v[8:9]
	v_add_u32_e32 v10, s7, v8
	v_mov_b32_e32 v9, s5
	v_add_co_u32_e32 v6, vcc, s4, v6
	v_ashrrev_i32_e32 v11, 31, v10
	v_addc_co_u32_e32 v7, vcc, v9, v7, vcc
	v_lshlrev_b64 v[8:9], 3, v[10:11]
	;; [unrolled: 6-line block ×6, first 2 shown]
	v_mov_b32_e32 v19, s5
	v_add_co_u32_e32 v16, vcc, s4, v16
	v_add_u32_e32 v18, s7, v18
	v_addc_co_u32_e32 v17, vcc, v19, v17, vcc
	v_ashrrev_i32_e32 v19, 31, v18
	v_add_u32_e32 v20, s7, v18
	v_lshlrev_b64 v[18:19], 3, v[18:19]
	v_mov_b32_e32 v21, s5
	v_add_co_u32_e32 v18, vcc, s4, v18
	v_addc_co_u32_e32 v19, vcc, v21, v19, vcc
	v_ashrrev_i32_e32 v21, 31, v20
	v_add_u32_e32 v22, s7, v20
	v_lshlrev_b64 v[20:21], 3, v[20:21]
	v_mov_b32_e32 v23, s5
	v_add_co_u32_e32 v20, vcc, s4, v20
	;; [unrolled: 6-line block ×10, first 2 shown]
	global_load_dwordx2 v[40:41], v1, s[4:5]
	global_load_dwordx2 v[48:49], v[4:5], off
	global_load_dwordx2 v[44:45], v[6:7], off
	;; [unrolled: 1-line block ×13, first 2 shown]
	v_addc_co_u32_e32 v37, vcc, v68, v37, vcc
	global_load_dwordx2 v[68:69], v[30:31], off
	global_load_dwordx2 v[70:71], v[32:33], off
	;; [unrolled: 1-line block ×4, first 2 shown]
	v_ashrrev_i32_e32 v39, 31, v38
	v_lshlrev_b64 v[38:39], 3, v[38:39]
	v_mov_b32_e32 v76, s5
	v_add_co_u32_e32 v38, vcc, s4, v38
	v_addc_co_u32_e32 v39, vcc, v76, v39, vcc
	global_load_dwordx2 v[76:77], v[38:39], off
	s_bitcmp0_b32 s20, 0
	s_mov_b64 s[6:7], -1
	s_waitcnt vmcnt(18)
	buffer_store_dword v41, off, s[0:3], 0 offset:4
	buffer_store_dword v40, off, s[0:3], 0
	s_waitcnt vmcnt(19)
	buffer_store_dword v49, off, s[0:3], 0 offset:12
	buffer_store_dword v48, off, s[0:3], 0 offset:8
	s_waitcnt vmcnt(20)
	buffer_store_dword v45, off, s[0:3], 0 offset:20
	buffer_store_dword v44, off, s[0:3], 0 offset:16
	;; [unrolled: 3-line block ×18, first 2 shown]
	s_cbranch_scc1 .LBB82_82
; %bb.4:
	v_cmp_eq_u32_e64 s[4:5], 0, v0
	s_and_saveexec_b64 s[6:7], s[4:5]
	s_cbranch_execz .LBB82_6
; %bb.5:
	v_mov_b32_e32 v40, 0
	ds_write_b32 v40, v40 offset:152
.LBB82_6:
	s_or_b64 exec, exec, s[6:7]
	v_mov_b32_e32 v40, 0
	v_lshl_add_u32 v40, v0, 3, v40
	s_waitcnt lgkmcnt(0)
	; wave barrier
	s_waitcnt lgkmcnt(0)
	buffer_load_dword v42, v40, s[0:3], 0 offen
	buffer_load_dword v43, v40, s[0:3], 0 offen offset:4
	s_waitcnt vmcnt(0)
	v_cmp_eq_f64_e32 vcc, 0, v[42:43]
	s_and_saveexec_b64 s[12:13], vcc
	s_cbranch_execz .LBB82_10
; %bb.7:
	v_mov_b32_e32 v41, 0
	ds_read_b32 v43, v41 offset:152
	v_add_u32_e32 v42, 1, v0
	s_waitcnt lgkmcnt(0)
	v_readfirstlane_b32 s6, v43
	s_cmp_eq_u32 s6, 0
	s_cselect_b64 s[18:19], -1, 0
	v_cmp_gt_i32_e32 vcc, s6, v42
	s_or_b64 s[18:19], s[18:19], vcc
	s_and_b64 exec, exec, s[18:19]
	s_cbranch_execz .LBB82_10
; %bb.8:
	s_mov_b64 s[18:19], 0
	v_mov_b32_e32 v43, s6
.LBB82_9:                               ; =>This Inner Loop Header: Depth=1
	ds_cmpst_rtn_b32 v43, v41, v43, v42 offset:152
	s_waitcnt lgkmcnt(0)
	v_cmp_ne_u32_e32 vcc, 0, v43
	v_cmp_le_i32_e64 s[6:7], v43, v42
	s_and_b64 s[6:7], vcc, s[6:7]
	s_and_b64 s[6:7], exec, s[6:7]
	s_or_b64 s[18:19], s[6:7], s[18:19]
	s_andn2_b64 exec, exec, s[18:19]
	s_cbranch_execnz .LBB82_9
.LBB82_10:
	s_or_b64 exec, exec, s[12:13]
	v_mov_b32_e32 v42, 0
	s_waitcnt lgkmcnt(0)
	; wave barrier
	ds_read_b32 v41, v42 offset:152
	s_and_saveexec_b64 s[6:7], s[4:5]
	s_cbranch_execz .LBB82_12
; %bb.11:
	s_lshl_b64 s[12:13], s[8:9], 2
	s_add_u32 s12, s14, s12
	s_addc_u32 s13, s15, s13
	s_waitcnt lgkmcnt(0)
	global_store_dword v42, v41, s[12:13]
.LBB82_12:
	s_or_b64 exec, exec, s[6:7]
	s_waitcnt lgkmcnt(0)
	v_cmp_ne_u32_e32 vcc, 0, v41
	s_mov_b64 s[6:7], 0
	s_cbranch_vccnz .LBB82_82
; %bb.13:
	buffer_load_dword v42, v40, s[0:3], 0 offen
	buffer_load_dword v43, v40, s[0:3], 0 offen offset:4
	s_waitcnt vmcnt(0)
	v_div_scale_f64 v[44:45], s[6:7], v[42:43], v[42:43], 1.0
	v_rcp_f64_e32 v[46:47], v[44:45]
	v_div_scale_f64 v[48:49], vcc, 1.0, v[42:43], 1.0
	v_fma_f64 v[50:51], -v[44:45], v[46:47], 1.0
	v_fmac_f64_e32 v[46:47], v[46:47], v[50:51]
	v_fma_f64 v[50:51], -v[44:45], v[46:47], 1.0
	v_fmac_f64_e32 v[46:47], v[46:47], v[50:51]
	v_mul_f64 v[50:51], v[48:49], v[46:47]
	v_fma_f64 v[44:45], -v[44:45], v[50:51], v[48:49]
	v_div_fmas_f64 v[44:45], v[44:45], v[46:47], v[50:51]
	v_div_fixup_f64 v[44:45], v[44:45], v[42:43], 1.0
	buffer_store_dword v45, v40, s[0:3], 0 offen offset:4
	buffer_store_dword v44, v40, s[0:3], 0 offen
	buffer_load_dword v47, off, s[0:3], 0 offset:12
	buffer_load_dword v46, off, s[0:3], 0 offset:8
	v_add_u32_e32 v42, 0xa0, v1
	v_xor_b32_e32 v45, 0x80000000, v45
	s_waitcnt vmcnt(0)
	ds_write2_b64 v1, v[44:45], v[46:47] offset1:20
	s_waitcnt lgkmcnt(0)
	; wave barrier
	s_waitcnt lgkmcnt(0)
	s_and_saveexec_b64 s[6:7], s[4:5]
	s_cbranch_execz .LBB82_15
; %bb.14:
	buffer_load_dword v44, v40, s[0:3], 0 offen
	buffer_load_dword v45, v40, s[0:3], 0 offen offset:4
	v_mov_b32_e32 v41, 0
	ds_read_b64 v[46:47], v42
	ds_read_b64 v[48:49], v41 offset:8
	s_waitcnt vmcnt(0) lgkmcnt(1)
	v_fma_f64 v[44:45], v[44:45], v[46:47], 0
	s_waitcnt lgkmcnt(0)
	v_mul_f64 v[44:45], v[44:45], v[48:49]
	buffer_store_dword v44, off, s[0:3], 0 offset:8
	buffer_store_dword v45, off, s[0:3], 0 offset:12
.LBB82_15:
	s_or_b64 exec, exec, s[6:7]
	s_waitcnt lgkmcnt(0)
	; wave barrier
	buffer_load_dword v44, off, s[0:3], 0 offset:16
	buffer_load_dword v45, off, s[0:3], 0 offset:20
	v_cmp_gt_u32_e32 vcc, 2, v0
	s_waitcnt vmcnt(0)
	ds_write_b64 v42, v[44:45]
	s_waitcnt lgkmcnt(0)
	; wave barrier
	s_waitcnt lgkmcnt(0)
	s_and_saveexec_b64 s[6:7], vcc
	s_cbranch_execz .LBB82_17
; %bb.16:
	buffer_load_dword v41, v40, s[0:3], 0 offen offset:4
	buffer_load_dword v48, off, s[0:3], 0 offset:8
	s_nop 0
	buffer_load_dword v40, v40, s[0:3], 0 offen
	s_nop 0
	buffer_load_dword v49, off, s[0:3], 0 offset:12
	ds_read_b64 v[50:51], v42
	v_mov_b32_e32 v43, 0
	ds_read2_b64 v[44:47], v43 offset0:2 offset1:21
	s_waitcnt vmcnt(1) lgkmcnt(1)
	v_fma_f64 v[40:41], v[40:41], v[50:51], 0
	s_waitcnt vmcnt(0) lgkmcnt(0)
	v_fma_f64 v[46:47], v[48:49], v[46:47], v[40:41]
	v_cndmask_b32_e64 v41, v41, v47, s[4:5]
	v_cndmask_b32_e64 v40, v40, v46, s[4:5]
	v_mul_f64 v[40:41], v[40:41], v[44:45]
	buffer_store_dword v41, off, s[0:3], 0 offset:20
	buffer_store_dword v40, off, s[0:3], 0 offset:16
.LBB82_17:
	s_or_b64 exec, exec, s[6:7]
	s_waitcnt lgkmcnt(0)
	; wave barrier
	buffer_load_dword v40, off, s[0:3], 0 offset:24
	buffer_load_dword v41, off, s[0:3], 0 offset:28
	v_cmp_gt_u32_e32 vcc, 3, v0
	v_add_u32_e32 v43, -1, v0
	s_waitcnt vmcnt(0)
	ds_write_b64 v42, v[40:41]
	s_waitcnt lgkmcnt(0)
	; wave barrier
	s_waitcnt lgkmcnt(0)
	s_and_saveexec_b64 s[4:5], vcc
	s_cbranch_execz .LBB82_21
; %bb.18:
	v_add_u32_e32 v44, -1, v0
	v_add_u32_e32 v45, 0xa0, v1
	v_add_u32_e32 v46, 0, v1
	s_mov_b64 s[6:7], 0
	v_pk_mov_b32 v[40:41], 0, 0
.LBB82_19:                              ; =>This Inner Loop Header: Depth=1
	buffer_load_dword v48, v46, s[0:3], 0 offen
	buffer_load_dword v49, v46, s[0:3], 0 offen offset:4
	ds_read_b64 v[50:51], v45
	v_add_u32_e32 v44, 1, v44
	v_cmp_lt_u32_e32 vcc, 1, v44
	v_add_u32_e32 v45, 8, v45
	v_add_u32_e32 v46, 8, v46
	s_or_b64 s[6:7], vcc, s[6:7]
	s_waitcnt vmcnt(0) lgkmcnt(0)
	v_fmac_f64_e32 v[40:41], v[48:49], v[50:51]
	s_andn2_b64 exec, exec, s[6:7]
	s_cbranch_execnz .LBB82_19
; %bb.20:
	s_or_b64 exec, exec, s[6:7]
	v_mov_b32_e32 v44, 0
	ds_read_b64 v[44:45], v44 offset:24
	s_waitcnt lgkmcnt(0)
	v_mul_f64 v[40:41], v[40:41], v[44:45]
	buffer_store_dword v41, off, s[0:3], 0 offset:28
	buffer_store_dword v40, off, s[0:3], 0 offset:24
.LBB82_21:
	s_or_b64 exec, exec, s[4:5]
	s_waitcnt lgkmcnt(0)
	; wave barrier
	buffer_load_dword v40, off, s[0:3], 0 offset:32
	buffer_load_dword v41, off, s[0:3], 0 offset:36
	v_cmp_gt_u32_e32 vcc, 4, v0
	s_waitcnt vmcnt(0)
	ds_write_b64 v42, v[40:41]
	s_waitcnt lgkmcnt(0)
	; wave barrier
	s_waitcnt lgkmcnt(0)
	s_and_saveexec_b64 s[4:5], vcc
	s_cbranch_execz .LBB82_25
; %bb.22:
	v_add_u32_e32 v44, -1, v0
	v_add_u32_e32 v45, 0xa0, v1
	v_add_u32_e32 v46, 0, v1
	s_mov_b64 s[6:7], 0
	v_pk_mov_b32 v[40:41], 0, 0
.LBB82_23:                              ; =>This Inner Loop Header: Depth=1
	buffer_load_dword v48, v46, s[0:3], 0 offen
	buffer_load_dword v49, v46, s[0:3], 0 offen offset:4
	ds_read_b64 v[50:51], v45
	v_add_u32_e32 v44, 1, v44
	v_cmp_lt_u32_e32 vcc, 2, v44
	v_add_u32_e32 v45, 8, v45
	v_add_u32_e32 v46, 8, v46
	s_or_b64 s[6:7], vcc, s[6:7]
	s_waitcnt vmcnt(0) lgkmcnt(0)
	v_fmac_f64_e32 v[40:41], v[48:49], v[50:51]
	s_andn2_b64 exec, exec, s[6:7]
	s_cbranch_execnz .LBB82_23
; %bb.24:
	s_or_b64 exec, exec, s[6:7]
	v_mov_b32_e32 v44, 0
	ds_read_b64 v[44:45], v44 offset:32
	s_waitcnt lgkmcnt(0)
	v_mul_f64 v[40:41], v[40:41], v[44:45]
	buffer_store_dword v41, off, s[0:3], 0 offset:36
	buffer_store_dword v40, off, s[0:3], 0 offset:32
.LBB82_25:
	s_or_b64 exec, exec, s[4:5]
	s_waitcnt lgkmcnt(0)
	; wave barrier
	buffer_load_dword v40, off, s[0:3], 0 offset:40
	buffer_load_dword v41, off, s[0:3], 0 offset:44
	v_cmp_gt_u32_e32 vcc, 5, v0
	;; [unrolled: 41-line block ×14, first 2 shown]
	s_waitcnt vmcnt(0)
	ds_write_b64 v42, v[40:41]
	s_waitcnt lgkmcnt(0)
	; wave barrier
	s_waitcnt lgkmcnt(0)
	s_and_saveexec_b64 s[4:5], vcc
	s_cbranch_execz .LBB82_77
; %bb.74:
	v_add_u32_e32 v44, -1, v0
	v_add_u32_e32 v45, 0xa0, v1
	v_add_u32_e32 v46, 0, v1
	s_mov_b64 s[6:7], 0
	v_pk_mov_b32 v[40:41], 0, 0
.LBB82_75:                              ; =>This Inner Loop Header: Depth=1
	buffer_load_dword v48, v46, s[0:3], 0 offen
	buffer_load_dword v49, v46, s[0:3], 0 offen offset:4
	ds_read_b64 v[50:51], v45
	v_add_u32_e32 v44, 1, v44
	v_cmp_lt_u32_e32 vcc, 15, v44
	v_add_u32_e32 v45, 8, v45
	v_add_u32_e32 v46, 8, v46
	s_or_b64 s[6:7], vcc, s[6:7]
	s_waitcnt vmcnt(0) lgkmcnt(0)
	v_fmac_f64_e32 v[40:41], v[48:49], v[50:51]
	s_andn2_b64 exec, exec, s[6:7]
	s_cbranch_execnz .LBB82_75
; %bb.76:
	s_or_b64 exec, exec, s[6:7]
	v_mov_b32_e32 v44, 0
	ds_read_b64 v[44:45], v44 offset:136
	s_waitcnt lgkmcnt(0)
	v_mul_f64 v[40:41], v[40:41], v[44:45]
	buffer_store_dword v41, off, s[0:3], 0 offset:140
	buffer_store_dword v40, off, s[0:3], 0 offset:136
.LBB82_77:
	s_or_b64 exec, exec, s[4:5]
	s_waitcnt lgkmcnt(0)
	; wave barrier
	buffer_load_dword v40, off, s[0:3], 0 offset:144
	buffer_load_dword v41, off, s[0:3], 0 offset:148
	v_cmp_ne_u32_e32 vcc, 18, v0
	s_waitcnt vmcnt(0)
	ds_write_b64 v42, v[40:41]
	s_waitcnt lgkmcnt(0)
	; wave barrier
	s_waitcnt lgkmcnt(0)
	s_and_saveexec_b64 s[4:5], vcc
	s_cbranch_execz .LBB82_81
; %bb.78:
	v_add_u32_e32 v42, 0xa0, v1
	v_add_u32_e32 v1, 0, v1
	s_mov_b64 s[6:7], 0
	v_pk_mov_b32 v[40:41], 0, 0
.LBB82_79:                              ; =>This Inner Loop Header: Depth=1
	buffer_load_dword v44, v1, s[0:3], 0 offen
	buffer_load_dword v45, v1, s[0:3], 0 offen offset:4
	ds_read_b64 v[46:47], v42
	v_add_u32_e32 v43, 1, v43
	v_cmp_lt_u32_e32 vcc, 16, v43
	v_add_u32_e32 v42, 8, v42
	v_add_u32_e32 v1, 8, v1
	s_or_b64 s[6:7], vcc, s[6:7]
	s_waitcnt vmcnt(0) lgkmcnt(0)
	v_fmac_f64_e32 v[40:41], v[44:45], v[46:47]
	s_andn2_b64 exec, exec, s[6:7]
	s_cbranch_execnz .LBB82_79
; %bb.80:
	s_or_b64 exec, exec, s[6:7]
	v_mov_b32_e32 v1, 0
	ds_read_b64 v[42:43], v1 offset:144
	s_waitcnt lgkmcnt(0)
	v_mul_f64 v[40:41], v[40:41], v[42:43]
	buffer_store_dword v41, off, s[0:3], 0 offset:148
	buffer_store_dword v40, off, s[0:3], 0 offset:144
.LBB82_81:
	s_or_b64 exec, exec, s[4:5]
	s_mov_b64 s[6:7], -1
	s_waitcnt lgkmcnt(0)
	; wave barrier
.LBB82_82:
	s_and_b64 vcc, exec, s[6:7]
	s_cbranch_vccz .LBB82_84
; %bb.83:
	s_lshl_b64 s[4:5], s[8:9], 2
	s_add_u32 s4, s14, s4
	s_addc_u32 s5, s15, s5
	v_mov_b32_e32 v1, 0
	global_load_dword v1, v1, s[4:5]
	s_waitcnt vmcnt(0)
	v_cmp_ne_u32_e32 vcc, 0, v1
	s_cbranch_vccz .LBB82_85
.LBB82_84:
	s_endpgm
.LBB82_85:
	v_mov_b32_e32 v1, 0xa0
	v_lshl_add_u32 v1, v0, 3, v1
	v_cmp_eq_u32_e32 vcc, 18, v0
	s_and_saveexec_b64 s[4:5], vcc
	s_cbranch_execz .LBB82_87
; %bb.86:
	buffer_load_dword v40, off, s[0:3], 0 offset:136
	buffer_load_dword v41, off, s[0:3], 0 offset:140
	v_mov_b32_e32 v42, 0
	buffer_store_dword v42, off, s[0:3], 0 offset:136
	buffer_store_dword v42, off, s[0:3], 0 offset:140
	s_waitcnt vmcnt(2)
	ds_write_b64 v1, v[40:41]
.LBB82_87:
	s_or_b64 exec, exec, s[4:5]
	s_waitcnt lgkmcnt(0)
	; wave barrier
	s_waitcnt lgkmcnt(0)
	buffer_load_dword v42, off, s[0:3], 0 offset:144
	buffer_load_dword v43, off, s[0:3], 0 offset:148
	;; [unrolled: 1-line block ×4, first 2 shown]
	v_mov_b32_e32 v40, 0
	ds_read_b64 v[46:47], v40 offset:304
	v_cmp_lt_u32_e32 vcc, 16, v0
	s_waitcnt vmcnt(2) lgkmcnt(0)
	v_fma_f64 v[42:43], v[42:43], v[46:47], 0
	s_waitcnt vmcnt(0)
	v_add_f64 v[42:43], v[44:45], -v[42:43]
	buffer_store_dword v42, off, s[0:3], 0 offset:136
	buffer_store_dword v43, off, s[0:3], 0 offset:140
	s_and_saveexec_b64 s[4:5], vcc
	s_cbranch_execz .LBB82_89
; %bb.88:
	buffer_load_dword v42, off, s[0:3], 0 offset:128
	buffer_load_dword v43, off, s[0:3], 0 offset:132
	s_waitcnt vmcnt(0)
	ds_write_b64 v1, v[42:43]
	buffer_store_dword v40, off, s[0:3], 0 offset:128
	buffer_store_dword v40, off, s[0:3], 0 offset:132
.LBB82_89:
	s_or_b64 exec, exec, s[4:5]
	s_waitcnt lgkmcnt(0)
	; wave barrier
	s_waitcnt lgkmcnt(0)
	buffer_load_dword v44, off, s[0:3], 0 offset:136
	buffer_load_dword v45, off, s[0:3], 0 offset:140
	;; [unrolled: 1-line block ×6, first 2 shown]
	ds_read2_b64 v[40:43], v40 offset0:37 offset1:38
	v_cmp_lt_u32_e32 vcc, 15, v0
	s_waitcnt vmcnt(4) lgkmcnt(0)
	v_fma_f64 v[40:41], v[44:45], v[40:41], 0
	s_waitcnt vmcnt(2)
	v_fmac_f64_e32 v[40:41], v[46:47], v[42:43]
	s_waitcnt vmcnt(0)
	v_add_f64 v[40:41], v[48:49], -v[40:41]
	buffer_store_dword v40, off, s[0:3], 0 offset:128
	buffer_store_dword v41, off, s[0:3], 0 offset:132
	s_and_saveexec_b64 s[4:5], vcc
	s_cbranch_execz .LBB82_91
; %bb.90:
	buffer_load_dword v40, off, s[0:3], 0 offset:120
	buffer_load_dword v41, off, s[0:3], 0 offset:124
	v_mov_b32_e32 v42, 0
	buffer_store_dword v42, off, s[0:3], 0 offset:120
	buffer_store_dword v42, off, s[0:3], 0 offset:124
	s_waitcnt vmcnt(2)
	ds_write_b64 v1, v[40:41]
.LBB82_91:
	s_or_b64 exec, exec, s[4:5]
	s_waitcnt lgkmcnt(0)
	; wave barrier
	s_waitcnt lgkmcnt(0)
	buffer_load_dword v46, off, s[0:3], 0 offset:128
	buffer_load_dword v47, off, s[0:3], 0 offset:132
	;; [unrolled: 1-line block ×8, first 2 shown]
	v_mov_b32_e32 v40, 0
	ds_read_b128 v[42:45], v40 offset:288
	ds_read_b64 v[54:55], v40 offset:304
	v_cmp_lt_u32_e32 vcc, 14, v0
	s_waitcnt vmcnt(6) lgkmcnt(1)
	v_fma_f64 v[42:43], v[46:47], v[42:43], 0
	s_waitcnt vmcnt(4)
	v_fmac_f64_e32 v[42:43], v[48:49], v[44:45]
	s_waitcnt vmcnt(2) lgkmcnt(0)
	v_fmac_f64_e32 v[42:43], v[50:51], v[54:55]
	s_waitcnt vmcnt(0)
	v_add_f64 v[42:43], v[52:53], -v[42:43]
	buffer_store_dword v42, off, s[0:3], 0 offset:120
	buffer_store_dword v43, off, s[0:3], 0 offset:124
	s_and_saveexec_b64 s[4:5], vcc
	s_cbranch_execz .LBB82_93
; %bb.92:
	buffer_load_dword v42, off, s[0:3], 0 offset:112
	buffer_load_dword v43, off, s[0:3], 0 offset:116
	s_waitcnt vmcnt(0)
	ds_write_b64 v1, v[42:43]
	buffer_store_dword v40, off, s[0:3], 0 offset:112
	buffer_store_dword v40, off, s[0:3], 0 offset:116
.LBB82_93:
	s_or_b64 exec, exec, s[4:5]
	s_waitcnt lgkmcnt(0)
	; wave barrier
	s_waitcnt lgkmcnt(0)
	buffer_load_dword v50, off, s[0:3], 0 offset:120
	buffer_load_dword v51, off, s[0:3], 0 offset:124
	;; [unrolled: 1-line block ×10, first 2 shown]
	ds_read2_b64 v[42:45], v40 offset0:35 offset1:36
	ds_read2_b64 v[46:49], v40 offset0:37 offset1:38
	v_cmp_lt_u32_e32 vcc, 13, v0
	s_waitcnt vmcnt(8) lgkmcnt(1)
	v_fma_f64 v[40:41], v[50:51], v[42:43], 0
	s_waitcnt vmcnt(6)
	v_fmac_f64_e32 v[40:41], v[52:53], v[44:45]
	s_waitcnt vmcnt(4) lgkmcnt(0)
	v_fmac_f64_e32 v[40:41], v[54:55], v[46:47]
	s_waitcnt vmcnt(2)
	v_fmac_f64_e32 v[40:41], v[56:57], v[48:49]
	s_waitcnt vmcnt(0)
	v_add_f64 v[40:41], v[58:59], -v[40:41]
	buffer_store_dword v40, off, s[0:3], 0 offset:112
	buffer_store_dword v41, off, s[0:3], 0 offset:116
	s_and_saveexec_b64 s[4:5], vcc
	s_cbranch_execz .LBB82_95
; %bb.94:
	buffer_load_dword v40, off, s[0:3], 0 offset:104
	buffer_load_dword v41, off, s[0:3], 0 offset:108
	v_mov_b32_e32 v42, 0
	buffer_store_dword v42, off, s[0:3], 0 offset:104
	buffer_store_dword v42, off, s[0:3], 0 offset:108
	s_waitcnt vmcnt(2)
	ds_write_b64 v1, v[40:41]
.LBB82_95:
	s_or_b64 exec, exec, s[4:5]
	s_waitcnt lgkmcnt(0)
	; wave barrier
	s_waitcnt lgkmcnt(0)
	buffer_load_dword v50, off, s[0:3], 0 offset:112
	buffer_load_dword v51, off, s[0:3], 0 offset:116
	;; [unrolled: 1-line block ×12, first 2 shown]
	v_mov_b32_e32 v40, 0
	ds_read_b128 v[42:45], v40 offset:272
	ds_read_b128 v[46:49], v40 offset:288
	ds_read_b64 v[62:63], v40 offset:304
	v_cmp_lt_u32_e32 vcc, 12, v0
	s_waitcnt vmcnt(10) lgkmcnt(2)
	v_fma_f64 v[42:43], v[50:51], v[42:43], 0
	s_waitcnt vmcnt(8)
	v_fmac_f64_e32 v[42:43], v[52:53], v[44:45]
	s_waitcnt vmcnt(6) lgkmcnt(1)
	v_fmac_f64_e32 v[42:43], v[54:55], v[46:47]
	s_waitcnt vmcnt(4)
	v_fmac_f64_e32 v[42:43], v[56:57], v[48:49]
	s_waitcnt vmcnt(2) lgkmcnt(0)
	v_fmac_f64_e32 v[42:43], v[58:59], v[62:63]
	s_waitcnt vmcnt(0)
	v_add_f64 v[42:43], v[60:61], -v[42:43]
	buffer_store_dword v42, off, s[0:3], 0 offset:104
	buffer_store_dword v43, off, s[0:3], 0 offset:108
	s_and_saveexec_b64 s[4:5], vcc
	s_cbranch_execz .LBB82_97
; %bb.96:
	buffer_load_dword v42, off, s[0:3], 0 offset:96
	buffer_load_dword v43, off, s[0:3], 0 offset:100
	s_waitcnt vmcnt(0)
	ds_write_b64 v1, v[42:43]
	buffer_store_dword v40, off, s[0:3], 0 offset:96
	buffer_store_dword v40, off, s[0:3], 0 offset:100
.LBB82_97:
	s_or_b64 exec, exec, s[4:5]
	s_waitcnt lgkmcnt(0)
	; wave barrier
	s_waitcnt lgkmcnt(0)
	buffer_load_dword v54, off, s[0:3], 0 offset:104
	buffer_load_dword v55, off, s[0:3], 0 offset:108
	;; [unrolled: 1-line block ×14, first 2 shown]
	ds_read2_b64 v[42:45], v40 offset0:33 offset1:34
	ds_read2_b64 v[46:49], v40 offset0:35 offset1:36
	;; [unrolled: 1-line block ×3, first 2 shown]
	v_cmp_lt_u32_e32 vcc, 11, v0
	s_waitcnt vmcnt(12) lgkmcnt(2)
	v_fma_f64 v[40:41], v[54:55], v[42:43], 0
	s_waitcnt vmcnt(10)
	v_fmac_f64_e32 v[40:41], v[56:57], v[44:45]
	s_waitcnt vmcnt(8) lgkmcnt(1)
	v_fmac_f64_e32 v[40:41], v[58:59], v[46:47]
	s_waitcnt vmcnt(6)
	v_fmac_f64_e32 v[40:41], v[60:61], v[48:49]
	s_waitcnt vmcnt(4) lgkmcnt(0)
	v_fmac_f64_e32 v[40:41], v[62:63], v[50:51]
	s_waitcnt vmcnt(2)
	v_fmac_f64_e32 v[40:41], v[64:65], v[52:53]
	s_waitcnt vmcnt(0)
	v_add_f64 v[40:41], v[66:67], -v[40:41]
	buffer_store_dword v40, off, s[0:3], 0 offset:96
	buffer_store_dword v41, off, s[0:3], 0 offset:100
	s_and_saveexec_b64 s[4:5], vcc
	s_cbranch_execz .LBB82_99
; %bb.98:
	buffer_load_dword v40, off, s[0:3], 0 offset:88
	buffer_load_dword v41, off, s[0:3], 0 offset:92
	v_mov_b32_e32 v42, 0
	buffer_store_dword v42, off, s[0:3], 0 offset:88
	buffer_store_dword v42, off, s[0:3], 0 offset:92
	s_waitcnt vmcnt(2)
	ds_write_b64 v1, v[40:41]
.LBB82_99:
	s_or_b64 exec, exec, s[4:5]
	s_waitcnt lgkmcnt(0)
	; wave barrier
	s_waitcnt lgkmcnt(0)
	buffer_load_dword v54, off, s[0:3], 0 offset:96
	buffer_load_dword v55, off, s[0:3], 0 offset:100
	;; [unrolled: 1-line block ×16, first 2 shown]
	v_mov_b32_e32 v40, 0
	ds_read_b128 v[42:45], v40 offset:256
	ds_read_b128 v[46:49], v40 offset:272
	;; [unrolled: 1-line block ×3, first 2 shown]
	ds_read_b64 v[70:71], v40 offset:304
	v_cmp_lt_u32_e32 vcc, 10, v0
	s_waitcnt vmcnt(14) lgkmcnt(3)
	v_fma_f64 v[42:43], v[54:55], v[42:43], 0
	s_waitcnt vmcnt(12)
	v_fmac_f64_e32 v[42:43], v[56:57], v[44:45]
	s_waitcnt vmcnt(10) lgkmcnt(2)
	v_fmac_f64_e32 v[42:43], v[58:59], v[46:47]
	s_waitcnt vmcnt(8)
	v_fmac_f64_e32 v[42:43], v[60:61], v[48:49]
	s_waitcnt vmcnt(6) lgkmcnt(1)
	v_fmac_f64_e32 v[42:43], v[62:63], v[50:51]
	;; [unrolled: 4-line block ×3, first 2 shown]
	s_waitcnt vmcnt(0)
	v_add_f64 v[42:43], v[68:69], -v[42:43]
	buffer_store_dword v42, off, s[0:3], 0 offset:88
	buffer_store_dword v43, off, s[0:3], 0 offset:92
	s_and_saveexec_b64 s[4:5], vcc
	s_cbranch_execz .LBB82_101
; %bb.100:
	buffer_load_dword v42, off, s[0:3], 0 offset:80
	buffer_load_dword v43, off, s[0:3], 0 offset:84
	s_waitcnt vmcnt(0)
	ds_write_b64 v1, v[42:43]
	buffer_store_dword v40, off, s[0:3], 0 offset:80
	buffer_store_dword v40, off, s[0:3], 0 offset:84
.LBB82_101:
	s_or_b64 exec, exec, s[4:5]
	s_waitcnt lgkmcnt(0)
	; wave barrier
	s_waitcnt lgkmcnt(0)
	buffer_load_dword v58, off, s[0:3], 0 offset:88
	buffer_load_dword v59, off, s[0:3], 0 offset:92
	;; [unrolled: 1-line block ×18, first 2 shown]
	ds_read2_b64 v[42:45], v40 offset0:31 offset1:32
	ds_read2_b64 v[46:49], v40 offset0:33 offset1:34
	;; [unrolled: 1-line block ×4, first 2 shown]
	v_cmp_lt_u32_e32 vcc, 9, v0
	s_waitcnt vmcnt(16) lgkmcnt(3)
	v_fma_f64 v[40:41], v[58:59], v[42:43], 0
	s_waitcnt vmcnt(14)
	v_fmac_f64_e32 v[40:41], v[60:61], v[44:45]
	s_waitcnt vmcnt(12) lgkmcnt(2)
	v_fmac_f64_e32 v[40:41], v[62:63], v[46:47]
	s_waitcnt vmcnt(10)
	v_fmac_f64_e32 v[40:41], v[64:65], v[48:49]
	s_waitcnt vmcnt(8) lgkmcnt(1)
	v_fmac_f64_e32 v[40:41], v[66:67], v[50:51]
	;; [unrolled: 4-line block ×3, first 2 shown]
	s_waitcnt vmcnt(2)
	v_fmac_f64_e32 v[40:41], v[72:73], v[56:57]
	s_waitcnt vmcnt(0)
	v_add_f64 v[40:41], v[74:75], -v[40:41]
	buffer_store_dword v40, off, s[0:3], 0 offset:80
	buffer_store_dword v41, off, s[0:3], 0 offset:84
	s_and_saveexec_b64 s[4:5], vcc
	s_cbranch_execz .LBB82_103
; %bb.102:
	buffer_load_dword v40, off, s[0:3], 0 offset:72
	buffer_load_dword v41, off, s[0:3], 0 offset:76
	v_mov_b32_e32 v42, 0
	buffer_store_dword v42, off, s[0:3], 0 offset:72
	buffer_store_dword v42, off, s[0:3], 0 offset:76
	s_waitcnt vmcnt(2)
	ds_write_b64 v1, v[40:41]
.LBB82_103:
	s_or_b64 exec, exec, s[4:5]
	s_waitcnt lgkmcnt(0)
	; wave barrier
	s_waitcnt lgkmcnt(0)
	buffer_load_dword v58, off, s[0:3], 0 offset:80
	buffer_load_dword v59, off, s[0:3], 0 offset:84
	;; [unrolled: 1-line block ×20, first 2 shown]
	v_mov_b32_e32 v40, 0
	ds_read_b128 v[42:45], v40 offset:240
	ds_read_b128 v[46:49], v40 offset:256
	;; [unrolled: 1-line block ×4, first 2 shown]
	ds_read_b64 v[78:79], v40 offset:304
	v_cmp_lt_u32_e32 vcc, 8, v0
	s_waitcnt vmcnt(18) lgkmcnt(4)
	v_fma_f64 v[42:43], v[58:59], v[42:43], 0
	s_waitcnt vmcnt(16)
	v_fmac_f64_e32 v[42:43], v[60:61], v[44:45]
	s_waitcnt vmcnt(14) lgkmcnt(3)
	v_fmac_f64_e32 v[42:43], v[62:63], v[46:47]
	s_waitcnt vmcnt(12)
	v_fmac_f64_e32 v[42:43], v[64:65], v[48:49]
	s_waitcnt vmcnt(10) lgkmcnt(2)
	v_fmac_f64_e32 v[42:43], v[66:67], v[50:51]
	;; [unrolled: 4-line block ×3, first 2 shown]
	s_waitcnt vmcnt(2)
	v_fmac_f64_e32 v[42:43], v[74:75], v[56:57]
	s_waitcnt lgkmcnt(0)
	v_fmac_f64_e32 v[42:43], v[72:73], v[78:79]
	s_waitcnt vmcnt(0)
	v_add_f64 v[42:43], v[76:77], -v[42:43]
	buffer_store_dword v42, off, s[0:3], 0 offset:72
	buffer_store_dword v43, off, s[0:3], 0 offset:76
	s_and_saveexec_b64 s[4:5], vcc
	s_cbranch_execz .LBB82_105
; %bb.104:
	buffer_load_dword v42, off, s[0:3], 0 offset:64
	buffer_load_dword v43, off, s[0:3], 0 offset:68
	s_waitcnt vmcnt(0)
	ds_write_b64 v1, v[42:43]
	buffer_store_dword v40, off, s[0:3], 0 offset:64
	buffer_store_dword v40, off, s[0:3], 0 offset:68
.LBB82_105:
	s_or_b64 exec, exec, s[4:5]
	s_waitcnt lgkmcnt(0)
	; wave barrier
	s_waitcnt lgkmcnt(0)
	buffer_load_dword v62, off, s[0:3], 0 offset:72
	buffer_load_dword v63, off, s[0:3], 0 offset:76
	;; [unrolled: 1-line block ×22, first 2 shown]
	ds_read2_b64 v[42:45], v40 offset0:29 offset1:30
	ds_read2_b64 v[46:49], v40 offset0:31 offset1:32
	ds_read2_b64 v[50:53], v40 offset0:33 offset1:34
	ds_read2_b64 v[54:57], v40 offset0:35 offset1:36
	ds_read2_b64 v[58:61], v40 offset0:37 offset1:38
	v_cmp_lt_u32_e32 vcc, 7, v0
	s_waitcnt vmcnt(20) lgkmcnt(4)
	v_fma_f64 v[40:41], v[62:63], v[42:43], 0
	s_waitcnt vmcnt(18)
	v_fmac_f64_e32 v[40:41], v[64:65], v[44:45]
	s_waitcnt vmcnt(16) lgkmcnt(3)
	v_fmac_f64_e32 v[40:41], v[66:67], v[46:47]
	s_waitcnt vmcnt(14)
	v_fmac_f64_e32 v[40:41], v[68:69], v[48:49]
	s_waitcnt vmcnt(12) lgkmcnt(2)
	v_fmac_f64_e32 v[40:41], v[70:71], v[50:51]
	;; [unrolled: 4-line block ×3, first 2 shown]
	s_waitcnt vmcnt(3)
	v_fmac_f64_e32 v[40:41], v[80:81], v[56:57]
	s_waitcnt lgkmcnt(0)
	v_fmac_f64_e32 v[40:41], v[78:79], v[58:59]
	s_waitcnt vmcnt(2)
	v_fmac_f64_e32 v[40:41], v[76:77], v[60:61]
	s_waitcnt vmcnt(0)
	v_add_f64 v[40:41], v[82:83], -v[40:41]
	buffer_store_dword v40, off, s[0:3], 0 offset:64
	buffer_store_dword v41, off, s[0:3], 0 offset:68
	s_and_saveexec_b64 s[4:5], vcc
	s_cbranch_execz .LBB82_107
; %bb.106:
	buffer_load_dword v40, off, s[0:3], 0 offset:56
	buffer_load_dword v41, off, s[0:3], 0 offset:60
	v_mov_b32_e32 v42, 0
	buffer_store_dword v42, off, s[0:3], 0 offset:56
	buffer_store_dword v42, off, s[0:3], 0 offset:60
	s_waitcnt vmcnt(2)
	ds_write_b64 v1, v[40:41]
.LBB82_107:
	s_or_b64 exec, exec, s[4:5]
	s_waitcnt lgkmcnt(0)
	; wave barrier
	s_waitcnt lgkmcnt(0)
	buffer_load_dword v62, off, s[0:3], 0 offset:64
	buffer_load_dword v63, off, s[0:3], 0 offset:68
	;; [unrolled: 1-line block ×24, first 2 shown]
	v_mov_b32_e32 v40, 0
	ds_read_b128 v[42:45], v40 offset:224
	ds_read_b128 v[46:49], v40 offset:240
	ds_read_b128 v[50:53], v40 offset:256
	ds_read_b128 v[54:57], v40 offset:272
	ds_read_b128 v[58:61], v40 offset:288
	ds_read_b64 v[86:87], v40 offset:304
	v_cmp_lt_u32_e32 vcc, 6, v0
	s_waitcnt vmcnt(22) lgkmcnt(5)
	v_fma_f64 v[42:43], v[62:63], v[42:43], 0
	s_waitcnt vmcnt(20)
	v_fmac_f64_e32 v[42:43], v[64:65], v[44:45]
	s_waitcnt vmcnt(18) lgkmcnt(4)
	v_fmac_f64_e32 v[42:43], v[66:67], v[46:47]
	s_waitcnt vmcnt(16)
	v_fmac_f64_e32 v[42:43], v[68:69], v[48:49]
	s_waitcnt vmcnt(14) lgkmcnt(3)
	v_fmac_f64_e32 v[42:43], v[70:71], v[50:51]
	;; [unrolled: 4-line block ×3, first 2 shown]
	s_waitcnt vmcnt(4)
	v_fmac_f64_e32 v[42:43], v[82:83], v[56:57]
	s_waitcnt lgkmcnt(1)
	v_fmac_f64_e32 v[42:43], v[80:81], v[58:59]
	s_waitcnt vmcnt(3)
	v_fmac_f64_e32 v[42:43], v[78:79], v[60:61]
	s_waitcnt vmcnt(2) lgkmcnt(0)
	v_fmac_f64_e32 v[42:43], v[76:77], v[86:87]
	s_waitcnt vmcnt(0)
	v_add_f64 v[42:43], v[84:85], -v[42:43]
	buffer_store_dword v43, off, s[0:3], 0 offset:60
	buffer_store_dword v42, off, s[0:3], 0 offset:56
	s_and_saveexec_b64 s[4:5], vcc
	s_cbranch_execz .LBB82_109
; %bb.108:
	buffer_load_dword v42, off, s[0:3], 0 offset:48
	buffer_load_dword v43, off, s[0:3], 0 offset:52
	s_waitcnt vmcnt(0)
	ds_write_b64 v1, v[42:43]
	buffer_store_dword v40, off, s[0:3], 0 offset:48
	buffer_store_dword v40, off, s[0:3], 0 offset:52
.LBB82_109:
	s_or_b64 exec, exec, s[4:5]
	s_waitcnt lgkmcnt(0)
	; wave barrier
	s_waitcnt lgkmcnt(0)
	buffer_load_dword v66, off, s[0:3], 0 offset:56
	buffer_load_dword v67, off, s[0:3], 0 offset:60
	;; [unrolled: 1-line block ×26, first 2 shown]
	ds_read2_b64 v[42:45], v40 offset0:27 offset1:28
	ds_read2_b64 v[46:49], v40 offset0:29 offset1:30
	;; [unrolled: 1-line block ×6, first 2 shown]
	v_cmp_lt_u32_e32 vcc, 5, v0
	s_waitcnt vmcnt(24) lgkmcnt(5)
	v_fma_f64 v[40:41], v[66:67], v[42:43], 0
	s_waitcnt vmcnt(22)
	v_fmac_f64_e32 v[40:41], v[68:69], v[44:45]
	s_waitcnt vmcnt(20) lgkmcnt(4)
	v_fmac_f64_e32 v[40:41], v[70:71], v[46:47]
	s_waitcnt vmcnt(18)
	v_fmac_f64_e32 v[40:41], v[72:73], v[48:49]
	s_waitcnt vmcnt(16) lgkmcnt(3)
	v_fmac_f64_e32 v[40:41], v[74:75], v[50:51]
	;; [unrolled: 4-line block ×3, first 2 shown]
	s_waitcnt vmcnt(5)
	v_fmac_f64_e32 v[40:41], v[86:87], v[56:57]
	s_waitcnt lgkmcnt(1)
	v_fmac_f64_e32 v[40:41], v[84:85], v[58:59]
	v_fmac_f64_e32 v[40:41], v[82:83], v[60:61]
	s_waitcnt vmcnt(4) lgkmcnt(0)
	v_fmac_f64_e32 v[40:41], v[80:81], v[62:63]
	s_waitcnt vmcnt(2)
	v_fmac_f64_e32 v[40:41], v[88:89], v[64:65]
	s_waitcnt vmcnt(0)
	v_add_f64 v[40:41], v[90:91], -v[40:41]
	buffer_store_dword v41, off, s[0:3], 0 offset:52
	buffer_store_dword v40, off, s[0:3], 0 offset:48
	s_and_saveexec_b64 s[4:5], vcc
	s_cbranch_execz .LBB82_111
; %bb.110:
	buffer_load_dword v40, off, s[0:3], 0 offset:40
	buffer_load_dword v41, off, s[0:3], 0 offset:44
	v_mov_b32_e32 v42, 0
	buffer_store_dword v42, off, s[0:3], 0 offset:40
	buffer_store_dword v42, off, s[0:3], 0 offset:44
	s_waitcnt vmcnt(2)
	ds_write_b64 v1, v[40:41]
.LBB82_111:
	s_or_b64 exec, exec, s[4:5]
	s_waitcnt lgkmcnt(0)
	; wave barrier
	s_waitcnt lgkmcnt(0)
	buffer_load_dword v66, off, s[0:3], 0 offset:48
	buffer_load_dword v67, off, s[0:3], 0 offset:52
	;; [unrolled: 1-line block ×28, first 2 shown]
	v_mov_b32_e32 v40, 0
	ds_read_b128 v[42:45], v40 offset:208
	ds_read_b128 v[46:49], v40 offset:224
	;; [unrolled: 1-line block ×6, first 2 shown]
	ds_read_b64 v[94:95], v40 offset:304
	v_cmp_lt_u32_e32 vcc, 4, v0
	s_waitcnt vmcnt(26) lgkmcnt(6)
	v_fma_f64 v[42:43], v[66:67], v[42:43], 0
	s_waitcnt vmcnt(24)
	v_fmac_f64_e32 v[42:43], v[68:69], v[44:45]
	s_waitcnt vmcnt(22) lgkmcnt(5)
	v_fmac_f64_e32 v[42:43], v[70:71], v[46:47]
	s_waitcnt vmcnt(20)
	v_fmac_f64_e32 v[42:43], v[72:73], v[48:49]
	s_waitcnt vmcnt(18) lgkmcnt(4)
	v_fmac_f64_e32 v[42:43], v[74:75], v[50:51]
	;; [unrolled: 4-line block ×3, first 2 shown]
	s_waitcnt vmcnt(6)
	v_fmac_f64_e32 v[42:43], v[86:87], v[56:57]
	s_waitcnt lgkmcnt(2)
	v_fmac_f64_e32 v[42:43], v[84:85], v[58:59]
	v_fmac_f64_e32 v[42:43], v[82:83], v[60:61]
	s_waitcnt lgkmcnt(1)
	v_fmac_f64_e32 v[42:43], v[80:81], v[62:63]
	s_waitcnt vmcnt(2)
	v_fmac_f64_e32 v[42:43], v[90:91], v[64:65]
	s_waitcnt lgkmcnt(0)
	v_fmac_f64_e32 v[42:43], v[88:89], v[94:95]
	s_waitcnt vmcnt(0)
	v_add_f64 v[42:43], v[92:93], -v[42:43]
	buffer_store_dword v43, off, s[0:3], 0 offset:44
	buffer_store_dword v42, off, s[0:3], 0 offset:40
	s_and_saveexec_b64 s[4:5], vcc
	s_cbranch_execz .LBB82_113
; %bb.112:
	buffer_load_dword v42, off, s[0:3], 0 offset:32
	buffer_load_dword v43, off, s[0:3], 0 offset:36
	s_waitcnt vmcnt(0)
	ds_write_b64 v1, v[42:43]
	buffer_store_dword v40, off, s[0:3], 0 offset:32
	buffer_store_dword v40, off, s[0:3], 0 offset:36
.LBB82_113:
	s_or_b64 exec, exec, s[4:5]
	s_waitcnt lgkmcnt(0)
	; wave barrier
	s_waitcnt lgkmcnt(0)
	buffer_load_dword v70, off, s[0:3], 0 offset:40
	buffer_load_dword v71, off, s[0:3], 0 offset:44
	;; [unrolled: 1-line block ×30, first 2 shown]
	ds_read2_b64 v[42:45], v40 offset0:25 offset1:26
	ds_read2_b64 v[46:49], v40 offset0:27 offset1:28
	;; [unrolled: 1-line block ×7, first 2 shown]
	v_cmp_lt_u32_e32 vcc, 3, v0
	s_waitcnt vmcnt(28) lgkmcnt(6)
	v_fma_f64 v[40:41], v[70:71], v[42:43], 0
	s_waitcnt vmcnt(26)
	v_fmac_f64_e32 v[40:41], v[72:73], v[44:45]
	s_waitcnt vmcnt(24) lgkmcnt(5)
	v_fmac_f64_e32 v[40:41], v[74:75], v[46:47]
	s_waitcnt vmcnt(22)
	v_fmac_f64_e32 v[40:41], v[76:77], v[48:49]
	s_waitcnt vmcnt(20) lgkmcnt(4)
	v_fmac_f64_e32 v[40:41], v[78:79], v[50:51]
	;; [unrolled: 4-line block ×3, first 2 shown]
	s_waitcnt vmcnt(8)
	v_fmac_f64_e32 v[40:41], v[90:91], v[56:57]
	s_waitcnt lgkmcnt(2)
	v_fmac_f64_e32 v[40:41], v[88:89], v[58:59]
	v_fmac_f64_e32 v[40:41], v[86:87], v[60:61]
	s_waitcnt lgkmcnt(1)
	v_fmac_f64_e32 v[40:41], v[84:85], v[62:63]
	s_waitcnt vmcnt(3)
	v_fmac_f64_e32 v[40:41], v[96:97], v[64:65]
	s_waitcnt lgkmcnt(0)
	v_fmac_f64_e32 v[40:41], v[94:95], v[66:67]
	s_waitcnt vmcnt(2)
	v_fmac_f64_e32 v[40:41], v[92:93], v[68:69]
	s_waitcnt vmcnt(0)
	v_add_f64 v[40:41], v[98:99], -v[40:41]
	buffer_store_dword v41, off, s[0:3], 0 offset:36
	buffer_store_dword v40, off, s[0:3], 0 offset:32
	s_and_saveexec_b64 s[4:5], vcc
	s_cbranch_execz .LBB82_115
; %bb.114:
	buffer_load_dword v40, off, s[0:3], 0 offset:24
	buffer_load_dword v41, off, s[0:3], 0 offset:28
	v_mov_b32_e32 v42, 0
	buffer_store_dword v42, off, s[0:3], 0 offset:24
	buffer_store_dword v42, off, s[0:3], 0 offset:28
	s_waitcnt vmcnt(2)
	ds_write_b64 v1, v[40:41]
.LBB82_115:
	s_or_b64 exec, exec, s[4:5]
	s_waitcnt lgkmcnt(0)
	; wave barrier
	s_waitcnt lgkmcnt(0)
	buffer_load_dword v70, off, s[0:3], 0 offset:32
	buffer_load_dword v71, off, s[0:3], 0 offset:36
	;; [unrolled: 1-line block ×32, first 2 shown]
	v_mov_b32_e32 v40, 0
	ds_read_b128 v[42:45], v40 offset:192
	ds_read_b128 v[46:49], v40 offset:208
	;; [unrolled: 1-line block ×7, first 2 shown]
	ds_read_b64 v[102:103], v40 offset:304
	v_cmp_lt_u32_e32 vcc, 2, v0
	s_waitcnt vmcnt(30) lgkmcnt(7)
	v_fma_f64 v[42:43], v[70:71], v[42:43], 0
	s_waitcnt vmcnt(28)
	v_fmac_f64_e32 v[42:43], v[72:73], v[44:45]
	s_waitcnt vmcnt(26) lgkmcnt(6)
	v_fmac_f64_e32 v[42:43], v[74:75], v[46:47]
	s_waitcnt vmcnt(24)
	v_fmac_f64_e32 v[42:43], v[76:77], v[48:49]
	s_waitcnt vmcnt(22) lgkmcnt(5)
	v_fmac_f64_e32 v[42:43], v[78:79], v[50:51]
	;; [unrolled: 4-line block ×3, first 2 shown]
	s_waitcnt vmcnt(10)
	v_fmac_f64_e32 v[42:43], v[90:91], v[56:57]
	s_waitcnt lgkmcnt(3)
	v_fmac_f64_e32 v[42:43], v[88:89], v[58:59]
	v_fmac_f64_e32 v[42:43], v[86:87], v[60:61]
	s_waitcnt lgkmcnt(2)
	v_fmac_f64_e32 v[42:43], v[84:85], v[62:63]
	s_waitcnt vmcnt(4)
	v_fmac_f64_e32 v[42:43], v[98:99], v[64:65]
	s_waitcnt lgkmcnt(1)
	v_fmac_f64_e32 v[42:43], v[96:97], v[66:67]
	s_waitcnt vmcnt(3)
	v_fmac_f64_e32 v[42:43], v[94:95], v[68:69]
	s_waitcnt vmcnt(2) lgkmcnt(0)
	v_fmac_f64_e32 v[42:43], v[92:93], v[102:103]
	s_waitcnt vmcnt(0)
	v_add_f64 v[42:43], v[100:101], -v[42:43]
	buffer_store_dword v43, off, s[0:3], 0 offset:28
	buffer_store_dword v42, off, s[0:3], 0 offset:24
	s_and_saveexec_b64 s[4:5], vcc
	s_cbranch_execz .LBB82_117
; %bb.116:
	buffer_load_dword v42, off, s[0:3], 0 offset:16
	buffer_load_dword v43, off, s[0:3], 0 offset:20
	s_waitcnt vmcnt(0)
	ds_write_b64 v1, v[42:43]
	buffer_store_dword v40, off, s[0:3], 0 offset:16
	buffer_store_dword v40, off, s[0:3], 0 offset:20
.LBB82_117:
	s_or_b64 exec, exec, s[4:5]
	s_waitcnt lgkmcnt(0)
	; wave barrier
	s_waitcnt lgkmcnt(0)
	buffer_load_dword v74, off, s[0:3], 0 offset:24
	buffer_load_dword v75, off, s[0:3], 0 offset:28
	;; [unrolled: 1-line block ×34, first 2 shown]
	ds_read2_b64 v[42:45], v40 offset0:23 offset1:24
	ds_read2_b64 v[46:49], v40 offset0:25 offset1:26
	;; [unrolled: 1-line block ×8, first 2 shown]
	v_cmp_lt_u32_e32 vcc, 1, v0
	s_waitcnt vmcnt(32) lgkmcnt(7)
	v_fma_f64 v[40:41], v[74:75], v[42:43], 0
	s_waitcnt vmcnt(30)
	v_fmac_f64_e32 v[40:41], v[76:77], v[44:45]
	s_waitcnt vmcnt(28) lgkmcnt(6)
	v_fmac_f64_e32 v[40:41], v[78:79], v[46:47]
	s_waitcnt vmcnt(26)
	v_fmac_f64_e32 v[40:41], v[80:81], v[48:49]
	s_waitcnt vmcnt(24) lgkmcnt(5)
	v_fmac_f64_e32 v[40:41], v[82:83], v[50:51]
	;; [unrolled: 4-line block ×3, first 2 shown]
	s_waitcnt vmcnt(12)
	v_fmac_f64_e32 v[40:41], v[94:95], v[56:57]
	s_waitcnt lgkmcnt(3)
	v_fmac_f64_e32 v[40:41], v[92:93], v[58:59]
	v_fmac_f64_e32 v[40:41], v[90:91], v[60:61]
	s_waitcnt lgkmcnt(2)
	v_fmac_f64_e32 v[40:41], v[88:89], v[62:63]
	s_waitcnt vmcnt(5)
	v_fmac_f64_e32 v[40:41], v[102:103], v[64:65]
	s_waitcnt lgkmcnt(1)
	v_fmac_f64_e32 v[40:41], v[100:101], v[66:67]
	v_fmac_f64_e32 v[40:41], v[98:99], v[68:69]
	s_waitcnt vmcnt(4) lgkmcnt(0)
	v_fmac_f64_e32 v[40:41], v[96:97], v[70:71]
	s_waitcnt vmcnt(2)
	v_fmac_f64_e32 v[40:41], v[104:105], v[72:73]
	s_waitcnt vmcnt(0)
	v_add_f64 v[40:41], v[106:107], -v[40:41]
	buffer_store_dword v41, off, s[0:3], 0 offset:20
	buffer_store_dword v40, off, s[0:3], 0 offset:16
	s_and_saveexec_b64 s[4:5], vcc
	s_cbranch_execz .LBB82_119
; %bb.118:
	buffer_load_dword v40, off, s[0:3], 0 offset:8
	buffer_load_dword v41, off, s[0:3], 0 offset:12
	v_mov_b32_e32 v42, 0
	buffer_store_dword v42, off, s[0:3], 0 offset:8
	buffer_store_dword v42, off, s[0:3], 0 offset:12
	s_waitcnt vmcnt(2)
	ds_write_b64 v1, v[40:41]
.LBB82_119:
	s_or_b64 exec, exec, s[4:5]
	s_waitcnt lgkmcnt(0)
	; wave barrier
	s_waitcnt lgkmcnt(0)
	buffer_load_dword v40, off, s[0:3], 0 offset:16
	buffer_load_dword v41, off, s[0:3], 0 offset:20
	;; [unrolled: 1-line block ×36, first 2 shown]
	v_mov_b32_e32 v42, 0
	ds_read_b128 v[44:47], v42 offset:176
	ds_read_b128 v[48:51], v42 offset:192
	;; [unrolled: 1-line block ×8, first 2 shown]
	ds_read_b64 v[110:111], v42 offset:304
	v_cmp_ne_u32_e32 vcc, 0, v0
	s_waitcnt vmcnt(34) lgkmcnt(8)
	v_fma_f64 v[40:41], v[40:41], v[44:45], 0
	s_waitcnt vmcnt(32)
	v_fmac_f64_e32 v[40:41], v[76:77], v[46:47]
	s_waitcnt vmcnt(30) lgkmcnt(7)
	v_fmac_f64_e32 v[40:41], v[78:79], v[48:49]
	s_waitcnt vmcnt(28)
	v_fmac_f64_e32 v[40:41], v[80:81], v[50:51]
	s_waitcnt vmcnt(26) lgkmcnt(6)
	v_fmac_f64_e32 v[40:41], v[82:83], v[52:53]
	;; [unrolled: 4-line block ×3, first 2 shown]
	s_waitcnt vmcnt(14)
	v_fmac_f64_e32 v[40:41], v[94:95], v[58:59]
	s_waitcnt lgkmcnt(4)
	v_fmac_f64_e32 v[40:41], v[92:93], v[60:61]
	v_fmac_f64_e32 v[40:41], v[90:91], v[62:63]
	s_waitcnt lgkmcnt(3)
	v_fmac_f64_e32 v[40:41], v[88:89], v[64:65]
	s_waitcnt vmcnt(6)
	v_fmac_f64_e32 v[40:41], v[102:103], v[66:67]
	s_waitcnt lgkmcnt(2)
	v_fmac_f64_e32 v[40:41], v[100:101], v[68:69]
	v_fmac_f64_e32 v[40:41], v[98:99], v[70:71]
	s_waitcnt lgkmcnt(1)
	v_fmac_f64_e32 v[40:41], v[96:97], v[72:73]
	s_waitcnt vmcnt(2)
	v_fmac_f64_e32 v[40:41], v[106:107], v[74:75]
	s_waitcnt lgkmcnt(0)
	v_fmac_f64_e32 v[40:41], v[104:105], v[110:111]
	s_waitcnt vmcnt(0)
	v_add_f64 v[40:41], v[108:109], -v[40:41]
	buffer_store_dword v41, off, s[0:3], 0 offset:12
	buffer_store_dword v40, off, s[0:3], 0 offset:8
	s_and_saveexec_b64 s[4:5], vcc
	s_cbranch_execz .LBB82_121
; %bb.120:
	buffer_load_dword v40, off, s[0:3], 0
	buffer_load_dword v41, off, s[0:3], 0 offset:4
	s_waitcnt vmcnt(0)
	ds_write_b64 v1, v[40:41]
	buffer_store_dword v42, off, s[0:3], 0
	buffer_store_dword v42, off, s[0:3], 0 offset:4
.LBB82_121:
	s_or_b64 exec, exec, s[4:5]
	s_waitcnt lgkmcnt(0)
	; wave barrier
	s_waitcnt lgkmcnt(0)
	buffer_load_dword v0, off, s[0:3], 0 offset:8
	buffer_load_dword v1, off, s[0:3], 0 offset:12
	;; [unrolled: 1-line block ×36, first 2 shown]
	buffer_load_dword v112, off, s[0:3], 0
	buffer_load_dword v113, off, s[0:3], 0 offset:4
	ds_read2_b64 v[44:47], v42 offset0:21 offset1:22
	ds_read2_b64 v[48:51], v42 offset0:23 offset1:24
	;; [unrolled: 1-line block ×9, first 2 shown]
	s_and_b64 vcc, exec, s[16:17]
	s_waitcnt vmcnt(36) lgkmcnt(8)
	v_fma_f64 v[0:1], v[0:1], v[44:45], 0
	s_waitcnt vmcnt(34)
	v_fmac_f64_e32 v[0:1], v[80:81], v[46:47]
	s_waitcnt vmcnt(32) lgkmcnt(7)
	v_fmac_f64_e32 v[0:1], v[82:83], v[48:49]
	s_waitcnt vmcnt(30)
	v_fmac_f64_e32 v[0:1], v[84:85], v[50:51]
	s_waitcnt vmcnt(28) lgkmcnt(6)
	v_fmac_f64_e32 v[0:1], v[86:87], v[52:53]
	;; [unrolled: 4-line block ×3, first 2 shown]
	s_waitcnt vmcnt(16)
	v_fmac_f64_e32 v[0:1], v[98:99], v[58:59]
	s_waitcnt lgkmcnt(4)
	v_fmac_f64_e32 v[0:1], v[96:97], v[60:61]
	v_fmac_f64_e32 v[0:1], v[94:95], v[62:63]
	s_waitcnt lgkmcnt(3)
	v_fmac_f64_e32 v[0:1], v[92:93], v[64:65]
	s_waitcnt vmcnt(8)
	v_fmac_f64_e32 v[0:1], v[106:107], v[66:67]
	s_waitcnt lgkmcnt(2)
	v_fmac_f64_e32 v[0:1], v[104:105], v[68:69]
	v_fmac_f64_e32 v[0:1], v[102:103], v[70:71]
	s_waitcnt lgkmcnt(1)
	v_fmac_f64_e32 v[0:1], v[100:101], v[72:73]
	s_waitcnt vmcnt(3)
	v_fmac_f64_e32 v[0:1], v[110:111], v[74:75]
	s_waitcnt lgkmcnt(0)
	v_fmac_f64_e32 v[0:1], v[40:41], v[76:77]
	s_waitcnt vmcnt(2)
	v_fmac_f64_e32 v[0:1], v[108:109], v[78:79]
	s_waitcnt vmcnt(0)
	v_add_f64 v[0:1], v[112:113], -v[0:1]
	buffer_store_dword v1, off, s[0:3], 0 offset:4
	buffer_store_dword v0, off, s[0:3], 0
	s_cbranch_vccz .LBB82_159
; %bb.122:
	v_pk_mov_b32 v[0:1], s[10:11], s[10:11] op_sel:[0,1]
	flat_load_dword v0, v[0:1] offset:68
	s_waitcnt vmcnt(0) lgkmcnt(0)
	v_add_u32_e32 v0, -1, v0
	v_cmp_ne_u32_e32 vcc, 17, v0
	s_and_saveexec_b64 s[4:5], vcc
	s_cbranch_execz .LBB82_124
; %bb.123:
	v_mov_b32_e32 v1, 0
	v_lshl_add_u32 v0, v0, 3, v1
	buffer_load_dword v1, v0, s[0:3], 0 offen
	buffer_load_dword v42, v0, s[0:3], 0 offen offset:4
	s_waitcnt vmcnt(1)
	buffer_store_dword v1, off, s[0:3], 0 offset:136
	s_waitcnt vmcnt(1)
	buffer_store_dword v42, off, s[0:3], 0 offset:140
	buffer_store_dword v40, v0, s[0:3], 0 offen
	buffer_store_dword v41, v0, s[0:3], 0 offen offset:4
.LBB82_124:
	s_or_b64 exec, exec, s[4:5]
	v_pk_mov_b32 v[0:1], s[10:11], s[10:11] op_sel:[0,1]
	flat_load_dword v0, v[0:1] offset:64
	s_waitcnt vmcnt(0) lgkmcnt(0)
	v_add_u32_e32 v0, -1, v0
	v_cmp_ne_u32_e32 vcc, 16, v0
	s_and_saveexec_b64 s[4:5], vcc
	s_cbranch_execz .LBB82_126
; %bb.125:
	v_mov_b32_e32 v1, 0
	v_lshl_add_u32 v0, v0, 3, v1
	buffer_load_dword v1, v0, s[0:3], 0 offen
	buffer_load_dword v40, v0, s[0:3], 0 offen offset:4
	buffer_load_dword v41, off, s[0:3], 0 offset:132
	buffer_load_dword v42, off, s[0:3], 0 offset:128
	s_waitcnt vmcnt(3)
	buffer_store_dword v1, off, s[0:3], 0 offset:128
	s_waitcnt vmcnt(3)
	buffer_store_dword v40, off, s[0:3], 0 offset:132
	s_waitcnt vmcnt(3)
	buffer_store_dword v41, v0, s[0:3], 0 offen offset:4
	s_waitcnt vmcnt(3)
	buffer_store_dword v42, v0, s[0:3], 0 offen
.LBB82_126:
	s_or_b64 exec, exec, s[4:5]
	v_pk_mov_b32 v[0:1], s[10:11], s[10:11] op_sel:[0,1]
	flat_load_dword v0, v[0:1] offset:60
	s_waitcnt vmcnt(0) lgkmcnt(0)
	v_add_u32_e32 v0, -1, v0
	v_cmp_ne_u32_e32 vcc, 15, v0
	s_and_saveexec_b64 s[4:5], vcc
	s_cbranch_execz .LBB82_128
; %bb.127:
	v_mov_b32_e32 v1, 0
	v_lshl_add_u32 v0, v0, 3, v1
	buffer_load_dword v1, v0, s[0:3], 0 offen
	buffer_load_dword v40, v0, s[0:3], 0 offen offset:4
	buffer_load_dword v41, off, s[0:3], 0 offset:120
	buffer_load_dword v42, off, s[0:3], 0 offset:124
	s_waitcnt vmcnt(3)
	buffer_store_dword v1, off, s[0:3], 0 offset:120
	s_waitcnt vmcnt(3)
	buffer_store_dword v40, off, s[0:3], 0 offset:124
	s_waitcnt vmcnt(3)
	buffer_store_dword v41, v0, s[0:3], 0 offen
	s_waitcnt vmcnt(3)
	buffer_store_dword v42, v0, s[0:3], 0 offen offset:4
.LBB82_128:
	s_or_b64 exec, exec, s[4:5]
	v_pk_mov_b32 v[0:1], s[10:11], s[10:11] op_sel:[0,1]
	flat_load_dword v0, v[0:1] offset:56
	s_waitcnt vmcnt(0) lgkmcnt(0)
	v_add_u32_e32 v0, -1, v0
	v_cmp_ne_u32_e32 vcc, 14, v0
	s_and_saveexec_b64 s[4:5], vcc
	s_cbranch_execz .LBB82_130
; %bb.129:
	v_mov_b32_e32 v1, 0
	v_lshl_add_u32 v0, v0, 3, v1
	buffer_load_dword v1, v0, s[0:3], 0 offen
	buffer_load_dword v40, v0, s[0:3], 0 offen offset:4
	buffer_load_dword v41, off, s[0:3], 0 offset:116
	buffer_load_dword v42, off, s[0:3], 0 offset:112
	s_waitcnt vmcnt(3)
	buffer_store_dword v1, off, s[0:3], 0 offset:112
	s_waitcnt vmcnt(3)
	buffer_store_dword v40, off, s[0:3], 0 offset:116
	s_waitcnt vmcnt(3)
	buffer_store_dword v41, v0, s[0:3], 0 offen offset:4
	s_waitcnt vmcnt(3)
	buffer_store_dword v42, v0, s[0:3], 0 offen
.LBB82_130:
	s_or_b64 exec, exec, s[4:5]
	v_pk_mov_b32 v[0:1], s[10:11], s[10:11] op_sel:[0,1]
	flat_load_dword v0, v[0:1] offset:52
	s_waitcnt vmcnt(0) lgkmcnt(0)
	v_add_u32_e32 v0, -1, v0
	v_cmp_ne_u32_e32 vcc, 13, v0
	s_and_saveexec_b64 s[4:5], vcc
	s_cbranch_execz .LBB82_132
; %bb.131:
	v_mov_b32_e32 v1, 0
	v_lshl_add_u32 v0, v0, 3, v1
	buffer_load_dword v1, v0, s[0:3], 0 offen
	buffer_load_dword v40, v0, s[0:3], 0 offen offset:4
	buffer_load_dword v41, off, s[0:3], 0 offset:104
	buffer_load_dword v42, off, s[0:3], 0 offset:108
	s_waitcnt vmcnt(3)
	buffer_store_dword v1, off, s[0:3], 0 offset:104
	s_waitcnt vmcnt(3)
	buffer_store_dword v40, off, s[0:3], 0 offset:108
	s_waitcnt vmcnt(3)
	buffer_store_dword v41, v0, s[0:3], 0 offen
	s_waitcnt vmcnt(3)
	buffer_store_dword v42, v0, s[0:3], 0 offen offset:4
.LBB82_132:
	;; [unrolled: 48-line block ×8, first 2 shown]
	s_or_b64 exec, exec, s[4:5]
	v_pk_mov_b32 v[0:1], s[10:11], s[10:11] op_sel:[0,1]
	flat_load_dword v40, v[0:1]
	s_nop 0
	buffer_load_dword v0, off, s[0:3], 0
	buffer_load_dword v1, off, s[0:3], 0 offset:4
	s_waitcnt vmcnt(0) lgkmcnt(0)
	v_add_u32_e32 v40, -1, v40
	v_cmp_ne_u32_e32 vcc, 0, v40
	s_and_saveexec_b64 s[4:5], vcc
	s_cbranch_execz .LBB82_158
; %bb.157:
	v_mov_b32_e32 v41, 0
	v_lshl_add_u32 v40, v40, 3, v41
	buffer_load_dword v41, v40, s[0:3], 0 offen offset:4
	buffer_load_dword v42, v40, s[0:3], 0 offen
	s_waitcnt vmcnt(1)
	buffer_store_dword v41, off, s[0:3], 0 offset:4
	s_waitcnt vmcnt(1)
	buffer_store_dword v42, off, s[0:3], 0
	buffer_store_dword v1, v40, s[0:3], 0 offen offset:4
	buffer_store_dword v0, v40, s[0:3], 0 offen
	buffer_load_dword v0, off, s[0:3], 0
	s_nop 0
	buffer_load_dword v1, off, s[0:3], 0 offset:4
.LBB82_158:
	s_or_b64 exec, exec, s[4:5]
.LBB82_159:
	buffer_load_dword v40, off, s[0:3], 0 offset:8
	buffer_load_dword v41, off, s[0:3], 0 offset:12
	;; [unrolled: 1-line block ×36, first 2 shown]
	s_waitcnt vmcnt(36)
	global_store_dwordx2 v[2:3], v[0:1], off
	s_waitcnt vmcnt(35)
	global_store_dwordx2 v[4:5], v[40:41], off
	;; [unrolled: 2-line block ×19, first 2 shown]
	s_endpgm
	.section	.rodata,"a",@progbits
	.p2align	6, 0x0
	.amdhsa_kernel _ZN9rocsolver6v33100L18getri_kernel_smallILi19EdPKPdEEvT1_iilPiilS6_bb
		.amdhsa_group_segment_fixed_size 312
		.amdhsa_private_segment_fixed_size 160
		.amdhsa_kernarg_size 60
		.amdhsa_user_sgpr_count 8
		.amdhsa_user_sgpr_private_segment_buffer 1
		.amdhsa_user_sgpr_dispatch_ptr 0
		.amdhsa_user_sgpr_queue_ptr 0
		.amdhsa_user_sgpr_kernarg_segment_ptr 1
		.amdhsa_user_sgpr_dispatch_id 0
		.amdhsa_user_sgpr_flat_scratch_init 1
		.amdhsa_user_sgpr_kernarg_preload_length 0
		.amdhsa_user_sgpr_kernarg_preload_offset 0
		.amdhsa_user_sgpr_private_segment_size 0
		.amdhsa_uses_dynamic_stack 0
		.amdhsa_system_sgpr_private_segment_wavefront_offset 1
		.amdhsa_system_sgpr_workgroup_id_x 1
		.amdhsa_system_sgpr_workgroup_id_y 0
		.amdhsa_system_sgpr_workgroup_id_z 0
		.amdhsa_system_sgpr_workgroup_info 0
		.amdhsa_system_vgpr_workitem_id 0
		.amdhsa_next_free_vgpr 114
		.amdhsa_next_free_sgpr 22
		.amdhsa_accum_offset 116
		.amdhsa_reserve_vcc 1
		.amdhsa_reserve_flat_scratch 1
		.amdhsa_float_round_mode_32 0
		.amdhsa_float_round_mode_16_64 0
		.amdhsa_float_denorm_mode_32 3
		.amdhsa_float_denorm_mode_16_64 3
		.amdhsa_dx10_clamp 1
		.amdhsa_ieee_mode 1
		.amdhsa_fp16_overflow 0
		.amdhsa_tg_split 0
		.amdhsa_exception_fp_ieee_invalid_op 0
		.amdhsa_exception_fp_denorm_src 0
		.amdhsa_exception_fp_ieee_div_zero 0
		.amdhsa_exception_fp_ieee_overflow 0
		.amdhsa_exception_fp_ieee_underflow 0
		.amdhsa_exception_fp_ieee_inexact 0
		.amdhsa_exception_int_div_zero 0
	.end_amdhsa_kernel
	.section	.text._ZN9rocsolver6v33100L18getri_kernel_smallILi19EdPKPdEEvT1_iilPiilS6_bb,"axG",@progbits,_ZN9rocsolver6v33100L18getri_kernel_smallILi19EdPKPdEEvT1_iilPiilS6_bb,comdat
.Lfunc_end82:
	.size	_ZN9rocsolver6v33100L18getri_kernel_smallILi19EdPKPdEEvT1_iilPiilS6_bb, .Lfunc_end82-_ZN9rocsolver6v33100L18getri_kernel_smallILi19EdPKPdEEvT1_iilPiilS6_bb
                                        ; -- End function
	.section	.AMDGPU.csdata,"",@progbits
; Kernel info:
; codeLenInByte = 14880
; NumSgprs: 28
; NumVgprs: 114
; NumAgprs: 0
; TotalNumVgprs: 114
; ScratchSize: 160
; MemoryBound: 0
; FloatMode: 240
; IeeeMode: 1
; LDSByteSize: 312 bytes/workgroup (compile time only)
; SGPRBlocks: 3
; VGPRBlocks: 14
; NumSGPRsForWavesPerEU: 28
; NumVGPRsForWavesPerEU: 114
; AccumOffset: 116
; Occupancy: 4
; WaveLimiterHint : 1
; COMPUTE_PGM_RSRC2:SCRATCH_EN: 1
; COMPUTE_PGM_RSRC2:USER_SGPR: 8
; COMPUTE_PGM_RSRC2:TRAP_HANDLER: 0
; COMPUTE_PGM_RSRC2:TGID_X_EN: 1
; COMPUTE_PGM_RSRC2:TGID_Y_EN: 0
; COMPUTE_PGM_RSRC2:TGID_Z_EN: 0
; COMPUTE_PGM_RSRC2:TIDIG_COMP_CNT: 0
; COMPUTE_PGM_RSRC3_GFX90A:ACCUM_OFFSET: 28
; COMPUTE_PGM_RSRC3_GFX90A:TG_SPLIT: 0
	.section	.text._ZN9rocsolver6v33100L18getri_kernel_smallILi20EdPKPdEEvT1_iilPiilS6_bb,"axG",@progbits,_ZN9rocsolver6v33100L18getri_kernel_smallILi20EdPKPdEEvT1_iilPiilS6_bb,comdat
	.globl	_ZN9rocsolver6v33100L18getri_kernel_smallILi20EdPKPdEEvT1_iilPiilS6_bb ; -- Begin function _ZN9rocsolver6v33100L18getri_kernel_smallILi20EdPKPdEEvT1_iilPiilS6_bb
	.p2align	8
	.type	_ZN9rocsolver6v33100L18getri_kernel_smallILi20EdPKPdEEvT1_iilPiilS6_bb,@function
_ZN9rocsolver6v33100L18getri_kernel_smallILi20EdPKPdEEvT1_iilPiilS6_bb: ; @_ZN9rocsolver6v33100L18getri_kernel_smallILi20EdPKPdEEvT1_iilPiilS6_bb
; %bb.0:
	s_add_u32 flat_scratch_lo, s6, s9
	s_addc_u32 flat_scratch_hi, s7, 0
	s_add_u32 s0, s0, s9
	s_addc_u32 s1, s1, 0
	v_cmp_gt_u32_e32 vcc, 20, v0
	s_and_saveexec_b64 s[6:7], vcc
	s_cbranch_execz .LBB83_88
; %bb.1:
	s_load_dword s20, s[4:5], 0x38
	s_load_dwordx2 s[6:7], s[4:5], 0x0
	s_load_dwordx4 s[12:15], s[4:5], 0x28
	s_waitcnt lgkmcnt(0)
	s_bitcmp1_b32 s20, 8
	s_cselect_b64 s[16:17], -1, 0
	s_ashr_i32 s9, s8, 31
	s_lshl_b64 s[10:11], s[8:9], 3
	s_add_u32 s6, s6, s10
	s_addc_u32 s7, s7, s11
	s_load_dwordx2 s[18:19], s[6:7], 0x0
	s_bfe_u32 s6, s20, 0x10008
	s_cmp_eq_u32 s6, 0
                                        ; implicit-def: $sgpr10_sgpr11
	s_cbranch_scc1 .LBB83_3
; %bb.2:
	s_load_dword s6, s[4:5], 0x20
	s_load_dwordx2 s[10:11], s[4:5], 0x18
	s_mul_i32 s7, s8, s13
	s_mul_hi_u32 s13, s8, s12
	s_add_i32 s13, s13, s7
	s_mul_i32 s21, s9, s12
	s_add_i32 s13, s13, s21
	s_mul_i32 s12, s8, s12
	s_waitcnt lgkmcnt(0)
	s_ashr_i32 s7, s6, 31
	s_lshl_b64 s[12:13], s[12:13], 2
	s_add_u32 s10, s10, s12
	s_addc_u32 s11, s11, s13
	s_lshl_b64 s[6:7], s[6:7], 2
	s_add_u32 s10, s10, s6
	s_addc_u32 s11, s11, s7
.LBB83_3:
	s_load_dwordx2 s[6:7], s[4:5], 0x8
	v_lshlrev_b32_e32 v1, 3, v0
	s_waitcnt lgkmcnt(0)
	s_ashr_i32 s5, s6, 31
	s_mov_b32 s4, s6
	s_lshl_b64 s[4:5], s[4:5], 3
	s_add_u32 s4, s18, s4
	s_addc_u32 s5, s19, s5
	v_mov_b32_e32 v3, s5
	v_add_co_u32_e32 v2, vcc, s4, v1
	s_ashr_i32 s13, s7, 31
	s_mov_b32 s12, s7
	s_add_i32 s6, s7, s7
	v_addc_co_u32_e32 v3, vcc, 0, v3, vcc
	s_lshl_b64 s[12:13], s[12:13], 3
	v_add_u32_e32 v8, s6, v0
	v_mov_b32_e32 v5, s13
	v_add_co_u32_e32 v4, vcc, s12, v2
	v_ashrrev_i32_e32 v9, 31, v8
	v_addc_co_u32_e32 v5, vcc, v3, v5, vcc
	v_lshlrev_b64 v[6:7], 3, v[8:9]
	v_add_u32_e32 v10, s7, v8
	v_mov_b32_e32 v9, s5
	v_add_co_u32_e32 v6, vcc, s4, v6
	v_ashrrev_i32_e32 v11, 31, v10
	v_addc_co_u32_e32 v7, vcc, v9, v7, vcc
	v_lshlrev_b64 v[8:9], 3, v[10:11]
	;; [unrolled: 6-line block ×9, first 2 shown]
	v_mov_b32_e32 v25, s5
	v_add_co_u32_e32 v22, vcc, s4, v22
	v_add_u32_e32 v24, s7, v24
	v_addc_co_u32_e32 v23, vcc, v25, v23, vcc
	v_ashrrev_i32_e32 v25, 31, v24
	v_add_u32_e32 v26, s7, v24
	v_lshlrev_b64 v[24:25], 3, v[24:25]
	v_mov_b32_e32 v27, s5
	v_add_co_u32_e32 v24, vcc, s4, v24
	v_addc_co_u32_e32 v25, vcc, v27, v25, vcc
	v_ashrrev_i32_e32 v27, 31, v26
	v_add_u32_e32 v28, s7, v26
	v_lshlrev_b64 v[26:27], 3, v[26:27]
	v_mov_b32_e32 v29, s5
	v_add_co_u32_e32 v26, vcc, s4, v26
	;; [unrolled: 6-line block ×8, first 2 shown]
	global_load_dwordx2 v[42:43], v1, s[4:5]
	global_load_dwordx2 v[50:51], v[4:5], off
	global_load_dwordx2 v[46:47], v[6:7], off
	;; [unrolled: 1-line block ×14, first 2 shown]
	v_addc_co_u32_e32 v39, vcc, v72, v39, vcc
	global_load_dwordx2 v[72:73], v[32:33], off
	global_load_dwordx2 v[74:75], v[34:35], off
	;; [unrolled: 1-line block ×4, first 2 shown]
	v_ashrrev_i32_e32 v41, 31, v40
	v_lshlrev_b64 v[40:41], 3, v[40:41]
	v_mov_b32_e32 v80, s5
	v_add_co_u32_e32 v40, vcc, s4, v40
	v_addc_co_u32_e32 v41, vcc, v80, v41, vcc
	global_load_dwordx2 v[80:81], v[40:41], off
	s_bitcmp0_b32 s20, 0
	s_mov_b64 s[6:7], -1
	s_waitcnt vmcnt(19)
	buffer_store_dword v43, off, s[0:3], 0 offset:4
	buffer_store_dword v42, off, s[0:3], 0
	s_waitcnt vmcnt(20)
	buffer_store_dword v51, off, s[0:3], 0 offset:12
	buffer_store_dword v50, off, s[0:3], 0 offset:8
	s_waitcnt vmcnt(21)
	buffer_store_dword v47, off, s[0:3], 0 offset:20
	buffer_store_dword v46, off, s[0:3], 0 offset:16
	;; [unrolled: 3-line block ×19, first 2 shown]
	s_cbranch_scc1 .LBB83_86
; %bb.4:
	v_cmp_eq_u32_e64 s[4:5], 0, v0
	s_and_saveexec_b64 s[6:7], s[4:5]
	s_cbranch_execz .LBB83_6
; %bb.5:
	v_mov_b32_e32 v42, 0
	ds_write_b32 v42, v42 offset:320
.LBB83_6:
	s_or_b64 exec, exec, s[6:7]
	v_mov_b32_e32 v42, 0
	v_lshl_add_u32 v42, v0, 3, v42
	s_waitcnt lgkmcnt(0)
	; wave barrier
	s_waitcnt lgkmcnt(0)
	buffer_load_dword v44, v42, s[0:3], 0 offen
	buffer_load_dword v45, v42, s[0:3], 0 offen offset:4
	s_waitcnt vmcnt(0)
	v_cmp_eq_f64_e32 vcc, 0, v[44:45]
	s_and_saveexec_b64 s[12:13], vcc
	s_cbranch_execz .LBB83_10
; %bb.7:
	v_mov_b32_e32 v43, 0
	ds_read_b32 v45, v43 offset:320
	v_add_u32_e32 v44, 1, v0
	s_waitcnt lgkmcnt(0)
	v_readfirstlane_b32 s6, v45
	s_cmp_eq_u32 s6, 0
	s_cselect_b64 s[18:19], -1, 0
	v_cmp_gt_i32_e32 vcc, s6, v44
	s_or_b64 s[18:19], s[18:19], vcc
	s_and_b64 exec, exec, s[18:19]
	s_cbranch_execz .LBB83_10
; %bb.8:
	s_mov_b64 s[18:19], 0
	v_mov_b32_e32 v45, s6
.LBB83_9:                               ; =>This Inner Loop Header: Depth=1
	ds_cmpst_rtn_b32 v45, v43, v45, v44 offset:320
	s_waitcnt lgkmcnt(0)
	v_cmp_ne_u32_e32 vcc, 0, v45
	v_cmp_le_i32_e64 s[6:7], v45, v44
	s_and_b64 s[6:7], vcc, s[6:7]
	s_and_b64 s[6:7], exec, s[6:7]
	s_or_b64 s[18:19], s[6:7], s[18:19]
	s_andn2_b64 exec, exec, s[18:19]
	s_cbranch_execnz .LBB83_9
.LBB83_10:
	s_or_b64 exec, exec, s[12:13]
	v_mov_b32_e32 v44, 0
	s_waitcnt lgkmcnt(0)
	; wave barrier
	ds_read_b32 v43, v44 offset:320
	s_and_saveexec_b64 s[6:7], s[4:5]
	s_cbranch_execz .LBB83_12
; %bb.11:
	s_lshl_b64 s[12:13], s[8:9], 2
	s_add_u32 s12, s14, s12
	s_addc_u32 s13, s15, s13
	s_waitcnt lgkmcnt(0)
	global_store_dword v44, v43, s[12:13]
.LBB83_12:
	s_or_b64 exec, exec, s[6:7]
	s_waitcnt lgkmcnt(0)
	v_cmp_ne_u32_e32 vcc, 0, v43
	s_mov_b64 s[6:7], 0
	s_cbranch_vccnz .LBB83_86
; %bb.13:
	buffer_load_dword v44, v42, s[0:3], 0 offen
	buffer_load_dword v45, v42, s[0:3], 0 offen offset:4
	s_waitcnt vmcnt(0)
	v_div_scale_f64 v[46:47], s[6:7], v[44:45], v[44:45], 1.0
	v_rcp_f64_e32 v[48:49], v[46:47]
	v_div_scale_f64 v[50:51], vcc, 1.0, v[44:45], 1.0
	v_fma_f64 v[52:53], -v[46:47], v[48:49], 1.0
	v_fmac_f64_e32 v[48:49], v[48:49], v[52:53]
	v_fma_f64 v[52:53], -v[46:47], v[48:49], 1.0
	v_fmac_f64_e32 v[48:49], v[48:49], v[52:53]
	v_mul_f64 v[52:53], v[50:51], v[48:49]
	v_fma_f64 v[46:47], -v[46:47], v[52:53], v[50:51]
	v_div_fmas_f64 v[46:47], v[46:47], v[48:49], v[52:53]
	v_div_fixup_f64 v[46:47], v[46:47], v[44:45], 1.0
	buffer_store_dword v47, v42, s[0:3], 0 offen offset:4
	buffer_store_dword v46, v42, s[0:3], 0 offen
	buffer_load_dword v49, off, s[0:3], 0 offset:12
	buffer_load_dword v48, off, s[0:3], 0 offset:8
	v_add_u32_e32 v44, 0xa0, v1
	v_xor_b32_e32 v47, 0x80000000, v47
	s_waitcnt vmcnt(0)
	ds_write2_b64 v1, v[46:47], v[48:49] offset1:20
	s_waitcnt lgkmcnt(0)
	; wave barrier
	s_waitcnt lgkmcnt(0)
	s_and_saveexec_b64 s[6:7], s[4:5]
	s_cbranch_execz .LBB83_15
; %bb.14:
	buffer_load_dword v46, v42, s[0:3], 0 offen
	buffer_load_dword v47, v42, s[0:3], 0 offen offset:4
	v_mov_b32_e32 v43, 0
	ds_read_b64 v[48:49], v44
	ds_read_b64 v[50:51], v43 offset:8
	s_waitcnt vmcnt(0) lgkmcnt(1)
	v_fma_f64 v[46:47], v[46:47], v[48:49], 0
	s_waitcnt lgkmcnt(0)
	v_mul_f64 v[46:47], v[46:47], v[50:51]
	buffer_store_dword v46, off, s[0:3], 0 offset:8
	buffer_store_dword v47, off, s[0:3], 0 offset:12
.LBB83_15:
	s_or_b64 exec, exec, s[6:7]
	s_waitcnt lgkmcnt(0)
	; wave barrier
	buffer_load_dword v46, off, s[0:3], 0 offset:16
	buffer_load_dword v47, off, s[0:3], 0 offset:20
	v_cmp_gt_u32_e32 vcc, 2, v0
	s_waitcnt vmcnt(0)
	ds_write_b64 v44, v[46:47]
	s_waitcnt lgkmcnt(0)
	; wave barrier
	s_waitcnt lgkmcnt(0)
	s_and_saveexec_b64 s[6:7], vcc
	s_cbranch_execz .LBB83_17
; %bb.16:
	buffer_load_dword v43, v42, s[0:3], 0 offen offset:4
	buffer_load_dword v50, off, s[0:3], 0 offset:8
	s_nop 0
	buffer_load_dword v42, v42, s[0:3], 0 offen
	s_nop 0
	buffer_load_dword v51, off, s[0:3], 0 offset:12
	ds_read_b64 v[52:53], v44
	v_mov_b32_e32 v45, 0
	ds_read2_b64 v[46:49], v45 offset0:2 offset1:21
	s_waitcnt vmcnt(1) lgkmcnt(1)
	v_fma_f64 v[42:43], v[42:43], v[52:53], 0
	s_waitcnt vmcnt(0) lgkmcnt(0)
	v_fma_f64 v[48:49], v[50:51], v[48:49], v[42:43]
	v_cndmask_b32_e64 v43, v43, v49, s[4:5]
	v_cndmask_b32_e64 v42, v42, v48, s[4:5]
	v_mul_f64 v[42:43], v[42:43], v[46:47]
	buffer_store_dword v43, off, s[0:3], 0 offset:20
	buffer_store_dword v42, off, s[0:3], 0 offset:16
.LBB83_17:
	s_or_b64 exec, exec, s[6:7]
	s_waitcnt lgkmcnt(0)
	; wave barrier
	buffer_load_dword v42, off, s[0:3], 0 offset:24
	buffer_load_dword v43, off, s[0:3], 0 offset:28
	v_cmp_gt_u32_e32 vcc, 3, v0
	v_add_u32_e32 v45, -1, v0
	s_waitcnt vmcnt(0)
	ds_write_b64 v44, v[42:43]
	s_waitcnt lgkmcnt(0)
	; wave barrier
	s_waitcnt lgkmcnt(0)
	s_and_saveexec_b64 s[4:5], vcc
	s_cbranch_execz .LBB83_21
; %bb.18:
	v_add_u32_e32 v46, -1, v0
	v_add_u32_e32 v47, 0xa0, v1
	v_add_u32_e32 v48, 0, v1
	s_mov_b64 s[6:7], 0
	v_pk_mov_b32 v[42:43], 0, 0
.LBB83_19:                              ; =>This Inner Loop Header: Depth=1
	buffer_load_dword v50, v48, s[0:3], 0 offen
	buffer_load_dword v51, v48, s[0:3], 0 offen offset:4
	ds_read_b64 v[52:53], v47
	v_add_u32_e32 v46, 1, v46
	v_cmp_lt_u32_e32 vcc, 1, v46
	v_add_u32_e32 v47, 8, v47
	v_add_u32_e32 v48, 8, v48
	s_or_b64 s[6:7], vcc, s[6:7]
	s_waitcnt vmcnt(0) lgkmcnt(0)
	v_fmac_f64_e32 v[42:43], v[50:51], v[52:53]
	s_andn2_b64 exec, exec, s[6:7]
	s_cbranch_execnz .LBB83_19
; %bb.20:
	s_or_b64 exec, exec, s[6:7]
	v_mov_b32_e32 v46, 0
	ds_read_b64 v[46:47], v46 offset:24
	s_waitcnt lgkmcnt(0)
	v_mul_f64 v[42:43], v[42:43], v[46:47]
	buffer_store_dword v43, off, s[0:3], 0 offset:28
	buffer_store_dword v42, off, s[0:3], 0 offset:24
.LBB83_21:
	s_or_b64 exec, exec, s[4:5]
	s_waitcnt lgkmcnt(0)
	; wave barrier
	buffer_load_dword v42, off, s[0:3], 0 offset:32
	buffer_load_dword v43, off, s[0:3], 0 offset:36
	v_cmp_gt_u32_e32 vcc, 4, v0
	s_waitcnt vmcnt(0)
	ds_write_b64 v44, v[42:43]
	s_waitcnt lgkmcnt(0)
	; wave barrier
	s_waitcnt lgkmcnt(0)
	s_and_saveexec_b64 s[4:5], vcc
	s_cbranch_execz .LBB83_25
; %bb.22:
	v_add_u32_e32 v46, -1, v0
	v_add_u32_e32 v47, 0xa0, v1
	v_add_u32_e32 v48, 0, v1
	s_mov_b64 s[6:7], 0
	v_pk_mov_b32 v[42:43], 0, 0
.LBB83_23:                              ; =>This Inner Loop Header: Depth=1
	buffer_load_dword v50, v48, s[0:3], 0 offen
	buffer_load_dword v51, v48, s[0:3], 0 offen offset:4
	ds_read_b64 v[52:53], v47
	v_add_u32_e32 v46, 1, v46
	v_cmp_lt_u32_e32 vcc, 2, v46
	v_add_u32_e32 v47, 8, v47
	v_add_u32_e32 v48, 8, v48
	s_or_b64 s[6:7], vcc, s[6:7]
	s_waitcnt vmcnt(0) lgkmcnt(0)
	v_fmac_f64_e32 v[42:43], v[50:51], v[52:53]
	s_andn2_b64 exec, exec, s[6:7]
	s_cbranch_execnz .LBB83_23
; %bb.24:
	s_or_b64 exec, exec, s[6:7]
	v_mov_b32_e32 v46, 0
	ds_read_b64 v[46:47], v46 offset:32
	s_waitcnt lgkmcnt(0)
	v_mul_f64 v[42:43], v[42:43], v[46:47]
	buffer_store_dword v43, off, s[0:3], 0 offset:36
	buffer_store_dword v42, off, s[0:3], 0 offset:32
.LBB83_25:
	s_or_b64 exec, exec, s[4:5]
	s_waitcnt lgkmcnt(0)
	; wave barrier
	buffer_load_dword v42, off, s[0:3], 0 offset:40
	buffer_load_dword v43, off, s[0:3], 0 offset:44
	v_cmp_gt_u32_e32 vcc, 5, v0
	;; [unrolled: 41-line block ×15, first 2 shown]
	s_waitcnt vmcnt(0)
	ds_write_b64 v44, v[42:43]
	s_waitcnt lgkmcnt(0)
	; wave barrier
	s_waitcnt lgkmcnt(0)
	s_and_saveexec_b64 s[4:5], vcc
	s_cbranch_execz .LBB83_81
; %bb.78:
	v_add_u32_e32 v46, -1, v0
	v_add_u32_e32 v47, 0xa0, v1
	v_add_u32_e32 v48, 0, v1
	s_mov_b64 s[6:7], 0
	v_pk_mov_b32 v[42:43], 0, 0
.LBB83_79:                              ; =>This Inner Loop Header: Depth=1
	buffer_load_dword v50, v48, s[0:3], 0 offen
	buffer_load_dword v51, v48, s[0:3], 0 offen offset:4
	ds_read_b64 v[52:53], v47
	v_add_u32_e32 v46, 1, v46
	v_cmp_lt_u32_e32 vcc, 16, v46
	v_add_u32_e32 v47, 8, v47
	v_add_u32_e32 v48, 8, v48
	s_or_b64 s[6:7], vcc, s[6:7]
	s_waitcnt vmcnt(0) lgkmcnt(0)
	v_fmac_f64_e32 v[42:43], v[50:51], v[52:53]
	s_andn2_b64 exec, exec, s[6:7]
	s_cbranch_execnz .LBB83_79
; %bb.80:
	s_or_b64 exec, exec, s[6:7]
	v_mov_b32_e32 v46, 0
	ds_read_b64 v[46:47], v46 offset:144
	s_waitcnt lgkmcnt(0)
	v_mul_f64 v[42:43], v[42:43], v[46:47]
	buffer_store_dword v43, off, s[0:3], 0 offset:148
	buffer_store_dword v42, off, s[0:3], 0 offset:144
.LBB83_81:
	s_or_b64 exec, exec, s[4:5]
	s_waitcnt lgkmcnt(0)
	; wave barrier
	buffer_load_dword v42, off, s[0:3], 0 offset:152
	buffer_load_dword v43, off, s[0:3], 0 offset:156
	v_cmp_ne_u32_e32 vcc, 19, v0
	s_waitcnt vmcnt(0)
	ds_write_b64 v44, v[42:43]
	s_waitcnt lgkmcnt(0)
	; wave barrier
	s_waitcnt lgkmcnt(0)
	s_and_saveexec_b64 s[4:5], vcc
	s_cbranch_execz .LBB83_85
; %bb.82:
	v_add_u32_e32 v44, 0xa0, v1
	v_add_u32_e32 v1, 0, v1
	s_mov_b64 s[6:7], 0
	v_pk_mov_b32 v[42:43], 0, 0
.LBB83_83:                              ; =>This Inner Loop Header: Depth=1
	buffer_load_dword v46, v1, s[0:3], 0 offen
	buffer_load_dword v47, v1, s[0:3], 0 offen offset:4
	ds_read_b64 v[48:49], v44
	v_add_u32_e32 v45, 1, v45
	v_cmp_lt_u32_e32 vcc, 17, v45
	v_add_u32_e32 v44, 8, v44
	v_add_u32_e32 v1, 8, v1
	s_or_b64 s[6:7], vcc, s[6:7]
	s_waitcnt vmcnt(0) lgkmcnt(0)
	v_fmac_f64_e32 v[42:43], v[46:47], v[48:49]
	s_andn2_b64 exec, exec, s[6:7]
	s_cbranch_execnz .LBB83_83
; %bb.84:
	s_or_b64 exec, exec, s[6:7]
	v_mov_b32_e32 v1, 0
	ds_read_b64 v[44:45], v1 offset:152
	s_waitcnt lgkmcnt(0)
	v_mul_f64 v[42:43], v[42:43], v[44:45]
	buffer_store_dword v43, off, s[0:3], 0 offset:156
	buffer_store_dword v42, off, s[0:3], 0 offset:152
.LBB83_85:
	s_or_b64 exec, exec, s[4:5]
	s_mov_b64 s[6:7], -1
	s_waitcnt lgkmcnt(0)
	; wave barrier
.LBB83_86:
	s_and_b64 vcc, exec, s[6:7]
	s_cbranch_vccz .LBB83_88
; %bb.87:
	s_lshl_b64 s[4:5], s[8:9], 2
	s_add_u32 s4, s14, s4
	s_addc_u32 s5, s15, s5
	v_mov_b32_e32 v1, 0
	global_load_dword v1, v1, s[4:5]
	s_waitcnt vmcnt(0)
	v_cmp_ne_u32_e32 vcc, 0, v1
	s_cbranch_vccz .LBB83_89
.LBB83_88:
	s_endpgm
.LBB83_89:
	v_mov_b32_e32 v1, 0xa0
	v_lshl_add_u32 v1, v0, 3, v1
	v_cmp_eq_u32_e32 vcc, 19, v0
	s_and_saveexec_b64 s[4:5], vcc
	s_cbranch_execz .LBB83_91
; %bb.90:
	buffer_load_dword v42, off, s[0:3], 0 offset:144
	buffer_load_dword v43, off, s[0:3], 0 offset:148
	v_mov_b32_e32 v44, 0
	buffer_store_dword v44, off, s[0:3], 0 offset:144
	buffer_store_dword v44, off, s[0:3], 0 offset:148
	s_waitcnt vmcnt(2)
	ds_write_b64 v1, v[42:43]
.LBB83_91:
	s_or_b64 exec, exec, s[4:5]
	s_waitcnt lgkmcnt(0)
	; wave barrier
	s_waitcnt lgkmcnt(0)
	buffer_load_dword v44, off, s[0:3], 0 offset:152
	buffer_load_dword v45, off, s[0:3], 0 offset:156
	;; [unrolled: 1-line block ×4, first 2 shown]
	v_mov_b32_e32 v42, 0
	ds_read_b64 v[48:49], v42 offset:312
	v_cmp_lt_u32_e32 vcc, 17, v0
	s_waitcnt vmcnt(2) lgkmcnt(0)
	v_fma_f64 v[44:45], v[44:45], v[48:49], 0
	s_waitcnt vmcnt(0)
	v_add_f64 v[44:45], v[46:47], -v[44:45]
	buffer_store_dword v44, off, s[0:3], 0 offset:144
	buffer_store_dword v45, off, s[0:3], 0 offset:148
	s_and_saveexec_b64 s[4:5], vcc
	s_cbranch_execz .LBB83_93
; %bb.92:
	buffer_load_dword v44, off, s[0:3], 0 offset:136
	buffer_load_dword v45, off, s[0:3], 0 offset:140
	s_waitcnt vmcnt(0)
	ds_write_b64 v1, v[44:45]
	buffer_store_dword v42, off, s[0:3], 0 offset:136
	buffer_store_dword v42, off, s[0:3], 0 offset:140
.LBB83_93:
	s_or_b64 exec, exec, s[4:5]
	s_waitcnt lgkmcnt(0)
	; wave barrier
	s_waitcnt lgkmcnt(0)
	buffer_load_dword v46, off, s[0:3], 0 offset:144
	buffer_load_dword v47, off, s[0:3], 0 offset:148
	;; [unrolled: 1-line block ×6, first 2 shown]
	ds_read_b128 v[42:45], v42 offset:304
	v_cmp_lt_u32_e32 vcc, 16, v0
	s_waitcnt vmcnt(4) lgkmcnt(0)
	v_fma_f64 v[42:43], v[46:47], v[42:43], 0
	s_waitcnt vmcnt(2)
	v_fmac_f64_e32 v[42:43], v[48:49], v[44:45]
	s_waitcnt vmcnt(0)
	v_add_f64 v[42:43], v[50:51], -v[42:43]
	buffer_store_dword v42, off, s[0:3], 0 offset:136
	buffer_store_dword v43, off, s[0:3], 0 offset:140
	s_and_saveexec_b64 s[4:5], vcc
	s_cbranch_execz .LBB83_95
; %bb.94:
	buffer_load_dword v42, off, s[0:3], 0 offset:128
	buffer_load_dword v43, off, s[0:3], 0 offset:132
	v_mov_b32_e32 v44, 0
	buffer_store_dword v44, off, s[0:3], 0 offset:128
	buffer_store_dword v44, off, s[0:3], 0 offset:132
	s_waitcnt vmcnt(2)
	ds_write_b64 v1, v[42:43]
.LBB83_95:
	s_or_b64 exec, exec, s[4:5]
	s_waitcnt lgkmcnt(0)
	; wave barrier
	s_waitcnt lgkmcnt(0)
	buffer_load_dword v48, off, s[0:3], 0 offset:136
	buffer_load_dword v49, off, s[0:3], 0 offset:140
	;; [unrolled: 1-line block ×8, first 2 shown]
	v_mov_b32_e32 v42, 0
	ds_read2_b64 v[44:47], v42 offset0:37 offset1:38
	ds_read_b64 v[56:57], v42 offset:312
	v_cmp_lt_u32_e32 vcc, 15, v0
	s_waitcnt vmcnt(6) lgkmcnt(1)
	v_fma_f64 v[44:45], v[48:49], v[44:45], 0
	s_waitcnt vmcnt(4)
	v_fmac_f64_e32 v[44:45], v[50:51], v[46:47]
	s_waitcnt vmcnt(2) lgkmcnt(0)
	v_fmac_f64_e32 v[44:45], v[52:53], v[56:57]
	s_waitcnt vmcnt(0)
	v_add_f64 v[44:45], v[54:55], -v[44:45]
	buffer_store_dword v44, off, s[0:3], 0 offset:128
	buffer_store_dword v45, off, s[0:3], 0 offset:132
	s_and_saveexec_b64 s[4:5], vcc
	s_cbranch_execz .LBB83_97
; %bb.96:
	buffer_load_dword v44, off, s[0:3], 0 offset:120
	buffer_load_dword v45, off, s[0:3], 0 offset:124
	s_waitcnt vmcnt(0)
	ds_write_b64 v1, v[44:45]
	buffer_store_dword v42, off, s[0:3], 0 offset:120
	buffer_store_dword v42, off, s[0:3], 0 offset:124
.LBB83_97:
	s_or_b64 exec, exec, s[4:5]
	s_waitcnt lgkmcnt(0)
	; wave barrier
	s_waitcnt lgkmcnt(0)
	buffer_load_dword v52, off, s[0:3], 0 offset:128
	buffer_load_dword v53, off, s[0:3], 0 offset:132
	;; [unrolled: 1-line block ×10, first 2 shown]
	ds_read_b128 v[44:47], v42 offset:288
	ds_read_b128 v[48:51], v42 offset:304
	v_cmp_lt_u32_e32 vcc, 14, v0
	s_waitcnt vmcnt(8) lgkmcnt(1)
	v_fma_f64 v[42:43], v[52:53], v[44:45], 0
	s_waitcnt vmcnt(6)
	v_fmac_f64_e32 v[42:43], v[54:55], v[46:47]
	s_waitcnt vmcnt(4) lgkmcnt(0)
	v_fmac_f64_e32 v[42:43], v[56:57], v[48:49]
	s_waitcnt vmcnt(2)
	v_fmac_f64_e32 v[42:43], v[58:59], v[50:51]
	s_waitcnt vmcnt(0)
	v_add_f64 v[42:43], v[60:61], -v[42:43]
	buffer_store_dword v42, off, s[0:3], 0 offset:120
	buffer_store_dword v43, off, s[0:3], 0 offset:124
	s_and_saveexec_b64 s[4:5], vcc
	s_cbranch_execz .LBB83_99
; %bb.98:
	buffer_load_dword v42, off, s[0:3], 0 offset:112
	buffer_load_dword v43, off, s[0:3], 0 offset:116
	v_mov_b32_e32 v44, 0
	buffer_store_dword v44, off, s[0:3], 0 offset:112
	buffer_store_dword v44, off, s[0:3], 0 offset:116
	s_waitcnt vmcnt(2)
	ds_write_b64 v1, v[42:43]
.LBB83_99:
	s_or_b64 exec, exec, s[4:5]
	s_waitcnt lgkmcnt(0)
	; wave barrier
	s_waitcnt lgkmcnt(0)
	buffer_load_dword v52, off, s[0:3], 0 offset:120
	buffer_load_dword v53, off, s[0:3], 0 offset:124
	;; [unrolled: 1-line block ×12, first 2 shown]
	v_mov_b32_e32 v42, 0
	ds_read2_b64 v[44:47], v42 offset0:35 offset1:36
	ds_read2_b64 v[48:51], v42 offset0:37 offset1:38
	ds_read_b64 v[64:65], v42 offset:312
	v_cmp_lt_u32_e32 vcc, 13, v0
	s_waitcnt vmcnt(10) lgkmcnt(2)
	v_fma_f64 v[44:45], v[52:53], v[44:45], 0
	s_waitcnt vmcnt(8)
	v_fmac_f64_e32 v[44:45], v[54:55], v[46:47]
	s_waitcnt vmcnt(6) lgkmcnt(1)
	v_fmac_f64_e32 v[44:45], v[56:57], v[48:49]
	s_waitcnt vmcnt(4)
	v_fmac_f64_e32 v[44:45], v[58:59], v[50:51]
	s_waitcnt vmcnt(2) lgkmcnt(0)
	v_fmac_f64_e32 v[44:45], v[60:61], v[64:65]
	s_waitcnt vmcnt(0)
	v_add_f64 v[44:45], v[62:63], -v[44:45]
	buffer_store_dword v44, off, s[0:3], 0 offset:112
	buffer_store_dword v45, off, s[0:3], 0 offset:116
	s_and_saveexec_b64 s[4:5], vcc
	s_cbranch_execz .LBB83_101
; %bb.100:
	buffer_load_dword v44, off, s[0:3], 0 offset:104
	buffer_load_dword v45, off, s[0:3], 0 offset:108
	s_waitcnt vmcnt(0)
	ds_write_b64 v1, v[44:45]
	buffer_store_dword v42, off, s[0:3], 0 offset:104
	buffer_store_dword v42, off, s[0:3], 0 offset:108
.LBB83_101:
	s_or_b64 exec, exec, s[4:5]
	s_waitcnt lgkmcnt(0)
	; wave barrier
	s_waitcnt lgkmcnt(0)
	buffer_load_dword v56, off, s[0:3], 0 offset:112
	buffer_load_dword v57, off, s[0:3], 0 offset:116
	;; [unrolled: 1-line block ×14, first 2 shown]
	ds_read_b128 v[44:47], v42 offset:272
	ds_read_b128 v[48:51], v42 offset:288
	;; [unrolled: 1-line block ×3, first 2 shown]
	v_cmp_lt_u32_e32 vcc, 12, v0
	s_waitcnt vmcnt(12) lgkmcnt(2)
	v_fma_f64 v[42:43], v[56:57], v[44:45], 0
	s_waitcnt vmcnt(10)
	v_fmac_f64_e32 v[42:43], v[58:59], v[46:47]
	s_waitcnt vmcnt(8) lgkmcnt(1)
	v_fmac_f64_e32 v[42:43], v[60:61], v[48:49]
	s_waitcnt vmcnt(6)
	v_fmac_f64_e32 v[42:43], v[62:63], v[50:51]
	s_waitcnt vmcnt(4) lgkmcnt(0)
	v_fmac_f64_e32 v[42:43], v[64:65], v[52:53]
	s_waitcnt vmcnt(2)
	v_fmac_f64_e32 v[42:43], v[66:67], v[54:55]
	s_waitcnt vmcnt(0)
	v_add_f64 v[42:43], v[68:69], -v[42:43]
	buffer_store_dword v42, off, s[0:3], 0 offset:104
	buffer_store_dword v43, off, s[0:3], 0 offset:108
	s_and_saveexec_b64 s[4:5], vcc
	s_cbranch_execz .LBB83_103
; %bb.102:
	buffer_load_dword v42, off, s[0:3], 0 offset:96
	buffer_load_dword v43, off, s[0:3], 0 offset:100
	v_mov_b32_e32 v44, 0
	buffer_store_dword v44, off, s[0:3], 0 offset:96
	buffer_store_dword v44, off, s[0:3], 0 offset:100
	s_waitcnt vmcnt(2)
	ds_write_b64 v1, v[42:43]
.LBB83_103:
	s_or_b64 exec, exec, s[4:5]
	s_waitcnt lgkmcnt(0)
	; wave barrier
	s_waitcnt lgkmcnt(0)
	buffer_load_dword v56, off, s[0:3], 0 offset:104
	buffer_load_dword v57, off, s[0:3], 0 offset:108
	;; [unrolled: 1-line block ×16, first 2 shown]
	v_mov_b32_e32 v42, 0
	ds_read2_b64 v[44:47], v42 offset0:33 offset1:34
	ds_read2_b64 v[48:51], v42 offset0:35 offset1:36
	;; [unrolled: 1-line block ×3, first 2 shown]
	ds_read_b64 v[72:73], v42 offset:312
	v_cmp_lt_u32_e32 vcc, 11, v0
	s_waitcnt vmcnt(14) lgkmcnt(3)
	v_fma_f64 v[44:45], v[56:57], v[44:45], 0
	s_waitcnt vmcnt(12)
	v_fmac_f64_e32 v[44:45], v[58:59], v[46:47]
	s_waitcnt vmcnt(10) lgkmcnt(2)
	v_fmac_f64_e32 v[44:45], v[60:61], v[48:49]
	s_waitcnt vmcnt(8)
	v_fmac_f64_e32 v[44:45], v[62:63], v[50:51]
	s_waitcnt vmcnt(6) lgkmcnt(1)
	v_fmac_f64_e32 v[44:45], v[64:65], v[52:53]
	;; [unrolled: 4-line block ×3, first 2 shown]
	s_waitcnt vmcnt(0)
	v_add_f64 v[44:45], v[70:71], -v[44:45]
	buffer_store_dword v44, off, s[0:3], 0 offset:96
	buffer_store_dword v45, off, s[0:3], 0 offset:100
	s_and_saveexec_b64 s[4:5], vcc
	s_cbranch_execz .LBB83_105
; %bb.104:
	buffer_load_dword v44, off, s[0:3], 0 offset:88
	buffer_load_dword v45, off, s[0:3], 0 offset:92
	s_waitcnt vmcnt(0)
	ds_write_b64 v1, v[44:45]
	buffer_store_dword v42, off, s[0:3], 0 offset:88
	buffer_store_dword v42, off, s[0:3], 0 offset:92
.LBB83_105:
	s_or_b64 exec, exec, s[4:5]
	s_waitcnt lgkmcnt(0)
	; wave barrier
	s_waitcnt lgkmcnt(0)
	buffer_load_dword v60, off, s[0:3], 0 offset:96
	buffer_load_dword v61, off, s[0:3], 0 offset:100
	;; [unrolled: 1-line block ×18, first 2 shown]
	ds_read_b128 v[44:47], v42 offset:256
	ds_read_b128 v[48:51], v42 offset:272
	;; [unrolled: 1-line block ×4, first 2 shown]
	v_cmp_lt_u32_e32 vcc, 10, v0
	s_waitcnt vmcnt(16) lgkmcnt(3)
	v_fma_f64 v[42:43], v[60:61], v[44:45], 0
	s_waitcnt vmcnt(14)
	v_fmac_f64_e32 v[42:43], v[62:63], v[46:47]
	s_waitcnt vmcnt(12) lgkmcnt(2)
	v_fmac_f64_e32 v[42:43], v[64:65], v[48:49]
	s_waitcnt vmcnt(10)
	v_fmac_f64_e32 v[42:43], v[66:67], v[50:51]
	s_waitcnt vmcnt(8) lgkmcnt(1)
	v_fmac_f64_e32 v[42:43], v[68:69], v[52:53]
	s_waitcnt vmcnt(6)
	v_fmac_f64_e32 v[42:43], v[70:71], v[54:55]
	s_waitcnt vmcnt(4) lgkmcnt(0)
	v_fmac_f64_e32 v[42:43], v[72:73], v[56:57]
	s_waitcnt vmcnt(2)
	v_fmac_f64_e32 v[42:43], v[74:75], v[58:59]
	s_waitcnt vmcnt(0)
	v_add_f64 v[42:43], v[76:77], -v[42:43]
	buffer_store_dword v42, off, s[0:3], 0 offset:88
	buffer_store_dword v43, off, s[0:3], 0 offset:92
	s_and_saveexec_b64 s[4:5], vcc
	s_cbranch_execz .LBB83_107
; %bb.106:
	buffer_load_dword v42, off, s[0:3], 0 offset:80
	buffer_load_dword v43, off, s[0:3], 0 offset:84
	v_mov_b32_e32 v44, 0
	buffer_store_dword v44, off, s[0:3], 0 offset:80
	buffer_store_dword v44, off, s[0:3], 0 offset:84
	s_waitcnt vmcnt(2)
	ds_write_b64 v1, v[42:43]
.LBB83_107:
	s_or_b64 exec, exec, s[4:5]
	s_waitcnt lgkmcnt(0)
	; wave barrier
	s_waitcnt lgkmcnt(0)
	buffer_load_dword v60, off, s[0:3], 0 offset:88
	buffer_load_dword v61, off, s[0:3], 0 offset:92
	buffer_load_dword v62, off, s[0:3], 0 offset:96
	buffer_load_dword v63, off, s[0:3], 0 offset:100
	buffer_load_dword v64, off, s[0:3], 0 offset:104
	buffer_load_dword v65, off, s[0:3], 0 offset:108
	buffer_load_dword v66, off, s[0:3], 0 offset:112
	buffer_load_dword v67, off, s[0:3], 0 offset:116
	buffer_load_dword v68, off, s[0:3], 0 offset:120
	buffer_load_dword v69, off, s[0:3], 0 offset:124
	buffer_load_dword v70, off, s[0:3], 0 offset:128
	buffer_load_dword v71, off, s[0:3], 0 offset:132
	buffer_load_dword v72, off, s[0:3], 0 offset:136
	buffer_load_dword v73, off, s[0:3], 0 offset:140
	buffer_load_dword v75, off, s[0:3], 0 offset:156
	buffer_load_dword v74, off, s[0:3], 0 offset:152
	buffer_load_dword v77, off, s[0:3], 0 offset:148
	buffer_load_dword v76, off, s[0:3], 0 offset:144
	buffer_load_dword v78, off, s[0:3], 0 offset:80
	buffer_load_dword v79, off, s[0:3], 0 offset:84
	v_mov_b32_e32 v42, 0
	ds_read2_b64 v[44:47], v42 offset0:31 offset1:32
	ds_read2_b64 v[48:51], v42 offset0:33 offset1:34
	;; [unrolled: 1-line block ×4, first 2 shown]
	ds_read_b64 v[80:81], v42 offset:312
	v_cmp_lt_u32_e32 vcc, 9, v0
	s_waitcnt vmcnt(18) lgkmcnt(4)
	v_fma_f64 v[44:45], v[60:61], v[44:45], 0
	s_waitcnt vmcnt(16)
	v_fmac_f64_e32 v[44:45], v[62:63], v[46:47]
	s_waitcnt vmcnt(14) lgkmcnt(3)
	v_fmac_f64_e32 v[44:45], v[64:65], v[48:49]
	s_waitcnt vmcnt(12)
	v_fmac_f64_e32 v[44:45], v[66:67], v[50:51]
	s_waitcnt vmcnt(10) lgkmcnt(2)
	v_fmac_f64_e32 v[44:45], v[68:69], v[52:53]
	s_waitcnt vmcnt(8)
	v_fmac_f64_e32 v[44:45], v[70:71], v[54:55]
	s_waitcnt vmcnt(6) lgkmcnt(1)
	v_fmac_f64_e32 v[44:45], v[72:73], v[56:57]
	s_waitcnt vmcnt(2)
	v_fmac_f64_e32 v[44:45], v[76:77], v[58:59]
	s_waitcnt lgkmcnt(0)
	v_fmac_f64_e32 v[44:45], v[74:75], v[80:81]
	s_waitcnt vmcnt(0)
	v_add_f64 v[44:45], v[78:79], -v[44:45]
	buffer_store_dword v44, off, s[0:3], 0 offset:80
	buffer_store_dword v45, off, s[0:3], 0 offset:84
	s_and_saveexec_b64 s[4:5], vcc
	s_cbranch_execz .LBB83_109
; %bb.108:
	buffer_load_dword v44, off, s[0:3], 0 offset:72
	buffer_load_dword v45, off, s[0:3], 0 offset:76
	s_waitcnt vmcnt(0)
	ds_write_b64 v1, v[44:45]
	buffer_store_dword v42, off, s[0:3], 0 offset:72
	buffer_store_dword v42, off, s[0:3], 0 offset:76
.LBB83_109:
	s_or_b64 exec, exec, s[4:5]
	s_waitcnt lgkmcnt(0)
	; wave barrier
	s_waitcnt lgkmcnt(0)
	buffer_load_dword v64, off, s[0:3], 0 offset:80
	buffer_load_dword v65, off, s[0:3], 0 offset:84
	;; [unrolled: 1-line block ×22, first 2 shown]
	ds_read_b128 v[44:47], v42 offset:240
	ds_read_b128 v[48:51], v42 offset:256
	;; [unrolled: 1-line block ×5, first 2 shown]
	v_cmp_lt_u32_e32 vcc, 8, v0
	s_waitcnt vmcnt(20) lgkmcnt(4)
	v_fma_f64 v[42:43], v[64:65], v[44:45], 0
	s_waitcnt vmcnt(18)
	v_fmac_f64_e32 v[42:43], v[66:67], v[46:47]
	s_waitcnt vmcnt(16) lgkmcnt(3)
	v_fmac_f64_e32 v[42:43], v[68:69], v[48:49]
	s_waitcnt vmcnt(14)
	v_fmac_f64_e32 v[42:43], v[70:71], v[50:51]
	s_waitcnt vmcnt(12) lgkmcnt(2)
	v_fmac_f64_e32 v[42:43], v[72:73], v[52:53]
	;; [unrolled: 4-line block ×3, first 2 shown]
	s_waitcnt vmcnt(3)
	v_fmac_f64_e32 v[42:43], v[82:83], v[58:59]
	s_waitcnt lgkmcnt(0)
	v_fmac_f64_e32 v[42:43], v[80:81], v[60:61]
	s_waitcnt vmcnt(2)
	v_fmac_f64_e32 v[42:43], v[78:79], v[62:63]
	s_waitcnt vmcnt(0)
	v_add_f64 v[42:43], v[84:85], -v[42:43]
	buffer_store_dword v42, off, s[0:3], 0 offset:72
	buffer_store_dword v43, off, s[0:3], 0 offset:76
	s_and_saveexec_b64 s[4:5], vcc
	s_cbranch_execz .LBB83_111
; %bb.110:
	buffer_load_dword v42, off, s[0:3], 0 offset:64
	buffer_load_dword v43, off, s[0:3], 0 offset:68
	v_mov_b32_e32 v44, 0
	buffer_store_dword v44, off, s[0:3], 0 offset:64
	buffer_store_dword v44, off, s[0:3], 0 offset:68
	s_waitcnt vmcnt(2)
	ds_write_b64 v1, v[42:43]
.LBB83_111:
	s_or_b64 exec, exec, s[4:5]
	s_waitcnt lgkmcnt(0)
	; wave barrier
	s_waitcnt lgkmcnt(0)
	buffer_load_dword v64, off, s[0:3], 0 offset:72
	buffer_load_dword v65, off, s[0:3], 0 offset:76
	;; [unrolled: 1-line block ×24, first 2 shown]
	v_mov_b32_e32 v42, 0
	ds_read2_b64 v[44:47], v42 offset0:29 offset1:30
	ds_read2_b64 v[48:51], v42 offset0:31 offset1:32
	;; [unrolled: 1-line block ×5, first 2 shown]
	ds_read_b64 v[88:89], v42 offset:312
	v_cmp_lt_u32_e32 vcc, 7, v0
	s_waitcnt vmcnt(22) lgkmcnt(5)
	v_fma_f64 v[44:45], v[64:65], v[44:45], 0
	s_waitcnt vmcnt(20)
	v_fmac_f64_e32 v[44:45], v[66:67], v[46:47]
	s_waitcnt vmcnt(18) lgkmcnt(4)
	v_fmac_f64_e32 v[44:45], v[68:69], v[48:49]
	s_waitcnt vmcnt(16)
	v_fmac_f64_e32 v[44:45], v[70:71], v[50:51]
	s_waitcnt vmcnt(14) lgkmcnt(3)
	v_fmac_f64_e32 v[44:45], v[72:73], v[52:53]
	;; [unrolled: 4-line block ×3, first 2 shown]
	s_waitcnt vmcnt(4)
	v_fmac_f64_e32 v[44:45], v[84:85], v[58:59]
	s_waitcnt lgkmcnt(1)
	v_fmac_f64_e32 v[44:45], v[82:83], v[60:61]
	s_waitcnt vmcnt(3)
	v_fmac_f64_e32 v[44:45], v[80:81], v[62:63]
	s_waitcnt vmcnt(2) lgkmcnt(0)
	v_fmac_f64_e32 v[44:45], v[78:79], v[88:89]
	s_waitcnt vmcnt(0)
	v_add_f64 v[44:45], v[86:87], -v[44:45]
	buffer_store_dword v45, off, s[0:3], 0 offset:68
	buffer_store_dword v44, off, s[0:3], 0 offset:64
	s_and_saveexec_b64 s[4:5], vcc
	s_cbranch_execz .LBB83_113
; %bb.112:
	buffer_load_dword v44, off, s[0:3], 0 offset:56
	buffer_load_dword v45, off, s[0:3], 0 offset:60
	s_waitcnt vmcnt(0)
	ds_write_b64 v1, v[44:45]
	buffer_store_dword v42, off, s[0:3], 0 offset:56
	buffer_store_dword v42, off, s[0:3], 0 offset:60
.LBB83_113:
	s_or_b64 exec, exec, s[4:5]
	s_waitcnt lgkmcnt(0)
	; wave barrier
	s_waitcnt lgkmcnt(0)
	buffer_load_dword v68, off, s[0:3], 0 offset:64
	buffer_load_dword v69, off, s[0:3], 0 offset:68
	;; [unrolled: 1-line block ×26, first 2 shown]
	ds_read_b128 v[44:47], v42 offset:224
	ds_read_b128 v[48:51], v42 offset:240
	;; [unrolled: 1-line block ×6, first 2 shown]
	v_cmp_lt_u32_e32 vcc, 6, v0
	s_waitcnt vmcnt(24) lgkmcnt(5)
	v_fma_f64 v[42:43], v[68:69], v[44:45], 0
	s_waitcnt vmcnt(22)
	v_fmac_f64_e32 v[42:43], v[70:71], v[46:47]
	s_waitcnt vmcnt(20) lgkmcnt(4)
	v_fmac_f64_e32 v[42:43], v[72:73], v[48:49]
	s_waitcnt vmcnt(18)
	v_fmac_f64_e32 v[42:43], v[74:75], v[50:51]
	s_waitcnt vmcnt(16) lgkmcnt(3)
	v_fmac_f64_e32 v[42:43], v[76:77], v[52:53]
	;; [unrolled: 4-line block ×3, first 2 shown]
	s_waitcnt vmcnt(5)
	v_fmac_f64_e32 v[42:43], v[88:89], v[58:59]
	s_waitcnt lgkmcnt(1)
	v_fmac_f64_e32 v[42:43], v[86:87], v[60:61]
	v_fmac_f64_e32 v[42:43], v[84:85], v[62:63]
	s_waitcnt vmcnt(4) lgkmcnt(0)
	v_fmac_f64_e32 v[42:43], v[82:83], v[64:65]
	s_waitcnt vmcnt(2)
	v_fmac_f64_e32 v[42:43], v[90:91], v[66:67]
	s_waitcnt vmcnt(0)
	v_add_f64 v[42:43], v[92:93], -v[42:43]
	buffer_store_dword v43, off, s[0:3], 0 offset:60
	buffer_store_dword v42, off, s[0:3], 0 offset:56
	s_and_saveexec_b64 s[4:5], vcc
	s_cbranch_execz .LBB83_115
; %bb.114:
	buffer_load_dword v42, off, s[0:3], 0 offset:48
	buffer_load_dword v43, off, s[0:3], 0 offset:52
	v_mov_b32_e32 v44, 0
	buffer_store_dword v44, off, s[0:3], 0 offset:48
	buffer_store_dword v44, off, s[0:3], 0 offset:52
	s_waitcnt vmcnt(2)
	ds_write_b64 v1, v[42:43]
.LBB83_115:
	s_or_b64 exec, exec, s[4:5]
	s_waitcnt lgkmcnt(0)
	; wave barrier
	s_waitcnt lgkmcnt(0)
	buffer_load_dword v68, off, s[0:3], 0 offset:56
	buffer_load_dword v69, off, s[0:3], 0 offset:60
	;; [unrolled: 1-line block ×28, first 2 shown]
	v_mov_b32_e32 v42, 0
	ds_read2_b64 v[44:47], v42 offset0:27 offset1:28
	ds_read2_b64 v[48:51], v42 offset0:29 offset1:30
	;; [unrolled: 1-line block ×6, first 2 shown]
	ds_read_b64 v[96:97], v42 offset:312
	v_cmp_lt_u32_e32 vcc, 5, v0
	s_waitcnt vmcnt(26) lgkmcnt(6)
	v_fma_f64 v[44:45], v[68:69], v[44:45], 0
	s_waitcnt vmcnt(24)
	v_fmac_f64_e32 v[44:45], v[70:71], v[46:47]
	s_waitcnt vmcnt(22) lgkmcnt(5)
	v_fmac_f64_e32 v[44:45], v[72:73], v[48:49]
	s_waitcnt vmcnt(20)
	v_fmac_f64_e32 v[44:45], v[74:75], v[50:51]
	s_waitcnt vmcnt(18) lgkmcnt(4)
	v_fmac_f64_e32 v[44:45], v[76:77], v[52:53]
	;; [unrolled: 4-line block ×3, first 2 shown]
	s_waitcnt vmcnt(6)
	v_fmac_f64_e32 v[44:45], v[88:89], v[58:59]
	s_waitcnt lgkmcnt(2)
	v_fmac_f64_e32 v[44:45], v[86:87], v[60:61]
	v_fmac_f64_e32 v[44:45], v[84:85], v[62:63]
	s_waitcnt lgkmcnt(1)
	v_fmac_f64_e32 v[44:45], v[82:83], v[64:65]
	s_waitcnt vmcnt(2)
	v_fmac_f64_e32 v[44:45], v[92:93], v[66:67]
	s_waitcnt lgkmcnt(0)
	v_fmac_f64_e32 v[44:45], v[90:91], v[96:97]
	s_waitcnt vmcnt(0)
	v_add_f64 v[44:45], v[94:95], -v[44:45]
	buffer_store_dword v45, off, s[0:3], 0 offset:52
	buffer_store_dword v44, off, s[0:3], 0 offset:48
	s_and_saveexec_b64 s[4:5], vcc
	s_cbranch_execz .LBB83_117
; %bb.116:
	buffer_load_dword v44, off, s[0:3], 0 offset:40
	buffer_load_dword v45, off, s[0:3], 0 offset:44
	s_waitcnt vmcnt(0)
	ds_write_b64 v1, v[44:45]
	buffer_store_dword v42, off, s[0:3], 0 offset:40
	buffer_store_dword v42, off, s[0:3], 0 offset:44
.LBB83_117:
	s_or_b64 exec, exec, s[4:5]
	s_waitcnt lgkmcnt(0)
	; wave barrier
	s_waitcnt lgkmcnt(0)
	buffer_load_dword v72, off, s[0:3], 0 offset:48
	buffer_load_dword v73, off, s[0:3], 0 offset:52
	;; [unrolled: 1-line block ×30, first 2 shown]
	ds_read_b128 v[44:47], v42 offset:208
	ds_read_b128 v[48:51], v42 offset:224
	ds_read_b128 v[52:55], v42 offset:240
	ds_read_b128 v[56:59], v42 offset:256
	ds_read_b128 v[60:63], v42 offset:272
	ds_read_b128 v[64:67], v42 offset:288
	ds_read_b128 v[68:71], v42 offset:304
	v_cmp_lt_u32_e32 vcc, 4, v0
	s_waitcnt vmcnt(28) lgkmcnt(6)
	v_fma_f64 v[42:43], v[72:73], v[44:45], 0
	s_waitcnt vmcnt(26)
	v_fmac_f64_e32 v[42:43], v[74:75], v[46:47]
	s_waitcnt vmcnt(24) lgkmcnt(5)
	v_fmac_f64_e32 v[42:43], v[76:77], v[48:49]
	s_waitcnt vmcnt(22)
	v_fmac_f64_e32 v[42:43], v[78:79], v[50:51]
	s_waitcnt vmcnt(20) lgkmcnt(4)
	v_fmac_f64_e32 v[42:43], v[80:81], v[52:53]
	s_waitcnt vmcnt(18)
	v_fmac_f64_e32 v[42:43], v[82:83], v[54:55]
	s_waitcnt vmcnt(16) lgkmcnt(3)
	v_fmac_f64_e32 v[42:43], v[84:85], v[56:57]
	s_waitcnt vmcnt(8)
	v_fmac_f64_e32 v[42:43], v[92:93], v[58:59]
	s_waitcnt lgkmcnt(2)
	v_fmac_f64_e32 v[42:43], v[90:91], v[60:61]
	v_fmac_f64_e32 v[42:43], v[88:89], v[62:63]
	s_waitcnt lgkmcnt(1)
	v_fmac_f64_e32 v[42:43], v[86:87], v[64:65]
	s_waitcnt vmcnt(3)
	v_fmac_f64_e32 v[42:43], v[98:99], v[66:67]
	s_waitcnt lgkmcnt(0)
	v_fmac_f64_e32 v[42:43], v[96:97], v[68:69]
	s_waitcnt vmcnt(2)
	v_fmac_f64_e32 v[42:43], v[94:95], v[70:71]
	s_waitcnt vmcnt(0)
	v_add_f64 v[42:43], v[100:101], -v[42:43]
	buffer_store_dword v43, off, s[0:3], 0 offset:44
	buffer_store_dword v42, off, s[0:3], 0 offset:40
	s_and_saveexec_b64 s[4:5], vcc
	s_cbranch_execz .LBB83_119
; %bb.118:
	buffer_load_dword v42, off, s[0:3], 0 offset:32
	buffer_load_dword v43, off, s[0:3], 0 offset:36
	v_mov_b32_e32 v44, 0
	buffer_store_dword v44, off, s[0:3], 0 offset:32
	buffer_store_dword v44, off, s[0:3], 0 offset:36
	s_waitcnt vmcnt(2)
	ds_write_b64 v1, v[42:43]
.LBB83_119:
	s_or_b64 exec, exec, s[4:5]
	s_waitcnt lgkmcnt(0)
	; wave barrier
	s_waitcnt lgkmcnt(0)
	buffer_load_dword v72, off, s[0:3], 0 offset:40
	buffer_load_dword v73, off, s[0:3], 0 offset:44
	;; [unrolled: 1-line block ×32, first 2 shown]
	v_mov_b32_e32 v42, 0
	ds_read2_b64 v[44:47], v42 offset0:25 offset1:26
	ds_read2_b64 v[48:51], v42 offset0:27 offset1:28
	;; [unrolled: 1-line block ×7, first 2 shown]
	ds_read_b64 v[104:105], v42 offset:312
	v_cmp_lt_u32_e32 vcc, 3, v0
	s_waitcnt vmcnt(30) lgkmcnt(7)
	v_fma_f64 v[44:45], v[72:73], v[44:45], 0
	s_waitcnt vmcnt(28)
	v_fmac_f64_e32 v[44:45], v[74:75], v[46:47]
	s_waitcnt vmcnt(26) lgkmcnt(6)
	v_fmac_f64_e32 v[44:45], v[76:77], v[48:49]
	s_waitcnt vmcnt(24)
	v_fmac_f64_e32 v[44:45], v[78:79], v[50:51]
	s_waitcnt vmcnt(22) lgkmcnt(5)
	v_fmac_f64_e32 v[44:45], v[80:81], v[52:53]
	;; [unrolled: 4-line block ×3, first 2 shown]
	s_waitcnt vmcnt(10)
	v_fmac_f64_e32 v[44:45], v[92:93], v[58:59]
	s_waitcnt lgkmcnt(3)
	v_fmac_f64_e32 v[44:45], v[90:91], v[60:61]
	v_fmac_f64_e32 v[44:45], v[88:89], v[62:63]
	s_waitcnt lgkmcnt(2)
	v_fmac_f64_e32 v[44:45], v[86:87], v[64:65]
	s_waitcnt vmcnt(4)
	v_fmac_f64_e32 v[44:45], v[100:101], v[66:67]
	s_waitcnt lgkmcnt(1)
	v_fmac_f64_e32 v[44:45], v[98:99], v[68:69]
	s_waitcnt vmcnt(3)
	v_fmac_f64_e32 v[44:45], v[96:97], v[70:71]
	s_waitcnt vmcnt(2) lgkmcnt(0)
	v_fmac_f64_e32 v[44:45], v[94:95], v[104:105]
	s_waitcnt vmcnt(0)
	v_add_f64 v[44:45], v[102:103], -v[44:45]
	buffer_store_dword v45, off, s[0:3], 0 offset:36
	buffer_store_dword v44, off, s[0:3], 0 offset:32
	s_and_saveexec_b64 s[4:5], vcc
	s_cbranch_execz .LBB83_121
; %bb.120:
	buffer_load_dword v44, off, s[0:3], 0 offset:24
	buffer_load_dword v45, off, s[0:3], 0 offset:28
	s_waitcnt vmcnt(0)
	ds_write_b64 v1, v[44:45]
	buffer_store_dword v42, off, s[0:3], 0 offset:24
	buffer_store_dword v42, off, s[0:3], 0 offset:28
.LBB83_121:
	s_or_b64 exec, exec, s[4:5]
	s_waitcnt lgkmcnt(0)
	; wave barrier
	s_waitcnt lgkmcnt(0)
	buffer_load_dword v76, off, s[0:3], 0 offset:32
	buffer_load_dword v77, off, s[0:3], 0 offset:36
	;; [unrolled: 1-line block ×34, first 2 shown]
	ds_read_b128 v[44:47], v42 offset:192
	ds_read_b128 v[48:51], v42 offset:208
	;; [unrolled: 1-line block ×8, first 2 shown]
	v_cmp_lt_u32_e32 vcc, 2, v0
	s_waitcnt vmcnt(32) lgkmcnt(7)
	v_fma_f64 v[42:43], v[76:77], v[44:45], 0
	s_waitcnt vmcnt(30)
	v_fmac_f64_e32 v[42:43], v[78:79], v[46:47]
	s_waitcnt vmcnt(28) lgkmcnt(6)
	v_fmac_f64_e32 v[42:43], v[80:81], v[48:49]
	s_waitcnt vmcnt(26)
	v_fmac_f64_e32 v[42:43], v[82:83], v[50:51]
	s_waitcnt vmcnt(24) lgkmcnt(5)
	v_fmac_f64_e32 v[42:43], v[84:85], v[52:53]
	;; [unrolled: 4-line block ×3, first 2 shown]
	s_waitcnt vmcnt(12)
	v_fmac_f64_e32 v[42:43], v[96:97], v[58:59]
	s_waitcnt lgkmcnt(3)
	v_fmac_f64_e32 v[42:43], v[94:95], v[60:61]
	v_fmac_f64_e32 v[42:43], v[92:93], v[62:63]
	s_waitcnt lgkmcnt(2)
	v_fmac_f64_e32 v[42:43], v[90:91], v[64:65]
	s_waitcnt vmcnt(5)
	v_fmac_f64_e32 v[42:43], v[104:105], v[66:67]
	s_waitcnt lgkmcnt(1)
	v_fmac_f64_e32 v[42:43], v[102:103], v[68:69]
	v_fmac_f64_e32 v[42:43], v[100:101], v[70:71]
	s_waitcnt vmcnt(4) lgkmcnt(0)
	v_fmac_f64_e32 v[42:43], v[98:99], v[72:73]
	s_waitcnt vmcnt(2)
	v_fmac_f64_e32 v[42:43], v[106:107], v[74:75]
	s_waitcnt vmcnt(0)
	v_add_f64 v[42:43], v[108:109], -v[42:43]
	buffer_store_dword v43, off, s[0:3], 0 offset:28
	buffer_store_dword v42, off, s[0:3], 0 offset:24
	s_and_saveexec_b64 s[4:5], vcc
	s_cbranch_execz .LBB83_123
; %bb.122:
	buffer_load_dword v42, off, s[0:3], 0 offset:16
	buffer_load_dword v43, off, s[0:3], 0 offset:20
	v_mov_b32_e32 v44, 0
	buffer_store_dword v44, off, s[0:3], 0 offset:16
	buffer_store_dword v44, off, s[0:3], 0 offset:20
	s_waitcnt vmcnt(2)
	ds_write_b64 v1, v[42:43]
.LBB83_123:
	s_or_b64 exec, exec, s[4:5]
	s_waitcnt lgkmcnt(0)
	; wave barrier
	s_waitcnt lgkmcnt(0)
	buffer_load_dword v76, off, s[0:3], 0 offset:24
	buffer_load_dword v77, off, s[0:3], 0 offset:28
	;; [unrolled: 1-line block ×36, first 2 shown]
	v_mov_b32_e32 v42, 0
	ds_read2_b64 v[44:47], v42 offset0:23 offset1:24
	ds_read2_b64 v[48:51], v42 offset0:25 offset1:26
	;; [unrolled: 1-line block ×8, first 2 shown]
	ds_read_b64 v[112:113], v42 offset:312
	v_cmp_lt_u32_e32 vcc, 1, v0
	s_waitcnt vmcnt(34) lgkmcnt(8)
	v_fma_f64 v[44:45], v[76:77], v[44:45], 0
	s_waitcnt vmcnt(32)
	v_fmac_f64_e32 v[44:45], v[78:79], v[46:47]
	s_waitcnt vmcnt(30) lgkmcnt(7)
	v_fmac_f64_e32 v[44:45], v[80:81], v[48:49]
	s_waitcnt vmcnt(28)
	v_fmac_f64_e32 v[44:45], v[82:83], v[50:51]
	s_waitcnt vmcnt(26) lgkmcnt(6)
	v_fmac_f64_e32 v[44:45], v[84:85], v[52:53]
	;; [unrolled: 4-line block ×3, first 2 shown]
	s_waitcnt vmcnt(14)
	v_fmac_f64_e32 v[44:45], v[96:97], v[58:59]
	s_waitcnt lgkmcnt(4)
	v_fmac_f64_e32 v[44:45], v[94:95], v[60:61]
	v_fmac_f64_e32 v[44:45], v[92:93], v[62:63]
	s_waitcnt lgkmcnt(3)
	v_fmac_f64_e32 v[44:45], v[90:91], v[64:65]
	s_waitcnt vmcnt(6)
	v_fmac_f64_e32 v[44:45], v[104:105], v[66:67]
	s_waitcnt lgkmcnt(2)
	v_fmac_f64_e32 v[44:45], v[102:103], v[68:69]
	v_fmac_f64_e32 v[44:45], v[100:101], v[70:71]
	s_waitcnt lgkmcnt(1)
	v_fmac_f64_e32 v[44:45], v[98:99], v[72:73]
	s_waitcnt vmcnt(2)
	v_fmac_f64_e32 v[44:45], v[108:109], v[74:75]
	s_waitcnt lgkmcnt(0)
	v_fmac_f64_e32 v[44:45], v[106:107], v[112:113]
	s_waitcnt vmcnt(0)
	v_add_f64 v[44:45], v[110:111], -v[44:45]
	buffer_store_dword v45, off, s[0:3], 0 offset:20
	buffer_store_dword v44, off, s[0:3], 0 offset:16
	s_and_saveexec_b64 s[4:5], vcc
	s_cbranch_execz .LBB83_125
; %bb.124:
	buffer_load_dword v44, off, s[0:3], 0 offset:8
	buffer_load_dword v45, off, s[0:3], 0 offset:12
	s_waitcnt vmcnt(0)
	ds_write_b64 v1, v[44:45]
	buffer_store_dword v42, off, s[0:3], 0 offset:8
	buffer_store_dword v42, off, s[0:3], 0 offset:12
.LBB83_125:
	s_or_b64 exec, exec, s[4:5]
	s_waitcnt lgkmcnt(0)
	; wave barrier
	s_waitcnt lgkmcnt(0)
	buffer_load_dword v80, off, s[0:3], 0 offset:16
	buffer_load_dword v81, off, s[0:3], 0 offset:20
	;; [unrolled: 1-line block ×38, first 2 shown]
	ds_read_b128 v[44:47], v42 offset:176
	ds_read_b128 v[48:51], v42 offset:192
	;; [unrolled: 1-line block ×9, first 2 shown]
	v_cmp_ne_u32_e32 vcc, 0, v0
	s_waitcnt vmcnt(36) lgkmcnt(8)
	v_fma_f64 v[42:43], v[80:81], v[44:45], 0
	s_waitcnt vmcnt(34)
	v_fmac_f64_e32 v[42:43], v[82:83], v[46:47]
	s_waitcnt vmcnt(32) lgkmcnt(7)
	v_fmac_f64_e32 v[42:43], v[84:85], v[48:49]
	s_waitcnt vmcnt(30)
	v_fmac_f64_e32 v[42:43], v[86:87], v[50:51]
	s_waitcnt vmcnt(28) lgkmcnt(6)
	v_fmac_f64_e32 v[42:43], v[88:89], v[52:53]
	;; [unrolled: 4-line block ×3, first 2 shown]
	s_waitcnt vmcnt(16)
	v_fmac_f64_e32 v[42:43], v[100:101], v[58:59]
	s_waitcnt lgkmcnt(4)
	v_fmac_f64_e32 v[42:43], v[98:99], v[60:61]
	v_fmac_f64_e32 v[42:43], v[96:97], v[62:63]
	s_waitcnt lgkmcnt(3)
	v_fmac_f64_e32 v[42:43], v[94:95], v[64:65]
	s_waitcnt vmcnt(8)
	v_fmac_f64_e32 v[42:43], v[108:109], v[66:67]
	s_waitcnt lgkmcnt(2)
	v_fmac_f64_e32 v[42:43], v[106:107], v[68:69]
	v_fmac_f64_e32 v[42:43], v[104:105], v[70:71]
	s_waitcnt lgkmcnt(1)
	v_fmac_f64_e32 v[42:43], v[102:103], v[72:73]
	s_waitcnt vmcnt(3)
	v_fmac_f64_e32 v[42:43], v[114:115], v[74:75]
	s_waitcnt lgkmcnt(0)
	v_fmac_f64_e32 v[42:43], v[112:113], v[76:77]
	s_waitcnt vmcnt(2)
	v_fmac_f64_e32 v[42:43], v[110:111], v[78:79]
	s_waitcnt vmcnt(0)
	v_add_f64 v[42:43], v[116:117], -v[42:43]
	buffer_store_dword v43, off, s[0:3], 0 offset:12
	buffer_store_dword v42, off, s[0:3], 0 offset:8
	s_and_saveexec_b64 s[4:5], vcc
	s_cbranch_execz .LBB83_127
; %bb.126:
	buffer_load_dword v42, off, s[0:3], 0
	buffer_load_dword v43, off, s[0:3], 0 offset:4
	v_mov_b32_e32 v0, 0
	buffer_store_dword v0, off, s[0:3], 0
	buffer_store_dword v0, off, s[0:3], 0 offset:4
	s_waitcnt vmcnt(2)
	ds_write_b64 v1, v[42:43]
.LBB83_127:
	s_or_b64 exec, exec, s[4:5]
	s_waitcnt lgkmcnt(0)
	; wave barrier
	s_waitcnt lgkmcnt(0)
	buffer_load_dword v0, off, s[0:3], 0 offset:8
	buffer_load_dword v1, off, s[0:3], 0 offset:12
	;; [unrolled: 1-line block ×38, first 2 shown]
	buffer_load_dword v114, off, s[0:3], 0
	buffer_load_dword v115, off, s[0:3], 0 offset:4
	v_mov_b32_e32 v116, 0
	ds_read2_b64 v[44:47], v116 offset0:21 offset1:22
	ds_read2_b64 v[48:51], v116 offset0:23 offset1:24
	ds_read2_b64 v[52:55], v116 offset0:25 offset1:26
	ds_read2_b64 v[56:59], v116 offset0:27 offset1:28
	ds_read2_b64 v[60:63], v116 offset0:29 offset1:30
	ds_read2_b64 v[64:67], v116 offset0:31 offset1:32
	ds_read2_b64 v[68:71], v116 offset0:33 offset1:34
	ds_read2_b64 v[72:75], v116 offset0:35 offset1:36
	ds_read2_b64 v[76:79], v116 offset0:37 offset1:38
	ds_read_b64 v[116:117], v116 offset:312
	s_and_b64 vcc, exec, s[16:17]
	s_waitcnt vmcnt(38) lgkmcnt(9)
	v_fma_f64 v[0:1], v[0:1], v[44:45], 0
	s_waitcnt vmcnt(36)
	v_fmac_f64_e32 v[0:1], v[80:81], v[46:47]
	s_waitcnt vmcnt(34) lgkmcnt(8)
	v_fmac_f64_e32 v[0:1], v[82:83], v[48:49]
	s_waitcnt vmcnt(32)
	v_fmac_f64_e32 v[0:1], v[84:85], v[50:51]
	s_waitcnt vmcnt(30) lgkmcnt(7)
	v_fmac_f64_e32 v[0:1], v[86:87], v[52:53]
	;; [unrolled: 4-line block ×3, first 2 shown]
	s_waitcnt vmcnt(18)
	v_fmac_f64_e32 v[0:1], v[98:99], v[58:59]
	s_waitcnt lgkmcnt(5)
	v_fmac_f64_e32 v[0:1], v[96:97], v[60:61]
	v_fmac_f64_e32 v[0:1], v[94:95], v[62:63]
	s_waitcnt lgkmcnt(4)
	v_fmac_f64_e32 v[0:1], v[92:93], v[64:65]
	s_waitcnt vmcnt(10)
	v_fmac_f64_e32 v[0:1], v[106:107], v[66:67]
	s_waitcnt lgkmcnt(3)
	v_fmac_f64_e32 v[0:1], v[104:105], v[68:69]
	v_fmac_f64_e32 v[0:1], v[102:103], v[70:71]
	s_waitcnt lgkmcnt(2)
	v_fmac_f64_e32 v[0:1], v[100:101], v[72:73]
	s_waitcnt vmcnt(4)
	v_fmac_f64_e32 v[0:1], v[112:113], v[74:75]
	s_waitcnt lgkmcnt(1)
	v_fmac_f64_e32 v[0:1], v[110:111], v[76:77]
	s_waitcnt vmcnt(3)
	v_fmac_f64_e32 v[0:1], v[42:43], v[78:79]
	s_waitcnt vmcnt(2) lgkmcnt(0)
	v_fmac_f64_e32 v[0:1], v[108:109], v[116:117]
	s_waitcnt vmcnt(0)
	v_add_f64 v[0:1], v[114:115], -v[0:1]
	buffer_store_dword v1, off, s[0:3], 0 offset:4
	buffer_store_dword v0, off, s[0:3], 0
	s_cbranch_vccz .LBB83_167
; %bb.128:
	v_pk_mov_b32 v[0:1], s[10:11], s[10:11] op_sel:[0,1]
	flat_load_dword v0, v[0:1] offset:72
	s_waitcnt vmcnt(0) lgkmcnt(0)
	v_add_u32_e32 v0, -1, v0
	v_cmp_ne_u32_e32 vcc, 18, v0
	s_and_saveexec_b64 s[4:5], vcc
	s_cbranch_execz .LBB83_130
; %bb.129:
	v_mov_b32_e32 v1, 0
	v_lshl_add_u32 v0, v0, 3, v1
	buffer_load_dword v1, v0, s[0:3], 0 offen offset:4
	buffer_load_dword v44, v0, s[0:3], 0 offen
	s_waitcnt vmcnt(1)
	buffer_store_dword v1, off, s[0:3], 0 offset:148
	s_waitcnt vmcnt(1)
	buffer_store_dword v44, off, s[0:3], 0 offset:144
	buffer_store_dword v43, v0, s[0:3], 0 offen offset:4
	buffer_store_dword v42, v0, s[0:3], 0 offen
.LBB83_130:
	s_or_b64 exec, exec, s[4:5]
	v_pk_mov_b32 v[0:1], s[10:11], s[10:11] op_sel:[0,1]
	flat_load_dword v0, v[0:1] offset:68
	s_waitcnt vmcnt(0) lgkmcnt(0)
	v_add_u32_e32 v0, -1, v0
	v_cmp_ne_u32_e32 vcc, 17, v0
	s_and_saveexec_b64 s[4:5], vcc
	s_cbranch_execz .LBB83_132
; %bb.131:
	v_mov_b32_e32 v1, 0
	v_lshl_add_u32 v0, v0, 3, v1
	buffer_load_dword v1, v0, s[0:3], 0 offen
	buffer_load_dword v42, v0, s[0:3], 0 offen offset:4
	buffer_load_dword v43, off, s[0:3], 0 offset:136
	buffer_load_dword v44, off, s[0:3], 0 offset:140
	s_waitcnt vmcnt(3)
	buffer_store_dword v1, off, s[0:3], 0 offset:136
	s_waitcnt vmcnt(3)
	buffer_store_dword v42, off, s[0:3], 0 offset:140
	s_waitcnt vmcnt(3)
	buffer_store_dword v43, v0, s[0:3], 0 offen
	s_waitcnt vmcnt(3)
	buffer_store_dword v44, v0, s[0:3], 0 offen offset:4
.LBB83_132:
	s_or_b64 exec, exec, s[4:5]
	v_pk_mov_b32 v[0:1], s[10:11], s[10:11] op_sel:[0,1]
	flat_load_dword v0, v[0:1] offset:64
	s_waitcnt vmcnt(0) lgkmcnt(0)
	v_add_u32_e32 v0, -1, v0
	v_cmp_ne_u32_e32 vcc, 16, v0
	s_and_saveexec_b64 s[4:5], vcc
	s_cbranch_execz .LBB83_134
; %bb.133:
	v_mov_b32_e32 v1, 0
	v_lshl_add_u32 v0, v0, 3, v1
	buffer_load_dword v1, v0, s[0:3], 0 offen
	buffer_load_dword v42, v0, s[0:3], 0 offen offset:4
	buffer_load_dword v43, off, s[0:3], 0 offset:132
	buffer_load_dword v44, off, s[0:3], 0 offset:128
	s_waitcnt vmcnt(3)
	buffer_store_dword v1, off, s[0:3], 0 offset:128
	s_waitcnt vmcnt(3)
	buffer_store_dword v42, off, s[0:3], 0 offset:132
	s_waitcnt vmcnt(3)
	buffer_store_dword v43, v0, s[0:3], 0 offen offset:4
	s_waitcnt vmcnt(3)
	buffer_store_dword v44, v0, s[0:3], 0 offen
.LBB83_134:
	s_or_b64 exec, exec, s[4:5]
	v_pk_mov_b32 v[0:1], s[10:11], s[10:11] op_sel:[0,1]
	flat_load_dword v0, v[0:1] offset:60
	s_waitcnt vmcnt(0) lgkmcnt(0)
	v_add_u32_e32 v0, -1, v0
	v_cmp_ne_u32_e32 vcc, 15, v0
	s_and_saveexec_b64 s[4:5], vcc
	s_cbranch_execz .LBB83_136
; %bb.135:
	v_mov_b32_e32 v1, 0
	v_lshl_add_u32 v0, v0, 3, v1
	buffer_load_dword v1, v0, s[0:3], 0 offen
	buffer_load_dword v42, v0, s[0:3], 0 offen offset:4
	buffer_load_dword v43, off, s[0:3], 0 offset:120
	buffer_load_dword v44, off, s[0:3], 0 offset:124
	s_waitcnt vmcnt(3)
	buffer_store_dword v1, off, s[0:3], 0 offset:120
	s_waitcnt vmcnt(3)
	buffer_store_dword v42, off, s[0:3], 0 offset:124
	s_waitcnt vmcnt(3)
	buffer_store_dword v43, v0, s[0:3], 0 offen
	s_waitcnt vmcnt(3)
	buffer_store_dword v44, v0, s[0:3], 0 offen offset:4
.LBB83_136:
	s_or_b64 exec, exec, s[4:5]
	v_pk_mov_b32 v[0:1], s[10:11], s[10:11] op_sel:[0,1]
	flat_load_dword v0, v[0:1] offset:56
	s_waitcnt vmcnt(0) lgkmcnt(0)
	v_add_u32_e32 v0, -1, v0
	v_cmp_ne_u32_e32 vcc, 14, v0
	s_and_saveexec_b64 s[4:5], vcc
	s_cbranch_execz .LBB83_138
; %bb.137:
	v_mov_b32_e32 v1, 0
	v_lshl_add_u32 v0, v0, 3, v1
	buffer_load_dword v1, v0, s[0:3], 0 offen
	buffer_load_dword v42, v0, s[0:3], 0 offen offset:4
	buffer_load_dword v43, off, s[0:3], 0 offset:116
	buffer_load_dword v44, off, s[0:3], 0 offset:112
	s_waitcnt vmcnt(3)
	buffer_store_dword v1, off, s[0:3], 0 offset:112
	s_waitcnt vmcnt(3)
	buffer_store_dword v42, off, s[0:3], 0 offset:116
	s_waitcnt vmcnt(3)
	buffer_store_dword v43, v0, s[0:3], 0 offen offset:4
	s_waitcnt vmcnt(3)
	buffer_store_dword v44, v0, s[0:3], 0 offen
.LBB83_138:
	;; [unrolled: 48-line block ×8, first 2 shown]
	s_or_b64 exec, exec, s[4:5]
	v_pk_mov_b32 v[0:1], s[10:11], s[10:11] op_sel:[0,1]
	flat_load_dword v0, v[0:1] offset:4
	s_waitcnt vmcnt(0) lgkmcnt(0)
	v_add_u32_e32 v0, -1, v0
	v_cmp_ne_u32_e32 vcc, 1, v0
	s_and_saveexec_b64 s[4:5], vcc
	s_cbranch_execz .LBB83_164
; %bb.163:
	v_mov_b32_e32 v1, 0
	v_lshl_add_u32 v0, v0, 3, v1
	buffer_load_dword v1, v0, s[0:3], 0 offen
	buffer_load_dword v42, v0, s[0:3], 0 offen offset:4
	buffer_load_dword v43, off, s[0:3], 0 offset:8
	buffer_load_dword v44, off, s[0:3], 0 offset:12
	s_waitcnt vmcnt(3)
	buffer_store_dword v1, off, s[0:3], 0 offset:8
	s_waitcnt vmcnt(3)
	buffer_store_dword v42, off, s[0:3], 0 offset:12
	s_waitcnt vmcnt(3)
	buffer_store_dword v43, v0, s[0:3], 0 offen
	s_waitcnt vmcnt(3)
	buffer_store_dword v44, v0, s[0:3], 0 offen offset:4
.LBB83_164:
	s_or_b64 exec, exec, s[4:5]
	v_pk_mov_b32 v[0:1], s[10:11], s[10:11] op_sel:[0,1]
	flat_load_dword v42, v[0:1]
	s_nop 0
	buffer_load_dword v0, off, s[0:3], 0
	buffer_load_dword v1, off, s[0:3], 0 offset:4
	s_waitcnt vmcnt(0) lgkmcnt(0)
	v_add_u32_e32 v42, -1, v42
	v_cmp_ne_u32_e32 vcc, 0, v42
	s_and_saveexec_b64 s[4:5], vcc
	s_cbranch_execz .LBB83_166
; %bb.165:
	v_mov_b32_e32 v43, 0
	v_lshl_add_u32 v42, v42, 3, v43
	buffer_load_dword v43, v42, s[0:3], 0 offen offset:4
	buffer_load_dword v44, v42, s[0:3], 0 offen
	s_waitcnt vmcnt(1)
	buffer_store_dword v43, off, s[0:3], 0 offset:4
	s_waitcnt vmcnt(1)
	buffer_store_dword v44, off, s[0:3], 0
	buffer_store_dword v1, v42, s[0:3], 0 offen offset:4
	buffer_store_dword v0, v42, s[0:3], 0 offen
	buffer_load_dword v0, off, s[0:3], 0
	s_nop 0
	buffer_load_dword v1, off, s[0:3], 0 offset:4
.LBB83_166:
	s_or_b64 exec, exec, s[4:5]
.LBB83_167:
	buffer_load_dword v42, off, s[0:3], 0 offset:8
	buffer_load_dword v43, off, s[0:3], 0 offset:12
	;; [unrolled: 1-line block ×38, first 2 shown]
	s_waitcnt vmcnt(38)
	global_store_dwordx2 v[2:3], v[0:1], off
	s_waitcnt vmcnt(37)
	global_store_dwordx2 v[4:5], v[42:43], off
	;; [unrolled: 2-line block ×20, first 2 shown]
	s_endpgm
	.section	.rodata,"a",@progbits
	.p2align	6, 0x0
	.amdhsa_kernel _ZN9rocsolver6v33100L18getri_kernel_smallILi20EdPKPdEEvT1_iilPiilS6_bb
		.amdhsa_group_segment_fixed_size 328
		.amdhsa_private_segment_fixed_size 176
		.amdhsa_kernarg_size 60
		.amdhsa_user_sgpr_count 8
		.amdhsa_user_sgpr_private_segment_buffer 1
		.amdhsa_user_sgpr_dispatch_ptr 0
		.amdhsa_user_sgpr_queue_ptr 0
		.amdhsa_user_sgpr_kernarg_segment_ptr 1
		.amdhsa_user_sgpr_dispatch_id 0
		.amdhsa_user_sgpr_flat_scratch_init 1
		.amdhsa_user_sgpr_kernarg_preload_length 0
		.amdhsa_user_sgpr_kernarg_preload_offset 0
		.amdhsa_user_sgpr_private_segment_size 0
		.amdhsa_uses_dynamic_stack 0
		.amdhsa_system_sgpr_private_segment_wavefront_offset 1
		.amdhsa_system_sgpr_workgroup_id_x 1
		.amdhsa_system_sgpr_workgroup_id_y 0
		.amdhsa_system_sgpr_workgroup_id_z 0
		.amdhsa_system_sgpr_workgroup_info 0
		.amdhsa_system_vgpr_workitem_id 0
		.amdhsa_next_free_vgpr 118
		.amdhsa_next_free_sgpr 22
		.amdhsa_accum_offset 120
		.amdhsa_reserve_vcc 1
		.amdhsa_reserve_flat_scratch 1
		.amdhsa_float_round_mode_32 0
		.amdhsa_float_round_mode_16_64 0
		.amdhsa_float_denorm_mode_32 3
		.amdhsa_float_denorm_mode_16_64 3
		.amdhsa_dx10_clamp 1
		.amdhsa_ieee_mode 1
		.amdhsa_fp16_overflow 0
		.amdhsa_tg_split 0
		.amdhsa_exception_fp_ieee_invalid_op 0
		.amdhsa_exception_fp_denorm_src 0
		.amdhsa_exception_fp_ieee_div_zero 0
		.amdhsa_exception_fp_ieee_overflow 0
		.amdhsa_exception_fp_ieee_underflow 0
		.amdhsa_exception_fp_ieee_inexact 0
		.amdhsa_exception_int_div_zero 0
	.end_amdhsa_kernel
	.section	.text._ZN9rocsolver6v33100L18getri_kernel_smallILi20EdPKPdEEvT1_iilPiilS6_bb,"axG",@progbits,_ZN9rocsolver6v33100L18getri_kernel_smallILi20EdPKPdEEvT1_iilPiilS6_bb,comdat
.Lfunc_end83:
	.size	_ZN9rocsolver6v33100L18getri_kernel_smallILi20EdPKPdEEvT1_iilPiilS6_bb, .Lfunc_end83-_ZN9rocsolver6v33100L18getri_kernel_smallILi20EdPKPdEEvT1_iilPiilS6_bb
                                        ; -- End function
	.section	.AMDGPU.csdata,"",@progbits
; Kernel info:
; codeLenInByte = 15936
; NumSgprs: 28
; NumVgprs: 118
; NumAgprs: 0
; TotalNumVgprs: 118
; ScratchSize: 176
; MemoryBound: 0
; FloatMode: 240
; IeeeMode: 1
; LDSByteSize: 328 bytes/workgroup (compile time only)
; SGPRBlocks: 3
; VGPRBlocks: 14
; NumSGPRsForWavesPerEU: 28
; NumVGPRsForWavesPerEU: 118
; AccumOffset: 120
; Occupancy: 4
; WaveLimiterHint : 1
; COMPUTE_PGM_RSRC2:SCRATCH_EN: 1
; COMPUTE_PGM_RSRC2:USER_SGPR: 8
; COMPUTE_PGM_RSRC2:TRAP_HANDLER: 0
; COMPUTE_PGM_RSRC2:TGID_X_EN: 1
; COMPUTE_PGM_RSRC2:TGID_Y_EN: 0
; COMPUTE_PGM_RSRC2:TGID_Z_EN: 0
; COMPUTE_PGM_RSRC2:TIDIG_COMP_CNT: 0
; COMPUTE_PGM_RSRC3_GFX90A:ACCUM_OFFSET: 29
; COMPUTE_PGM_RSRC3_GFX90A:TG_SPLIT: 0
	.section	.text._ZN9rocsolver6v33100L18getri_kernel_smallILi21EdPKPdEEvT1_iilPiilS6_bb,"axG",@progbits,_ZN9rocsolver6v33100L18getri_kernel_smallILi21EdPKPdEEvT1_iilPiilS6_bb,comdat
	.globl	_ZN9rocsolver6v33100L18getri_kernel_smallILi21EdPKPdEEvT1_iilPiilS6_bb ; -- Begin function _ZN9rocsolver6v33100L18getri_kernel_smallILi21EdPKPdEEvT1_iilPiilS6_bb
	.p2align	8
	.type	_ZN9rocsolver6v33100L18getri_kernel_smallILi21EdPKPdEEvT1_iilPiilS6_bb,@function
_ZN9rocsolver6v33100L18getri_kernel_smallILi21EdPKPdEEvT1_iilPiilS6_bb: ; @_ZN9rocsolver6v33100L18getri_kernel_smallILi21EdPKPdEEvT1_iilPiilS6_bb
; %bb.0:
	s_add_u32 flat_scratch_lo, s6, s9
	s_addc_u32 flat_scratch_hi, s7, 0
	s_add_u32 s0, s0, s9
	s_addc_u32 s1, s1, 0
	v_cmp_gt_u32_e32 vcc, 21, v0
	s_and_saveexec_b64 s[6:7], vcc
	s_cbranch_execz .LBB84_92
; %bb.1:
	s_load_dword s18, s[4:5], 0x38
	s_load_dwordx2 s[6:7], s[4:5], 0x0
	s_load_dwordx4 s[12:15], s[4:5], 0x28
	s_waitcnt lgkmcnt(0)
	s_bitcmp1_b32 s18, 8
	s_cselect_b64 s[16:17], -1, 0
	s_ashr_i32 s9, s8, 31
	s_lshl_b64 s[10:11], s[8:9], 3
	s_add_u32 s6, s6, s10
	s_addc_u32 s7, s7, s11
	s_load_dwordx2 s[6:7], s[6:7], 0x0
	s_bfe_u32 s10, s18, 0x10008
	s_cmp_eq_u32 s10, 0
                                        ; implicit-def: $sgpr10_sgpr11
	s_cbranch_scc1 .LBB84_3
; %bb.2:
	s_load_dword s10, s[4:5], 0x20
	s_load_dwordx2 s[20:21], s[4:5], 0x18
	s_mul_i32 s11, s8, s13
	s_mul_hi_u32 s13, s8, s12
	s_add_i32 s13, s13, s11
	s_mul_i32 s19, s9, s12
	s_add_i32 s13, s13, s19
	s_mul_i32 s12, s8, s12
	s_waitcnt lgkmcnt(0)
	s_ashr_i32 s11, s10, 31
	s_lshl_b64 s[12:13], s[12:13], 2
	s_add_u32 s12, s20, s12
	s_addc_u32 s13, s21, s13
	s_lshl_b64 s[10:11], s[10:11], 2
	s_add_u32 s10, s12, s10
	s_addc_u32 s11, s13, s11
.LBB84_3:
	s_load_dwordx2 s[4:5], s[4:5], 0x8
	v_lshlrev_b32_e32 v1, 3, v0
	s_waitcnt lgkmcnt(0)
	s_ashr_i32 s13, s4, 31
	s_mov_b32 s12, s4
	s_lshl_b64 s[12:13], s[12:13], 3
	s_add_u32 s6, s6, s12
	s_addc_u32 s7, s7, s13
	v_mov_b32_e32 v3, s7
	v_add_co_u32_e32 v2, vcc, s6, v1
	s_ashr_i32 s13, s5, 31
	s_mov_b32 s12, s5
	s_add_i32 s4, s5, s5
	v_addc_co_u32_e32 v3, vcc, 0, v3, vcc
	s_lshl_b64 s[12:13], s[12:13], 3
	v_add_u32_e32 v8, s4, v0
	v_mov_b32_e32 v5, s13
	v_add_co_u32_e32 v4, vcc, s12, v2
	v_ashrrev_i32_e32 v9, 31, v8
	v_addc_co_u32_e32 v5, vcc, v3, v5, vcc
	v_lshlrev_b64 v[6:7], 3, v[8:9]
	v_add_u32_e32 v10, s5, v8
	v_mov_b32_e32 v9, s7
	v_add_co_u32_e32 v6, vcc, s6, v6
	v_ashrrev_i32_e32 v11, 31, v10
	v_addc_co_u32_e32 v7, vcc, v9, v7, vcc
	v_lshlrev_b64 v[8:9], 3, v[10:11]
	v_add_u32_e32 v12, s5, v10
	v_mov_b32_e32 v11, s7
	v_add_co_u32_e32 v8, vcc, s6, v8
	v_ashrrev_i32_e32 v13, 31, v12
	v_addc_co_u32_e32 v9, vcc, v11, v9, vcc
	v_lshlrev_b64 v[10:11], 3, v[12:13]
	v_add_u32_e32 v14, s5, v12
	v_mov_b32_e32 v13, s7
	v_add_co_u32_e32 v10, vcc, s6, v10
	v_ashrrev_i32_e32 v15, 31, v14
	v_addc_co_u32_e32 v11, vcc, v13, v11, vcc
	v_lshlrev_b64 v[12:13], 3, v[14:15]
	v_add_u32_e32 v16, s5, v14
	v_mov_b32_e32 v15, s7
	v_add_co_u32_e32 v12, vcc, s6, v12
	v_ashrrev_i32_e32 v17, 31, v16
	v_addc_co_u32_e32 v13, vcc, v15, v13, vcc
	v_lshlrev_b64 v[14:15], 3, v[16:17]
	v_add_u32_e32 v18, s5, v16
	v_mov_b32_e32 v17, s7
	v_add_co_u32_e32 v14, vcc, s6, v14
	v_ashrrev_i32_e32 v19, 31, v18
	v_addc_co_u32_e32 v15, vcc, v17, v15, vcc
	v_lshlrev_b64 v[16:17], 3, v[18:19]
	v_add_u32_e32 v20, s5, v18
	v_mov_b32_e32 v19, s7
	v_add_co_u32_e32 v16, vcc, s6, v16
	v_ashrrev_i32_e32 v21, 31, v20
	v_addc_co_u32_e32 v17, vcc, v19, v17, vcc
	v_lshlrev_b64 v[18:19], 3, v[20:21]
	v_add_u32_e32 v22, s5, v20
	v_mov_b32_e32 v21, s7
	v_add_co_u32_e32 v18, vcc, s6, v18
	v_ashrrev_i32_e32 v23, 31, v22
	v_addc_co_u32_e32 v19, vcc, v21, v19, vcc
	v_lshlrev_b64 v[20:21], 3, v[22:23]
	v_add_u32_e32 v24, s5, v22
	v_mov_b32_e32 v23, s7
	v_add_co_u32_e32 v20, vcc, s6, v20
	v_ashrrev_i32_e32 v25, 31, v24
	v_addc_co_u32_e32 v21, vcc, v23, v21, vcc
	v_lshlrev_b64 v[22:23], 3, v[24:25]
	v_add_u32_e32 v26, s5, v24
	v_mov_b32_e32 v25, s7
	v_add_co_u32_e32 v22, vcc, s6, v22
	v_ashrrev_i32_e32 v27, 31, v26
	v_addc_co_u32_e32 v23, vcc, v25, v23, vcc
	v_lshlrev_b64 v[24:25], 3, v[26:27]
	v_add_u32_e32 v28, s5, v26
	v_mov_b32_e32 v27, s7
	v_add_co_u32_e32 v24, vcc, s6, v24
	v_ashrrev_i32_e32 v29, 31, v28
	v_addc_co_u32_e32 v25, vcc, v27, v25, vcc
	v_lshlrev_b64 v[26:27], 3, v[28:29]
	v_add_u32_e32 v30, s5, v28
	v_mov_b32_e32 v29, s7
	v_add_co_u32_e32 v26, vcc, s6, v26
	v_ashrrev_i32_e32 v31, 31, v30
	v_addc_co_u32_e32 v27, vcc, v29, v27, vcc
	v_lshlrev_b64 v[28:29], 3, v[30:31]
	v_add_u32_e32 v32, s5, v30
	v_mov_b32_e32 v31, s7
	v_add_co_u32_e32 v28, vcc, s6, v28
	v_ashrrev_i32_e32 v33, 31, v32
	v_addc_co_u32_e32 v29, vcc, v31, v29, vcc
	v_lshlrev_b64 v[30:31], 3, v[32:33]
	v_add_u32_e32 v34, s5, v32
	v_mov_b32_e32 v33, s7
	v_add_co_u32_e32 v30, vcc, s6, v30
	v_ashrrev_i32_e32 v35, 31, v34
	v_addc_co_u32_e32 v31, vcc, v33, v31, vcc
	v_lshlrev_b64 v[32:33], 3, v[34:35]
	v_add_u32_e32 v36, s5, v34
	v_mov_b32_e32 v35, s7
	v_add_co_u32_e32 v32, vcc, s6, v32
	v_ashrrev_i32_e32 v37, 31, v36
	v_addc_co_u32_e32 v33, vcc, v35, v33, vcc
	v_lshlrev_b64 v[34:35], 3, v[36:37]
	v_add_u32_e32 v38, s5, v36
	v_mov_b32_e32 v37, s7
	v_add_co_u32_e32 v34, vcc, s6, v34
	v_ashrrev_i32_e32 v39, 31, v38
	v_addc_co_u32_e32 v35, vcc, v37, v35, vcc
	v_lshlrev_b64 v[36:37], 3, v[38:39]
	v_add_u32_e32 v40, s5, v38
	v_mov_b32_e32 v39, s7
	v_add_co_u32_e32 v36, vcc, s6, v36
	v_ashrrev_i32_e32 v41, 31, v40
	v_addc_co_u32_e32 v37, vcc, v39, v37, vcc
	v_lshlrev_b64 v[38:39], 3, v[40:41]
	v_add_u32_e32 v42, s5, v40
	v_mov_b32_e32 v41, s7
	v_add_co_u32_e32 v38, vcc, s6, v38
	v_ashrrev_i32_e32 v43, 31, v42
	v_addc_co_u32_e32 v39, vcc, v41, v39, vcc
	v_lshlrev_b64 v[40:41], 3, v[42:43]
	v_mov_b32_e32 v43, s7
	v_add_co_u32_e32 v40, vcc, s6, v40
	global_load_dwordx2 v[44:45], v1, s[6:7]
	global_load_dwordx2 v[52:53], v[4:5], off
	global_load_dwordx2 v[48:49], v[6:7], off
	;; [unrolled: 1-line block ×16, first 2 shown]
	v_addc_co_u32_e32 v41, vcc, v43, v41, vcc
	global_load_dwordx2 v[78:79], v[36:37], off
	global_load_dwordx2 v[80:81], v[38:39], off
	;; [unrolled: 1-line block ×3, first 2 shown]
	v_add_u32_e32 v42, s5, v42
	v_ashrrev_i32_e32 v43, 31, v42
	v_lshlrev_b64 v[42:43], 3, v[42:43]
	v_mov_b32_e32 v84, s7
	v_add_co_u32_e32 v42, vcc, s6, v42
	v_addc_co_u32_e32 v43, vcc, v84, v43, vcc
	global_load_dwordx2 v[84:85], v[42:43], off
	s_bitcmp0_b32 s18, 0
	s_mov_b64 s[6:7], -1
	s_waitcnt vmcnt(20)
	buffer_store_dword v45, off, s[0:3], 0 offset:4
	buffer_store_dword v44, off, s[0:3], 0
	s_waitcnt vmcnt(21)
	buffer_store_dword v53, off, s[0:3], 0 offset:12
	buffer_store_dword v52, off, s[0:3], 0 offset:8
	s_waitcnt vmcnt(22)
	buffer_store_dword v49, off, s[0:3], 0 offset:20
	buffer_store_dword v48, off, s[0:3], 0 offset:16
	;; [unrolled: 3-line block ×20, first 2 shown]
	s_cbranch_scc1 .LBB84_90
; %bb.4:
	v_cmp_eq_u32_e64 s[4:5], 0, v0
	s_and_saveexec_b64 s[6:7], s[4:5]
	s_cbranch_execz .LBB84_6
; %bb.5:
	v_mov_b32_e32 v44, 0
	ds_write_b32 v44, v44 offset:168
.LBB84_6:
	s_or_b64 exec, exec, s[6:7]
	v_mov_b32_e32 v44, 0
	v_lshl_add_u32 v44, v0, 3, v44
	s_waitcnt lgkmcnt(0)
	; wave barrier
	s_waitcnt lgkmcnt(0)
	buffer_load_dword v46, v44, s[0:3], 0 offen
	buffer_load_dword v47, v44, s[0:3], 0 offen offset:4
	s_waitcnt vmcnt(0)
	v_cmp_eq_f64_e32 vcc, 0, v[46:47]
	s_and_saveexec_b64 s[12:13], vcc
	s_cbranch_execz .LBB84_10
; %bb.7:
	v_mov_b32_e32 v45, 0
	ds_read_b32 v47, v45 offset:168
	v_add_u32_e32 v46, 1, v0
	s_waitcnt lgkmcnt(0)
	v_readfirstlane_b32 s6, v47
	s_cmp_eq_u32 s6, 0
	s_cselect_b64 s[18:19], -1, 0
	v_cmp_gt_i32_e32 vcc, s6, v46
	s_or_b64 s[18:19], s[18:19], vcc
	s_and_b64 exec, exec, s[18:19]
	s_cbranch_execz .LBB84_10
; %bb.8:
	s_mov_b64 s[18:19], 0
	v_mov_b32_e32 v47, s6
.LBB84_9:                               ; =>This Inner Loop Header: Depth=1
	ds_cmpst_rtn_b32 v47, v45, v47, v46 offset:168
	s_waitcnt lgkmcnt(0)
	v_cmp_ne_u32_e32 vcc, 0, v47
	v_cmp_le_i32_e64 s[6:7], v47, v46
	s_and_b64 s[6:7], vcc, s[6:7]
	s_and_b64 s[6:7], exec, s[6:7]
	s_or_b64 s[18:19], s[6:7], s[18:19]
	s_andn2_b64 exec, exec, s[18:19]
	s_cbranch_execnz .LBB84_9
.LBB84_10:
	s_or_b64 exec, exec, s[12:13]
	v_mov_b32_e32 v46, 0
	s_waitcnt lgkmcnt(0)
	; wave barrier
	ds_read_b32 v45, v46 offset:168
	s_and_saveexec_b64 s[6:7], s[4:5]
	s_cbranch_execz .LBB84_12
; %bb.11:
	s_lshl_b64 s[12:13], s[8:9], 2
	s_add_u32 s12, s14, s12
	s_addc_u32 s13, s15, s13
	s_waitcnt lgkmcnt(0)
	global_store_dword v46, v45, s[12:13]
.LBB84_12:
	s_or_b64 exec, exec, s[6:7]
	s_waitcnt lgkmcnt(0)
	v_cmp_ne_u32_e32 vcc, 0, v45
	s_mov_b64 s[6:7], 0
	s_cbranch_vccnz .LBB84_90
; %bb.13:
	buffer_load_dword v46, v44, s[0:3], 0 offen
	buffer_load_dword v47, v44, s[0:3], 0 offen offset:4
	s_waitcnt vmcnt(0)
	v_div_scale_f64 v[48:49], s[6:7], v[46:47], v[46:47], 1.0
	v_rcp_f64_e32 v[50:51], v[48:49]
	v_div_scale_f64 v[52:53], vcc, 1.0, v[46:47], 1.0
	v_fma_f64 v[54:55], -v[48:49], v[50:51], 1.0
	v_fmac_f64_e32 v[50:51], v[50:51], v[54:55]
	v_fma_f64 v[54:55], -v[48:49], v[50:51], 1.0
	v_fmac_f64_e32 v[50:51], v[50:51], v[54:55]
	v_mul_f64 v[54:55], v[52:53], v[50:51]
	v_fma_f64 v[48:49], -v[48:49], v[54:55], v[52:53]
	v_div_fmas_f64 v[48:49], v[48:49], v[50:51], v[54:55]
	v_div_fixup_f64 v[48:49], v[48:49], v[46:47], 1.0
	buffer_store_dword v49, v44, s[0:3], 0 offen offset:4
	buffer_store_dword v48, v44, s[0:3], 0 offen
	buffer_load_dword v51, off, s[0:3], 0 offset:12
	buffer_load_dword v50, off, s[0:3], 0 offset:8
	v_add_u32_e32 v46, 0xb0, v1
	v_xor_b32_e32 v49, 0x80000000, v49
	s_waitcnt vmcnt(0)
	ds_write2_b64 v1, v[48:49], v[50:51] offset1:22
	s_waitcnt lgkmcnt(0)
	; wave barrier
	s_waitcnt lgkmcnt(0)
	s_and_saveexec_b64 s[6:7], s[4:5]
	s_cbranch_execz .LBB84_15
; %bb.14:
	buffer_load_dword v48, v44, s[0:3], 0 offen
	buffer_load_dword v49, v44, s[0:3], 0 offen offset:4
	v_mov_b32_e32 v45, 0
	ds_read_b64 v[50:51], v46
	ds_read_b64 v[52:53], v45 offset:8
	s_waitcnt vmcnt(0) lgkmcnt(1)
	v_fma_f64 v[48:49], v[48:49], v[50:51], 0
	s_waitcnt lgkmcnt(0)
	v_mul_f64 v[48:49], v[48:49], v[52:53]
	buffer_store_dword v48, off, s[0:3], 0 offset:8
	buffer_store_dword v49, off, s[0:3], 0 offset:12
.LBB84_15:
	s_or_b64 exec, exec, s[6:7]
	s_waitcnt lgkmcnt(0)
	; wave barrier
	buffer_load_dword v48, off, s[0:3], 0 offset:16
	buffer_load_dword v49, off, s[0:3], 0 offset:20
	v_cmp_gt_u32_e32 vcc, 2, v0
	s_waitcnt vmcnt(0)
	ds_write_b64 v46, v[48:49]
	s_waitcnt lgkmcnt(0)
	; wave barrier
	s_waitcnt lgkmcnt(0)
	s_and_saveexec_b64 s[6:7], vcc
	s_cbranch_execz .LBB84_17
; %bb.16:
	buffer_load_dword v45, v44, s[0:3], 0 offen offset:4
	buffer_load_dword v52, off, s[0:3], 0 offset:8
	s_nop 0
	buffer_load_dword v44, v44, s[0:3], 0 offen
	s_nop 0
	buffer_load_dword v53, off, s[0:3], 0 offset:12
	ds_read_b64 v[54:55], v46
	v_mov_b32_e32 v47, 0
	ds_read2_b64 v[48:51], v47 offset0:2 offset1:23
	s_waitcnt vmcnt(1) lgkmcnt(1)
	v_fma_f64 v[44:45], v[44:45], v[54:55], 0
	s_waitcnt vmcnt(0) lgkmcnt(0)
	v_fma_f64 v[50:51], v[52:53], v[50:51], v[44:45]
	v_cndmask_b32_e64 v45, v45, v51, s[4:5]
	v_cndmask_b32_e64 v44, v44, v50, s[4:5]
	v_mul_f64 v[44:45], v[44:45], v[48:49]
	buffer_store_dword v45, off, s[0:3], 0 offset:20
	buffer_store_dword v44, off, s[0:3], 0 offset:16
.LBB84_17:
	s_or_b64 exec, exec, s[6:7]
	s_waitcnt lgkmcnt(0)
	; wave barrier
	buffer_load_dword v44, off, s[0:3], 0 offset:24
	buffer_load_dword v45, off, s[0:3], 0 offset:28
	v_cmp_gt_u32_e32 vcc, 3, v0
	v_add_u32_e32 v47, -1, v0
	s_waitcnt vmcnt(0)
	ds_write_b64 v46, v[44:45]
	s_waitcnt lgkmcnt(0)
	; wave barrier
	s_waitcnt lgkmcnt(0)
	s_and_saveexec_b64 s[4:5], vcc
	s_cbranch_execz .LBB84_21
; %bb.18:
	v_add_u32_e32 v48, -1, v0
	v_add_u32_e32 v49, 0xb0, v1
	v_add_u32_e32 v50, 0, v1
	s_mov_b64 s[6:7], 0
	v_pk_mov_b32 v[44:45], 0, 0
.LBB84_19:                              ; =>This Inner Loop Header: Depth=1
	buffer_load_dword v52, v50, s[0:3], 0 offen
	buffer_load_dword v53, v50, s[0:3], 0 offen offset:4
	ds_read_b64 v[54:55], v49
	v_add_u32_e32 v48, 1, v48
	v_cmp_lt_u32_e32 vcc, 1, v48
	v_add_u32_e32 v49, 8, v49
	v_add_u32_e32 v50, 8, v50
	s_or_b64 s[6:7], vcc, s[6:7]
	s_waitcnt vmcnt(0) lgkmcnt(0)
	v_fmac_f64_e32 v[44:45], v[52:53], v[54:55]
	s_andn2_b64 exec, exec, s[6:7]
	s_cbranch_execnz .LBB84_19
; %bb.20:
	s_or_b64 exec, exec, s[6:7]
	v_mov_b32_e32 v48, 0
	ds_read_b64 v[48:49], v48 offset:24
	s_waitcnt lgkmcnt(0)
	v_mul_f64 v[44:45], v[44:45], v[48:49]
	buffer_store_dword v45, off, s[0:3], 0 offset:28
	buffer_store_dword v44, off, s[0:3], 0 offset:24
.LBB84_21:
	s_or_b64 exec, exec, s[4:5]
	s_waitcnt lgkmcnt(0)
	; wave barrier
	buffer_load_dword v44, off, s[0:3], 0 offset:32
	buffer_load_dword v45, off, s[0:3], 0 offset:36
	v_cmp_gt_u32_e32 vcc, 4, v0
	s_waitcnt vmcnt(0)
	ds_write_b64 v46, v[44:45]
	s_waitcnt lgkmcnt(0)
	; wave barrier
	s_waitcnt lgkmcnt(0)
	s_and_saveexec_b64 s[4:5], vcc
	s_cbranch_execz .LBB84_25
; %bb.22:
	v_add_u32_e32 v48, -1, v0
	v_add_u32_e32 v49, 0xb0, v1
	v_add_u32_e32 v50, 0, v1
	s_mov_b64 s[6:7], 0
	v_pk_mov_b32 v[44:45], 0, 0
.LBB84_23:                              ; =>This Inner Loop Header: Depth=1
	buffer_load_dword v52, v50, s[0:3], 0 offen
	buffer_load_dword v53, v50, s[0:3], 0 offen offset:4
	ds_read_b64 v[54:55], v49
	v_add_u32_e32 v48, 1, v48
	v_cmp_lt_u32_e32 vcc, 2, v48
	v_add_u32_e32 v49, 8, v49
	v_add_u32_e32 v50, 8, v50
	s_or_b64 s[6:7], vcc, s[6:7]
	s_waitcnt vmcnt(0) lgkmcnt(0)
	v_fmac_f64_e32 v[44:45], v[52:53], v[54:55]
	s_andn2_b64 exec, exec, s[6:7]
	s_cbranch_execnz .LBB84_23
; %bb.24:
	s_or_b64 exec, exec, s[6:7]
	v_mov_b32_e32 v48, 0
	ds_read_b64 v[48:49], v48 offset:32
	s_waitcnt lgkmcnt(0)
	v_mul_f64 v[44:45], v[44:45], v[48:49]
	buffer_store_dword v45, off, s[0:3], 0 offset:36
	buffer_store_dword v44, off, s[0:3], 0 offset:32
.LBB84_25:
	s_or_b64 exec, exec, s[4:5]
	s_waitcnt lgkmcnt(0)
	; wave barrier
	buffer_load_dword v44, off, s[0:3], 0 offset:40
	buffer_load_dword v45, off, s[0:3], 0 offset:44
	v_cmp_gt_u32_e32 vcc, 5, v0
	s_waitcnt vmcnt(0)
	ds_write_b64 v46, v[44:45]
	s_waitcnt lgkmcnt(0)
	; wave barrier
	s_waitcnt lgkmcnt(0)
	s_and_saveexec_b64 s[4:5], vcc
	s_cbranch_execz .LBB84_29
; %bb.26:
	v_add_u32_e32 v48, -1, v0
	v_add_u32_e32 v49, 0xb0, v1
	v_add_u32_e32 v50, 0, v1
	s_mov_b64 s[6:7], 0
	v_pk_mov_b32 v[44:45], 0, 0
.LBB84_27:                              ; =>This Inner Loop Header: Depth=1
	buffer_load_dword v52, v50, s[0:3], 0 offen
	buffer_load_dword v53, v50, s[0:3], 0 offen offset:4
	ds_read_b64 v[54:55], v49
	v_add_u32_e32 v48, 1, v48
	v_cmp_lt_u32_e32 vcc, 3, v48
	v_add_u32_e32 v49, 8, v49
	v_add_u32_e32 v50, 8, v50
	s_or_b64 s[6:7], vcc, s[6:7]
	s_waitcnt vmcnt(0) lgkmcnt(0)
	v_fmac_f64_e32 v[44:45], v[52:53], v[54:55]
	s_andn2_b64 exec, exec, s[6:7]
	s_cbranch_execnz .LBB84_27
; %bb.28:
	s_or_b64 exec, exec, s[6:7]
	v_mov_b32_e32 v48, 0
	ds_read_b64 v[48:49], v48 offset:40
	s_waitcnt lgkmcnt(0)
	v_mul_f64 v[44:45], v[44:45], v[48:49]
	buffer_store_dword v45, off, s[0:3], 0 offset:44
	buffer_store_dword v44, off, s[0:3], 0 offset:40
.LBB84_29:
	s_or_b64 exec, exec, s[4:5]
	s_waitcnt lgkmcnt(0)
	; wave barrier
	buffer_load_dword v44, off, s[0:3], 0 offset:48
	buffer_load_dword v45, off, s[0:3], 0 offset:52
	v_cmp_gt_u32_e32 vcc, 6, v0
	s_waitcnt vmcnt(0)
	ds_write_b64 v46, v[44:45]
	s_waitcnt lgkmcnt(0)
	; wave barrier
	s_waitcnt lgkmcnt(0)
	s_and_saveexec_b64 s[4:5], vcc
	s_cbranch_execz .LBB84_33
; %bb.30:
	v_add_u32_e32 v48, -1, v0
	v_add_u32_e32 v49, 0xb0, v1
	v_add_u32_e32 v50, 0, v1
	s_mov_b64 s[6:7], 0
	v_pk_mov_b32 v[44:45], 0, 0
.LBB84_31:                              ; =>This Inner Loop Header: Depth=1
	buffer_load_dword v52, v50, s[0:3], 0 offen
	buffer_load_dword v53, v50, s[0:3], 0 offen offset:4
	ds_read_b64 v[54:55], v49
	v_add_u32_e32 v48, 1, v48
	v_cmp_lt_u32_e32 vcc, 4, v48
	v_add_u32_e32 v49, 8, v49
	v_add_u32_e32 v50, 8, v50
	s_or_b64 s[6:7], vcc, s[6:7]
	s_waitcnt vmcnt(0) lgkmcnt(0)
	v_fmac_f64_e32 v[44:45], v[52:53], v[54:55]
	s_andn2_b64 exec, exec, s[6:7]
	s_cbranch_execnz .LBB84_31
; %bb.32:
	s_or_b64 exec, exec, s[6:7]
	v_mov_b32_e32 v48, 0
	ds_read_b64 v[48:49], v48 offset:48
	s_waitcnt lgkmcnt(0)
	v_mul_f64 v[44:45], v[44:45], v[48:49]
	buffer_store_dword v45, off, s[0:3], 0 offset:52
	buffer_store_dword v44, off, s[0:3], 0 offset:48
.LBB84_33:
	s_or_b64 exec, exec, s[4:5]
	s_waitcnt lgkmcnt(0)
	; wave barrier
	buffer_load_dword v44, off, s[0:3], 0 offset:56
	buffer_load_dword v45, off, s[0:3], 0 offset:60
	v_cmp_gt_u32_e32 vcc, 7, v0
	s_waitcnt vmcnt(0)
	ds_write_b64 v46, v[44:45]
	s_waitcnt lgkmcnt(0)
	; wave barrier
	s_waitcnt lgkmcnt(0)
	s_and_saveexec_b64 s[4:5], vcc
	s_cbranch_execz .LBB84_37
; %bb.34:
	v_add_u32_e32 v48, -1, v0
	v_add_u32_e32 v49, 0xb0, v1
	v_add_u32_e32 v50, 0, v1
	s_mov_b64 s[6:7], 0
	v_pk_mov_b32 v[44:45], 0, 0
.LBB84_35:                              ; =>This Inner Loop Header: Depth=1
	buffer_load_dword v52, v50, s[0:3], 0 offen
	buffer_load_dword v53, v50, s[0:3], 0 offen offset:4
	ds_read_b64 v[54:55], v49
	v_add_u32_e32 v48, 1, v48
	v_cmp_lt_u32_e32 vcc, 5, v48
	v_add_u32_e32 v49, 8, v49
	v_add_u32_e32 v50, 8, v50
	s_or_b64 s[6:7], vcc, s[6:7]
	s_waitcnt vmcnt(0) lgkmcnt(0)
	v_fmac_f64_e32 v[44:45], v[52:53], v[54:55]
	s_andn2_b64 exec, exec, s[6:7]
	s_cbranch_execnz .LBB84_35
; %bb.36:
	s_or_b64 exec, exec, s[6:7]
	v_mov_b32_e32 v48, 0
	ds_read_b64 v[48:49], v48 offset:56
	s_waitcnt lgkmcnt(0)
	v_mul_f64 v[44:45], v[44:45], v[48:49]
	buffer_store_dword v45, off, s[0:3], 0 offset:60
	buffer_store_dword v44, off, s[0:3], 0 offset:56
.LBB84_37:
	s_or_b64 exec, exec, s[4:5]
	s_waitcnt lgkmcnt(0)
	; wave barrier
	buffer_load_dword v44, off, s[0:3], 0 offset:64
	buffer_load_dword v45, off, s[0:3], 0 offset:68
	v_cmp_gt_u32_e32 vcc, 8, v0
	s_waitcnt vmcnt(0)
	ds_write_b64 v46, v[44:45]
	s_waitcnt lgkmcnt(0)
	; wave barrier
	s_waitcnt lgkmcnt(0)
	s_and_saveexec_b64 s[4:5], vcc
	s_cbranch_execz .LBB84_41
; %bb.38:
	v_add_u32_e32 v48, -1, v0
	v_add_u32_e32 v49, 0xb0, v1
	v_add_u32_e32 v50, 0, v1
	s_mov_b64 s[6:7], 0
	v_pk_mov_b32 v[44:45], 0, 0
.LBB84_39:                              ; =>This Inner Loop Header: Depth=1
	buffer_load_dword v52, v50, s[0:3], 0 offen
	buffer_load_dword v53, v50, s[0:3], 0 offen offset:4
	ds_read_b64 v[54:55], v49
	v_add_u32_e32 v48, 1, v48
	v_cmp_lt_u32_e32 vcc, 6, v48
	v_add_u32_e32 v49, 8, v49
	v_add_u32_e32 v50, 8, v50
	s_or_b64 s[6:7], vcc, s[6:7]
	s_waitcnt vmcnt(0) lgkmcnt(0)
	v_fmac_f64_e32 v[44:45], v[52:53], v[54:55]
	s_andn2_b64 exec, exec, s[6:7]
	s_cbranch_execnz .LBB84_39
; %bb.40:
	s_or_b64 exec, exec, s[6:7]
	v_mov_b32_e32 v48, 0
	ds_read_b64 v[48:49], v48 offset:64
	s_waitcnt lgkmcnt(0)
	v_mul_f64 v[44:45], v[44:45], v[48:49]
	buffer_store_dword v45, off, s[0:3], 0 offset:68
	buffer_store_dword v44, off, s[0:3], 0 offset:64
.LBB84_41:
	s_or_b64 exec, exec, s[4:5]
	s_waitcnt lgkmcnt(0)
	; wave barrier
	buffer_load_dword v44, off, s[0:3], 0 offset:72
	buffer_load_dword v45, off, s[0:3], 0 offset:76
	v_cmp_gt_u32_e32 vcc, 9, v0
	s_waitcnt vmcnt(0)
	ds_write_b64 v46, v[44:45]
	s_waitcnt lgkmcnt(0)
	; wave barrier
	s_waitcnt lgkmcnt(0)
	s_and_saveexec_b64 s[4:5], vcc
	s_cbranch_execz .LBB84_45
; %bb.42:
	v_add_u32_e32 v48, -1, v0
	v_add_u32_e32 v49, 0xb0, v1
	v_add_u32_e32 v50, 0, v1
	s_mov_b64 s[6:7], 0
	v_pk_mov_b32 v[44:45], 0, 0
.LBB84_43:                              ; =>This Inner Loop Header: Depth=1
	buffer_load_dword v52, v50, s[0:3], 0 offen
	buffer_load_dword v53, v50, s[0:3], 0 offen offset:4
	ds_read_b64 v[54:55], v49
	v_add_u32_e32 v48, 1, v48
	v_cmp_lt_u32_e32 vcc, 7, v48
	v_add_u32_e32 v49, 8, v49
	v_add_u32_e32 v50, 8, v50
	s_or_b64 s[6:7], vcc, s[6:7]
	s_waitcnt vmcnt(0) lgkmcnt(0)
	v_fmac_f64_e32 v[44:45], v[52:53], v[54:55]
	s_andn2_b64 exec, exec, s[6:7]
	s_cbranch_execnz .LBB84_43
; %bb.44:
	s_or_b64 exec, exec, s[6:7]
	v_mov_b32_e32 v48, 0
	ds_read_b64 v[48:49], v48 offset:72
	s_waitcnt lgkmcnt(0)
	v_mul_f64 v[44:45], v[44:45], v[48:49]
	buffer_store_dword v45, off, s[0:3], 0 offset:76
	buffer_store_dword v44, off, s[0:3], 0 offset:72
.LBB84_45:
	s_or_b64 exec, exec, s[4:5]
	s_waitcnt lgkmcnt(0)
	; wave barrier
	buffer_load_dword v44, off, s[0:3], 0 offset:80
	buffer_load_dword v45, off, s[0:3], 0 offset:84
	v_cmp_gt_u32_e32 vcc, 10, v0
	s_waitcnt vmcnt(0)
	ds_write_b64 v46, v[44:45]
	s_waitcnt lgkmcnt(0)
	; wave barrier
	s_waitcnt lgkmcnt(0)
	s_and_saveexec_b64 s[4:5], vcc
	s_cbranch_execz .LBB84_49
; %bb.46:
	v_add_u32_e32 v48, -1, v0
	v_add_u32_e32 v49, 0xb0, v1
	v_add_u32_e32 v50, 0, v1
	s_mov_b64 s[6:7], 0
	v_pk_mov_b32 v[44:45], 0, 0
.LBB84_47:                              ; =>This Inner Loop Header: Depth=1
	buffer_load_dword v52, v50, s[0:3], 0 offen
	buffer_load_dword v53, v50, s[0:3], 0 offen offset:4
	ds_read_b64 v[54:55], v49
	v_add_u32_e32 v48, 1, v48
	v_cmp_lt_u32_e32 vcc, 8, v48
	v_add_u32_e32 v49, 8, v49
	v_add_u32_e32 v50, 8, v50
	s_or_b64 s[6:7], vcc, s[6:7]
	s_waitcnt vmcnt(0) lgkmcnt(0)
	v_fmac_f64_e32 v[44:45], v[52:53], v[54:55]
	s_andn2_b64 exec, exec, s[6:7]
	s_cbranch_execnz .LBB84_47
; %bb.48:
	s_or_b64 exec, exec, s[6:7]
	v_mov_b32_e32 v48, 0
	ds_read_b64 v[48:49], v48 offset:80
	s_waitcnt lgkmcnt(0)
	v_mul_f64 v[44:45], v[44:45], v[48:49]
	buffer_store_dword v45, off, s[0:3], 0 offset:84
	buffer_store_dword v44, off, s[0:3], 0 offset:80
.LBB84_49:
	s_or_b64 exec, exec, s[4:5]
	s_waitcnt lgkmcnt(0)
	; wave barrier
	buffer_load_dword v44, off, s[0:3], 0 offset:88
	buffer_load_dword v45, off, s[0:3], 0 offset:92
	v_cmp_gt_u32_e32 vcc, 11, v0
	s_waitcnt vmcnt(0)
	ds_write_b64 v46, v[44:45]
	s_waitcnt lgkmcnt(0)
	; wave barrier
	s_waitcnt lgkmcnt(0)
	s_and_saveexec_b64 s[4:5], vcc
	s_cbranch_execz .LBB84_53
; %bb.50:
	v_add_u32_e32 v48, -1, v0
	v_add_u32_e32 v49, 0xb0, v1
	v_add_u32_e32 v50, 0, v1
	s_mov_b64 s[6:7], 0
	v_pk_mov_b32 v[44:45], 0, 0
.LBB84_51:                              ; =>This Inner Loop Header: Depth=1
	buffer_load_dword v52, v50, s[0:3], 0 offen
	buffer_load_dword v53, v50, s[0:3], 0 offen offset:4
	ds_read_b64 v[54:55], v49
	v_add_u32_e32 v48, 1, v48
	v_cmp_lt_u32_e32 vcc, 9, v48
	v_add_u32_e32 v49, 8, v49
	v_add_u32_e32 v50, 8, v50
	s_or_b64 s[6:7], vcc, s[6:7]
	s_waitcnt vmcnt(0) lgkmcnt(0)
	v_fmac_f64_e32 v[44:45], v[52:53], v[54:55]
	s_andn2_b64 exec, exec, s[6:7]
	s_cbranch_execnz .LBB84_51
; %bb.52:
	s_or_b64 exec, exec, s[6:7]
	v_mov_b32_e32 v48, 0
	ds_read_b64 v[48:49], v48 offset:88
	s_waitcnt lgkmcnt(0)
	v_mul_f64 v[44:45], v[44:45], v[48:49]
	buffer_store_dword v45, off, s[0:3], 0 offset:92
	buffer_store_dword v44, off, s[0:3], 0 offset:88
.LBB84_53:
	s_or_b64 exec, exec, s[4:5]
	s_waitcnt lgkmcnt(0)
	; wave barrier
	buffer_load_dword v44, off, s[0:3], 0 offset:96
	buffer_load_dword v45, off, s[0:3], 0 offset:100
	v_cmp_gt_u32_e32 vcc, 12, v0
	s_waitcnt vmcnt(0)
	ds_write_b64 v46, v[44:45]
	s_waitcnt lgkmcnt(0)
	; wave barrier
	s_waitcnt lgkmcnt(0)
	s_and_saveexec_b64 s[4:5], vcc
	s_cbranch_execz .LBB84_57
; %bb.54:
	v_add_u32_e32 v48, -1, v0
	v_add_u32_e32 v49, 0xb0, v1
	v_add_u32_e32 v50, 0, v1
	s_mov_b64 s[6:7], 0
	v_pk_mov_b32 v[44:45], 0, 0
.LBB84_55:                              ; =>This Inner Loop Header: Depth=1
	buffer_load_dword v52, v50, s[0:3], 0 offen
	buffer_load_dword v53, v50, s[0:3], 0 offen offset:4
	ds_read_b64 v[54:55], v49
	v_add_u32_e32 v48, 1, v48
	v_cmp_lt_u32_e32 vcc, 10, v48
	v_add_u32_e32 v49, 8, v49
	v_add_u32_e32 v50, 8, v50
	s_or_b64 s[6:7], vcc, s[6:7]
	s_waitcnt vmcnt(0) lgkmcnt(0)
	v_fmac_f64_e32 v[44:45], v[52:53], v[54:55]
	s_andn2_b64 exec, exec, s[6:7]
	s_cbranch_execnz .LBB84_55
; %bb.56:
	s_or_b64 exec, exec, s[6:7]
	v_mov_b32_e32 v48, 0
	ds_read_b64 v[48:49], v48 offset:96
	s_waitcnt lgkmcnt(0)
	v_mul_f64 v[44:45], v[44:45], v[48:49]
	buffer_store_dword v45, off, s[0:3], 0 offset:100
	buffer_store_dword v44, off, s[0:3], 0 offset:96
.LBB84_57:
	s_or_b64 exec, exec, s[4:5]
	s_waitcnt lgkmcnt(0)
	; wave barrier
	buffer_load_dword v44, off, s[0:3], 0 offset:104
	buffer_load_dword v45, off, s[0:3], 0 offset:108
	v_cmp_gt_u32_e32 vcc, 13, v0
	s_waitcnt vmcnt(0)
	ds_write_b64 v46, v[44:45]
	s_waitcnt lgkmcnt(0)
	; wave barrier
	s_waitcnt lgkmcnt(0)
	s_and_saveexec_b64 s[4:5], vcc
	s_cbranch_execz .LBB84_61
; %bb.58:
	v_add_u32_e32 v48, -1, v0
	v_add_u32_e32 v49, 0xb0, v1
	v_add_u32_e32 v50, 0, v1
	s_mov_b64 s[6:7], 0
	v_pk_mov_b32 v[44:45], 0, 0
.LBB84_59:                              ; =>This Inner Loop Header: Depth=1
	buffer_load_dword v52, v50, s[0:3], 0 offen
	buffer_load_dword v53, v50, s[0:3], 0 offen offset:4
	ds_read_b64 v[54:55], v49
	v_add_u32_e32 v48, 1, v48
	v_cmp_lt_u32_e32 vcc, 11, v48
	v_add_u32_e32 v49, 8, v49
	v_add_u32_e32 v50, 8, v50
	s_or_b64 s[6:7], vcc, s[6:7]
	s_waitcnt vmcnt(0) lgkmcnt(0)
	v_fmac_f64_e32 v[44:45], v[52:53], v[54:55]
	s_andn2_b64 exec, exec, s[6:7]
	s_cbranch_execnz .LBB84_59
; %bb.60:
	s_or_b64 exec, exec, s[6:7]
	v_mov_b32_e32 v48, 0
	ds_read_b64 v[48:49], v48 offset:104
	s_waitcnt lgkmcnt(0)
	v_mul_f64 v[44:45], v[44:45], v[48:49]
	buffer_store_dword v45, off, s[0:3], 0 offset:108
	buffer_store_dword v44, off, s[0:3], 0 offset:104
.LBB84_61:
	s_or_b64 exec, exec, s[4:5]
	s_waitcnt lgkmcnt(0)
	; wave barrier
	buffer_load_dword v44, off, s[0:3], 0 offset:112
	buffer_load_dword v45, off, s[0:3], 0 offset:116
	v_cmp_gt_u32_e32 vcc, 14, v0
	s_waitcnt vmcnt(0)
	ds_write_b64 v46, v[44:45]
	s_waitcnt lgkmcnt(0)
	; wave barrier
	s_waitcnt lgkmcnt(0)
	s_and_saveexec_b64 s[4:5], vcc
	s_cbranch_execz .LBB84_65
; %bb.62:
	v_add_u32_e32 v48, -1, v0
	v_add_u32_e32 v49, 0xb0, v1
	v_add_u32_e32 v50, 0, v1
	s_mov_b64 s[6:7], 0
	v_pk_mov_b32 v[44:45], 0, 0
.LBB84_63:                              ; =>This Inner Loop Header: Depth=1
	buffer_load_dword v52, v50, s[0:3], 0 offen
	buffer_load_dword v53, v50, s[0:3], 0 offen offset:4
	ds_read_b64 v[54:55], v49
	v_add_u32_e32 v48, 1, v48
	v_cmp_lt_u32_e32 vcc, 12, v48
	v_add_u32_e32 v49, 8, v49
	v_add_u32_e32 v50, 8, v50
	s_or_b64 s[6:7], vcc, s[6:7]
	s_waitcnt vmcnt(0) lgkmcnt(0)
	v_fmac_f64_e32 v[44:45], v[52:53], v[54:55]
	s_andn2_b64 exec, exec, s[6:7]
	s_cbranch_execnz .LBB84_63
; %bb.64:
	s_or_b64 exec, exec, s[6:7]
	v_mov_b32_e32 v48, 0
	ds_read_b64 v[48:49], v48 offset:112
	s_waitcnt lgkmcnt(0)
	v_mul_f64 v[44:45], v[44:45], v[48:49]
	buffer_store_dword v45, off, s[0:3], 0 offset:116
	buffer_store_dword v44, off, s[0:3], 0 offset:112
.LBB84_65:
	s_or_b64 exec, exec, s[4:5]
	s_waitcnt lgkmcnt(0)
	; wave barrier
	buffer_load_dword v44, off, s[0:3], 0 offset:120
	buffer_load_dword v45, off, s[0:3], 0 offset:124
	v_cmp_gt_u32_e32 vcc, 15, v0
	s_waitcnt vmcnt(0)
	ds_write_b64 v46, v[44:45]
	s_waitcnt lgkmcnt(0)
	; wave barrier
	s_waitcnt lgkmcnt(0)
	s_and_saveexec_b64 s[4:5], vcc
	s_cbranch_execz .LBB84_69
; %bb.66:
	v_add_u32_e32 v48, -1, v0
	v_add_u32_e32 v49, 0xb0, v1
	v_add_u32_e32 v50, 0, v1
	s_mov_b64 s[6:7], 0
	v_pk_mov_b32 v[44:45], 0, 0
.LBB84_67:                              ; =>This Inner Loop Header: Depth=1
	buffer_load_dword v52, v50, s[0:3], 0 offen
	buffer_load_dword v53, v50, s[0:3], 0 offen offset:4
	ds_read_b64 v[54:55], v49
	v_add_u32_e32 v48, 1, v48
	v_cmp_lt_u32_e32 vcc, 13, v48
	v_add_u32_e32 v49, 8, v49
	v_add_u32_e32 v50, 8, v50
	s_or_b64 s[6:7], vcc, s[6:7]
	s_waitcnt vmcnt(0) lgkmcnt(0)
	v_fmac_f64_e32 v[44:45], v[52:53], v[54:55]
	s_andn2_b64 exec, exec, s[6:7]
	s_cbranch_execnz .LBB84_67
; %bb.68:
	s_or_b64 exec, exec, s[6:7]
	v_mov_b32_e32 v48, 0
	ds_read_b64 v[48:49], v48 offset:120
	s_waitcnt lgkmcnt(0)
	v_mul_f64 v[44:45], v[44:45], v[48:49]
	buffer_store_dword v45, off, s[0:3], 0 offset:124
	buffer_store_dword v44, off, s[0:3], 0 offset:120
.LBB84_69:
	s_or_b64 exec, exec, s[4:5]
	s_waitcnt lgkmcnt(0)
	; wave barrier
	buffer_load_dword v44, off, s[0:3], 0 offset:128
	buffer_load_dword v45, off, s[0:3], 0 offset:132
	v_cmp_gt_u32_e32 vcc, 16, v0
	s_waitcnt vmcnt(0)
	ds_write_b64 v46, v[44:45]
	s_waitcnt lgkmcnt(0)
	; wave barrier
	s_waitcnt lgkmcnt(0)
	s_and_saveexec_b64 s[4:5], vcc
	s_cbranch_execz .LBB84_73
; %bb.70:
	v_add_u32_e32 v48, -1, v0
	v_add_u32_e32 v49, 0xb0, v1
	v_add_u32_e32 v50, 0, v1
	s_mov_b64 s[6:7], 0
	v_pk_mov_b32 v[44:45], 0, 0
.LBB84_71:                              ; =>This Inner Loop Header: Depth=1
	buffer_load_dword v52, v50, s[0:3], 0 offen
	buffer_load_dword v53, v50, s[0:3], 0 offen offset:4
	ds_read_b64 v[54:55], v49
	v_add_u32_e32 v48, 1, v48
	v_cmp_lt_u32_e32 vcc, 14, v48
	v_add_u32_e32 v49, 8, v49
	v_add_u32_e32 v50, 8, v50
	s_or_b64 s[6:7], vcc, s[6:7]
	s_waitcnt vmcnt(0) lgkmcnt(0)
	v_fmac_f64_e32 v[44:45], v[52:53], v[54:55]
	s_andn2_b64 exec, exec, s[6:7]
	s_cbranch_execnz .LBB84_71
; %bb.72:
	s_or_b64 exec, exec, s[6:7]
	v_mov_b32_e32 v48, 0
	ds_read_b64 v[48:49], v48 offset:128
	s_waitcnt lgkmcnt(0)
	v_mul_f64 v[44:45], v[44:45], v[48:49]
	buffer_store_dword v45, off, s[0:3], 0 offset:132
	buffer_store_dword v44, off, s[0:3], 0 offset:128
.LBB84_73:
	s_or_b64 exec, exec, s[4:5]
	s_waitcnt lgkmcnt(0)
	; wave barrier
	buffer_load_dword v44, off, s[0:3], 0 offset:136
	buffer_load_dword v45, off, s[0:3], 0 offset:140
	v_cmp_gt_u32_e32 vcc, 17, v0
	s_waitcnt vmcnt(0)
	ds_write_b64 v46, v[44:45]
	s_waitcnt lgkmcnt(0)
	; wave barrier
	s_waitcnt lgkmcnt(0)
	s_and_saveexec_b64 s[4:5], vcc
	s_cbranch_execz .LBB84_77
; %bb.74:
	v_add_u32_e32 v48, -1, v0
	v_add_u32_e32 v49, 0xb0, v1
	v_add_u32_e32 v50, 0, v1
	s_mov_b64 s[6:7], 0
	v_pk_mov_b32 v[44:45], 0, 0
.LBB84_75:                              ; =>This Inner Loop Header: Depth=1
	buffer_load_dword v52, v50, s[0:3], 0 offen
	buffer_load_dword v53, v50, s[0:3], 0 offen offset:4
	ds_read_b64 v[54:55], v49
	v_add_u32_e32 v48, 1, v48
	v_cmp_lt_u32_e32 vcc, 15, v48
	v_add_u32_e32 v49, 8, v49
	v_add_u32_e32 v50, 8, v50
	s_or_b64 s[6:7], vcc, s[6:7]
	s_waitcnt vmcnt(0) lgkmcnt(0)
	v_fmac_f64_e32 v[44:45], v[52:53], v[54:55]
	s_andn2_b64 exec, exec, s[6:7]
	s_cbranch_execnz .LBB84_75
; %bb.76:
	s_or_b64 exec, exec, s[6:7]
	v_mov_b32_e32 v48, 0
	ds_read_b64 v[48:49], v48 offset:136
	s_waitcnt lgkmcnt(0)
	v_mul_f64 v[44:45], v[44:45], v[48:49]
	buffer_store_dword v45, off, s[0:3], 0 offset:140
	buffer_store_dword v44, off, s[0:3], 0 offset:136
.LBB84_77:
	s_or_b64 exec, exec, s[4:5]
	s_waitcnt lgkmcnt(0)
	; wave barrier
	buffer_load_dword v44, off, s[0:3], 0 offset:144
	buffer_load_dword v45, off, s[0:3], 0 offset:148
	v_cmp_gt_u32_e32 vcc, 18, v0
	s_waitcnt vmcnt(0)
	ds_write_b64 v46, v[44:45]
	s_waitcnt lgkmcnt(0)
	; wave barrier
	s_waitcnt lgkmcnt(0)
	s_and_saveexec_b64 s[4:5], vcc
	s_cbranch_execz .LBB84_81
; %bb.78:
	v_add_u32_e32 v48, -1, v0
	v_add_u32_e32 v49, 0xb0, v1
	v_add_u32_e32 v50, 0, v1
	s_mov_b64 s[6:7], 0
	v_pk_mov_b32 v[44:45], 0, 0
.LBB84_79:                              ; =>This Inner Loop Header: Depth=1
	buffer_load_dword v52, v50, s[0:3], 0 offen
	buffer_load_dword v53, v50, s[0:3], 0 offen offset:4
	ds_read_b64 v[54:55], v49
	v_add_u32_e32 v48, 1, v48
	v_cmp_lt_u32_e32 vcc, 16, v48
	v_add_u32_e32 v49, 8, v49
	v_add_u32_e32 v50, 8, v50
	s_or_b64 s[6:7], vcc, s[6:7]
	s_waitcnt vmcnt(0) lgkmcnt(0)
	v_fmac_f64_e32 v[44:45], v[52:53], v[54:55]
	s_andn2_b64 exec, exec, s[6:7]
	s_cbranch_execnz .LBB84_79
; %bb.80:
	s_or_b64 exec, exec, s[6:7]
	v_mov_b32_e32 v48, 0
	ds_read_b64 v[48:49], v48 offset:144
	s_waitcnt lgkmcnt(0)
	v_mul_f64 v[44:45], v[44:45], v[48:49]
	buffer_store_dword v45, off, s[0:3], 0 offset:148
	buffer_store_dword v44, off, s[0:3], 0 offset:144
.LBB84_81:
	s_or_b64 exec, exec, s[4:5]
	s_waitcnt lgkmcnt(0)
	; wave barrier
	buffer_load_dword v44, off, s[0:3], 0 offset:152
	buffer_load_dword v45, off, s[0:3], 0 offset:156
	v_cmp_gt_u32_e32 vcc, 19, v0
	s_waitcnt vmcnt(0)
	ds_write_b64 v46, v[44:45]
	s_waitcnt lgkmcnt(0)
	; wave barrier
	s_waitcnt lgkmcnt(0)
	s_and_saveexec_b64 s[4:5], vcc
	s_cbranch_execz .LBB84_85
; %bb.82:
	v_add_u32_e32 v48, -1, v0
	v_add_u32_e32 v49, 0xb0, v1
	v_add_u32_e32 v50, 0, v1
	s_mov_b64 s[6:7], 0
	v_pk_mov_b32 v[44:45], 0, 0
.LBB84_83:                              ; =>This Inner Loop Header: Depth=1
	buffer_load_dword v52, v50, s[0:3], 0 offen
	buffer_load_dword v53, v50, s[0:3], 0 offen offset:4
	ds_read_b64 v[54:55], v49
	v_add_u32_e32 v48, 1, v48
	v_cmp_lt_u32_e32 vcc, 17, v48
	v_add_u32_e32 v49, 8, v49
	v_add_u32_e32 v50, 8, v50
	s_or_b64 s[6:7], vcc, s[6:7]
	s_waitcnt vmcnt(0) lgkmcnt(0)
	v_fmac_f64_e32 v[44:45], v[52:53], v[54:55]
	s_andn2_b64 exec, exec, s[6:7]
	s_cbranch_execnz .LBB84_83
; %bb.84:
	s_or_b64 exec, exec, s[6:7]
	v_mov_b32_e32 v48, 0
	ds_read_b64 v[48:49], v48 offset:152
	s_waitcnt lgkmcnt(0)
	v_mul_f64 v[44:45], v[44:45], v[48:49]
	buffer_store_dword v45, off, s[0:3], 0 offset:156
	buffer_store_dword v44, off, s[0:3], 0 offset:152
.LBB84_85:
	s_or_b64 exec, exec, s[4:5]
	s_waitcnt lgkmcnt(0)
	; wave barrier
	buffer_load_dword v44, off, s[0:3], 0 offset:160
	buffer_load_dword v45, off, s[0:3], 0 offset:164
	v_cmp_ne_u32_e32 vcc, 20, v0
	s_waitcnt vmcnt(0)
	ds_write_b64 v46, v[44:45]
	s_waitcnt lgkmcnt(0)
	; wave barrier
	s_waitcnt lgkmcnt(0)
	s_and_saveexec_b64 s[4:5], vcc
	s_cbranch_execz .LBB84_89
; %bb.86:
	v_add_u32_e32 v46, 0xb0, v1
	v_add_u32_e32 v1, 0, v1
	s_mov_b64 s[6:7], 0
	v_pk_mov_b32 v[44:45], 0, 0
.LBB84_87:                              ; =>This Inner Loop Header: Depth=1
	buffer_load_dword v48, v1, s[0:3], 0 offen
	buffer_load_dword v49, v1, s[0:3], 0 offen offset:4
	ds_read_b64 v[50:51], v46
	v_add_u32_e32 v47, 1, v47
	v_cmp_lt_u32_e32 vcc, 18, v47
	v_add_u32_e32 v46, 8, v46
	v_add_u32_e32 v1, 8, v1
	s_or_b64 s[6:7], vcc, s[6:7]
	s_waitcnt vmcnt(0) lgkmcnt(0)
	v_fmac_f64_e32 v[44:45], v[48:49], v[50:51]
	s_andn2_b64 exec, exec, s[6:7]
	s_cbranch_execnz .LBB84_87
; %bb.88:
	s_or_b64 exec, exec, s[6:7]
	v_mov_b32_e32 v1, 0
	ds_read_b64 v[46:47], v1 offset:160
	s_waitcnt lgkmcnt(0)
	v_mul_f64 v[44:45], v[44:45], v[46:47]
	buffer_store_dword v45, off, s[0:3], 0 offset:164
	buffer_store_dword v44, off, s[0:3], 0 offset:160
.LBB84_89:
	s_or_b64 exec, exec, s[4:5]
	s_mov_b64 s[6:7], -1
	s_waitcnt lgkmcnt(0)
	; wave barrier
.LBB84_90:
	s_and_b64 vcc, exec, s[6:7]
	s_cbranch_vccz .LBB84_92
; %bb.91:
	s_lshl_b64 s[4:5], s[8:9], 2
	s_add_u32 s4, s14, s4
	s_addc_u32 s5, s15, s5
	v_mov_b32_e32 v1, 0
	global_load_dword v1, v1, s[4:5]
	s_waitcnt vmcnt(0)
	v_cmp_ne_u32_e32 vcc, 0, v1
	s_cbranch_vccz .LBB84_93
.LBB84_92:
	s_endpgm
.LBB84_93:
	v_mov_b32_e32 v1, 0xb0
	v_lshl_add_u32 v1, v0, 3, v1
	v_cmp_eq_u32_e32 vcc, 20, v0
	s_and_saveexec_b64 s[4:5], vcc
	s_cbranch_execz .LBB84_95
; %bb.94:
	buffer_load_dword v44, off, s[0:3], 0 offset:152
	buffer_load_dword v45, off, s[0:3], 0 offset:156
	v_mov_b32_e32 v46, 0
	buffer_store_dword v46, off, s[0:3], 0 offset:152
	buffer_store_dword v46, off, s[0:3], 0 offset:156
	s_waitcnt vmcnt(2)
	ds_write_b64 v1, v[44:45]
.LBB84_95:
	s_or_b64 exec, exec, s[4:5]
	s_waitcnt lgkmcnt(0)
	; wave barrier
	s_waitcnt lgkmcnt(0)
	buffer_load_dword v46, off, s[0:3], 0 offset:160
	buffer_load_dword v47, off, s[0:3], 0 offset:164
	;; [unrolled: 1-line block ×4, first 2 shown]
	v_mov_b32_e32 v44, 0
	ds_read_b64 v[50:51], v44 offset:336
	v_cmp_lt_u32_e32 vcc, 18, v0
	s_waitcnt vmcnt(2) lgkmcnt(0)
	v_fma_f64 v[46:47], v[46:47], v[50:51], 0
	s_waitcnt vmcnt(0)
	v_add_f64 v[46:47], v[48:49], -v[46:47]
	buffer_store_dword v46, off, s[0:3], 0 offset:152
	buffer_store_dword v47, off, s[0:3], 0 offset:156
	s_and_saveexec_b64 s[4:5], vcc
	s_cbranch_execz .LBB84_97
; %bb.96:
	buffer_load_dword v46, off, s[0:3], 0 offset:144
	buffer_load_dword v47, off, s[0:3], 0 offset:148
	s_waitcnt vmcnt(0)
	ds_write_b64 v1, v[46:47]
	buffer_store_dword v44, off, s[0:3], 0 offset:144
	buffer_store_dword v44, off, s[0:3], 0 offset:148
.LBB84_97:
	s_or_b64 exec, exec, s[4:5]
	s_waitcnt lgkmcnt(0)
	; wave barrier
	s_waitcnt lgkmcnt(0)
	buffer_load_dword v48, off, s[0:3], 0 offset:152
	buffer_load_dword v49, off, s[0:3], 0 offset:156
	;; [unrolled: 1-line block ×6, first 2 shown]
	ds_read2_b64 v[44:47], v44 offset0:41 offset1:42
	v_cmp_lt_u32_e32 vcc, 17, v0
	s_waitcnt vmcnt(4) lgkmcnt(0)
	v_fma_f64 v[44:45], v[48:49], v[44:45], 0
	s_waitcnt vmcnt(2)
	v_fmac_f64_e32 v[44:45], v[50:51], v[46:47]
	s_waitcnt vmcnt(0)
	v_add_f64 v[44:45], v[52:53], -v[44:45]
	buffer_store_dword v44, off, s[0:3], 0 offset:144
	buffer_store_dword v45, off, s[0:3], 0 offset:148
	s_and_saveexec_b64 s[4:5], vcc
	s_cbranch_execz .LBB84_99
; %bb.98:
	buffer_load_dword v44, off, s[0:3], 0 offset:136
	buffer_load_dword v45, off, s[0:3], 0 offset:140
	v_mov_b32_e32 v46, 0
	buffer_store_dword v46, off, s[0:3], 0 offset:136
	buffer_store_dword v46, off, s[0:3], 0 offset:140
	s_waitcnt vmcnt(2)
	ds_write_b64 v1, v[44:45]
.LBB84_99:
	s_or_b64 exec, exec, s[4:5]
	s_waitcnt lgkmcnt(0)
	; wave barrier
	s_waitcnt lgkmcnt(0)
	buffer_load_dword v50, off, s[0:3], 0 offset:144
	buffer_load_dword v51, off, s[0:3], 0 offset:148
	;; [unrolled: 1-line block ×8, first 2 shown]
	v_mov_b32_e32 v44, 0
	ds_read_b128 v[46:49], v44 offset:320
	ds_read_b64 v[58:59], v44 offset:336
	v_cmp_lt_u32_e32 vcc, 16, v0
	s_waitcnt vmcnt(6) lgkmcnt(1)
	v_fma_f64 v[46:47], v[50:51], v[46:47], 0
	s_waitcnt vmcnt(4)
	v_fmac_f64_e32 v[46:47], v[52:53], v[48:49]
	s_waitcnt vmcnt(2) lgkmcnt(0)
	v_fmac_f64_e32 v[46:47], v[54:55], v[58:59]
	s_waitcnt vmcnt(0)
	v_add_f64 v[46:47], v[56:57], -v[46:47]
	buffer_store_dword v46, off, s[0:3], 0 offset:136
	buffer_store_dword v47, off, s[0:3], 0 offset:140
	s_and_saveexec_b64 s[4:5], vcc
	s_cbranch_execz .LBB84_101
; %bb.100:
	buffer_load_dword v46, off, s[0:3], 0 offset:128
	buffer_load_dword v47, off, s[0:3], 0 offset:132
	s_waitcnt vmcnt(0)
	ds_write_b64 v1, v[46:47]
	buffer_store_dword v44, off, s[0:3], 0 offset:128
	buffer_store_dword v44, off, s[0:3], 0 offset:132
.LBB84_101:
	s_or_b64 exec, exec, s[4:5]
	s_waitcnt lgkmcnt(0)
	; wave barrier
	s_waitcnt lgkmcnt(0)
	buffer_load_dword v54, off, s[0:3], 0 offset:136
	buffer_load_dword v55, off, s[0:3], 0 offset:140
	;; [unrolled: 1-line block ×10, first 2 shown]
	ds_read2_b64 v[46:49], v44 offset0:39 offset1:40
	ds_read2_b64 v[50:53], v44 offset0:41 offset1:42
	v_cmp_lt_u32_e32 vcc, 15, v0
	s_waitcnt vmcnt(8) lgkmcnt(1)
	v_fma_f64 v[44:45], v[54:55], v[46:47], 0
	s_waitcnt vmcnt(6)
	v_fmac_f64_e32 v[44:45], v[56:57], v[48:49]
	s_waitcnt vmcnt(4) lgkmcnt(0)
	v_fmac_f64_e32 v[44:45], v[58:59], v[50:51]
	s_waitcnt vmcnt(2)
	v_fmac_f64_e32 v[44:45], v[60:61], v[52:53]
	s_waitcnt vmcnt(0)
	v_add_f64 v[44:45], v[62:63], -v[44:45]
	buffer_store_dword v44, off, s[0:3], 0 offset:128
	buffer_store_dword v45, off, s[0:3], 0 offset:132
	s_and_saveexec_b64 s[4:5], vcc
	s_cbranch_execz .LBB84_103
; %bb.102:
	buffer_load_dword v44, off, s[0:3], 0 offset:120
	buffer_load_dword v45, off, s[0:3], 0 offset:124
	v_mov_b32_e32 v46, 0
	buffer_store_dword v46, off, s[0:3], 0 offset:120
	buffer_store_dword v46, off, s[0:3], 0 offset:124
	s_waitcnt vmcnt(2)
	ds_write_b64 v1, v[44:45]
.LBB84_103:
	s_or_b64 exec, exec, s[4:5]
	s_waitcnt lgkmcnt(0)
	; wave barrier
	s_waitcnt lgkmcnt(0)
	buffer_load_dword v54, off, s[0:3], 0 offset:128
	buffer_load_dword v55, off, s[0:3], 0 offset:132
	;; [unrolled: 1-line block ×12, first 2 shown]
	v_mov_b32_e32 v44, 0
	ds_read_b128 v[46:49], v44 offset:304
	ds_read_b128 v[50:53], v44 offset:320
	ds_read_b64 v[66:67], v44 offset:336
	v_cmp_lt_u32_e32 vcc, 14, v0
	s_waitcnt vmcnt(10) lgkmcnt(2)
	v_fma_f64 v[46:47], v[54:55], v[46:47], 0
	s_waitcnt vmcnt(8)
	v_fmac_f64_e32 v[46:47], v[56:57], v[48:49]
	s_waitcnt vmcnt(6) lgkmcnt(1)
	v_fmac_f64_e32 v[46:47], v[58:59], v[50:51]
	s_waitcnt vmcnt(4)
	v_fmac_f64_e32 v[46:47], v[60:61], v[52:53]
	s_waitcnt vmcnt(2) lgkmcnt(0)
	v_fmac_f64_e32 v[46:47], v[62:63], v[66:67]
	s_waitcnt vmcnt(0)
	v_add_f64 v[46:47], v[64:65], -v[46:47]
	buffer_store_dword v46, off, s[0:3], 0 offset:120
	buffer_store_dword v47, off, s[0:3], 0 offset:124
	s_and_saveexec_b64 s[4:5], vcc
	s_cbranch_execz .LBB84_105
; %bb.104:
	buffer_load_dword v46, off, s[0:3], 0 offset:112
	buffer_load_dword v47, off, s[0:3], 0 offset:116
	s_waitcnt vmcnt(0)
	ds_write_b64 v1, v[46:47]
	buffer_store_dword v44, off, s[0:3], 0 offset:112
	buffer_store_dword v44, off, s[0:3], 0 offset:116
.LBB84_105:
	s_or_b64 exec, exec, s[4:5]
	s_waitcnt lgkmcnt(0)
	; wave barrier
	s_waitcnt lgkmcnt(0)
	buffer_load_dword v58, off, s[0:3], 0 offset:120
	buffer_load_dword v59, off, s[0:3], 0 offset:124
	;; [unrolled: 1-line block ×14, first 2 shown]
	ds_read2_b64 v[46:49], v44 offset0:37 offset1:38
	ds_read2_b64 v[50:53], v44 offset0:39 offset1:40
	;; [unrolled: 1-line block ×3, first 2 shown]
	v_cmp_lt_u32_e32 vcc, 13, v0
	s_waitcnt vmcnt(12) lgkmcnt(2)
	v_fma_f64 v[44:45], v[58:59], v[46:47], 0
	s_waitcnt vmcnt(10)
	v_fmac_f64_e32 v[44:45], v[60:61], v[48:49]
	s_waitcnt vmcnt(8) lgkmcnt(1)
	v_fmac_f64_e32 v[44:45], v[62:63], v[50:51]
	s_waitcnt vmcnt(6)
	v_fmac_f64_e32 v[44:45], v[64:65], v[52:53]
	s_waitcnt vmcnt(4) lgkmcnt(0)
	v_fmac_f64_e32 v[44:45], v[66:67], v[54:55]
	s_waitcnt vmcnt(2)
	v_fmac_f64_e32 v[44:45], v[68:69], v[56:57]
	s_waitcnt vmcnt(0)
	v_add_f64 v[44:45], v[70:71], -v[44:45]
	buffer_store_dword v44, off, s[0:3], 0 offset:112
	buffer_store_dword v45, off, s[0:3], 0 offset:116
	s_and_saveexec_b64 s[4:5], vcc
	s_cbranch_execz .LBB84_107
; %bb.106:
	buffer_load_dword v44, off, s[0:3], 0 offset:104
	buffer_load_dword v45, off, s[0:3], 0 offset:108
	v_mov_b32_e32 v46, 0
	buffer_store_dword v46, off, s[0:3], 0 offset:104
	buffer_store_dword v46, off, s[0:3], 0 offset:108
	s_waitcnt vmcnt(2)
	ds_write_b64 v1, v[44:45]
.LBB84_107:
	s_or_b64 exec, exec, s[4:5]
	s_waitcnt lgkmcnt(0)
	; wave barrier
	s_waitcnt lgkmcnt(0)
	buffer_load_dword v58, off, s[0:3], 0 offset:112
	buffer_load_dword v59, off, s[0:3], 0 offset:116
	;; [unrolled: 1-line block ×16, first 2 shown]
	v_mov_b32_e32 v44, 0
	ds_read_b128 v[46:49], v44 offset:288
	ds_read_b128 v[50:53], v44 offset:304
	;; [unrolled: 1-line block ×3, first 2 shown]
	ds_read_b64 v[74:75], v44 offset:336
	v_cmp_lt_u32_e32 vcc, 12, v0
	s_waitcnt vmcnt(14) lgkmcnt(3)
	v_fma_f64 v[46:47], v[58:59], v[46:47], 0
	s_waitcnt vmcnt(12)
	v_fmac_f64_e32 v[46:47], v[60:61], v[48:49]
	s_waitcnt vmcnt(10) lgkmcnt(2)
	v_fmac_f64_e32 v[46:47], v[62:63], v[50:51]
	s_waitcnt vmcnt(8)
	v_fmac_f64_e32 v[46:47], v[64:65], v[52:53]
	s_waitcnt vmcnt(6) lgkmcnt(1)
	v_fmac_f64_e32 v[46:47], v[66:67], v[54:55]
	;; [unrolled: 4-line block ×3, first 2 shown]
	s_waitcnt vmcnt(0)
	v_add_f64 v[46:47], v[72:73], -v[46:47]
	buffer_store_dword v46, off, s[0:3], 0 offset:104
	buffer_store_dword v47, off, s[0:3], 0 offset:108
	s_and_saveexec_b64 s[4:5], vcc
	s_cbranch_execz .LBB84_109
; %bb.108:
	buffer_load_dword v46, off, s[0:3], 0 offset:96
	buffer_load_dword v47, off, s[0:3], 0 offset:100
	s_waitcnt vmcnt(0)
	ds_write_b64 v1, v[46:47]
	buffer_store_dword v44, off, s[0:3], 0 offset:96
	buffer_store_dword v44, off, s[0:3], 0 offset:100
.LBB84_109:
	s_or_b64 exec, exec, s[4:5]
	s_waitcnt lgkmcnt(0)
	; wave barrier
	s_waitcnt lgkmcnt(0)
	buffer_load_dword v62, off, s[0:3], 0 offset:104
	buffer_load_dword v63, off, s[0:3], 0 offset:108
	;; [unrolled: 1-line block ×18, first 2 shown]
	ds_read2_b64 v[46:49], v44 offset0:35 offset1:36
	ds_read2_b64 v[50:53], v44 offset0:37 offset1:38
	;; [unrolled: 1-line block ×4, first 2 shown]
	v_cmp_lt_u32_e32 vcc, 11, v0
	s_waitcnt vmcnt(16) lgkmcnt(3)
	v_fma_f64 v[44:45], v[62:63], v[46:47], 0
	s_waitcnt vmcnt(14)
	v_fmac_f64_e32 v[44:45], v[64:65], v[48:49]
	s_waitcnt vmcnt(12) lgkmcnt(2)
	v_fmac_f64_e32 v[44:45], v[66:67], v[50:51]
	s_waitcnt vmcnt(10)
	v_fmac_f64_e32 v[44:45], v[68:69], v[52:53]
	s_waitcnt vmcnt(8) lgkmcnt(1)
	v_fmac_f64_e32 v[44:45], v[70:71], v[54:55]
	;; [unrolled: 4-line block ×3, first 2 shown]
	s_waitcnt vmcnt(2)
	v_fmac_f64_e32 v[44:45], v[76:77], v[60:61]
	s_waitcnt vmcnt(0)
	v_add_f64 v[44:45], v[78:79], -v[44:45]
	buffer_store_dword v44, off, s[0:3], 0 offset:96
	buffer_store_dword v45, off, s[0:3], 0 offset:100
	s_and_saveexec_b64 s[4:5], vcc
	s_cbranch_execz .LBB84_111
; %bb.110:
	buffer_load_dword v44, off, s[0:3], 0 offset:88
	buffer_load_dword v45, off, s[0:3], 0 offset:92
	v_mov_b32_e32 v46, 0
	buffer_store_dword v46, off, s[0:3], 0 offset:88
	buffer_store_dword v46, off, s[0:3], 0 offset:92
	s_waitcnt vmcnt(2)
	ds_write_b64 v1, v[44:45]
.LBB84_111:
	s_or_b64 exec, exec, s[4:5]
	s_waitcnt lgkmcnt(0)
	; wave barrier
	s_waitcnt lgkmcnt(0)
	buffer_load_dword v62, off, s[0:3], 0 offset:96
	buffer_load_dword v63, off, s[0:3], 0 offset:100
	;; [unrolled: 1-line block ×20, first 2 shown]
	v_mov_b32_e32 v44, 0
	ds_read_b128 v[46:49], v44 offset:272
	ds_read_b128 v[50:53], v44 offset:288
	;; [unrolled: 1-line block ×4, first 2 shown]
	ds_read_b64 v[82:83], v44 offset:336
	v_cmp_lt_u32_e32 vcc, 10, v0
	s_waitcnt vmcnt(18) lgkmcnt(4)
	v_fma_f64 v[46:47], v[62:63], v[46:47], 0
	s_waitcnt vmcnt(16)
	v_fmac_f64_e32 v[46:47], v[64:65], v[48:49]
	s_waitcnt vmcnt(14) lgkmcnt(3)
	v_fmac_f64_e32 v[46:47], v[66:67], v[50:51]
	s_waitcnt vmcnt(12)
	v_fmac_f64_e32 v[46:47], v[68:69], v[52:53]
	s_waitcnt vmcnt(10) lgkmcnt(2)
	v_fmac_f64_e32 v[46:47], v[70:71], v[54:55]
	;; [unrolled: 4-line block ×3, first 2 shown]
	s_waitcnt vmcnt(2)
	v_fmac_f64_e32 v[46:47], v[78:79], v[60:61]
	s_waitcnt lgkmcnt(0)
	v_fmac_f64_e32 v[46:47], v[76:77], v[82:83]
	s_waitcnt vmcnt(0)
	v_add_f64 v[46:47], v[80:81], -v[46:47]
	buffer_store_dword v46, off, s[0:3], 0 offset:88
	buffer_store_dword v47, off, s[0:3], 0 offset:92
	s_and_saveexec_b64 s[4:5], vcc
	s_cbranch_execz .LBB84_113
; %bb.112:
	buffer_load_dword v46, off, s[0:3], 0 offset:80
	buffer_load_dword v47, off, s[0:3], 0 offset:84
	s_waitcnt vmcnt(0)
	ds_write_b64 v1, v[46:47]
	buffer_store_dword v44, off, s[0:3], 0 offset:80
	buffer_store_dword v44, off, s[0:3], 0 offset:84
.LBB84_113:
	s_or_b64 exec, exec, s[4:5]
	s_waitcnt lgkmcnt(0)
	; wave barrier
	s_waitcnt lgkmcnt(0)
	buffer_load_dword v66, off, s[0:3], 0 offset:88
	buffer_load_dword v67, off, s[0:3], 0 offset:92
	;; [unrolled: 1-line block ×22, first 2 shown]
	ds_read2_b64 v[46:49], v44 offset0:33 offset1:34
	ds_read2_b64 v[50:53], v44 offset0:35 offset1:36
	;; [unrolled: 1-line block ×5, first 2 shown]
	v_cmp_lt_u32_e32 vcc, 9, v0
	s_waitcnt vmcnt(20) lgkmcnt(4)
	v_fma_f64 v[44:45], v[66:67], v[46:47], 0
	s_waitcnt vmcnt(18)
	v_fmac_f64_e32 v[44:45], v[68:69], v[48:49]
	s_waitcnt vmcnt(16) lgkmcnt(3)
	v_fmac_f64_e32 v[44:45], v[70:71], v[50:51]
	s_waitcnt vmcnt(14)
	v_fmac_f64_e32 v[44:45], v[72:73], v[52:53]
	s_waitcnt vmcnt(12) lgkmcnt(2)
	v_fmac_f64_e32 v[44:45], v[74:75], v[54:55]
	;; [unrolled: 4-line block ×3, first 2 shown]
	s_waitcnt vmcnt(3)
	v_fmac_f64_e32 v[44:45], v[84:85], v[60:61]
	s_waitcnt lgkmcnt(0)
	v_fmac_f64_e32 v[44:45], v[82:83], v[62:63]
	s_waitcnt vmcnt(2)
	v_fmac_f64_e32 v[44:45], v[80:81], v[64:65]
	s_waitcnt vmcnt(0)
	v_add_f64 v[44:45], v[86:87], -v[44:45]
	buffer_store_dword v44, off, s[0:3], 0 offset:80
	buffer_store_dword v45, off, s[0:3], 0 offset:84
	s_and_saveexec_b64 s[4:5], vcc
	s_cbranch_execz .LBB84_115
; %bb.114:
	buffer_load_dword v44, off, s[0:3], 0 offset:72
	buffer_load_dword v45, off, s[0:3], 0 offset:76
	v_mov_b32_e32 v46, 0
	buffer_store_dword v46, off, s[0:3], 0 offset:72
	buffer_store_dword v46, off, s[0:3], 0 offset:76
	s_waitcnt vmcnt(2)
	ds_write_b64 v1, v[44:45]
.LBB84_115:
	s_or_b64 exec, exec, s[4:5]
	s_waitcnt lgkmcnt(0)
	; wave barrier
	s_waitcnt lgkmcnt(0)
	buffer_load_dword v66, off, s[0:3], 0 offset:80
	buffer_load_dword v67, off, s[0:3], 0 offset:84
	;; [unrolled: 1-line block ×24, first 2 shown]
	v_mov_b32_e32 v44, 0
	ds_read_b128 v[46:49], v44 offset:256
	ds_read_b128 v[50:53], v44 offset:272
	;; [unrolled: 1-line block ×5, first 2 shown]
	ds_read_b64 v[90:91], v44 offset:336
	v_cmp_lt_u32_e32 vcc, 8, v0
	s_waitcnt vmcnt(22) lgkmcnt(5)
	v_fma_f64 v[46:47], v[66:67], v[46:47], 0
	s_waitcnt vmcnt(20)
	v_fmac_f64_e32 v[46:47], v[68:69], v[48:49]
	s_waitcnt vmcnt(18) lgkmcnt(4)
	v_fmac_f64_e32 v[46:47], v[70:71], v[50:51]
	s_waitcnt vmcnt(16)
	v_fmac_f64_e32 v[46:47], v[72:73], v[52:53]
	s_waitcnt vmcnt(14) lgkmcnt(3)
	v_fmac_f64_e32 v[46:47], v[74:75], v[54:55]
	s_waitcnt vmcnt(12)
	v_fmac_f64_e32 v[46:47], v[76:77], v[56:57]
	s_waitcnt vmcnt(10) lgkmcnt(2)
	v_fmac_f64_e32 v[46:47], v[78:79], v[58:59]
	s_waitcnt vmcnt(4)
	v_fmac_f64_e32 v[46:47], v[86:87], v[60:61]
	s_waitcnt lgkmcnt(1)
	v_fmac_f64_e32 v[46:47], v[84:85], v[62:63]
	s_waitcnt vmcnt(3)
	v_fmac_f64_e32 v[46:47], v[82:83], v[64:65]
	s_waitcnt vmcnt(2) lgkmcnt(0)
	v_fmac_f64_e32 v[46:47], v[80:81], v[90:91]
	s_waitcnt vmcnt(0)
	v_add_f64 v[46:47], v[88:89], -v[46:47]
	buffer_store_dword v47, off, s[0:3], 0 offset:76
	buffer_store_dword v46, off, s[0:3], 0 offset:72
	s_and_saveexec_b64 s[4:5], vcc
	s_cbranch_execz .LBB84_117
; %bb.116:
	buffer_load_dword v46, off, s[0:3], 0 offset:64
	buffer_load_dword v47, off, s[0:3], 0 offset:68
	s_waitcnt vmcnt(0)
	ds_write_b64 v1, v[46:47]
	buffer_store_dword v44, off, s[0:3], 0 offset:64
	buffer_store_dword v44, off, s[0:3], 0 offset:68
.LBB84_117:
	s_or_b64 exec, exec, s[4:5]
	s_waitcnt lgkmcnt(0)
	; wave barrier
	s_waitcnt lgkmcnt(0)
	buffer_load_dword v70, off, s[0:3], 0 offset:72
	buffer_load_dword v71, off, s[0:3], 0 offset:76
	;; [unrolled: 1-line block ×26, first 2 shown]
	ds_read2_b64 v[46:49], v44 offset0:31 offset1:32
	ds_read2_b64 v[50:53], v44 offset0:33 offset1:34
	;; [unrolled: 1-line block ×6, first 2 shown]
	v_cmp_lt_u32_e32 vcc, 7, v0
	s_waitcnt vmcnt(24) lgkmcnt(5)
	v_fma_f64 v[44:45], v[70:71], v[46:47], 0
	s_waitcnt vmcnt(22)
	v_fmac_f64_e32 v[44:45], v[72:73], v[48:49]
	s_waitcnt vmcnt(20) lgkmcnt(4)
	v_fmac_f64_e32 v[44:45], v[74:75], v[50:51]
	s_waitcnt vmcnt(18)
	v_fmac_f64_e32 v[44:45], v[76:77], v[52:53]
	s_waitcnt vmcnt(16) lgkmcnt(3)
	v_fmac_f64_e32 v[44:45], v[78:79], v[54:55]
	;; [unrolled: 4-line block ×3, first 2 shown]
	s_waitcnt vmcnt(5)
	v_fmac_f64_e32 v[44:45], v[90:91], v[60:61]
	s_waitcnt lgkmcnt(1)
	v_fmac_f64_e32 v[44:45], v[88:89], v[62:63]
	v_fmac_f64_e32 v[44:45], v[86:87], v[64:65]
	s_waitcnt vmcnt(4) lgkmcnt(0)
	v_fmac_f64_e32 v[44:45], v[84:85], v[66:67]
	s_waitcnt vmcnt(2)
	v_fmac_f64_e32 v[44:45], v[92:93], v[68:69]
	s_waitcnt vmcnt(0)
	v_add_f64 v[44:45], v[94:95], -v[44:45]
	buffer_store_dword v45, off, s[0:3], 0 offset:68
	buffer_store_dword v44, off, s[0:3], 0 offset:64
	s_and_saveexec_b64 s[4:5], vcc
	s_cbranch_execz .LBB84_119
; %bb.118:
	buffer_load_dword v44, off, s[0:3], 0 offset:56
	buffer_load_dword v45, off, s[0:3], 0 offset:60
	v_mov_b32_e32 v46, 0
	buffer_store_dword v46, off, s[0:3], 0 offset:56
	buffer_store_dword v46, off, s[0:3], 0 offset:60
	s_waitcnt vmcnt(2)
	ds_write_b64 v1, v[44:45]
.LBB84_119:
	s_or_b64 exec, exec, s[4:5]
	s_waitcnt lgkmcnt(0)
	; wave barrier
	s_waitcnt lgkmcnt(0)
	buffer_load_dword v70, off, s[0:3], 0 offset:64
	buffer_load_dword v71, off, s[0:3], 0 offset:68
	buffer_load_dword v72, off, s[0:3], 0 offset:72
	buffer_load_dword v73, off, s[0:3], 0 offset:76
	buffer_load_dword v74, off, s[0:3], 0 offset:80
	buffer_load_dword v75, off, s[0:3], 0 offset:84
	buffer_load_dword v76, off, s[0:3], 0 offset:88
	buffer_load_dword v77, off, s[0:3], 0 offset:92
	buffer_load_dword v78, off, s[0:3], 0 offset:96
	buffer_load_dword v79, off, s[0:3], 0 offset:100
	buffer_load_dword v80, off, s[0:3], 0 offset:104
	buffer_load_dword v81, off, s[0:3], 0 offset:108
	buffer_load_dword v82, off, s[0:3], 0 offset:112
	buffer_load_dword v83, off, s[0:3], 0 offset:116
	buffer_load_dword v85, off, s[0:3], 0 offset:148
	buffer_load_dword v84, off, s[0:3], 0 offset:144
	buffer_load_dword v87, off, s[0:3], 0 offset:140
	buffer_load_dword v86, off, s[0:3], 0 offset:136
	buffer_load_dword v89, off, s[0:3], 0 offset:132
	buffer_load_dword v88, off, s[0:3], 0 offset:128
	buffer_load_dword v91, off, s[0:3], 0 offset:124
	buffer_load_dword v90, off, s[0:3], 0 offset:120
	buffer_load_dword v93, off, s[0:3], 0 offset:164
	buffer_load_dword v92, off, s[0:3], 0 offset:160
	buffer_load_dword v95, off, s[0:3], 0 offset:156
	buffer_load_dword v94, off, s[0:3], 0 offset:152
	buffer_load_dword v96, off, s[0:3], 0 offset:56
	buffer_load_dword v97, off, s[0:3], 0 offset:60
	v_mov_b32_e32 v44, 0
	ds_read_b128 v[46:49], v44 offset:240
	ds_read_b128 v[50:53], v44 offset:256
	;; [unrolled: 1-line block ×6, first 2 shown]
	ds_read_b64 v[98:99], v44 offset:336
	v_cmp_lt_u32_e32 vcc, 6, v0
	s_waitcnt vmcnt(26) lgkmcnt(6)
	v_fma_f64 v[46:47], v[70:71], v[46:47], 0
	s_waitcnt vmcnt(24)
	v_fmac_f64_e32 v[46:47], v[72:73], v[48:49]
	s_waitcnt vmcnt(22) lgkmcnt(5)
	v_fmac_f64_e32 v[46:47], v[74:75], v[50:51]
	s_waitcnt vmcnt(20)
	v_fmac_f64_e32 v[46:47], v[76:77], v[52:53]
	s_waitcnt vmcnt(18) lgkmcnt(4)
	v_fmac_f64_e32 v[46:47], v[78:79], v[54:55]
	;; [unrolled: 4-line block ×3, first 2 shown]
	s_waitcnt vmcnt(6)
	v_fmac_f64_e32 v[46:47], v[90:91], v[60:61]
	s_waitcnt lgkmcnt(2)
	v_fmac_f64_e32 v[46:47], v[88:89], v[62:63]
	v_fmac_f64_e32 v[46:47], v[86:87], v[64:65]
	s_waitcnt lgkmcnt(1)
	v_fmac_f64_e32 v[46:47], v[84:85], v[66:67]
	s_waitcnt vmcnt(2)
	v_fmac_f64_e32 v[46:47], v[94:95], v[68:69]
	s_waitcnt lgkmcnt(0)
	v_fmac_f64_e32 v[46:47], v[92:93], v[98:99]
	s_waitcnt vmcnt(0)
	v_add_f64 v[46:47], v[96:97], -v[46:47]
	buffer_store_dword v47, off, s[0:3], 0 offset:60
	buffer_store_dword v46, off, s[0:3], 0 offset:56
	s_and_saveexec_b64 s[4:5], vcc
	s_cbranch_execz .LBB84_121
; %bb.120:
	buffer_load_dword v46, off, s[0:3], 0 offset:48
	buffer_load_dword v47, off, s[0:3], 0 offset:52
	s_waitcnt vmcnt(0)
	ds_write_b64 v1, v[46:47]
	buffer_store_dword v44, off, s[0:3], 0 offset:48
	buffer_store_dword v44, off, s[0:3], 0 offset:52
.LBB84_121:
	s_or_b64 exec, exec, s[4:5]
	s_waitcnt lgkmcnt(0)
	; wave barrier
	s_waitcnt lgkmcnt(0)
	buffer_load_dword v74, off, s[0:3], 0 offset:56
	buffer_load_dword v75, off, s[0:3], 0 offset:60
	;; [unrolled: 1-line block ×30, first 2 shown]
	ds_read2_b64 v[46:49], v44 offset0:29 offset1:30
	ds_read2_b64 v[50:53], v44 offset0:31 offset1:32
	;; [unrolled: 1-line block ×7, first 2 shown]
	v_cmp_lt_u32_e32 vcc, 5, v0
	s_waitcnt vmcnt(28) lgkmcnt(6)
	v_fma_f64 v[44:45], v[74:75], v[46:47], 0
	s_waitcnt vmcnt(26)
	v_fmac_f64_e32 v[44:45], v[76:77], v[48:49]
	s_waitcnt vmcnt(24) lgkmcnt(5)
	v_fmac_f64_e32 v[44:45], v[78:79], v[50:51]
	s_waitcnt vmcnt(22)
	v_fmac_f64_e32 v[44:45], v[80:81], v[52:53]
	s_waitcnt vmcnt(20) lgkmcnt(4)
	v_fmac_f64_e32 v[44:45], v[82:83], v[54:55]
	;; [unrolled: 4-line block ×3, first 2 shown]
	s_waitcnt vmcnt(8)
	v_fmac_f64_e32 v[44:45], v[94:95], v[60:61]
	s_waitcnt lgkmcnt(2)
	v_fmac_f64_e32 v[44:45], v[92:93], v[62:63]
	v_fmac_f64_e32 v[44:45], v[90:91], v[64:65]
	s_waitcnt lgkmcnt(1)
	v_fmac_f64_e32 v[44:45], v[88:89], v[66:67]
	s_waitcnt vmcnt(3)
	v_fmac_f64_e32 v[44:45], v[100:101], v[68:69]
	s_waitcnt lgkmcnt(0)
	v_fmac_f64_e32 v[44:45], v[98:99], v[70:71]
	s_waitcnt vmcnt(2)
	v_fmac_f64_e32 v[44:45], v[96:97], v[72:73]
	s_waitcnt vmcnt(0)
	v_add_f64 v[44:45], v[102:103], -v[44:45]
	buffer_store_dword v45, off, s[0:3], 0 offset:52
	buffer_store_dword v44, off, s[0:3], 0 offset:48
	s_and_saveexec_b64 s[4:5], vcc
	s_cbranch_execz .LBB84_123
; %bb.122:
	buffer_load_dword v44, off, s[0:3], 0 offset:40
	buffer_load_dword v45, off, s[0:3], 0 offset:44
	v_mov_b32_e32 v46, 0
	buffer_store_dword v46, off, s[0:3], 0 offset:40
	buffer_store_dword v46, off, s[0:3], 0 offset:44
	s_waitcnt vmcnt(2)
	ds_write_b64 v1, v[44:45]
.LBB84_123:
	s_or_b64 exec, exec, s[4:5]
	s_waitcnt lgkmcnt(0)
	; wave barrier
	s_waitcnt lgkmcnt(0)
	buffer_load_dword v74, off, s[0:3], 0 offset:48
	buffer_load_dword v75, off, s[0:3], 0 offset:52
	;; [unrolled: 1-line block ×32, first 2 shown]
	v_mov_b32_e32 v44, 0
	ds_read_b128 v[46:49], v44 offset:224
	ds_read_b128 v[50:53], v44 offset:240
	;; [unrolled: 1-line block ×7, first 2 shown]
	ds_read_b64 v[106:107], v44 offset:336
	v_cmp_lt_u32_e32 vcc, 4, v0
	s_waitcnt vmcnt(30) lgkmcnt(7)
	v_fma_f64 v[46:47], v[74:75], v[46:47], 0
	s_waitcnt vmcnt(28)
	v_fmac_f64_e32 v[46:47], v[76:77], v[48:49]
	s_waitcnt vmcnt(26) lgkmcnt(6)
	v_fmac_f64_e32 v[46:47], v[78:79], v[50:51]
	s_waitcnt vmcnt(24)
	v_fmac_f64_e32 v[46:47], v[80:81], v[52:53]
	s_waitcnt vmcnt(22) lgkmcnt(5)
	v_fmac_f64_e32 v[46:47], v[82:83], v[54:55]
	;; [unrolled: 4-line block ×3, first 2 shown]
	s_waitcnt vmcnt(10)
	v_fmac_f64_e32 v[46:47], v[94:95], v[60:61]
	s_waitcnt lgkmcnt(3)
	v_fmac_f64_e32 v[46:47], v[92:93], v[62:63]
	v_fmac_f64_e32 v[46:47], v[90:91], v[64:65]
	s_waitcnt lgkmcnt(2)
	v_fmac_f64_e32 v[46:47], v[88:89], v[66:67]
	s_waitcnt vmcnt(4)
	v_fmac_f64_e32 v[46:47], v[102:103], v[68:69]
	s_waitcnt lgkmcnt(1)
	v_fmac_f64_e32 v[46:47], v[100:101], v[70:71]
	s_waitcnt vmcnt(3)
	v_fmac_f64_e32 v[46:47], v[98:99], v[72:73]
	s_waitcnt vmcnt(2) lgkmcnt(0)
	v_fmac_f64_e32 v[46:47], v[96:97], v[106:107]
	s_waitcnt vmcnt(0)
	v_add_f64 v[46:47], v[104:105], -v[46:47]
	buffer_store_dword v47, off, s[0:3], 0 offset:44
	buffer_store_dword v46, off, s[0:3], 0 offset:40
	s_and_saveexec_b64 s[4:5], vcc
	s_cbranch_execz .LBB84_125
; %bb.124:
	buffer_load_dword v46, off, s[0:3], 0 offset:32
	buffer_load_dword v47, off, s[0:3], 0 offset:36
	s_waitcnt vmcnt(0)
	ds_write_b64 v1, v[46:47]
	buffer_store_dword v44, off, s[0:3], 0 offset:32
	buffer_store_dword v44, off, s[0:3], 0 offset:36
.LBB84_125:
	s_or_b64 exec, exec, s[4:5]
	s_waitcnt lgkmcnt(0)
	; wave barrier
	s_waitcnt lgkmcnt(0)
	buffer_load_dword v78, off, s[0:3], 0 offset:40
	buffer_load_dword v79, off, s[0:3], 0 offset:44
	;; [unrolled: 1-line block ×34, first 2 shown]
	ds_read2_b64 v[46:49], v44 offset0:27 offset1:28
	ds_read2_b64 v[50:53], v44 offset0:29 offset1:30
	;; [unrolled: 1-line block ×8, first 2 shown]
	v_cmp_lt_u32_e32 vcc, 3, v0
	s_waitcnt vmcnt(32) lgkmcnt(7)
	v_fma_f64 v[44:45], v[78:79], v[46:47], 0
	s_waitcnt vmcnt(30)
	v_fmac_f64_e32 v[44:45], v[80:81], v[48:49]
	s_waitcnt vmcnt(28) lgkmcnt(6)
	v_fmac_f64_e32 v[44:45], v[82:83], v[50:51]
	s_waitcnt vmcnt(26)
	v_fmac_f64_e32 v[44:45], v[84:85], v[52:53]
	s_waitcnt vmcnt(24) lgkmcnt(5)
	v_fmac_f64_e32 v[44:45], v[86:87], v[54:55]
	;; [unrolled: 4-line block ×3, first 2 shown]
	s_waitcnt vmcnt(12)
	v_fmac_f64_e32 v[44:45], v[98:99], v[60:61]
	s_waitcnt lgkmcnt(3)
	v_fmac_f64_e32 v[44:45], v[96:97], v[62:63]
	v_fmac_f64_e32 v[44:45], v[94:95], v[64:65]
	s_waitcnt lgkmcnt(2)
	v_fmac_f64_e32 v[44:45], v[92:93], v[66:67]
	s_waitcnt vmcnt(5)
	v_fmac_f64_e32 v[44:45], v[106:107], v[68:69]
	s_waitcnt lgkmcnt(1)
	v_fmac_f64_e32 v[44:45], v[104:105], v[70:71]
	v_fmac_f64_e32 v[44:45], v[102:103], v[72:73]
	s_waitcnt vmcnt(4) lgkmcnt(0)
	v_fmac_f64_e32 v[44:45], v[100:101], v[74:75]
	s_waitcnt vmcnt(2)
	v_fmac_f64_e32 v[44:45], v[108:109], v[76:77]
	s_waitcnt vmcnt(0)
	v_add_f64 v[44:45], v[110:111], -v[44:45]
	buffer_store_dword v45, off, s[0:3], 0 offset:36
	buffer_store_dword v44, off, s[0:3], 0 offset:32
	s_and_saveexec_b64 s[4:5], vcc
	s_cbranch_execz .LBB84_127
; %bb.126:
	buffer_load_dword v44, off, s[0:3], 0 offset:24
	buffer_load_dword v45, off, s[0:3], 0 offset:28
	v_mov_b32_e32 v46, 0
	buffer_store_dword v46, off, s[0:3], 0 offset:24
	buffer_store_dword v46, off, s[0:3], 0 offset:28
	s_waitcnt vmcnt(2)
	ds_write_b64 v1, v[44:45]
.LBB84_127:
	s_or_b64 exec, exec, s[4:5]
	s_waitcnt lgkmcnt(0)
	; wave barrier
	s_waitcnt lgkmcnt(0)
	buffer_load_dword v78, off, s[0:3], 0 offset:32
	buffer_load_dword v79, off, s[0:3], 0 offset:36
	buffer_load_dword v80, off, s[0:3], 0 offset:40
	buffer_load_dword v81, off, s[0:3], 0 offset:44
	buffer_load_dword v82, off, s[0:3], 0 offset:48
	buffer_load_dword v83, off, s[0:3], 0 offset:52
	buffer_load_dword v84, off, s[0:3], 0 offset:56
	buffer_load_dword v85, off, s[0:3], 0 offset:60
	buffer_load_dword v86, off, s[0:3], 0 offset:64
	buffer_load_dword v87, off, s[0:3], 0 offset:68
	buffer_load_dword v88, off, s[0:3], 0 offset:72
	buffer_load_dword v89, off, s[0:3], 0 offset:76
	buffer_load_dword v90, off, s[0:3], 0 offset:80
	buffer_load_dword v91, off, s[0:3], 0 offset:84
	buffer_load_dword v93, off, s[0:3], 0 offset:116
	buffer_load_dword v92, off, s[0:3], 0 offset:112
	buffer_load_dword v95, off, s[0:3], 0 offset:108
	buffer_load_dword v94, off, s[0:3], 0 offset:104
	buffer_load_dword v97, off, s[0:3], 0 offset:100
	buffer_load_dword v96, off, s[0:3], 0 offset:96
	buffer_load_dword v99, off, s[0:3], 0 offset:92
	buffer_load_dword v98, off, s[0:3], 0 offset:88
	buffer_load_dword v101, off, s[0:3], 0 offset:148
	buffer_load_dword v100, off, s[0:3], 0 offset:144
	buffer_load_dword v103, off, s[0:3], 0 offset:140
	buffer_load_dword v102, off, s[0:3], 0 offset:136
	buffer_load_dword v105, off, s[0:3], 0 offset:132
	buffer_load_dword v104, off, s[0:3], 0 offset:128
	buffer_load_dword v107, off, s[0:3], 0 offset:124
	buffer_load_dword v106, off, s[0:3], 0 offset:120
	buffer_load_dword v109, off, s[0:3], 0 offset:164
	buffer_load_dword v108, off, s[0:3], 0 offset:160
	buffer_load_dword v111, off, s[0:3], 0 offset:156
	buffer_load_dword v110, off, s[0:3], 0 offset:152
	buffer_load_dword v112, off, s[0:3], 0 offset:24
	buffer_load_dword v113, off, s[0:3], 0 offset:28
	v_mov_b32_e32 v44, 0
	ds_read_b128 v[46:49], v44 offset:208
	ds_read_b128 v[50:53], v44 offset:224
	;; [unrolled: 1-line block ×8, first 2 shown]
	ds_read_b64 v[114:115], v44 offset:336
	v_cmp_lt_u32_e32 vcc, 2, v0
	s_waitcnt vmcnt(34) lgkmcnt(8)
	v_fma_f64 v[46:47], v[78:79], v[46:47], 0
	s_waitcnt vmcnt(32)
	v_fmac_f64_e32 v[46:47], v[80:81], v[48:49]
	s_waitcnt vmcnt(30) lgkmcnt(7)
	v_fmac_f64_e32 v[46:47], v[82:83], v[50:51]
	s_waitcnt vmcnt(28)
	v_fmac_f64_e32 v[46:47], v[84:85], v[52:53]
	s_waitcnt vmcnt(26) lgkmcnt(6)
	v_fmac_f64_e32 v[46:47], v[86:87], v[54:55]
	;; [unrolled: 4-line block ×3, first 2 shown]
	s_waitcnt vmcnt(14)
	v_fmac_f64_e32 v[46:47], v[98:99], v[60:61]
	s_waitcnt lgkmcnt(4)
	v_fmac_f64_e32 v[46:47], v[96:97], v[62:63]
	v_fmac_f64_e32 v[46:47], v[94:95], v[64:65]
	s_waitcnt lgkmcnt(3)
	v_fmac_f64_e32 v[46:47], v[92:93], v[66:67]
	s_waitcnt vmcnt(6)
	v_fmac_f64_e32 v[46:47], v[106:107], v[68:69]
	s_waitcnt lgkmcnt(2)
	v_fmac_f64_e32 v[46:47], v[104:105], v[70:71]
	v_fmac_f64_e32 v[46:47], v[102:103], v[72:73]
	s_waitcnt lgkmcnt(1)
	v_fmac_f64_e32 v[46:47], v[100:101], v[74:75]
	s_waitcnt vmcnt(2)
	v_fmac_f64_e32 v[46:47], v[110:111], v[76:77]
	s_waitcnt lgkmcnt(0)
	v_fmac_f64_e32 v[46:47], v[108:109], v[114:115]
	s_waitcnt vmcnt(0)
	v_add_f64 v[46:47], v[112:113], -v[46:47]
	buffer_store_dword v47, off, s[0:3], 0 offset:28
	buffer_store_dword v46, off, s[0:3], 0 offset:24
	s_and_saveexec_b64 s[4:5], vcc
	s_cbranch_execz .LBB84_129
; %bb.128:
	buffer_load_dword v46, off, s[0:3], 0 offset:16
	buffer_load_dword v47, off, s[0:3], 0 offset:20
	s_waitcnt vmcnt(0)
	ds_write_b64 v1, v[46:47]
	buffer_store_dword v44, off, s[0:3], 0 offset:16
	buffer_store_dword v44, off, s[0:3], 0 offset:20
.LBB84_129:
	s_or_b64 exec, exec, s[4:5]
	s_waitcnt lgkmcnt(0)
	; wave barrier
	s_waitcnt lgkmcnt(0)
	buffer_load_dword v82, off, s[0:3], 0 offset:24
	buffer_load_dword v83, off, s[0:3], 0 offset:28
	;; [unrolled: 1-line block ×38, first 2 shown]
	ds_read2_b64 v[46:49], v44 offset0:25 offset1:26
	ds_read2_b64 v[50:53], v44 offset0:27 offset1:28
	ds_read2_b64 v[54:57], v44 offset0:29 offset1:30
	ds_read2_b64 v[58:61], v44 offset0:31 offset1:32
	ds_read2_b64 v[62:65], v44 offset0:33 offset1:34
	ds_read2_b64 v[66:69], v44 offset0:35 offset1:36
	ds_read2_b64 v[70:73], v44 offset0:37 offset1:38
	ds_read2_b64 v[74:77], v44 offset0:39 offset1:40
	ds_read2_b64 v[78:81], v44 offset0:41 offset1:42
	v_cmp_lt_u32_e32 vcc, 1, v0
	s_waitcnt vmcnt(36) lgkmcnt(8)
	v_fma_f64 v[44:45], v[82:83], v[46:47], 0
	s_waitcnt vmcnt(34)
	v_fmac_f64_e32 v[44:45], v[84:85], v[48:49]
	s_waitcnt vmcnt(32) lgkmcnt(7)
	v_fmac_f64_e32 v[44:45], v[86:87], v[50:51]
	s_waitcnt vmcnt(30)
	v_fmac_f64_e32 v[44:45], v[88:89], v[52:53]
	s_waitcnt vmcnt(28) lgkmcnt(6)
	v_fmac_f64_e32 v[44:45], v[90:91], v[54:55]
	;; [unrolled: 4-line block ×3, first 2 shown]
	s_waitcnt vmcnt(16)
	v_fmac_f64_e32 v[44:45], v[102:103], v[60:61]
	s_waitcnt lgkmcnt(4)
	v_fmac_f64_e32 v[44:45], v[100:101], v[62:63]
	v_fmac_f64_e32 v[44:45], v[98:99], v[64:65]
	s_waitcnt lgkmcnt(3)
	v_fmac_f64_e32 v[44:45], v[96:97], v[66:67]
	s_waitcnt vmcnt(8)
	v_fmac_f64_e32 v[44:45], v[110:111], v[68:69]
	s_waitcnt lgkmcnt(2)
	v_fmac_f64_e32 v[44:45], v[108:109], v[70:71]
	v_fmac_f64_e32 v[44:45], v[106:107], v[72:73]
	s_waitcnt lgkmcnt(1)
	v_fmac_f64_e32 v[44:45], v[104:105], v[74:75]
	s_waitcnt vmcnt(3)
	v_fmac_f64_e32 v[44:45], v[116:117], v[76:77]
	s_waitcnt lgkmcnt(0)
	v_fmac_f64_e32 v[44:45], v[114:115], v[78:79]
	s_waitcnt vmcnt(2)
	v_fmac_f64_e32 v[44:45], v[112:113], v[80:81]
	s_waitcnt vmcnt(0)
	v_add_f64 v[44:45], v[118:119], -v[44:45]
	buffer_store_dword v45, off, s[0:3], 0 offset:20
	buffer_store_dword v44, off, s[0:3], 0 offset:16
	s_and_saveexec_b64 s[4:5], vcc
	s_cbranch_execz .LBB84_131
; %bb.130:
	buffer_load_dword v44, off, s[0:3], 0 offset:8
	buffer_load_dword v45, off, s[0:3], 0 offset:12
	v_mov_b32_e32 v46, 0
	buffer_store_dword v46, off, s[0:3], 0 offset:8
	buffer_store_dword v46, off, s[0:3], 0 offset:12
	s_waitcnt vmcnt(2)
	ds_write_b64 v1, v[44:45]
.LBB84_131:
	s_or_b64 exec, exec, s[4:5]
	s_waitcnt lgkmcnt(0)
	; wave barrier
	s_waitcnt lgkmcnt(0)
	buffer_load_dword v44, off, s[0:3], 0 offset:16
	buffer_load_dword v45, off, s[0:3], 0 offset:20
	buffer_load_dword v84, off, s[0:3], 0 offset:24
	buffer_load_dword v85, off, s[0:3], 0 offset:28
	buffer_load_dword v86, off, s[0:3], 0 offset:32
	buffer_load_dword v87, off, s[0:3], 0 offset:36
	buffer_load_dword v88, off, s[0:3], 0 offset:40
	buffer_load_dword v89, off, s[0:3], 0 offset:44
	buffer_load_dword v90, off, s[0:3], 0 offset:48
	buffer_load_dword v91, off, s[0:3], 0 offset:52
	buffer_load_dword v92, off, s[0:3], 0 offset:56
	buffer_load_dword v93, off, s[0:3], 0 offset:60
	buffer_load_dword v94, off, s[0:3], 0 offset:64
	buffer_load_dword v95, off, s[0:3], 0 offset:68
	buffer_load_dword v97, off, s[0:3], 0 offset:100
	buffer_load_dword v96, off, s[0:3], 0 offset:96
	buffer_load_dword v99, off, s[0:3], 0 offset:92
	buffer_load_dword v98, off, s[0:3], 0 offset:88
	buffer_load_dword v101, off, s[0:3], 0 offset:84
	buffer_load_dword v100, off, s[0:3], 0 offset:80
	buffer_load_dword v103, off, s[0:3], 0 offset:76
	buffer_load_dword v102, off, s[0:3], 0 offset:72
	buffer_load_dword v105, off, s[0:3], 0 offset:132
	buffer_load_dword v104, off, s[0:3], 0 offset:128
	buffer_load_dword v107, off, s[0:3], 0 offset:124
	buffer_load_dword v106, off, s[0:3], 0 offset:120
	buffer_load_dword v109, off, s[0:3], 0 offset:116
	buffer_load_dword v108, off, s[0:3], 0 offset:112
	buffer_load_dword v111, off, s[0:3], 0 offset:108
	buffer_load_dword v110, off, s[0:3], 0 offset:104
	buffer_load_dword v112, off, s[0:3], 0 offset:160
	buffer_load_dword v114, off, s[0:3], 0 offset:152
	buffer_load_dword v117, off, s[0:3], 0 offset:148
	buffer_load_dword v116, off, s[0:3], 0 offset:144
	buffer_load_dword v119, off, s[0:3], 0 offset:140
	buffer_load_dword v118, off, s[0:3], 0 offset:136
	buffer_load_dword v115, off, s[0:3], 0 offset:156
	buffer_load_dword v113, off, s[0:3], 0 offset:164
	buffer_load_dword v120, off, s[0:3], 0 offset:8
	buffer_load_dword v121, off, s[0:3], 0 offset:12
	v_mov_b32_e32 v46, 0
	ds_read_b128 v[48:51], v46 offset:192
	ds_read_b128 v[52:55], v46 offset:208
	;; [unrolled: 1-line block ×9, first 2 shown]
	ds_read_b64 v[122:123], v46 offset:336
	v_cmp_ne_u32_e32 vcc, 0, v0
	s_waitcnt vmcnt(38) lgkmcnt(9)
	v_fma_f64 v[44:45], v[44:45], v[48:49], 0
	s_waitcnt vmcnt(36)
	v_fmac_f64_e32 v[44:45], v[84:85], v[50:51]
	s_waitcnt vmcnt(34) lgkmcnt(8)
	v_fmac_f64_e32 v[44:45], v[86:87], v[52:53]
	s_waitcnt vmcnt(32)
	v_fmac_f64_e32 v[44:45], v[88:89], v[54:55]
	s_waitcnt vmcnt(30) lgkmcnt(7)
	v_fmac_f64_e32 v[44:45], v[90:91], v[56:57]
	;; [unrolled: 4-line block ×3, first 2 shown]
	s_waitcnt vmcnt(18)
	v_fmac_f64_e32 v[44:45], v[102:103], v[62:63]
	s_waitcnt lgkmcnt(5)
	v_fmac_f64_e32 v[44:45], v[100:101], v[64:65]
	v_fmac_f64_e32 v[44:45], v[98:99], v[66:67]
	s_waitcnt lgkmcnt(4)
	v_fmac_f64_e32 v[44:45], v[96:97], v[68:69]
	s_waitcnt vmcnt(10)
	v_fmac_f64_e32 v[44:45], v[110:111], v[70:71]
	s_waitcnt lgkmcnt(3)
	v_fmac_f64_e32 v[44:45], v[108:109], v[72:73]
	v_fmac_f64_e32 v[44:45], v[106:107], v[74:75]
	s_waitcnt lgkmcnt(2)
	v_fmac_f64_e32 v[44:45], v[104:105], v[76:77]
	s_waitcnt vmcnt(4)
	v_fmac_f64_e32 v[44:45], v[118:119], v[78:79]
	s_waitcnt lgkmcnt(1)
	v_fmac_f64_e32 v[44:45], v[116:117], v[80:81]
	s_waitcnt vmcnt(3)
	v_fmac_f64_e32 v[44:45], v[114:115], v[82:83]
	s_waitcnt vmcnt(2) lgkmcnt(0)
	v_fmac_f64_e32 v[44:45], v[112:113], v[122:123]
	s_waitcnt vmcnt(0)
	v_add_f64 v[44:45], v[120:121], -v[44:45]
	buffer_store_dword v45, off, s[0:3], 0 offset:12
	buffer_store_dword v44, off, s[0:3], 0 offset:8
	s_and_saveexec_b64 s[4:5], vcc
	s_cbranch_execz .LBB84_133
; %bb.132:
	buffer_load_dword v44, off, s[0:3], 0
	buffer_load_dword v45, off, s[0:3], 0 offset:4
	s_waitcnt vmcnt(0)
	ds_write_b64 v1, v[44:45]
	buffer_store_dword v46, off, s[0:3], 0
	buffer_store_dword v46, off, s[0:3], 0 offset:4
.LBB84_133:
	s_or_b64 exec, exec, s[4:5]
	s_waitcnt lgkmcnt(0)
	; wave barrier
	s_waitcnt lgkmcnt(0)
	buffer_load_dword v0, off, s[0:3], 0 offset:8
	buffer_load_dword v1, off, s[0:3], 0 offset:12
	;; [unrolled: 1-line block ×40, first 2 shown]
	buffer_load_dword v124, off, s[0:3], 0
	buffer_load_dword v125, off, s[0:3], 0 offset:4
	ds_read2_b64 v[48:51], v46 offset0:23 offset1:24
	ds_read2_b64 v[52:55], v46 offset0:25 offset1:26
	;; [unrolled: 1-line block ×10, first 2 shown]
	s_and_b64 vcc, exec, s[16:17]
	s_waitcnt vmcnt(40) lgkmcnt(9)
	v_fma_f64 v[0:1], v[0:1], v[48:49], 0
	s_waitcnt vmcnt(38)
	v_fmac_f64_e32 v[0:1], v[88:89], v[50:51]
	s_waitcnt vmcnt(36) lgkmcnt(8)
	v_fmac_f64_e32 v[0:1], v[90:91], v[52:53]
	s_waitcnt vmcnt(34)
	v_fmac_f64_e32 v[0:1], v[92:93], v[54:55]
	s_waitcnt vmcnt(32) lgkmcnt(7)
	v_fmac_f64_e32 v[0:1], v[94:95], v[56:57]
	;; [unrolled: 4-line block ×3, first 2 shown]
	s_waitcnt vmcnt(20)
	v_fmac_f64_e32 v[0:1], v[106:107], v[62:63]
	s_waitcnt lgkmcnt(5)
	v_fmac_f64_e32 v[0:1], v[104:105], v[64:65]
	v_fmac_f64_e32 v[0:1], v[102:103], v[66:67]
	s_waitcnt lgkmcnt(4)
	v_fmac_f64_e32 v[0:1], v[100:101], v[68:69]
	s_waitcnt vmcnt(12)
	v_fmac_f64_e32 v[0:1], v[114:115], v[70:71]
	s_waitcnt lgkmcnt(3)
	v_fmac_f64_e32 v[0:1], v[112:113], v[72:73]
	v_fmac_f64_e32 v[0:1], v[110:111], v[74:75]
	s_waitcnt lgkmcnt(2)
	v_fmac_f64_e32 v[0:1], v[108:109], v[76:77]
	s_waitcnt vmcnt(5)
	v_fmac_f64_e32 v[0:1], v[120:121], v[78:79]
	s_waitcnt lgkmcnt(1)
	v_fmac_f64_e32 v[0:1], v[118:119], v[80:81]
	v_fmac_f64_e32 v[0:1], v[116:117], v[82:83]
	s_waitcnt vmcnt(4) lgkmcnt(0)
	v_fmac_f64_e32 v[0:1], v[44:45], v[84:85]
	s_waitcnt vmcnt(2)
	v_fmac_f64_e32 v[0:1], v[122:123], v[86:87]
	s_waitcnt vmcnt(0)
	v_add_f64 v[0:1], v[124:125], -v[0:1]
	buffer_store_dword v1, off, s[0:3], 0 offset:4
	buffer_store_dword v0, off, s[0:3], 0
	s_cbranch_vccz .LBB84_175
; %bb.134:
	v_pk_mov_b32 v[0:1], s[10:11], s[10:11] op_sel:[0,1]
	flat_load_dword v0, v[0:1] offset:76
	s_waitcnt vmcnt(0) lgkmcnt(0)
	v_add_u32_e32 v0, -1, v0
	v_cmp_ne_u32_e32 vcc, 19, v0
	s_and_saveexec_b64 s[4:5], vcc
	s_cbranch_execz .LBB84_136
; %bb.135:
	v_mov_b32_e32 v1, 0
	v_lshl_add_u32 v0, v0, 3, v1
	buffer_load_dword v1, v0, s[0:3], 0 offen
	buffer_load_dword v46, v0, s[0:3], 0 offen offset:4
	s_waitcnt vmcnt(1)
	buffer_store_dword v1, off, s[0:3], 0 offset:152
	s_waitcnt vmcnt(1)
	buffer_store_dword v46, off, s[0:3], 0 offset:156
	buffer_store_dword v44, v0, s[0:3], 0 offen
	buffer_store_dword v45, v0, s[0:3], 0 offen offset:4
.LBB84_136:
	s_or_b64 exec, exec, s[4:5]
	v_pk_mov_b32 v[0:1], s[10:11], s[10:11] op_sel:[0,1]
	flat_load_dword v0, v[0:1] offset:72
	s_waitcnt vmcnt(0) lgkmcnt(0)
	v_add_u32_e32 v0, -1, v0
	v_cmp_ne_u32_e32 vcc, 18, v0
	s_and_saveexec_b64 s[4:5], vcc
	s_cbranch_execz .LBB84_138
; %bb.137:
	v_mov_b32_e32 v1, 0
	v_lshl_add_u32 v0, v0, 3, v1
	buffer_load_dword v1, v0, s[0:3], 0 offen
	buffer_load_dword v44, v0, s[0:3], 0 offen offset:4
	buffer_load_dword v45, off, s[0:3], 0 offset:148
	buffer_load_dword v46, off, s[0:3], 0 offset:144
	s_waitcnt vmcnt(3)
	buffer_store_dword v1, off, s[0:3], 0 offset:144
	s_waitcnt vmcnt(3)
	buffer_store_dword v44, off, s[0:3], 0 offset:148
	s_waitcnt vmcnt(3)
	buffer_store_dword v45, v0, s[0:3], 0 offen offset:4
	s_waitcnt vmcnt(3)
	buffer_store_dword v46, v0, s[0:3], 0 offen
.LBB84_138:
	s_or_b64 exec, exec, s[4:5]
	v_pk_mov_b32 v[0:1], s[10:11], s[10:11] op_sel:[0,1]
	flat_load_dword v0, v[0:1] offset:68
	s_waitcnt vmcnt(0) lgkmcnt(0)
	v_add_u32_e32 v0, -1, v0
	v_cmp_ne_u32_e32 vcc, 17, v0
	s_and_saveexec_b64 s[4:5], vcc
	s_cbranch_execz .LBB84_140
; %bb.139:
	v_mov_b32_e32 v1, 0
	v_lshl_add_u32 v0, v0, 3, v1
	buffer_load_dword v1, v0, s[0:3], 0 offen
	buffer_load_dword v44, v0, s[0:3], 0 offen offset:4
	buffer_load_dword v45, off, s[0:3], 0 offset:136
	buffer_load_dword v46, off, s[0:3], 0 offset:140
	s_waitcnt vmcnt(3)
	buffer_store_dword v1, off, s[0:3], 0 offset:136
	s_waitcnt vmcnt(3)
	buffer_store_dword v44, off, s[0:3], 0 offset:140
	s_waitcnt vmcnt(3)
	buffer_store_dword v45, v0, s[0:3], 0 offen
	s_waitcnt vmcnt(3)
	buffer_store_dword v46, v0, s[0:3], 0 offen offset:4
.LBB84_140:
	s_or_b64 exec, exec, s[4:5]
	v_pk_mov_b32 v[0:1], s[10:11], s[10:11] op_sel:[0,1]
	flat_load_dword v0, v[0:1] offset:64
	s_waitcnt vmcnt(0) lgkmcnt(0)
	v_add_u32_e32 v0, -1, v0
	v_cmp_ne_u32_e32 vcc, 16, v0
	s_and_saveexec_b64 s[4:5], vcc
	s_cbranch_execz .LBB84_142
; %bb.141:
	v_mov_b32_e32 v1, 0
	v_lshl_add_u32 v0, v0, 3, v1
	buffer_load_dword v1, v0, s[0:3], 0 offen
	buffer_load_dword v44, v0, s[0:3], 0 offen offset:4
	buffer_load_dword v45, off, s[0:3], 0 offset:132
	buffer_load_dword v46, off, s[0:3], 0 offset:128
	s_waitcnt vmcnt(3)
	buffer_store_dword v1, off, s[0:3], 0 offset:128
	s_waitcnt vmcnt(3)
	buffer_store_dword v44, off, s[0:3], 0 offset:132
	s_waitcnt vmcnt(3)
	buffer_store_dword v45, v0, s[0:3], 0 offen offset:4
	s_waitcnt vmcnt(3)
	buffer_store_dword v46, v0, s[0:3], 0 offen
.LBB84_142:
	s_or_b64 exec, exec, s[4:5]
	v_pk_mov_b32 v[0:1], s[10:11], s[10:11] op_sel:[0,1]
	flat_load_dword v0, v[0:1] offset:60
	s_waitcnt vmcnt(0) lgkmcnt(0)
	v_add_u32_e32 v0, -1, v0
	v_cmp_ne_u32_e32 vcc, 15, v0
	s_and_saveexec_b64 s[4:5], vcc
	s_cbranch_execz .LBB84_144
; %bb.143:
	v_mov_b32_e32 v1, 0
	v_lshl_add_u32 v0, v0, 3, v1
	buffer_load_dword v1, v0, s[0:3], 0 offen
	buffer_load_dword v44, v0, s[0:3], 0 offen offset:4
	buffer_load_dword v45, off, s[0:3], 0 offset:120
	buffer_load_dword v46, off, s[0:3], 0 offset:124
	s_waitcnt vmcnt(3)
	buffer_store_dword v1, off, s[0:3], 0 offset:120
	s_waitcnt vmcnt(3)
	buffer_store_dword v44, off, s[0:3], 0 offset:124
	s_waitcnt vmcnt(3)
	buffer_store_dword v45, v0, s[0:3], 0 offen
	s_waitcnt vmcnt(3)
	buffer_store_dword v46, v0, s[0:3], 0 offen offset:4
.LBB84_144:
	;; [unrolled: 48-line block ×9, first 2 shown]
	s_or_b64 exec, exec, s[4:5]
	v_pk_mov_b32 v[0:1], s[10:11], s[10:11] op_sel:[0,1]
	flat_load_dword v44, v[0:1]
	s_nop 0
	buffer_load_dword v0, off, s[0:3], 0
	buffer_load_dword v1, off, s[0:3], 0 offset:4
	s_waitcnt vmcnt(0) lgkmcnt(0)
	v_add_u32_e32 v44, -1, v44
	v_cmp_ne_u32_e32 vcc, 0, v44
	s_and_saveexec_b64 s[4:5], vcc
	s_cbranch_execz .LBB84_174
; %bb.173:
	v_mov_b32_e32 v45, 0
	v_lshl_add_u32 v44, v44, 3, v45
	buffer_load_dword v45, v44, s[0:3], 0 offen offset:4
	buffer_load_dword v46, v44, s[0:3], 0 offen
	s_waitcnt vmcnt(1)
	buffer_store_dword v45, off, s[0:3], 0 offset:4
	s_waitcnt vmcnt(1)
	buffer_store_dword v46, off, s[0:3], 0
	buffer_store_dword v1, v44, s[0:3], 0 offen offset:4
	buffer_store_dword v0, v44, s[0:3], 0 offen
	buffer_load_dword v0, off, s[0:3], 0
	s_nop 0
	buffer_load_dword v1, off, s[0:3], 0 offset:4
.LBB84_174:
	s_or_b64 exec, exec, s[4:5]
.LBB84_175:
	buffer_load_dword v44, off, s[0:3], 0 offset:8
	buffer_load_dword v45, off, s[0:3], 0 offset:12
	;; [unrolled: 1-line block ×40, first 2 shown]
	s_waitcnt vmcnt(40)
	global_store_dwordx2 v[2:3], v[0:1], off
	s_waitcnt vmcnt(39)
	global_store_dwordx2 v[4:5], v[44:45], off
	s_waitcnt vmcnt(38)
	global_store_dwordx2 v[6:7], v[46:47], off
	s_waitcnt vmcnt(37)
	global_store_dwordx2 v[8:9], v[48:49], off
	s_waitcnt vmcnt(36)
	global_store_dwordx2 v[10:11], v[50:51], off
	s_waitcnt vmcnt(35)
	global_store_dwordx2 v[12:13], v[52:53], off
	s_waitcnt vmcnt(34)
	global_store_dwordx2 v[14:15], v[54:55], off
	s_waitcnt vmcnt(33)
	global_store_dwordx2 v[16:17], v[56:57], off
	s_waitcnt vmcnt(32)
	global_store_dwordx2 v[18:19], v[58:59], off
	s_waitcnt vmcnt(31)
	global_store_dwordx2 v[20:21], v[60:61], off
	s_waitcnt vmcnt(30)
	global_store_dwordx2 v[22:23], v[62:63], off
	s_waitcnt vmcnt(29)
	global_store_dwordx2 v[24:25], v[64:65], off
	s_waitcnt vmcnt(28)
	global_store_dwordx2 v[26:27], v[66:67], off
	s_waitcnt vmcnt(27)
	global_store_dwordx2 v[28:29], v[68:69], off
	s_waitcnt vmcnt(26)
	global_store_dwordx2 v[30:31], v[70:71], off
	s_waitcnt vmcnt(25)
	global_store_dwordx2 v[32:33], v[72:73], off
	s_waitcnt vmcnt(24)
	global_store_dwordx2 v[34:35], v[74:75], off
	s_waitcnt vmcnt(23)
	global_store_dwordx2 v[36:37], v[76:77], off
	s_waitcnt vmcnt(22)
	global_store_dwordx2 v[38:39], v[78:79], off
	s_waitcnt vmcnt(21)
	global_store_dwordx2 v[40:41], v[80:81], off
	s_waitcnt vmcnt(20)
	global_store_dwordx2 v[42:43], v[82:83], off
	s_endpgm
	.section	.rodata,"a",@progbits
	.p2align	6, 0x0
	.amdhsa_kernel _ZN9rocsolver6v33100L18getri_kernel_smallILi21EdPKPdEEvT1_iilPiilS6_bb
		.amdhsa_group_segment_fixed_size 344
		.amdhsa_private_segment_fixed_size 176
		.amdhsa_kernarg_size 60
		.amdhsa_user_sgpr_count 8
		.amdhsa_user_sgpr_private_segment_buffer 1
		.amdhsa_user_sgpr_dispatch_ptr 0
		.amdhsa_user_sgpr_queue_ptr 0
		.amdhsa_user_sgpr_kernarg_segment_ptr 1
		.amdhsa_user_sgpr_dispatch_id 0
		.amdhsa_user_sgpr_flat_scratch_init 1
		.amdhsa_user_sgpr_kernarg_preload_length 0
		.amdhsa_user_sgpr_kernarg_preload_offset 0
		.amdhsa_user_sgpr_private_segment_size 0
		.amdhsa_uses_dynamic_stack 0
		.amdhsa_system_sgpr_private_segment_wavefront_offset 1
		.amdhsa_system_sgpr_workgroup_id_x 1
		.amdhsa_system_sgpr_workgroup_id_y 0
		.amdhsa_system_sgpr_workgroup_id_z 0
		.amdhsa_system_sgpr_workgroup_info 0
		.amdhsa_system_vgpr_workitem_id 0
		.amdhsa_next_free_vgpr 126
		.amdhsa_next_free_sgpr 22
		.amdhsa_accum_offset 128
		.amdhsa_reserve_vcc 1
		.amdhsa_reserve_flat_scratch 1
		.amdhsa_float_round_mode_32 0
		.amdhsa_float_round_mode_16_64 0
		.amdhsa_float_denorm_mode_32 3
		.amdhsa_float_denorm_mode_16_64 3
		.amdhsa_dx10_clamp 1
		.amdhsa_ieee_mode 1
		.amdhsa_fp16_overflow 0
		.amdhsa_tg_split 0
		.amdhsa_exception_fp_ieee_invalid_op 0
		.amdhsa_exception_fp_denorm_src 0
		.amdhsa_exception_fp_ieee_div_zero 0
		.amdhsa_exception_fp_ieee_overflow 0
		.amdhsa_exception_fp_ieee_underflow 0
		.amdhsa_exception_fp_ieee_inexact 0
		.amdhsa_exception_int_div_zero 0
	.end_amdhsa_kernel
	.section	.text._ZN9rocsolver6v33100L18getri_kernel_smallILi21EdPKPdEEvT1_iilPiilS6_bb,"axG",@progbits,_ZN9rocsolver6v33100L18getri_kernel_smallILi21EdPKPdEEvT1_iilPiilS6_bb,comdat
.Lfunc_end84:
	.size	_ZN9rocsolver6v33100L18getri_kernel_smallILi21EdPKPdEEvT1_iilPiilS6_bb, .Lfunc_end84-_ZN9rocsolver6v33100L18getri_kernel_smallILi21EdPKPdEEvT1_iilPiilS6_bb
                                        ; -- End function
	.section	.AMDGPU.csdata,"",@progbits
; Kernel info:
; codeLenInByte = 17004
; NumSgprs: 28
; NumVgprs: 126
; NumAgprs: 0
; TotalNumVgprs: 126
; ScratchSize: 176
; MemoryBound: 0
; FloatMode: 240
; IeeeMode: 1
; LDSByteSize: 344 bytes/workgroup (compile time only)
; SGPRBlocks: 3
; VGPRBlocks: 15
; NumSGPRsForWavesPerEU: 28
; NumVGPRsForWavesPerEU: 126
; AccumOffset: 128
; Occupancy: 4
; WaveLimiterHint : 1
; COMPUTE_PGM_RSRC2:SCRATCH_EN: 1
; COMPUTE_PGM_RSRC2:USER_SGPR: 8
; COMPUTE_PGM_RSRC2:TRAP_HANDLER: 0
; COMPUTE_PGM_RSRC2:TGID_X_EN: 1
; COMPUTE_PGM_RSRC2:TGID_Y_EN: 0
; COMPUTE_PGM_RSRC2:TGID_Z_EN: 0
; COMPUTE_PGM_RSRC2:TIDIG_COMP_CNT: 0
; COMPUTE_PGM_RSRC3_GFX90A:ACCUM_OFFSET: 31
; COMPUTE_PGM_RSRC3_GFX90A:TG_SPLIT: 0
	.section	.text._ZN9rocsolver6v33100L18getri_kernel_smallILi22EdPKPdEEvT1_iilPiilS6_bb,"axG",@progbits,_ZN9rocsolver6v33100L18getri_kernel_smallILi22EdPKPdEEvT1_iilPiilS6_bb,comdat
	.globl	_ZN9rocsolver6v33100L18getri_kernel_smallILi22EdPKPdEEvT1_iilPiilS6_bb ; -- Begin function _ZN9rocsolver6v33100L18getri_kernel_smallILi22EdPKPdEEvT1_iilPiilS6_bb
	.p2align	8
	.type	_ZN9rocsolver6v33100L18getri_kernel_smallILi22EdPKPdEEvT1_iilPiilS6_bb,@function
_ZN9rocsolver6v33100L18getri_kernel_smallILi22EdPKPdEEvT1_iilPiilS6_bb: ; @_ZN9rocsolver6v33100L18getri_kernel_smallILi22EdPKPdEEvT1_iilPiilS6_bb
; %bb.0:
	s_add_u32 flat_scratch_lo, s6, s9
	s_addc_u32 flat_scratch_hi, s7, 0
	s_add_u32 s0, s0, s9
	s_addc_u32 s1, s1, 0
	v_cmp_gt_u32_e32 vcc, 22, v0
	s_and_saveexec_b64 s[6:7], vcc
	s_cbranch_execz .LBB85_96
; %bb.1:
	s_load_dword s20, s[4:5], 0x38
	s_load_dwordx2 s[6:7], s[4:5], 0x0
	s_load_dwordx4 s[12:15], s[4:5], 0x28
	s_waitcnt lgkmcnt(0)
	s_bitcmp1_b32 s20, 8
	s_cselect_b64 s[16:17], -1, 0
	s_ashr_i32 s9, s8, 31
	s_lshl_b64 s[10:11], s[8:9], 3
	s_add_u32 s6, s6, s10
	s_addc_u32 s7, s7, s11
	s_load_dwordx2 s[18:19], s[6:7], 0x0
	s_bfe_u32 s6, s20, 0x10008
	s_cmp_eq_u32 s6, 0
                                        ; implicit-def: $sgpr10_sgpr11
	s_cbranch_scc1 .LBB85_3
; %bb.2:
	s_load_dword s6, s[4:5], 0x20
	s_load_dwordx2 s[10:11], s[4:5], 0x18
	s_mul_i32 s7, s8, s13
	s_mul_hi_u32 s13, s8, s12
	s_add_i32 s13, s13, s7
	s_mul_i32 s21, s9, s12
	s_add_i32 s13, s13, s21
	s_mul_i32 s12, s8, s12
	s_waitcnt lgkmcnt(0)
	s_ashr_i32 s7, s6, 31
	s_lshl_b64 s[12:13], s[12:13], 2
	s_add_u32 s10, s10, s12
	s_addc_u32 s11, s11, s13
	s_lshl_b64 s[6:7], s[6:7], 2
	s_add_u32 s10, s10, s6
	s_addc_u32 s11, s11, s7
.LBB85_3:
	s_load_dwordx2 s[6:7], s[4:5], 0x8
	v_lshlrev_b32_e32 v1, 3, v0
	s_waitcnt lgkmcnt(0)
	s_ashr_i32 s5, s6, 31
	s_mov_b32 s4, s6
	s_lshl_b64 s[4:5], s[4:5], 3
	s_add_u32 s4, s18, s4
	s_addc_u32 s5, s19, s5
	v_mov_b32_e32 v3, s5
	v_add_co_u32_e32 v2, vcc, s4, v1
	s_ashr_i32 s13, s7, 31
	s_mov_b32 s12, s7
	s_add_i32 s6, s7, s7
	v_addc_co_u32_e32 v3, vcc, 0, v3, vcc
	s_lshl_b64 s[12:13], s[12:13], 3
	v_add_u32_e32 v8, s6, v0
	v_mov_b32_e32 v5, s13
	v_add_co_u32_e32 v4, vcc, s12, v2
	v_ashrrev_i32_e32 v9, 31, v8
	v_addc_co_u32_e32 v5, vcc, v3, v5, vcc
	v_lshlrev_b64 v[6:7], 3, v[8:9]
	v_add_u32_e32 v10, s7, v8
	v_mov_b32_e32 v9, s5
	v_add_co_u32_e32 v6, vcc, s4, v6
	v_ashrrev_i32_e32 v11, 31, v10
	v_addc_co_u32_e32 v7, vcc, v9, v7, vcc
	v_lshlrev_b64 v[8:9], 3, v[10:11]
	;; [unrolled: 6-line block ×6, first 2 shown]
	v_mov_b32_e32 v19, s5
	v_add_co_u32_e32 v16, vcc, s4, v16
	v_add_u32_e32 v18, s7, v18
	v_addc_co_u32_e32 v17, vcc, v19, v17, vcc
	v_ashrrev_i32_e32 v19, 31, v18
	v_add_u32_e32 v20, s7, v18
	v_lshlrev_b64 v[18:19], 3, v[18:19]
	v_mov_b32_e32 v21, s5
	v_add_co_u32_e32 v18, vcc, s4, v18
	v_addc_co_u32_e32 v19, vcc, v21, v19, vcc
	v_ashrrev_i32_e32 v21, 31, v20
	v_add_u32_e32 v22, s7, v20
	v_lshlrev_b64 v[20:21], 3, v[20:21]
	v_mov_b32_e32 v23, s5
	v_add_co_u32_e32 v20, vcc, s4, v20
	v_addc_co_u32_e32 v21, vcc, v23, v21, vcc
	v_ashrrev_i32_e32 v23, 31, v22
	v_add_u32_e32 v24, s7, v22
	v_lshlrev_b64 v[22:23], 3, v[22:23]
	v_mov_b32_e32 v25, s5
	v_add_co_u32_e32 v22, vcc, s4, v22
	v_addc_co_u32_e32 v23, vcc, v25, v23, vcc
	v_ashrrev_i32_e32 v25, 31, v24
	v_add_u32_e32 v26, s7, v24
	v_lshlrev_b64 v[24:25], 3, v[24:25]
	v_mov_b32_e32 v27, s5
	v_add_co_u32_e32 v24, vcc, s4, v24
	v_addc_co_u32_e32 v25, vcc, v27, v25, vcc
	v_ashrrev_i32_e32 v27, 31, v26
	v_add_u32_e32 v28, s7, v26
	v_lshlrev_b64 v[26:27], 3, v[26:27]
	v_mov_b32_e32 v29, s5
	v_add_co_u32_e32 v26, vcc, s4, v26
	v_addc_co_u32_e32 v27, vcc, v29, v27, vcc
	v_ashrrev_i32_e32 v29, 31, v28
	v_add_u32_e32 v30, s7, v28
	v_lshlrev_b64 v[28:29], 3, v[28:29]
	v_mov_b32_e32 v31, s5
	v_add_co_u32_e32 v28, vcc, s4, v28
	v_addc_co_u32_e32 v29, vcc, v31, v29, vcc
	v_ashrrev_i32_e32 v31, 31, v30
	v_add_u32_e32 v32, s7, v30
	v_lshlrev_b64 v[30:31], 3, v[30:31]
	v_mov_b32_e32 v33, s5
	v_add_co_u32_e32 v30, vcc, s4, v30
	v_addc_co_u32_e32 v31, vcc, v33, v31, vcc
	v_ashrrev_i32_e32 v33, 31, v32
	v_add_u32_e32 v34, s7, v32
	v_lshlrev_b64 v[32:33], 3, v[32:33]
	v_mov_b32_e32 v35, s5
	v_add_co_u32_e32 v32, vcc, s4, v32
	v_addc_co_u32_e32 v33, vcc, v35, v33, vcc
	v_ashrrev_i32_e32 v35, 31, v34
	v_add_u32_e32 v36, s7, v34
	v_lshlrev_b64 v[34:35], 3, v[34:35]
	v_mov_b32_e32 v37, s5
	v_add_co_u32_e32 v34, vcc, s4, v34
	v_addc_co_u32_e32 v35, vcc, v37, v35, vcc
	v_ashrrev_i32_e32 v37, 31, v36
	v_add_u32_e32 v38, s7, v36
	v_lshlrev_b64 v[36:37], 3, v[36:37]
	v_mov_b32_e32 v39, s5
	v_add_co_u32_e32 v36, vcc, s4, v36
	v_addc_co_u32_e32 v37, vcc, v39, v37, vcc
	v_ashrrev_i32_e32 v39, 31, v38
	v_add_u32_e32 v40, s7, v38
	v_lshlrev_b64 v[38:39], 3, v[38:39]
	v_mov_b32_e32 v41, s5
	v_add_co_u32_e32 v38, vcc, s4, v38
	v_addc_co_u32_e32 v39, vcc, v41, v39, vcc
	v_ashrrev_i32_e32 v41, 31, v40
	v_add_u32_e32 v42, s7, v40
	v_lshlrev_b64 v[40:41], 3, v[40:41]
	v_mov_b32_e32 v43, s5
	v_add_co_u32_e32 v40, vcc, s4, v40
	v_addc_co_u32_e32 v41, vcc, v43, v41, vcc
	v_ashrrev_i32_e32 v43, 31, v42
	v_add_u32_e32 v44, s7, v42
	v_lshlrev_b64 v[42:43], 3, v[42:43]
	v_mov_b32_e32 v80, s5
	v_add_co_u32_e32 v42, vcc, s4, v42
	global_load_dwordx2 v[46:47], v1, s[4:5]
	global_load_dwordx2 v[54:55], v[4:5], off
	global_load_dwordx2 v[50:51], v[6:7], off
	;; [unrolled: 1-line block ×16, first 2 shown]
	v_addc_co_u32_e32 v43, vcc, v80, v43, vcc
	global_load_dwordx2 v[80:81], v[36:37], off
	global_load_dwordx2 v[82:83], v[38:39], off
	;; [unrolled: 1-line block ×4, first 2 shown]
	v_ashrrev_i32_e32 v45, 31, v44
	v_lshlrev_b64 v[44:45], 3, v[44:45]
	v_mov_b32_e32 v88, s5
	v_add_co_u32_e32 v44, vcc, s4, v44
	v_addc_co_u32_e32 v45, vcc, v88, v45, vcc
	global_load_dwordx2 v[88:89], v[44:45], off
	s_bitcmp0_b32 s20, 0
	s_mov_b64 s[6:7], -1
	s_waitcnt vmcnt(21)
	buffer_store_dword v47, off, s[0:3], 0 offset:4
	buffer_store_dword v46, off, s[0:3], 0
	s_waitcnt vmcnt(22)
	buffer_store_dword v55, off, s[0:3], 0 offset:12
	buffer_store_dword v54, off, s[0:3], 0 offset:8
	s_waitcnt vmcnt(23)
	buffer_store_dword v51, off, s[0:3], 0 offset:20
	buffer_store_dword v50, off, s[0:3], 0 offset:16
	s_waitcnt vmcnt(24)
	buffer_store_dword v49, off, s[0:3], 0 offset:28
	buffer_store_dword v48, off, s[0:3], 0 offset:24
	s_waitcnt vmcnt(25)
	buffer_store_dword v53, off, s[0:3], 0 offset:36
	buffer_store_dword v52, off, s[0:3], 0 offset:32
	s_waitcnt vmcnt(26)
	buffer_store_dword v57, off, s[0:3], 0 offset:44
	buffer_store_dword v56, off, s[0:3], 0 offset:40
	s_waitcnt vmcnt(27)
	buffer_store_dword v59, off, s[0:3], 0 offset:52
	buffer_store_dword v58, off, s[0:3], 0 offset:48
	s_waitcnt vmcnt(28)
	buffer_store_dword v61, off, s[0:3], 0 offset:60
	buffer_store_dword v60, off, s[0:3], 0 offset:56
	s_waitcnt vmcnt(29)
	buffer_store_dword v63, off, s[0:3], 0 offset:68
	buffer_store_dword v62, off, s[0:3], 0 offset:64
	s_waitcnt vmcnt(30)
	buffer_store_dword v64, off, s[0:3], 0 offset:72
	buffer_store_dword v65, off, s[0:3], 0 offset:76
	s_waitcnt vmcnt(31)
	buffer_store_dword v66, off, s[0:3], 0 offset:80
	buffer_store_dword v67, off, s[0:3], 0 offset:84
	s_waitcnt vmcnt(32)
	buffer_store_dword v68, off, s[0:3], 0 offset:88
	buffer_store_dword v69, off, s[0:3], 0 offset:92
	s_waitcnt vmcnt(33)
	buffer_store_dword v70, off, s[0:3], 0 offset:96
	buffer_store_dword v71, off, s[0:3], 0 offset:100
	s_waitcnt vmcnt(34)
	buffer_store_dword v72, off, s[0:3], 0 offset:104
	buffer_store_dword v73, off, s[0:3], 0 offset:108
	s_waitcnt vmcnt(35)
	buffer_store_dword v75, off, s[0:3], 0 offset:116
	buffer_store_dword v74, off, s[0:3], 0 offset:112
	s_waitcnt vmcnt(36)
	buffer_store_dword v76, off, s[0:3], 0 offset:120
	buffer_store_dword v77, off, s[0:3], 0 offset:124
	s_waitcnt vmcnt(37)
	buffer_store_dword v78, off, s[0:3], 0 offset:128
	buffer_store_dword v79, off, s[0:3], 0 offset:132
	s_waitcnt vmcnt(38)
	buffer_store_dword v80, off, s[0:3], 0 offset:136
	buffer_store_dword v81, off, s[0:3], 0 offset:140
	s_waitcnt vmcnt(39)
	buffer_store_dword v82, off, s[0:3], 0 offset:144
	buffer_store_dword v83, off, s[0:3], 0 offset:148
	s_waitcnt vmcnt(40)
	buffer_store_dword v85, off, s[0:3], 0 offset:156
	buffer_store_dword v84, off, s[0:3], 0 offset:152
	s_waitcnt vmcnt(41)
	buffer_store_dword v87, off, s[0:3], 0 offset:164
	buffer_store_dword v86, off, s[0:3], 0 offset:160
	s_waitcnt vmcnt(42)
	buffer_store_dword v88, off, s[0:3], 0 offset:168
	buffer_store_dword v89, off, s[0:3], 0 offset:172
	s_cbranch_scc1 .LBB85_94
; %bb.4:
	v_cmp_eq_u32_e64 s[4:5], 0, v0
	s_and_saveexec_b64 s[6:7], s[4:5]
	s_cbranch_execz .LBB85_6
; %bb.5:
	v_mov_b32_e32 v46, 0
	ds_write_b32 v46, v46 offset:352
.LBB85_6:
	s_or_b64 exec, exec, s[6:7]
	v_mov_b32_e32 v46, 0
	v_lshl_add_u32 v46, v0, 3, v46
	s_waitcnt lgkmcnt(0)
	; wave barrier
	s_waitcnt lgkmcnt(0)
	buffer_load_dword v48, v46, s[0:3], 0 offen
	buffer_load_dword v49, v46, s[0:3], 0 offen offset:4
	s_waitcnt vmcnt(0)
	v_cmp_eq_f64_e32 vcc, 0, v[48:49]
	s_and_saveexec_b64 s[12:13], vcc
	s_cbranch_execz .LBB85_10
; %bb.7:
	v_mov_b32_e32 v47, 0
	ds_read_b32 v49, v47 offset:352
	v_add_u32_e32 v48, 1, v0
	s_waitcnt lgkmcnt(0)
	v_readfirstlane_b32 s6, v49
	s_cmp_eq_u32 s6, 0
	s_cselect_b64 s[18:19], -1, 0
	v_cmp_gt_i32_e32 vcc, s6, v48
	s_or_b64 s[18:19], s[18:19], vcc
	s_and_b64 exec, exec, s[18:19]
	s_cbranch_execz .LBB85_10
; %bb.8:
	s_mov_b64 s[18:19], 0
	v_mov_b32_e32 v49, s6
.LBB85_9:                               ; =>This Inner Loop Header: Depth=1
	ds_cmpst_rtn_b32 v49, v47, v49, v48 offset:352
	s_waitcnt lgkmcnt(0)
	v_cmp_ne_u32_e32 vcc, 0, v49
	v_cmp_le_i32_e64 s[6:7], v49, v48
	s_and_b64 s[6:7], vcc, s[6:7]
	s_and_b64 s[6:7], exec, s[6:7]
	s_or_b64 s[18:19], s[6:7], s[18:19]
	s_andn2_b64 exec, exec, s[18:19]
	s_cbranch_execnz .LBB85_9
.LBB85_10:
	s_or_b64 exec, exec, s[12:13]
	v_mov_b32_e32 v48, 0
	s_waitcnt lgkmcnt(0)
	; wave barrier
	ds_read_b32 v47, v48 offset:352
	s_and_saveexec_b64 s[6:7], s[4:5]
	s_cbranch_execz .LBB85_12
; %bb.11:
	s_lshl_b64 s[12:13], s[8:9], 2
	s_add_u32 s12, s14, s12
	s_addc_u32 s13, s15, s13
	s_waitcnt lgkmcnt(0)
	global_store_dword v48, v47, s[12:13]
.LBB85_12:
	s_or_b64 exec, exec, s[6:7]
	s_waitcnt lgkmcnt(0)
	v_cmp_ne_u32_e32 vcc, 0, v47
	s_mov_b64 s[6:7], 0
	s_cbranch_vccnz .LBB85_94
; %bb.13:
	buffer_load_dword v48, v46, s[0:3], 0 offen
	buffer_load_dword v49, v46, s[0:3], 0 offen offset:4
	s_waitcnt vmcnt(0)
	v_div_scale_f64 v[50:51], s[6:7], v[48:49], v[48:49], 1.0
	v_rcp_f64_e32 v[52:53], v[50:51]
	v_div_scale_f64 v[54:55], vcc, 1.0, v[48:49], 1.0
	v_fma_f64 v[56:57], -v[50:51], v[52:53], 1.0
	v_fmac_f64_e32 v[52:53], v[52:53], v[56:57]
	v_fma_f64 v[56:57], -v[50:51], v[52:53], 1.0
	v_fmac_f64_e32 v[52:53], v[52:53], v[56:57]
	v_mul_f64 v[56:57], v[54:55], v[52:53]
	v_fma_f64 v[50:51], -v[50:51], v[56:57], v[54:55]
	v_div_fmas_f64 v[50:51], v[50:51], v[52:53], v[56:57]
	v_div_fixup_f64 v[50:51], v[50:51], v[48:49], 1.0
	buffer_store_dword v51, v46, s[0:3], 0 offen offset:4
	buffer_store_dword v50, v46, s[0:3], 0 offen
	buffer_load_dword v53, off, s[0:3], 0 offset:12
	buffer_load_dword v52, off, s[0:3], 0 offset:8
	v_add_u32_e32 v48, 0xb0, v1
	v_xor_b32_e32 v51, 0x80000000, v51
	s_waitcnt vmcnt(0)
	ds_write2_b64 v1, v[50:51], v[52:53] offset1:22
	s_waitcnt lgkmcnt(0)
	; wave barrier
	s_waitcnt lgkmcnt(0)
	s_and_saveexec_b64 s[6:7], s[4:5]
	s_cbranch_execz .LBB85_15
; %bb.14:
	buffer_load_dword v50, v46, s[0:3], 0 offen
	buffer_load_dword v51, v46, s[0:3], 0 offen offset:4
	v_mov_b32_e32 v47, 0
	ds_read_b64 v[52:53], v48
	ds_read_b64 v[54:55], v47 offset:8
	s_waitcnt vmcnt(0) lgkmcnt(1)
	v_fma_f64 v[50:51], v[50:51], v[52:53], 0
	s_waitcnt lgkmcnt(0)
	v_mul_f64 v[50:51], v[50:51], v[54:55]
	buffer_store_dword v50, off, s[0:3], 0 offset:8
	buffer_store_dword v51, off, s[0:3], 0 offset:12
.LBB85_15:
	s_or_b64 exec, exec, s[6:7]
	s_waitcnt lgkmcnt(0)
	; wave barrier
	buffer_load_dword v50, off, s[0:3], 0 offset:16
	buffer_load_dword v51, off, s[0:3], 0 offset:20
	v_cmp_gt_u32_e32 vcc, 2, v0
	s_waitcnt vmcnt(0)
	ds_write_b64 v48, v[50:51]
	s_waitcnt lgkmcnt(0)
	; wave barrier
	s_waitcnt lgkmcnt(0)
	s_and_saveexec_b64 s[6:7], vcc
	s_cbranch_execz .LBB85_17
; %bb.16:
	buffer_load_dword v47, v46, s[0:3], 0 offen offset:4
	buffer_load_dword v54, off, s[0:3], 0 offset:8
	s_nop 0
	buffer_load_dword v46, v46, s[0:3], 0 offen
	s_nop 0
	buffer_load_dword v55, off, s[0:3], 0 offset:12
	ds_read_b64 v[56:57], v48
	v_mov_b32_e32 v49, 0
	ds_read2_b64 v[50:53], v49 offset0:2 offset1:23
	s_waitcnt vmcnt(1) lgkmcnt(1)
	v_fma_f64 v[46:47], v[46:47], v[56:57], 0
	s_waitcnt vmcnt(0) lgkmcnt(0)
	v_fma_f64 v[52:53], v[54:55], v[52:53], v[46:47]
	v_cndmask_b32_e64 v47, v47, v53, s[4:5]
	v_cndmask_b32_e64 v46, v46, v52, s[4:5]
	v_mul_f64 v[46:47], v[46:47], v[50:51]
	buffer_store_dword v47, off, s[0:3], 0 offset:20
	buffer_store_dword v46, off, s[0:3], 0 offset:16
.LBB85_17:
	s_or_b64 exec, exec, s[6:7]
	s_waitcnt lgkmcnt(0)
	; wave barrier
	buffer_load_dword v46, off, s[0:3], 0 offset:24
	buffer_load_dword v47, off, s[0:3], 0 offset:28
	v_cmp_gt_u32_e32 vcc, 3, v0
	v_add_u32_e32 v49, -1, v0
	s_waitcnt vmcnt(0)
	ds_write_b64 v48, v[46:47]
	s_waitcnt lgkmcnt(0)
	; wave barrier
	s_waitcnt lgkmcnt(0)
	s_and_saveexec_b64 s[4:5], vcc
	s_cbranch_execz .LBB85_21
; %bb.18:
	v_add_u32_e32 v50, -1, v0
	v_add_u32_e32 v51, 0xb0, v1
	v_add_u32_e32 v52, 0, v1
	s_mov_b64 s[6:7], 0
	v_pk_mov_b32 v[46:47], 0, 0
.LBB85_19:                              ; =>This Inner Loop Header: Depth=1
	buffer_load_dword v54, v52, s[0:3], 0 offen
	buffer_load_dword v55, v52, s[0:3], 0 offen offset:4
	ds_read_b64 v[56:57], v51
	v_add_u32_e32 v50, 1, v50
	v_cmp_lt_u32_e32 vcc, 1, v50
	v_add_u32_e32 v51, 8, v51
	v_add_u32_e32 v52, 8, v52
	s_or_b64 s[6:7], vcc, s[6:7]
	s_waitcnt vmcnt(0) lgkmcnt(0)
	v_fmac_f64_e32 v[46:47], v[54:55], v[56:57]
	s_andn2_b64 exec, exec, s[6:7]
	s_cbranch_execnz .LBB85_19
; %bb.20:
	s_or_b64 exec, exec, s[6:7]
	v_mov_b32_e32 v50, 0
	ds_read_b64 v[50:51], v50 offset:24
	s_waitcnt lgkmcnt(0)
	v_mul_f64 v[46:47], v[46:47], v[50:51]
	buffer_store_dword v47, off, s[0:3], 0 offset:28
	buffer_store_dword v46, off, s[0:3], 0 offset:24
.LBB85_21:
	s_or_b64 exec, exec, s[4:5]
	s_waitcnt lgkmcnt(0)
	; wave barrier
	buffer_load_dword v46, off, s[0:3], 0 offset:32
	buffer_load_dword v47, off, s[0:3], 0 offset:36
	v_cmp_gt_u32_e32 vcc, 4, v0
	s_waitcnt vmcnt(0)
	ds_write_b64 v48, v[46:47]
	s_waitcnt lgkmcnt(0)
	; wave barrier
	s_waitcnt lgkmcnt(0)
	s_and_saveexec_b64 s[4:5], vcc
	s_cbranch_execz .LBB85_25
; %bb.22:
	v_add_u32_e32 v50, -1, v0
	v_add_u32_e32 v51, 0xb0, v1
	v_add_u32_e32 v52, 0, v1
	s_mov_b64 s[6:7], 0
	v_pk_mov_b32 v[46:47], 0, 0
.LBB85_23:                              ; =>This Inner Loop Header: Depth=1
	buffer_load_dword v54, v52, s[0:3], 0 offen
	buffer_load_dword v55, v52, s[0:3], 0 offen offset:4
	ds_read_b64 v[56:57], v51
	v_add_u32_e32 v50, 1, v50
	v_cmp_lt_u32_e32 vcc, 2, v50
	v_add_u32_e32 v51, 8, v51
	v_add_u32_e32 v52, 8, v52
	s_or_b64 s[6:7], vcc, s[6:7]
	s_waitcnt vmcnt(0) lgkmcnt(0)
	v_fmac_f64_e32 v[46:47], v[54:55], v[56:57]
	s_andn2_b64 exec, exec, s[6:7]
	s_cbranch_execnz .LBB85_23
; %bb.24:
	s_or_b64 exec, exec, s[6:7]
	v_mov_b32_e32 v50, 0
	ds_read_b64 v[50:51], v50 offset:32
	s_waitcnt lgkmcnt(0)
	v_mul_f64 v[46:47], v[46:47], v[50:51]
	buffer_store_dword v47, off, s[0:3], 0 offset:36
	buffer_store_dword v46, off, s[0:3], 0 offset:32
.LBB85_25:
	s_or_b64 exec, exec, s[4:5]
	s_waitcnt lgkmcnt(0)
	; wave barrier
	buffer_load_dword v46, off, s[0:3], 0 offset:40
	buffer_load_dword v47, off, s[0:3], 0 offset:44
	v_cmp_gt_u32_e32 vcc, 5, v0
	;; [unrolled: 41-line block ×17, first 2 shown]
	s_waitcnt vmcnt(0)
	ds_write_b64 v48, v[46:47]
	s_waitcnt lgkmcnt(0)
	; wave barrier
	s_waitcnt lgkmcnt(0)
	s_and_saveexec_b64 s[4:5], vcc
	s_cbranch_execz .LBB85_89
; %bb.86:
	v_add_u32_e32 v50, -1, v0
	v_add_u32_e32 v51, 0xb0, v1
	v_add_u32_e32 v52, 0, v1
	s_mov_b64 s[6:7], 0
	v_pk_mov_b32 v[46:47], 0, 0
.LBB85_87:                              ; =>This Inner Loop Header: Depth=1
	buffer_load_dword v54, v52, s[0:3], 0 offen
	buffer_load_dword v55, v52, s[0:3], 0 offen offset:4
	ds_read_b64 v[56:57], v51
	v_add_u32_e32 v50, 1, v50
	v_cmp_lt_u32_e32 vcc, 18, v50
	v_add_u32_e32 v51, 8, v51
	v_add_u32_e32 v52, 8, v52
	s_or_b64 s[6:7], vcc, s[6:7]
	s_waitcnt vmcnt(0) lgkmcnt(0)
	v_fmac_f64_e32 v[46:47], v[54:55], v[56:57]
	s_andn2_b64 exec, exec, s[6:7]
	s_cbranch_execnz .LBB85_87
; %bb.88:
	s_or_b64 exec, exec, s[6:7]
	v_mov_b32_e32 v50, 0
	ds_read_b64 v[50:51], v50 offset:160
	s_waitcnt lgkmcnt(0)
	v_mul_f64 v[46:47], v[46:47], v[50:51]
	buffer_store_dword v47, off, s[0:3], 0 offset:164
	buffer_store_dword v46, off, s[0:3], 0 offset:160
.LBB85_89:
	s_or_b64 exec, exec, s[4:5]
	s_waitcnt lgkmcnt(0)
	; wave barrier
	buffer_load_dword v46, off, s[0:3], 0 offset:168
	buffer_load_dword v47, off, s[0:3], 0 offset:172
	v_cmp_ne_u32_e32 vcc, 21, v0
	s_waitcnt vmcnt(0)
	ds_write_b64 v48, v[46:47]
	s_waitcnt lgkmcnt(0)
	; wave barrier
	s_waitcnt lgkmcnt(0)
	s_and_saveexec_b64 s[4:5], vcc
	s_cbranch_execz .LBB85_93
; %bb.90:
	v_add_u32_e32 v48, 0xb0, v1
	v_add_u32_e32 v1, 0, v1
	s_mov_b64 s[6:7], 0
	v_pk_mov_b32 v[46:47], 0, 0
.LBB85_91:                              ; =>This Inner Loop Header: Depth=1
	buffer_load_dword v50, v1, s[0:3], 0 offen
	buffer_load_dword v51, v1, s[0:3], 0 offen offset:4
	ds_read_b64 v[52:53], v48
	v_add_u32_e32 v49, 1, v49
	v_cmp_lt_u32_e32 vcc, 19, v49
	v_add_u32_e32 v48, 8, v48
	v_add_u32_e32 v1, 8, v1
	s_or_b64 s[6:7], vcc, s[6:7]
	s_waitcnt vmcnt(0) lgkmcnt(0)
	v_fmac_f64_e32 v[46:47], v[50:51], v[52:53]
	s_andn2_b64 exec, exec, s[6:7]
	s_cbranch_execnz .LBB85_91
; %bb.92:
	s_or_b64 exec, exec, s[6:7]
	v_mov_b32_e32 v1, 0
	ds_read_b64 v[48:49], v1 offset:168
	s_waitcnt lgkmcnt(0)
	v_mul_f64 v[46:47], v[46:47], v[48:49]
	buffer_store_dword v47, off, s[0:3], 0 offset:172
	buffer_store_dword v46, off, s[0:3], 0 offset:168
.LBB85_93:
	s_or_b64 exec, exec, s[4:5]
	s_mov_b64 s[6:7], -1
	s_waitcnt lgkmcnt(0)
	; wave barrier
.LBB85_94:
	s_and_b64 vcc, exec, s[6:7]
	s_cbranch_vccz .LBB85_96
; %bb.95:
	s_lshl_b64 s[4:5], s[8:9], 2
	s_add_u32 s4, s14, s4
	s_addc_u32 s5, s15, s5
	v_mov_b32_e32 v1, 0
	global_load_dword v1, v1, s[4:5]
	s_waitcnt vmcnt(0)
	v_cmp_ne_u32_e32 vcc, 0, v1
	s_cbranch_vccz .LBB85_97
.LBB85_96:
	s_endpgm
.LBB85_97:
	v_mov_b32_e32 v1, 0xb0
	v_lshl_add_u32 v1, v0, 3, v1
	v_cmp_eq_u32_e32 vcc, 21, v0
	s_and_saveexec_b64 s[4:5], vcc
	s_cbranch_execz .LBB85_99
; %bb.98:
	buffer_load_dword v46, off, s[0:3], 0 offset:160
	buffer_load_dword v47, off, s[0:3], 0 offset:164
	v_mov_b32_e32 v48, 0
	buffer_store_dword v48, off, s[0:3], 0 offset:160
	buffer_store_dword v48, off, s[0:3], 0 offset:164
	s_waitcnt vmcnt(2)
	ds_write_b64 v1, v[46:47]
.LBB85_99:
	s_or_b64 exec, exec, s[4:5]
	s_waitcnt lgkmcnt(0)
	; wave barrier
	s_waitcnt lgkmcnt(0)
	buffer_load_dword v48, off, s[0:3], 0 offset:168
	buffer_load_dword v49, off, s[0:3], 0 offset:172
	;; [unrolled: 1-line block ×4, first 2 shown]
	v_mov_b32_e32 v46, 0
	ds_read_b64 v[52:53], v46 offset:344
	v_cmp_lt_u32_e32 vcc, 19, v0
	s_waitcnt vmcnt(2) lgkmcnt(0)
	v_fma_f64 v[48:49], v[48:49], v[52:53], 0
	s_waitcnt vmcnt(0)
	v_add_f64 v[48:49], v[50:51], -v[48:49]
	buffer_store_dword v48, off, s[0:3], 0 offset:160
	buffer_store_dword v49, off, s[0:3], 0 offset:164
	s_and_saveexec_b64 s[4:5], vcc
	s_cbranch_execz .LBB85_101
; %bb.100:
	buffer_load_dword v48, off, s[0:3], 0 offset:152
	buffer_load_dword v49, off, s[0:3], 0 offset:156
	s_waitcnt vmcnt(0)
	ds_write_b64 v1, v[48:49]
	buffer_store_dword v46, off, s[0:3], 0 offset:152
	buffer_store_dword v46, off, s[0:3], 0 offset:156
.LBB85_101:
	s_or_b64 exec, exec, s[4:5]
	s_waitcnt lgkmcnt(0)
	; wave barrier
	s_waitcnt lgkmcnt(0)
	buffer_load_dword v50, off, s[0:3], 0 offset:160
	buffer_load_dword v51, off, s[0:3], 0 offset:164
	;; [unrolled: 1-line block ×6, first 2 shown]
	ds_read_b128 v[46:49], v46 offset:336
	v_cmp_lt_u32_e32 vcc, 18, v0
	s_waitcnt vmcnt(4) lgkmcnt(0)
	v_fma_f64 v[46:47], v[50:51], v[46:47], 0
	s_waitcnt vmcnt(2)
	v_fmac_f64_e32 v[46:47], v[52:53], v[48:49]
	s_waitcnt vmcnt(0)
	v_add_f64 v[46:47], v[54:55], -v[46:47]
	buffer_store_dword v46, off, s[0:3], 0 offset:152
	buffer_store_dword v47, off, s[0:3], 0 offset:156
	s_and_saveexec_b64 s[4:5], vcc
	s_cbranch_execz .LBB85_103
; %bb.102:
	buffer_load_dword v46, off, s[0:3], 0 offset:144
	buffer_load_dword v47, off, s[0:3], 0 offset:148
	v_mov_b32_e32 v48, 0
	buffer_store_dword v48, off, s[0:3], 0 offset:144
	buffer_store_dword v48, off, s[0:3], 0 offset:148
	s_waitcnt vmcnt(2)
	ds_write_b64 v1, v[46:47]
.LBB85_103:
	s_or_b64 exec, exec, s[4:5]
	s_waitcnt lgkmcnt(0)
	; wave barrier
	s_waitcnt lgkmcnt(0)
	buffer_load_dword v52, off, s[0:3], 0 offset:152
	buffer_load_dword v53, off, s[0:3], 0 offset:156
	;; [unrolled: 1-line block ×8, first 2 shown]
	v_mov_b32_e32 v46, 0
	ds_read2_b64 v[48:51], v46 offset0:41 offset1:42
	ds_read_b64 v[60:61], v46 offset:344
	v_cmp_lt_u32_e32 vcc, 17, v0
	s_waitcnt vmcnt(6) lgkmcnt(1)
	v_fma_f64 v[48:49], v[52:53], v[48:49], 0
	s_waitcnt vmcnt(4)
	v_fmac_f64_e32 v[48:49], v[54:55], v[50:51]
	s_waitcnt vmcnt(2) lgkmcnt(0)
	v_fmac_f64_e32 v[48:49], v[56:57], v[60:61]
	s_waitcnt vmcnt(0)
	v_add_f64 v[48:49], v[58:59], -v[48:49]
	buffer_store_dword v48, off, s[0:3], 0 offset:144
	buffer_store_dword v49, off, s[0:3], 0 offset:148
	s_and_saveexec_b64 s[4:5], vcc
	s_cbranch_execz .LBB85_105
; %bb.104:
	buffer_load_dword v48, off, s[0:3], 0 offset:136
	buffer_load_dword v49, off, s[0:3], 0 offset:140
	s_waitcnt vmcnt(0)
	ds_write_b64 v1, v[48:49]
	buffer_store_dword v46, off, s[0:3], 0 offset:136
	buffer_store_dword v46, off, s[0:3], 0 offset:140
.LBB85_105:
	s_or_b64 exec, exec, s[4:5]
	s_waitcnt lgkmcnt(0)
	; wave barrier
	s_waitcnt lgkmcnt(0)
	buffer_load_dword v56, off, s[0:3], 0 offset:144
	buffer_load_dword v57, off, s[0:3], 0 offset:148
	;; [unrolled: 1-line block ×10, first 2 shown]
	ds_read_b128 v[48:51], v46 offset:320
	ds_read_b128 v[52:55], v46 offset:336
	v_cmp_lt_u32_e32 vcc, 16, v0
	s_waitcnt vmcnt(8) lgkmcnt(1)
	v_fma_f64 v[46:47], v[56:57], v[48:49], 0
	s_waitcnt vmcnt(6)
	v_fmac_f64_e32 v[46:47], v[58:59], v[50:51]
	s_waitcnt vmcnt(4) lgkmcnt(0)
	v_fmac_f64_e32 v[46:47], v[60:61], v[52:53]
	s_waitcnt vmcnt(2)
	v_fmac_f64_e32 v[46:47], v[62:63], v[54:55]
	s_waitcnt vmcnt(0)
	v_add_f64 v[46:47], v[64:65], -v[46:47]
	buffer_store_dword v46, off, s[0:3], 0 offset:136
	buffer_store_dword v47, off, s[0:3], 0 offset:140
	s_and_saveexec_b64 s[4:5], vcc
	s_cbranch_execz .LBB85_107
; %bb.106:
	buffer_load_dword v46, off, s[0:3], 0 offset:128
	buffer_load_dword v47, off, s[0:3], 0 offset:132
	v_mov_b32_e32 v48, 0
	buffer_store_dword v48, off, s[0:3], 0 offset:128
	buffer_store_dword v48, off, s[0:3], 0 offset:132
	s_waitcnt vmcnt(2)
	ds_write_b64 v1, v[46:47]
.LBB85_107:
	s_or_b64 exec, exec, s[4:5]
	s_waitcnt lgkmcnt(0)
	; wave barrier
	s_waitcnt lgkmcnt(0)
	buffer_load_dword v56, off, s[0:3], 0 offset:136
	buffer_load_dword v57, off, s[0:3], 0 offset:140
	;; [unrolled: 1-line block ×12, first 2 shown]
	v_mov_b32_e32 v46, 0
	ds_read2_b64 v[48:51], v46 offset0:39 offset1:40
	ds_read2_b64 v[52:55], v46 offset0:41 offset1:42
	ds_read_b64 v[68:69], v46 offset:344
	v_cmp_lt_u32_e32 vcc, 15, v0
	s_waitcnt vmcnt(10) lgkmcnt(2)
	v_fma_f64 v[48:49], v[56:57], v[48:49], 0
	s_waitcnt vmcnt(8)
	v_fmac_f64_e32 v[48:49], v[58:59], v[50:51]
	s_waitcnt vmcnt(6) lgkmcnt(1)
	v_fmac_f64_e32 v[48:49], v[60:61], v[52:53]
	s_waitcnt vmcnt(4)
	v_fmac_f64_e32 v[48:49], v[62:63], v[54:55]
	s_waitcnt vmcnt(2) lgkmcnt(0)
	v_fmac_f64_e32 v[48:49], v[64:65], v[68:69]
	s_waitcnt vmcnt(0)
	v_add_f64 v[48:49], v[66:67], -v[48:49]
	buffer_store_dword v48, off, s[0:3], 0 offset:128
	buffer_store_dword v49, off, s[0:3], 0 offset:132
	s_and_saveexec_b64 s[4:5], vcc
	s_cbranch_execz .LBB85_109
; %bb.108:
	buffer_load_dword v48, off, s[0:3], 0 offset:120
	buffer_load_dword v49, off, s[0:3], 0 offset:124
	s_waitcnt vmcnt(0)
	ds_write_b64 v1, v[48:49]
	buffer_store_dword v46, off, s[0:3], 0 offset:120
	buffer_store_dword v46, off, s[0:3], 0 offset:124
.LBB85_109:
	s_or_b64 exec, exec, s[4:5]
	s_waitcnt lgkmcnt(0)
	; wave barrier
	s_waitcnt lgkmcnt(0)
	buffer_load_dword v60, off, s[0:3], 0 offset:128
	buffer_load_dword v61, off, s[0:3], 0 offset:132
	buffer_load_dword v62, off, s[0:3], 0 offset:136
	buffer_load_dword v63, off, s[0:3], 0 offset:140
	buffer_load_dword v64, off, s[0:3], 0 offset:144
	buffer_load_dword v65, off, s[0:3], 0 offset:148
	buffer_load_dword v66, off, s[0:3], 0 offset:152
	buffer_load_dword v67, off, s[0:3], 0 offset:156
	buffer_load_dword v68, off, s[0:3], 0 offset:160
	buffer_load_dword v69, off, s[0:3], 0 offset:164
	buffer_load_dword v70, off, s[0:3], 0 offset:168
	buffer_load_dword v71, off, s[0:3], 0 offset:172
	buffer_load_dword v72, off, s[0:3], 0 offset:120
	buffer_load_dword v73, off, s[0:3], 0 offset:124
	ds_read_b128 v[48:51], v46 offset:304
	ds_read_b128 v[52:55], v46 offset:320
	;; [unrolled: 1-line block ×3, first 2 shown]
	v_cmp_lt_u32_e32 vcc, 14, v0
	s_waitcnt vmcnt(12) lgkmcnt(2)
	v_fma_f64 v[46:47], v[60:61], v[48:49], 0
	s_waitcnt vmcnt(10)
	v_fmac_f64_e32 v[46:47], v[62:63], v[50:51]
	s_waitcnt vmcnt(8) lgkmcnt(1)
	v_fmac_f64_e32 v[46:47], v[64:65], v[52:53]
	s_waitcnt vmcnt(6)
	v_fmac_f64_e32 v[46:47], v[66:67], v[54:55]
	s_waitcnt vmcnt(4) lgkmcnt(0)
	v_fmac_f64_e32 v[46:47], v[68:69], v[56:57]
	s_waitcnt vmcnt(2)
	v_fmac_f64_e32 v[46:47], v[70:71], v[58:59]
	s_waitcnt vmcnt(0)
	v_add_f64 v[46:47], v[72:73], -v[46:47]
	buffer_store_dword v46, off, s[0:3], 0 offset:120
	buffer_store_dword v47, off, s[0:3], 0 offset:124
	s_and_saveexec_b64 s[4:5], vcc
	s_cbranch_execz .LBB85_111
; %bb.110:
	buffer_load_dword v46, off, s[0:3], 0 offset:112
	buffer_load_dword v47, off, s[0:3], 0 offset:116
	v_mov_b32_e32 v48, 0
	buffer_store_dword v48, off, s[0:3], 0 offset:112
	buffer_store_dword v48, off, s[0:3], 0 offset:116
	s_waitcnt vmcnt(2)
	ds_write_b64 v1, v[46:47]
.LBB85_111:
	s_or_b64 exec, exec, s[4:5]
	s_waitcnt lgkmcnt(0)
	; wave barrier
	s_waitcnt lgkmcnt(0)
	buffer_load_dword v60, off, s[0:3], 0 offset:120
	buffer_load_dword v61, off, s[0:3], 0 offset:124
	;; [unrolled: 1-line block ×16, first 2 shown]
	v_mov_b32_e32 v46, 0
	ds_read2_b64 v[48:51], v46 offset0:37 offset1:38
	ds_read2_b64 v[52:55], v46 offset0:39 offset1:40
	;; [unrolled: 1-line block ×3, first 2 shown]
	ds_read_b64 v[76:77], v46 offset:344
	v_cmp_lt_u32_e32 vcc, 13, v0
	s_waitcnt vmcnt(14) lgkmcnt(3)
	v_fma_f64 v[48:49], v[60:61], v[48:49], 0
	s_waitcnt vmcnt(12)
	v_fmac_f64_e32 v[48:49], v[62:63], v[50:51]
	s_waitcnt vmcnt(10) lgkmcnt(2)
	v_fmac_f64_e32 v[48:49], v[64:65], v[52:53]
	s_waitcnt vmcnt(8)
	v_fmac_f64_e32 v[48:49], v[66:67], v[54:55]
	s_waitcnt vmcnt(6) lgkmcnt(1)
	v_fmac_f64_e32 v[48:49], v[68:69], v[56:57]
	;; [unrolled: 4-line block ×3, first 2 shown]
	s_waitcnt vmcnt(0)
	v_add_f64 v[48:49], v[74:75], -v[48:49]
	buffer_store_dword v48, off, s[0:3], 0 offset:112
	buffer_store_dword v49, off, s[0:3], 0 offset:116
	s_and_saveexec_b64 s[4:5], vcc
	s_cbranch_execz .LBB85_113
; %bb.112:
	buffer_load_dword v48, off, s[0:3], 0 offset:104
	buffer_load_dword v49, off, s[0:3], 0 offset:108
	s_waitcnt vmcnt(0)
	ds_write_b64 v1, v[48:49]
	buffer_store_dword v46, off, s[0:3], 0 offset:104
	buffer_store_dword v46, off, s[0:3], 0 offset:108
.LBB85_113:
	s_or_b64 exec, exec, s[4:5]
	s_waitcnt lgkmcnt(0)
	; wave barrier
	s_waitcnt lgkmcnt(0)
	buffer_load_dword v64, off, s[0:3], 0 offset:112
	buffer_load_dword v65, off, s[0:3], 0 offset:116
	;; [unrolled: 1-line block ×18, first 2 shown]
	ds_read_b128 v[48:51], v46 offset:288
	ds_read_b128 v[52:55], v46 offset:304
	;; [unrolled: 1-line block ×4, first 2 shown]
	v_cmp_lt_u32_e32 vcc, 12, v0
	s_waitcnt vmcnt(16) lgkmcnt(3)
	v_fma_f64 v[46:47], v[64:65], v[48:49], 0
	s_waitcnt vmcnt(14)
	v_fmac_f64_e32 v[46:47], v[66:67], v[50:51]
	s_waitcnt vmcnt(12) lgkmcnt(2)
	v_fmac_f64_e32 v[46:47], v[68:69], v[52:53]
	s_waitcnt vmcnt(10)
	v_fmac_f64_e32 v[46:47], v[70:71], v[54:55]
	s_waitcnt vmcnt(8) lgkmcnt(1)
	v_fmac_f64_e32 v[46:47], v[72:73], v[56:57]
	;; [unrolled: 4-line block ×3, first 2 shown]
	s_waitcnt vmcnt(2)
	v_fmac_f64_e32 v[46:47], v[78:79], v[62:63]
	s_waitcnt vmcnt(0)
	v_add_f64 v[46:47], v[80:81], -v[46:47]
	buffer_store_dword v46, off, s[0:3], 0 offset:104
	buffer_store_dword v47, off, s[0:3], 0 offset:108
	s_and_saveexec_b64 s[4:5], vcc
	s_cbranch_execz .LBB85_115
; %bb.114:
	buffer_load_dword v46, off, s[0:3], 0 offset:96
	buffer_load_dword v47, off, s[0:3], 0 offset:100
	v_mov_b32_e32 v48, 0
	buffer_store_dword v48, off, s[0:3], 0 offset:96
	buffer_store_dword v48, off, s[0:3], 0 offset:100
	s_waitcnt vmcnt(2)
	ds_write_b64 v1, v[46:47]
.LBB85_115:
	s_or_b64 exec, exec, s[4:5]
	s_waitcnt lgkmcnt(0)
	; wave barrier
	s_waitcnt lgkmcnt(0)
	buffer_load_dword v64, off, s[0:3], 0 offset:104
	buffer_load_dword v65, off, s[0:3], 0 offset:108
	;; [unrolled: 1-line block ×20, first 2 shown]
	v_mov_b32_e32 v46, 0
	ds_read2_b64 v[48:51], v46 offset0:35 offset1:36
	ds_read2_b64 v[52:55], v46 offset0:37 offset1:38
	;; [unrolled: 1-line block ×4, first 2 shown]
	ds_read_b64 v[84:85], v46 offset:344
	v_cmp_lt_u32_e32 vcc, 11, v0
	s_waitcnt vmcnt(18) lgkmcnt(4)
	v_fma_f64 v[48:49], v[64:65], v[48:49], 0
	s_waitcnt vmcnt(16)
	v_fmac_f64_e32 v[48:49], v[66:67], v[50:51]
	s_waitcnt vmcnt(14) lgkmcnt(3)
	v_fmac_f64_e32 v[48:49], v[68:69], v[52:53]
	s_waitcnt vmcnt(12)
	v_fmac_f64_e32 v[48:49], v[70:71], v[54:55]
	s_waitcnt vmcnt(10) lgkmcnt(2)
	v_fmac_f64_e32 v[48:49], v[72:73], v[56:57]
	;; [unrolled: 4-line block ×3, first 2 shown]
	s_waitcnt vmcnt(2)
	v_fmac_f64_e32 v[48:49], v[80:81], v[62:63]
	s_waitcnt lgkmcnt(0)
	v_fmac_f64_e32 v[48:49], v[78:79], v[84:85]
	s_waitcnt vmcnt(0)
	v_add_f64 v[48:49], v[82:83], -v[48:49]
	buffer_store_dword v48, off, s[0:3], 0 offset:96
	buffer_store_dword v49, off, s[0:3], 0 offset:100
	s_and_saveexec_b64 s[4:5], vcc
	s_cbranch_execz .LBB85_117
; %bb.116:
	buffer_load_dword v48, off, s[0:3], 0 offset:88
	buffer_load_dword v49, off, s[0:3], 0 offset:92
	s_waitcnt vmcnt(0)
	ds_write_b64 v1, v[48:49]
	buffer_store_dword v46, off, s[0:3], 0 offset:88
	buffer_store_dword v46, off, s[0:3], 0 offset:92
.LBB85_117:
	s_or_b64 exec, exec, s[4:5]
	s_waitcnt lgkmcnt(0)
	; wave barrier
	s_waitcnt lgkmcnt(0)
	buffer_load_dword v68, off, s[0:3], 0 offset:96
	buffer_load_dword v69, off, s[0:3], 0 offset:100
	;; [unrolled: 1-line block ×22, first 2 shown]
	ds_read_b128 v[48:51], v46 offset:272
	ds_read_b128 v[52:55], v46 offset:288
	;; [unrolled: 1-line block ×5, first 2 shown]
	v_cmp_lt_u32_e32 vcc, 10, v0
	s_waitcnt vmcnt(20) lgkmcnt(4)
	v_fma_f64 v[46:47], v[68:69], v[48:49], 0
	s_waitcnt vmcnt(18)
	v_fmac_f64_e32 v[46:47], v[70:71], v[50:51]
	s_waitcnt vmcnt(16) lgkmcnt(3)
	v_fmac_f64_e32 v[46:47], v[72:73], v[52:53]
	s_waitcnt vmcnt(14)
	v_fmac_f64_e32 v[46:47], v[74:75], v[54:55]
	s_waitcnt vmcnt(12) lgkmcnt(2)
	v_fmac_f64_e32 v[46:47], v[76:77], v[56:57]
	;; [unrolled: 4-line block ×3, first 2 shown]
	s_waitcnt vmcnt(3)
	v_fmac_f64_e32 v[46:47], v[86:87], v[62:63]
	s_waitcnt lgkmcnt(0)
	v_fmac_f64_e32 v[46:47], v[84:85], v[64:65]
	s_waitcnt vmcnt(2)
	v_fmac_f64_e32 v[46:47], v[82:83], v[66:67]
	s_waitcnt vmcnt(0)
	v_add_f64 v[46:47], v[88:89], -v[46:47]
	buffer_store_dword v46, off, s[0:3], 0 offset:88
	buffer_store_dword v47, off, s[0:3], 0 offset:92
	s_and_saveexec_b64 s[4:5], vcc
	s_cbranch_execz .LBB85_119
; %bb.118:
	buffer_load_dword v46, off, s[0:3], 0 offset:80
	buffer_load_dword v47, off, s[0:3], 0 offset:84
	v_mov_b32_e32 v48, 0
	buffer_store_dword v48, off, s[0:3], 0 offset:80
	buffer_store_dword v48, off, s[0:3], 0 offset:84
	s_waitcnt vmcnt(2)
	ds_write_b64 v1, v[46:47]
.LBB85_119:
	s_or_b64 exec, exec, s[4:5]
	s_waitcnt lgkmcnt(0)
	; wave barrier
	s_waitcnt lgkmcnt(0)
	buffer_load_dword v68, off, s[0:3], 0 offset:88
	buffer_load_dword v69, off, s[0:3], 0 offset:92
	;; [unrolled: 1-line block ×24, first 2 shown]
	v_mov_b32_e32 v46, 0
	ds_read2_b64 v[48:51], v46 offset0:33 offset1:34
	ds_read2_b64 v[52:55], v46 offset0:35 offset1:36
	;; [unrolled: 1-line block ×5, first 2 shown]
	ds_read_b64 v[92:93], v46 offset:344
	v_cmp_lt_u32_e32 vcc, 9, v0
	s_waitcnt vmcnt(22) lgkmcnt(5)
	v_fma_f64 v[48:49], v[68:69], v[48:49], 0
	s_waitcnt vmcnt(20)
	v_fmac_f64_e32 v[48:49], v[70:71], v[50:51]
	s_waitcnt vmcnt(18) lgkmcnt(4)
	v_fmac_f64_e32 v[48:49], v[72:73], v[52:53]
	s_waitcnt vmcnt(16)
	v_fmac_f64_e32 v[48:49], v[74:75], v[54:55]
	s_waitcnt vmcnt(14) lgkmcnt(3)
	v_fmac_f64_e32 v[48:49], v[76:77], v[56:57]
	;; [unrolled: 4-line block ×3, first 2 shown]
	s_waitcnt vmcnt(4)
	v_fmac_f64_e32 v[48:49], v[88:89], v[62:63]
	s_waitcnt lgkmcnt(1)
	v_fmac_f64_e32 v[48:49], v[86:87], v[64:65]
	s_waitcnt vmcnt(3)
	v_fmac_f64_e32 v[48:49], v[84:85], v[66:67]
	s_waitcnt vmcnt(2) lgkmcnt(0)
	v_fmac_f64_e32 v[48:49], v[82:83], v[92:93]
	s_waitcnt vmcnt(0)
	v_add_f64 v[48:49], v[90:91], -v[48:49]
	buffer_store_dword v49, off, s[0:3], 0 offset:84
	buffer_store_dword v48, off, s[0:3], 0 offset:80
	s_and_saveexec_b64 s[4:5], vcc
	s_cbranch_execz .LBB85_121
; %bb.120:
	buffer_load_dword v48, off, s[0:3], 0 offset:72
	buffer_load_dword v49, off, s[0:3], 0 offset:76
	s_waitcnt vmcnt(0)
	ds_write_b64 v1, v[48:49]
	buffer_store_dword v46, off, s[0:3], 0 offset:72
	buffer_store_dword v46, off, s[0:3], 0 offset:76
.LBB85_121:
	s_or_b64 exec, exec, s[4:5]
	s_waitcnt lgkmcnt(0)
	; wave barrier
	s_waitcnt lgkmcnt(0)
	buffer_load_dword v72, off, s[0:3], 0 offset:80
	buffer_load_dword v73, off, s[0:3], 0 offset:84
	;; [unrolled: 1-line block ×26, first 2 shown]
	ds_read_b128 v[48:51], v46 offset:256
	ds_read_b128 v[52:55], v46 offset:272
	;; [unrolled: 1-line block ×6, first 2 shown]
	v_cmp_lt_u32_e32 vcc, 8, v0
	s_waitcnt vmcnt(24) lgkmcnt(5)
	v_fma_f64 v[46:47], v[72:73], v[48:49], 0
	s_waitcnt vmcnt(22)
	v_fmac_f64_e32 v[46:47], v[74:75], v[50:51]
	s_waitcnt vmcnt(20) lgkmcnt(4)
	v_fmac_f64_e32 v[46:47], v[76:77], v[52:53]
	s_waitcnt vmcnt(18)
	v_fmac_f64_e32 v[46:47], v[78:79], v[54:55]
	s_waitcnt vmcnt(16) lgkmcnt(3)
	v_fmac_f64_e32 v[46:47], v[80:81], v[56:57]
	;; [unrolled: 4-line block ×3, first 2 shown]
	s_waitcnt vmcnt(5)
	v_fmac_f64_e32 v[46:47], v[92:93], v[62:63]
	s_waitcnt lgkmcnt(1)
	v_fmac_f64_e32 v[46:47], v[90:91], v[64:65]
	v_fmac_f64_e32 v[46:47], v[88:89], v[66:67]
	s_waitcnt vmcnt(4) lgkmcnt(0)
	v_fmac_f64_e32 v[46:47], v[86:87], v[68:69]
	s_waitcnt vmcnt(2)
	v_fmac_f64_e32 v[46:47], v[94:95], v[70:71]
	s_waitcnt vmcnt(0)
	v_add_f64 v[46:47], v[96:97], -v[46:47]
	buffer_store_dword v47, off, s[0:3], 0 offset:76
	buffer_store_dword v46, off, s[0:3], 0 offset:72
	s_and_saveexec_b64 s[4:5], vcc
	s_cbranch_execz .LBB85_123
; %bb.122:
	buffer_load_dword v46, off, s[0:3], 0 offset:64
	buffer_load_dword v47, off, s[0:3], 0 offset:68
	v_mov_b32_e32 v48, 0
	buffer_store_dword v48, off, s[0:3], 0 offset:64
	buffer_store_dword v48, off, s[0:3], 0 offset:68
	s_waitcnt vmcnt(2)
	ds_write_b64 v1, v[46:47]
.LBB85_123:
	s_or_b64 exec, exec, s[4:5]
	s_waitcnt lgkmcnt(0)
	; wave barrier
	s_waitcnt lgkmcnt(0)
	buffer_load_dword v72, off, s[0:3], 0 offset:72
	buffer_load_dword v73, off, s[0:3], 0 offset:76
	;; [unrolled: 1-line block ×28, first 2 shown]
	v_mov_b32_e32 v46, 0
	ds_read2_b64 v[48:51], v46 offset0:31 offset1:32
	ds_read2_b64 v[52:55], v46 offset0:33 offset1:34
	;; [unrolled: 1-line block ×6, first 2 shown]
	ds_read_b64 v[100:101], v46 offset:344
	v_cmp_lt_u32_e32 vcc, 7, v0
	s_waitcnt vmcnt(26) lgkmcnt(6)
	v_fma_f64 v[48:49], v[72:73], v[48:49], 0
	s_waitcnt vmcnt(24)
	v_fmac_f64_e32 v[48:49], v[74:75], v[50:51]
	s_waitcnt vmcnt(22) lgkmcnt(5)
	v_fmac_f64_e32 v[48:49], v[76:77], v[52:53]
	s_waitcnt vmcnt(20)
	v_fmac_f64_e32 v[48:49], v[78:79], v[54:55]
	s_waitcnt vmcnt(18) lgkmcnt(4)
	v_fmac_f64_e32 v[48:49], v[80:81], v[56:57]
	;; [unrolled: 4-line block ×3, first 2 shown]
	s_waitcnt vmcnt(6)
	v_fmac_f64_e32 v[48:49], v[92:93], v[62:63]
	s_waitcnt lgkmcnt(2)
	v_fmac_f64_e32 v[48:49], v[90:91], v[64:65]
	v_fmac_f64_e32 v[48:49], v[88:89], v[66:67]
	s_waitcnt lgkmcnt(1)
	v_fmac_f64_e32 v[48:49], v[86:87], v[68:69]
	s_waitcnt vmcnt(2)
	v_fmac_f64_e32 v[48:49], v[96:97], v[70:71]
	s_waitcnt lgkmcnt(0)
	v_fmac_f64_e32 v[48:49], v[94:95], v[100:101]
	s_waitcnt vmcnt(0)
	v_add_f64 v[48:49], v[98:99], -v[48:49]
	buffer_store_dword v49, off, s[0:3], 0 offset:68
	buffer_store_dword v48, off, s[0:3], 0 offset:64
	s_and_saveexec_b64 s[4:5], vcc
	s_cbranch_execz .LBB85_125
; %bb.124:
	buffer_load_dword v48, off, s[0:3], 0 offset:56
	buffer_load_dword v49, off, s[0:3], 0 offset:60
	s_waitcnt vmcnt(0)
	ds_write_b64 v1, v[48:49]
	buffer_store_dword v46, off, s[0:3], 0 offset:56
	buffer_store_dword v46, off, s[0:3], 0 offset:60
.LBB85_125:
	s_or_b64 exec, exec, s[4:5]
	s_waitcnt lgkmcnt(0)
	; wave barrier
	s_waitcnt lgkmcnt(0)
	buffer_load_dword v76, off, s[0:3], 0 offset:64
	buffer_load_dword v77, off, s[0:3], 0 offset:68
	;; [unrolled: 1-line block ×30, first 2 shown]
	ds_read_b128 v[48:51], v46 offset:240
	ds_read_b128 v[52:55], v46 offset:256
	ds_read_b128 v[56:59], v46 offset:272
	ds_read_b128 v[60:63], v46 offset:288
	ds_read_b128 v[64:67], v46 offset:304
	ds_read_b128 v[68:71], v46 offset:320
	ds_read_b128 v[72:75], v46 offset:336
	v_cmp_lt_u32_e32 vcc, 6, v0
	s_waitcnt vmcnt(28) lgkmcnt(6)
	v_fma_f64 v[46:47], v[76:77], v[48:49], 0
	s_waitcnt vmcnt(26)
	v_fmac_f64_e32 v[46:47], v[78:79], v[50:51]
	s_waitcnt vmcnt(24) lgkmcnt(5)
	v_fmac_f64_e32 v[46:47], v[80:81], v[52:53]
	s_waitcnt vmcnt(22)
	v_fmac_f64_e32 v[46:47], v[82:83], v[54:55]
	s_waitcnt vmcnt(20) lgkmcnt(4)
	v_fmac_f64_e32 v[46:47], v[84:85], v[56:57]
	;; [unrolled: 4-line block ×3, first 2 shown]
	s_waitcnt vmcnt(8)
	v_fmac_f64_e32 v[46:47], v[96:97], v[62:63]
	s_waitcnt lgkmcnt(2)
	v_fmac_f64_e32 v[46:47], v[94:95], v[64:65]
	v_fmac_f64_e32 v[46:47], v[92:93], v[66:67]
	s_waitcnt lgkmcnt(1)
	v_fmac_f64_e32 v[46:47], v[90:91], v[68:69]
	s_waitcnt vmcnt(3)
	v_fmac_f64_e32 v[46:47], v[102:103], v[70:71]
	s_waitcnt lgkmcnt(0)
	v_fmac_f64_e32 v[46:47], v[100:101], v[72:73]
	s_waitcnt vmcnt(2)
	v_fmac_f64_e32 v[46:47], v[98:99], v[74:75]
	s_waitcnt vmcnt(0)
	v_add_f64 v[46:47], v[104:105], -v[46:47]
	buffer_store_dword v47, off, s[0:3], 0 offset:60
	buffer_store_dword v46, off, s[0:3], 0 offset:56
	s_and_saveexec_b64 s[4:5], vcc
	s_cbranch_execz .LBB85_127
; %bb.126:
	buffer_load_dword v46, off, s[0:3], 0 offset:48
	buffer_load_dword v47, off, s[0:3], 0 offset:52
	v_mov_b32_e32 v48, 0
	buffer_store_dword v48, off, s[0:3], 0 offset:48
	buffer_store_dword v48, off, s[0:3], 0 offset:52
	s_waitcnt vmcnt(2)
	ds_write_b64 v1, v[46:47]
.LBB85_127:
	s_or_b64 exec, exec, s[4:5]
	s_waitcnt lgkmcnt(0)
	; wave barrier
	s_waitcnt lgkmcnt(0)
	buffer_load_dword v76, off, s[0:3], 0 offset:56
	buffer_load_dword v77, off, s[0:3], 0 offset:60
	;; [unrolled: 1-line block ×32, first 2 shown]
	v_mov_b32_e32 v46, 0
	ds_read2_b64 v[48:51], v46 offset0:29 offset1:30
	ds_read2_b64 v[52:55], v46 offset0:31 offset1:32
	;; [unrolled: 1-line block ×7, first 2 shown]
	ds_read_b64 v[108:109], v46 offset:344
	v_cmp_lt_u32_e32 vcc, 5, v0
	s_waitcnt vmcnt(30) lgkmcnt(7)
	v_fma_f64 v[48:49], v[76:77], v[48:49], 0
	s_waitcnt vmcnt(28)
	v_fmac_f64_e32 v[48:49], v[78:79], v[50:51]
	s_waitcnt vmcnt(26) lgkmcnt(6)
	v_fmac_f64_e32 v[48:49], v[80:81], v[52:53]
	s_waitcnt vmcnt(24)
	v_fmac_f64_e32 v[48:49], v[82:83], v[54:55]
	s_waitcnt vmcnt(22) lgkmcnt(5)
	v_fmac_f64_e32 v[48:49], v[84:85], v[56:57]
	;; [unrolled: 4-line block ×3, first 2 shown]
	s_waitcnt vmcnt(10)
	v_fmac_f64_e32 v[48:49], v[96:97], v[62:63]
	s_waitcnt lgkmcnt(3)
	v_fmac_f64_e32 v[48:49], v[94:95], v[64:65]
	v_fmac_f64_e32 v[48:49], v[92:93], v[66:67]
	s_waitcnt lgkmcnt(2)
	v_fmac_f64_e32 v[48:49], v[90:91], v[68:69]
	s_waitcnt vmcnt(4)
	v_fmac_f64_e32 v[48:49], v[104:105], v[70:71]
	s_waitcnt lgkmcnt(1)
	v_fmac_f64_e32 v[48:49], v[102:103], v[72:73]
	s_waitcnt vmcnt(3)
	v_fmac_f64_e32 v[48:49], v[100:101], v[74:75]
	s_waitcnt vmcnt(2) lgkmcnt(0)
	v_fmac_f64_e32 v[48:49], v[98:99], v[108:109]
	s_waitcnt vmcnt(0)
	v_add_f64 v[48:49], v[106:107], -v[48:49]
	buffer_store_dword v49, off, s[0:3], 0 offset:52
	buffer_store_dword v48, off, s[0:3], 0 offset:48
	s_and_saveexec_b64 s[4:5], vcc
	s_cbranch_execz .LBB85_129
; %bb.128:
	buffer_load_dword v48, off, s[0:3], 0 offset:40
	buffer_load_dword v49, off, s[0:3], 0 offset:44
	s_waitcnt vmcnt(0)
	ds_write_b64 v1, v[48:49]
	buffer_store_dword v46, off, s[0:3], 0 offset:40
	buffer_store_dword v46, off, s[0:3], 0 offset:44
.LBB85_129:
	s_or_b64 exec, exec, s[4:5]
	s_waitcnt lgkmcnt(0)
	; wave barrier
	s_waitcnt lgkmcnt(0)
	buffer_load_dword v80, off, s[0:3], 0 offset:48
	buffer_load_dword v81, off, s[0:3], 0 offset:52
	;; [unrolled: 1-line block ×34, first 2 shown]
	ds_read_b128 v[48:51], v46 offset:224
	ds_read_b128 v[52:55], v46 offset:240
	;; [unrolled: 1-line block ×8, first 2 shown]
	v_cmp_lt_u32_e32 vcc, 4, v0
	s_waitcnt vmcnt(32) lgkmcnt(7)
	v_fma_f64 v[46:47], v[80:81], v[48:49], 0
	s_waitcnt vmcnt(30)
	v_fmac_f64_e32 v[46:47], v[82:83], v[50:51]
	s_waitcnt vmcnt(28) lgkmcnt(6)
	v_fmac_f64_e32 v[46:47], v[84:85], v[52:53]
	s_waitcnt vmcnt(26)
	v_fmac_f64_e32 v[46:47], v[86:87], v[54:55]
	s_waitcnt vmcnt(24) lgkmcnt(5)
	v_fmac_f64_e32 v[46:47], v[88:89], v[56:57]
	;; [unrolled: 4-line block ×3, first 2 shown]
	s_waitcnt vmcnt(12)
	v_fmac_f64_e32 v[46:47], v[100:101], v[62:63]
	s_waitcnt lgkmcnt(3)
	v_fmac_f64_e32 v[46:47], v[98:99], v[64:65]
	v_fmac_f64_e32 v[46:47], v[96:97], v[66:67]
	s_waitcnt lgkmcnt(2)
	v_fmac_f64_e32 v[46:47], v[94:95], v[68:69]
	s_waitcnt vmcnt(5)
	v_fmac_f64_e32 v[46:47], v[108:109], v[70:71]
	s_waitcnt lgkmcnt(1)
	v_fmac_f64_e32 v[46:47], v[106:107], v[72:73]
	v_fmac_f64_e32 v[46:47], v[104:105], v[74:75]
	s_waitcnt vmcnt(4) lgkmcnt(0)
	v_fmac_f64_e32 v[46:47], v[102:103], v[76:77]
	s_waitcnt vmcnt(2)
	v_fmac_f64_e32 v[46:47], v[110:111], v[78:79]
	s_waitcnt vmcnt(0)
	v_add_f64 v[46:47], v[112:113], -v[46:47]
	buffer_store_dword v47, off, s[0:3], 0 offset:44
	buffer_store_dword v46, off, s[0:3], 0 offset:40
	s_and_saveexec_b64 s[4:5], vcc
	s_cbranch_execz .LBB85_131
; %bb.130:
	buffer_load_dword v46, off, s[0:3], 0 offset:32
	buffer_load_dword v47, off, s[0:3], 0 offset:36
	v_mov_b32_e32 v48, 0
	buffer_store_dword v48, off, s[0:3], 0 offset:32
	buffer_store_dword v48, off, s[0:3], 0 offset:36
	s_waitcnt vmcnt(2)
	ds_write_b64 v1, v[46:47]
.LBB85_131:
	s_or_b64 exec, exec, s[4:5]
	s_waitcnt lgkmcnt(0)
	; wave barrier
	s_waitcnt lgkmcnt(0)
	buffer_load_dword v80, off, s[0:3], 0 offset:40
	buffer_load_dword v81, off, s[0:3], 0 offset:44
	;; [unrolled: 1-line block ×36, first 2 shown]
	v_mov_b32_e32 v46, 0
	ds_read2_b64 v[48:51], v46 offset0:27 offset1:28
	ds_read2_b64 v[52:55], v46 offset0:29 offset1:30
	;; [unrolled: 1-line block ×8, first 2 shown]
	ds_read_b64 v[116:117], v46 offset:344
	v_cmp_lt_u32_e32 vcc, 3, v0
	s_waitcnt vmcnt(34) lgkmcnt(8)
	v_fma_f64 v[48:49], v[80:81], v[48:49], 0
	s_waitcnt vmcnt(32)
	v_fmac_f64_e32 v[48:49], v[82:83], v[50:51]
	s_waitcnt vmcnt(30) lgkmcnt(7)
	v_fmac_f64_e32 v[48:49], v[84:85], v[52:53]
	s_waitcnt vmcnt(28)
	v_fmac_f64_e32 v[48:49], v[86:87], v[54:55]
	s_waitcnt vmcnt(26) lgkmcnt(6)
	v_fmac_f64_e32 v[48:49], v[88:89], v[56:57]
	;; [unrolled: 4-line block ×3, first 2 shown]
	s_waitcnt vmcnt(14)
	v_fmac_f64_e32 v[48:49], v[100:101], v[62:63]
	s_waitcnt lgkmcnt(4)
	v_fmac_f64_e32 v[48:49], v[98:99], v[64:65]
	v_fmac_f64_e32 v[48:49], v[96:97], v[66:67]
	s_waitcnt lgkmcnt(3)
	v_fmac_f64_e32 v[48:49], v[94:95], v[68:69]
	s_waitcnt vmcnt(6)
	v_fmac_f64_e32 v[48:49], v[108:109], v[70:71]
	s_waitcnt lgkmcnt(2)
	v_fmac_f64_e32 v[48:49], v[106:107], v[72:73]
	v_fmac_f64_e32 v[48:49], v[104:105], v[74:75]
	s_waitcnt lgkmcnt(1)
	v_fmac_f64_e32 v[48:49], v[102:103], v[76:77]
	s_waitcnt vmcnt(2)
	v_fmac_f64_e32 v[48:49], v[112:113], v[78:79]
	s_waitcnt lgkmcnt(0)
	v_fmac_f64_e32 v[48:49], v[110:111], v[116:117]
	s_waitcnt vmcnt(0)
	v_add_f64 v[48:49], v[114:115], -v[48:49]
	buffer_store_dword v49, off, s[0:3], 0 offset:36
	buffer_store_dword v48, off, s[0:3], 0 offset:32
	s_and_saveexec_b64 s[4:5], vcc
	s_cbranch_execz .LBB85_133
; %bb.132:
	buffer_load_dword v48, off, s[0:3], 0 offset:24
	buffer_load_dword v49, off, s[0:3], 0 offset:28
	s_waitcnt vmcnt(0)
	ds_write_b64 v1, v[48:49]
	buffer_store_dword v46, off, s[0:3], 0 offset:24
	buffer_store_dword v46, off, s[0:3], 0 offset:28
.LBB85_133:
	s_or_b64 exec, exec, s[4:5]
	s_waitcnt lgkmcnt(0)
	; wave barrier
	s_waitcnt lgkmcnt(0)
	buffer_load_dword v84, off, s[0:3], 0 offset:32
	buffer_load_dword v85, off, s[0:3], 0 offset:36
	;; [unrolled: 1-line block ×38, first 2 shown]
	ds_read_b128 v[48:51], v46 offset:208
	ds_read_b128 v[52:55], v46 offset:224
	;; [unrolled: 1-line block ×9, first 2 shown]
	v_cmp_lt_u32_e32 vcc, 2, v0
	s_waitcnt vmcnt(36) lgkmcnt(8)
	v_fma_f64 v[46:47], v[84:85], v[48:49], 0
	s_waitcnt vmcnt(34)
	v_fmac_f64_e32 v[46:47], v[86:87], v[50:51]
	s_waitcnt vmcnt(32) lgkmcnt(7)
	v_fmac_f64_e32 v[46:47], v[88:89], v[52:53]
	s_waitcnt vmcnt(30)
	v_fmac_f64_e32 v[46:47], v[90:91], v[54:55]
	s_waitcnt vmcnt(28) lgkmcnt(6)
	v_fmac_f64_e32 v[46:47], v[92:93], v[56:57]
	;; [unrolled: 4-line block ×3, first 2 shown]
	s_waitcnt vmcnt(16)
	v_fmac_f64_e32 v[46:47], v[104:105], v[62:63]
	s_waitcnt lgkmcnt(4)
	v_fmac_f64_e32 v[46:47], v[102:103], v[64:65]
	v_fmac_f64_e32 v[46:47], v[100:101], v[66:67]
	s_waitcnt lgkmcnt(3)
	v_fmac_f64_e32 v[46:47], v[98:99], v[68:69]
	s_waitcnt vmcnt(8)
	v_fmac_f64_e32 v[46:47], v[112:113], v[70:71]
	s_waitcnt lgkmcnt(2)
	v_fmac_f64_e32 v[46:47], v[110:111], v[72:73]
	v_fmac_f64_e32 v[46:47], v[108:109], v[74:75]
	s_waitcnt lgkmcnt(1)
	v_fmac_f64_e32 v[46:47], v[106:107], v[76:77]
	s_waitcnt vmcnt(3)
	v_fmac_f64_e32 v[46:47], v[118:119], v[78:79]
	s_waitcnt lgkmcnt(0)
	v_fmac_f64_e32 v[46:47], v[116:117], v[80:81]
	s_waitcnt vmcnt(2)
	v_fmac_f64_e32 v[46:47], v[114:115], v[82:83]
	s_waitcnt vmcnt(0)
	v_add_f64 v[46:47], v[120:121], -v[46:47]
	buffer_store_dword v47, off, s[0:3], 0 offset:28
	buffer_store_dword v46, off, s[0:3], 0 offset:24
	s_and_saveexec_b64 s[4:5], vcc
	s_cbranch_execz .LBB85_135
; %bb.134:
	buffer_load_dword v46, off, s[0:3], 0 offset:16
	buffer_load_dword v47, off, s[0:3], 0 offset:20
	v_mov_b32_e32 v48, 0
	buffer_store_dword v48, off, s[0:3], 0 offset:16
	buffer_store_dword v48, off, s[0:3], 0 offset:20
	s_waitcnt vmcnt(2)
	ds_write_b64 v1, v[46:47]
.LBB85_135:
	s_or_b64 exec, exec, s[4:5]
	s_waitcnt lgkmcnt(0)
	; wave barrier
	s_waitcnt lgkmcnt(0)
	buffer_load_dword v84, off, s[0:3], 0 offset:24
	buffer_load_dword v85, off, s[0:3], 0 offset:28
	;; [unrolled: 1-line block ×40, first 2 shown]
	v_mov_b32_e32 v50, 0
	ds_read2_b64 v[46:49], v50 offset0:25 offset1:26
	ds_read2_b64 v[52:55], v50 offset0:27 offset1:28
	;; [unrolled: 1-line block ×9, first 2 shown]
	ds_read_b64 v[124:125], v50 offset:344
	v_cmp_lt_u32_e32 vcc, 1, v0
	s_waitcnt vmcnt(38) lgkmcnt(9)
	v_fma_f64 v[46:47], v[84:85], v[46:47], 0
	s_waitcnt vmcnt(36)
	v_fmac_f64_e32 v[46:47], v[86:87], v[48:49]
	s_waitcnt vmcnt(34) lgkmcnt(8)
	v_fmac_f64_e32 v[46:47], v[88:89], v[52:53]
	s_waitcnt vmcnt(32)
	v_fmac_f64_e32 v[46:47], v[90:91], v[54:55]
	s_waitcnt vmcnt(30) lgkmcnt(7)
	v_fmac_f64_e32 v[46:47], v[92:93], v[56:57]
	s_waitcnt vmcnt(28)
	v_fmac_f64_e32 v[46:47], v[94:95], v[58:59]
	s_waitcnt vmcnt(26) lgkmcnt(6)
	v_fmac_f64_e32 v[46:47], v[96:97], v[60:61]
	s_waitcnt vmcnt(18)
	v_fmac_f64_e32 v[46:47], v[104:105], v[62:63]
	s_waitcnt lgkmcnt(5)
	v_fmac_f64_e32 v[46:47], v[102:103], v[64:65]
	v_fmac_f64_e32 v[46:47], v[100:101], v[66:67]
	s_waitcnt lgkmcnt(4)
	v_fmac_f64_e32 v[46:47], v[98:99], v[68:69]
	s_waitcnt vmcnt(10)
	v_fmac_f64_e32 v[46:47], v[112:113], v[70:71]
	s_waitcnt lgkmcnt(3)
	v_fmac_f64_e32 v[46:47], v[110:111], v[72:73]
	v_fmac_f64_e32 v[46:47], v[108:109], v[74:75]
	s_waitcnt lgkmcnt(2)
	v_fmac_f64_e32 v[46:47], v[106:107], v[76:77]
	s_waitcnt vmcnt(4)
	v_fmac_f64_e32 v[46:47], v[120:121], v[78:79]
	s_waitcnt lgkmcnt(1)
	v_fmac_f64_e32 v[46:47], v[118:119], v[80:81]
	s_waitcnt vmcnt(3)
	v_fmac_f64_e32 v[46:47], v[116:117], v[82:83]
	s_waitcnt vmcnt(2) lgkmcnt(0)
	v_fmac_f64_e32 v[46:47], v[114:115], v[124:125]
	s_waitcnt vmcnt(0)
	v_add_f64 v[46:47], v[122:123], -v[46:47]
	buffer_store_dword v47, off, s[0:3], 0 offset:20
	buffer_store_dword v46, off, s[0:3], 0 offset:16
	s_and_saveexec_b64 s[4:5], vcc
	s_cbranch_execz .LBB85_137
; %bb.136:
	buffer_load_dword v46, off, s[0:3], 0 offset:8
	buffer_load_dword v47, off, s[0:3], 0 offset:12
	s_waitcnt vmcnt(0)
	ds_write_b64 v1, v[46:47]
	buffer_store_dword v50, off, s[0:3], 0 offset:8
	buffer_store_dword v50, off, s[0:3], 0 offset:12
.LBB85_137:
	s_or_b64 exec, exec, s[4:5]
	s_waitcnt lgkmcnt(0)
	; wave barrier
	s_waitcnt lgkmcnt(0)
	buffer_load_dword v46, off, s[0:3], 0 offset:8
	buffer_load_dword v47, off, s[0:3], 0 offset:12
	;; [unrolled: 1-line block ×16, first 2 shown]
	ds_read_b128 v[52:55], v50 offset:192
	ds_read_b128 v[56:59], v50 offset:208
	;; [unrolled: 1-line block ×4, first 2 shown]
	v_cmp_ne_u32_e32 vcc, 0, v0
	s_waitcnt vmcnt(12) lgkmcnt(3)
	v_fma_f64 v[48:49], v[48:49], v[52:53], 0
	buffer_load_dword v53, off, s[0:3], 0 offset:76
	buffer_load_dword v52, off, s[0:3], 0 offset:72
	s_waitcnt vmcnt(12)
	v_fmac_f64_e32 v[48:49], v[68:69], v[54:55]
	s_waitcnt vmcnt(10) lgkmcnt(2)
	v_fmac_f64_e32 v[48:49], v[70:71], v[56:57]
	buffer_load_dword v57, off, s[0:3], 0 offset:84
	buffer_load_dword v56, off, s[0:3], 0 offset:80
	s_waitcnt vmcnt(10)
	v_fmac_f64_e32 v[48:49], v[72:73], v[58:59]
	s_waitcnt vmcnt(8) lgkmcnt(1)
	v_fmac_f64_e32 v[48:49], v[74:75], v[60:61]
	s_waitcnt vmcnt(6)
	v_fmac_f64_e32 v[48:49], v[76:77], v[62:63]
	s_waitcnt vmcnt(4) lgkmcnt(0)
	v_fmac_f64_e32 v[48:49], v[78:79], v[64:65]
	s_waitcnt vmcnt(2)
	v_fmac_f64_e32 v[48:49], v[52:53], v[66:67]
	ds_read_b128 v[52:55], v50 offset:256
	s_waitcnt vmcnt(0) lgkmcnt(0)
	v_fmac_f64_e32 v[48:49], v[56:57], v[52:53]
	buffer_load_dword v53, off, s[0:3], 0 offset:92
	buffer_load_dword v52, off, s[0:3], 0 offset:88
	buffer_load_dword v57, off, s[0:3], 0 offset:100
	buffer_load_dword v56, off, s[0:3], 0 offset:96
	s_waitcnt vmcnt(2)
	v_fmac_f64_e32 v[48:49], v[52:53], v[54:55]
	ds_read_b128 v[52:55], v50 offset:272
	s_waitcnt vmcnt(0) lgkmcnt(0)
	v_fmac_f64_e32 v[48:49], v[56:57], v[52:53]
	buffer_load_dword v53, off, s[0:3], 0 offset:108
	buffer_load_dword v52, off, s[0:3], 0 offset:104
	buffer_load_dword v57, off, s[0:3], 0 offset:116
	buffer_load_dword v56, off, s[0:3], 0 offset:112
	;; [unrolled: 9-line block ×4, first 2 shown]
	s_waitcnt vmcnt(2)
	v_fmac_f64_e32 v[48:49], v[52:53], v[54:55]
	ds_read_b128 v[52:55], v50 offset:320
	s_waitcnt vmcnt(0) lgkmcnt(0)
	v_fmac_f64_e32 v[48:49], v[56:57], v[52:53]
	buffer_load_dword v53, off, s[0:3], 0 offset:156
	buffer_load_dword v52, off, s[0:3], 0 offset:152
	s_waitcnt vmcnt(0)
	v_fmac_f64_e32 v[48:49], v[52:53], v[54:55]
	buffer_load_dword v55, off, s[0:3], 0 offset:164
	buffer_load_dword v54, off, s[0:3], 0 offset:160
	ds_read_b128 v[50:53], v50 offset:336
	s_waitcnt vmcnt(0) lgkmcnt(0)
	v_fmac_f64_e32 v[48:49], v[54:55], v[50:51]
	buffer_load_dword v51, off, s[0:3], 0 offset:172
	buffer_load_dword v50, off, s[0:3], 0 offset:168
	s_waitcnt vmcnt(0)
	v_fmac_f64_e32 v[48:49], v[50:51], v[52:53]
	v_add_f64 v[46:47], v[46:47], -v[48:49]
	buffer_store_dword v47, off, s[0:3], 0 offset:12
	buffer_store_dword v46, off, s[0:3], 0 offset:8
	s_and_saveexec_b64 s[4:5], vcc
	s_cbranch_execz .LBB85_139
; %bb.138:
	buffer_load_dword v46, off, s[0:3], 0
	buffer_load_dword v47, off, s[0:3], 0 offset:4
	v_mov_b32_e32 v0, 0
	buffer_store_dword v0, off, s[0:3], 0
	buffer_store_dword v0, off, s[0:3], 0 offset:4
	s_waitcnt vmcnt(2)
	ds_write_b64 v1, v[46:47]
.LBB85_139:
	s_or_b64 exec, exec, s[4:5]
	s_waitcnt lgkmcnt(0)
	; wave barrier
	s_waitcnt lgkmcnt(0)
	buffer_load_dword v0, off, s[0:3], 0
	buffer_load_dword v1, off, s[0:3], 0 offset:4
	buffer_load_dword v50, off, s[0:3], 0 offset:8
	;; [unrolled: 1-line block ×15, first 2 shown]
	v_mov_b32_e32 v64, 0
	ds_read2_b64 v[46:49], v64 offset0:23 offset1:24
	s_and_b64 vcc, exec, s[16:17]
	s_waitcnt vmcnt(12) lgkmcnt(0)
	v_fma_f64 v[46:47], v[50:51], v[46:47], 0
	s_waitcnt vmcnt(10)
	v_fmac_f64_e32 v[46:47], v[52:53], v[48:49]
	ds_read2_b64 v[48:51], v64 offset0:25 offset1:26
	s_waitcnt vmcnt(8) lgkmcnt(0)
	v_fmac_f64_e32 v[46:47], v[54:55], v[48:49]
	s_waitcnt vmcnt(6)
	v_fmac_f64_e32 v[46:47], v[56:57], v[50:51]
	ds_read2_b64 v[48:51], v64 offset0:27 offset1:28
	s_waitcnt vmcnt(4) lgkmcnt(0)
	v_fmac_f64_e32 v[46:47], v[58:59], v[48:49]
	;; [unrolled: 5-line block ×3, first 2 shown]
	buffer_load_dword v49, off, s[0:3], 0 offset:68
	buffer_load_dword v48, off, s[0:3], 0 offset:64
	buffer_load_dword v53, off, s[0:3], 0 offset:76
	buffer_load_dword v52, off, s[0:3], 0 offset:72
	s_waitcnt vmcnt(2)
	v_fmac_f64_e32 v[46:47], v[48:49], v[50:51]
	ds_read2_b64 v[48:51], v64 offset0:31 offset1:32
	s_waitcnt vmcnt(0) lgkmcnt(0)
	v_fmac_f64_e32 v[46:47], v[52:53], v[48:49]
	buffer_load_dword v49, off, s[0:3], 0 offset:84
	buffer_load_dword v48, off, s[0:3], 0 offset:80
	buffer_load_dword v53, off, s[0:3], 0 offset:92
	buffer_load_dword v52, off, s[0:3], 0 offset:88
	s_waitcnt vmcnt(2)
	v_fmac_f64_e32 v[46:47], v[48:49], v[50:51]
	ds_read2_b64 v[48:51], v64 offset0:33 offset1:34
	s_waitcnt vmcnt(0) lgkmcnt(0)
	v_fmac_f64_e32 v[46:47], v[52:53], v[48:49]
	;; [unrolled: 9-line block ×6, first 2 shown]
	buffer_load_dword v49, off, s[0:3], 0 offset:164
	buffer_load_dword v48, off, s[0:3], 0 offset:160
	s_waitcnt vmcnt(0)
	v_fmac_f64_e32 v[46:47], v[48:49], v[50:51]
	buffer_load_dword v51, off, s[0:3], 0 offset:172
	buffer_load_dword v50, off, s[0:3], 0 offset:168
	ds_read_b64 v[52:53], v64 offset:344
	s_waitcnt vmcnt(0) lgkmcnt(0)
	v_fmac_f64_e32 v[46:47], v[50:51], v[52:53]
	v_add_f64 v[0:1], v[0:1], -v[46:47]
	buffer_store_dword v1, off, s[0:3], 0 offset:4
	buffer_store_dword v0, off, s[0:3], 0
	s_cbranch_vccz .LBB85_183
; %bb.140:
	v_pk_mov_b32 v[0:1], s[10:11], s[10:11] op_sel:[0,1]
	flat_load_dword v0, v[0:1] offset:80
	s_waitcnt vmcnt(0) lgkmcnt(0)
	v_add_u32_e32 v0, -1, v0
	v_cmp_ne_u32_e32 vcc, 20, v0
	s_and_saveexec_b64 s[4:5], vcc
	s_cbranch_execz .LBB85_142
; %bb.141:
	v_mov_b32_e32 v1, 0
	v_lshl_add_u32 v0, v0, 3, v1
	buffer_load_dword v1, v0, s[0:3], 0 offen offset:4
	buffer_load_dword v46, v0, s[0:3], 0 offen
	s_waitcnt vmcnt(1)
	buffer_store_dword v1, off, s[0:3], 0 offset:164
	s_waitcnt vmcnt(1)
	buffer_store_dword v46, off, s[0:3], 0 offset:160
	buffer_store_dword v49, v0, s[0:3], 0 offen offset:4
	buffer_store_dword v48, v0, s[0:3], 0 offen
.LBB85_142:
	s_or_b64 exec, exec, s[4:5]
	v_pk_mov_b32 v[0:1], s[10:11], s[10:11] op_sel:[0,1]
	flat_load_dword v0, v[0:1] offset:76
	s_waitcnt vmcnt(0) lgkmcnt(0)
	v_add_u32_e32 v0, -1, v0
	v_cmp_ne_u32_e32 vcc, 19, v0
	s_and_saveexec_b64 s[4:5], vcc
	s_cbranch_execz .LBB85_144
; %bb.143:
	v_mov_b32_e32 v1, 0
	v_lshl_add_u32 v0, v0, 3, v1
	buffer_load_dword v1, v0, s[0:3], 0 offen
	buffer_load_dword v46, v0, s[0:3], 0 offen offset:4
	buffer_load_dword v47, off, s[0:3], 0 offset:152
	buffer_load_dword v48, off, s[0:3], 0 offset:156
	s_waitcnt vmcnt(3)
	buffer_store_dword v1, off, s[0:3], 0 offset:152
	s_waitcnt vmcnt(3)
	buffer_store_dword v46, off, s[0:3], 0 offset:156
	s_waitcnt vmcnt(3)
	buffer_store_dword v47, v0, s[0:3], 0 offen
	s_waitcnt vmcnt(3)
	buffer_store_dword v48, v0, s[0:3], 0 offen offset:4
.LBB85_144:
	s_or_b64 exec, exec, s[4:5]
	v_pk_mov_b32 v[0:1], s[10:11], s[10:11] op_sel:[0,1]
	flat_load_dword v0, v[0:1] offset:72
	s_waitcnt vmcnt(0) lgkmcnt(0)
	v_add_u32_e32 v0, -1, v0
	v_cmp_ne_u32_e32 vcc, 18, v0
	s_and_saveexec_b64 s[4:5], vcc
	s_cbranch_execz .LBB85_146
; %bb.145:
	v_mov_b32_e32 v1, 0
	v_lshl_add_u32 v0, v0, 3, v1
	buffer_load_dword v1, v0, s[0:3], 0 offen
	buffer_load_dword v46, v0, s[0:3], 0 offen offset:4
	buffer_load_dword v47, off, s[0:3], 0 offset:148
	buffer_load_dword v48, off, s[0:3], 0 offset:144
	s_waitcnt vmcnt(3)
	buffer_store_dword v1, off, s[0:3], 0 offset:144
	s_waitcnt vmcnt(3)
	buffer_store_dword v46, off, s[0:3], 0 offset:148
	s_waitcnt vmcnt(3)
	buffer_store_dword v47, v0, s[0:3], 0 offen offset:4
	s_waitcnt vmcnt(3)
	buffer_store_dword v48, v0, s[0:3], 0 offen
.LBB85_146:
	s_or_b64 exec, exec, s[4:5]
	v_pk_mov_b32 v[0:1], s[10:11], s[10:11] op_sel:[0,1]
	flat_load_dword v0, v[0:1] offset:68
	s_waitcnt vmcnt(0) lgkmcnt(0)
	v_add_u32_e32 v0, -1, v0
	v_cmp_ne_u32_e32 vcc, 17, v0
	s_and_saveexec_b64 s[4:5], vcc
	s_cbranch_execz .LBB85_148
; %bb.147:
	v_mov_b32_e32 v1, 0
	v_lshl_add_u32 v0, v0, 3, v1
	buffer_load_dword v1, v0, s[0:3], 0 offen
	buffer_load_dword v46, v0, s[0:3], 0 offen offset:4
	buffer_load_dword v47, off, s[0:3], 0 offset:136
	buffer_load_dword v48, off, s[0:3], 0 offset:140
	s_waitcnt vmcnt(3)
	buffer_store_dword v1, off, s[0:3], 0 offset:136
	s_waitcnt vmcnt(3)
	buffer_store_dword v46, off, s[0:3], 0 offset:140
	s_waitcnt vmcnt(3)
	buffer_store_dword v47, v0, s[0:3], 0 offen
	s_waitcnt vmcnt(3)
	buffer_store_dword v48, v0, s[0:3], 0 offen offset:4
.LBB85_148:
	s_or_b64 exec, exec, s[4:5]
	v_pk_mov_b32 v[0:1], s[10:11], s[10:11] op_sel:[0,1]
	flat_load_dword v0, v[0:1] offset:64
	s_waitcnt vmcnt(0) lgkmcnt(0)
	v_add_u32_e32 v0, -1, v0
	v_cmp_ne_u32_e32 vcc, 16, v0
	s_and_saveexec_b64 s[4:5], vcc
	s_cbranch_execz .LBB85_150
; %bb.149:
	v_mov_b32_e32 v1, 0
	v_lshl_add_u32 v0, v0, 3, v1
	buffer_load_dword v1, v0, s[0:3], 0 offen
	buffer_load_dword v46, v0, s[0:3], 0 offen offset:4
	buffer_load_dword v47, off, s[0:3], 0 offset:132
	buffer_load_dword v48, off, s[0:3], 0 offset:128
	s_waitcnt vmcnt(3)
	buffer_store_dword v1, off, s[0:3], 0 offset:128
	s_waitcnt vmcnt(3)
	buffer_store_dword v46, off, s[0:3], 0 offset:132
	s_waitcnt vmcnt(3)
	buffer_store_dword v47, v0, s[0:3], 0 offen offset:4
	s_waitcnt vmcnt(3)
	buffer_store_dword v48, v0, s[0:3], 0 offen
.LBB85_150:
	;; [unrolled: 48-line block ×9, first 2 shown]
	s_or_b64 exec, exec, s[4:5]
	v_pk_mov_b32 v[0:1], s[10:11], s[10:11] op_sel:[0,1]
	flat_load_dword v0, v[0:1] offset:4
	s_waitcnt vmcnt(0) lgkmcnt(0)
	v_add_u32_e32 v0, -1, v0
	v_cmp_ne_u32_e32 vcc, 1, v0
	s_and_saveexec_b64 s[4:5], vcc
	s_cbranch_execz .LBB85_180
; %bb.179:
	v_mov_b32_e32 v1, 0
	v_lshl_add_u32 v0, v0, 3, v1
	buffer_load_dword v1, v0, s[0:3], 0 offen
	buffer_load_dword v46, v0, s[0:3], 0 offen offset:4
	buffer_load_dword v47, off, s[0:3], 0 offset:8
	buffer_load_dword v48, off, s[0:3], 0 offset:12
	s_waitcnt vmcnt(3)
	buffer_store_dword v1, off, s[0:3], 0 offset:8
	s_waitcnt vmcnt(3)
	buffer_store_dword v46, off, s[0:3], 0 offset:12
	s_waitcnt vmcnt(3)
	buffer_store_dword v47, v0, s[0:3], 0 offen
	s_waitcnt vmcnt(3)
	buffer_store_dword v48, v0, s[0:3], 0 offen offset:4
.LBB85_180:
	s_or_b64 exec, exec, s[4:5]
	v_pk_mov_b32 v[0:1], s[10:11], s[10:11] op_sel:[0,1]
	flat_load_dword v46, v[0:1]
	s_nop 0
	buffer_load_dword v0, off, s[0:3], 0
	buffer_load_dword v1, off, s[0:3], 0 offset:4
	s_waitcnt vmcnt(0) lgkmcnt(0)
	v_add_u32_e32 v46, -1, v46
	v_cmp_ne_u32_e32 vcc, 0, v46
	s_and_saveexec_b64 s[4:5], vcc
	s_cbranch_execz .LBB85_182
; %bb.181:
	v_mov_b32_e32 v47, 0
	v_lshl_add_u32 v46, v46, 3, v47
	buffer_load_dword v47, v46, s[0:3], 0 offen offset:4
	buffer_load_dword v48, v46, s[0:3], 0 offen
	s_waitcnt vmcnt(1)
	buffer_store_dword v47, off, s[0:3], 0 offset:4
	s_waitcnt vmcnt(1)
	buffer_store_dword v48, off, s[0:3], 0
	buffer_store_dword v1, v46, s[0:3], 0 offen offset:4
	buffer_store_dword v0, v46, s[0:3], 0 offen
	buffer_load_dword v0, off, s[0:3], 0
	s_nop 0
	buffer_load_dword v1, off, s[0:3], 0 offset:4
.LBB85_182:
	s_or_b64 exec, exec, s[4:5]
.LBB85_183:
	buffer_load_dword v46, off, s[0:3], 0 offset:8
	buffer_load_dword v47, off, s[0:3], 0 offset:12
	;; [unrolled: 1-line block ×42, first 2 shown]
	s_waitcnt vmcnt(42)
	global_store_dwordx2 v[2:3], v[0:1], off
	s_waitcnt vmcnt(41)
	global_store_dwordx2 v[4:5], v[46:47], off
	;; [unrolled: 2-line block ×22, first 2 shown]
	s_endpgm
	.section	.rodata,"a",@progbits
	.p2align	6, 0x0
	.amdhsa_kernel _ZN9rocsolver6v33100L18getri_kernel_smallILi22EdPKPdEEvT1_iilPiilS6_bb
		.amdhsa_group_segment_fixed_size 360
		.amdhsa_private_segment_fixed_size 192
		.amdhsa_kernarg_size 60
		.amdhsa_user_sgpr_count 8
		.amdhsa_user_sgpr_private_segment_buffer 1
		.amdhsa_user_sgpr_dispatch_ptr 0
		.amdhsa_user_sgpr_queue_ptr 0
		.amdhsa_user_sgpr_kernarg_segment_ptr 1
		.amdhsa_user_sgpr_dispatch_id 0
		.amdhsa_user_sgpr_flat_scratch_init 1
		.amdhsa_user_sgpr_kernarg_preload_length 0
		.amdhsa_user_sgpr_kernarg_preload_offset 0
		.amdhsa_user_sgpr_private_segment_size 0
		.amdhsa_uses_dynamic_stack 0
		.amdhsa_system_sgpr_private_segment_wavefront_offset 1
		.amdhsa_system_sgpr_workgroup_id_x 1
		.amdhsa_system_sgpr_workgroup_id_y 0
		.amdhsa_system_sgpr_workgroup_id_z 0
		.amdhsa_system_sgpr_workgroup_info 0
		.amdhsa_system_vgpr_workitem_id 0
		.amdhsa_next_free_vgpr 126
		.amdhsa_next_free_sgpr 22
		.amdhsa_accum_offset 128
		.amdhsa_reserve_vcc 1
		.amdhsa_reserve_flat_scratch 1
		.amdhsa_float_round_mode_32 0
		.amdhsa_float_round_mode_16_64 0
		.amdhsa_float_denorm_mode_32 3
		.amdhsa_float_denorm_mode_16_64 3
		.amdhsa_dx10_clamp 1
		.amdhsa_ieee_mode 1
		.amdhsa_fp16_overflow 0
		.amdhsa_tg_split 0
		.amdhsa_exception_fp_ieee_invalid_op 0
		.amdhsa_exception_fp_denorm_src 0
		.amdhsa_exception_fp_ieee_div_zero 0
		.amdhsa_exception_fp_ieee_overflow 0
		.amdhsa_exception_fp_ieee_underflow 0
		.amdhsa_exception_fp_ieee_inexact 0
		.amdhsa_exception_int_div_zero 0
	.end_amdhsa_kernel
	.section	.text._ZN9rocsolver6v33100L18getri_kernel_smallILi22EdPKPdEEvT1_iilPiilS6_bb,"axG",@progbits,_ZN9rocsolver6v33100L18getri_kernel_smallILi22EdPKPdEEvT1_iilPiilS6_bb,comdat
.Lfunc_end85:
	.size	_ZN9rocsolver6v33100L18getri_kernel_smallILi22EdPKPdEEvT1_iilPiilS6_bb, .Lfunc_end85-_ZN9rocsolver6v33100L18getri_kernel_smallILi22EdPKPdEEvT1_iilPiilS6_bb
                                        ; -- End function
	.section	.AMDGPU.csdata,"",@progbits
; Kernel info:
; codeLenInByte = 18128
; NumSgprs: 28
; NumVgprs: 126
; NumAgprs: 0
; TotalNumVgprs: 126
; ScratchSize: 192
; MemoryBound: 0
; FloatMode: 240
; IeeeMode: 1
; LDSByteSize: 360 bytes/workgroup (compile time only)
; SGPRBlocks: 3
; VGPRBlocks: 15
; NumSGPRsForWavesPerEU: 28
; NumVGPRsForWavesPerEU: 126
; AccumOffset: 128
; Occupancy: 4
; WaveLimiterHint : 1
; COMPUTE_PGM_RSRC2:SCRATCH_EN: 1
; COMPUTE_PGM_RSRC2:USER_SGPR: 8
; COMPUTE_PGM_RSRC2:TRAP_HANDLER: 0
; COMPUTE_PGM_RSRC2:TGID_X_EN: 1
; COMPUTE_PGM_RSRC2:TGID_Y_EN: 0
; COMPUTE_PGM_RSRC2:TGID_Z_EN: 0
; COMPUTE_PGM_RSRC2:TIDIG_COMP_CNT: 0
; COMPUTE_PGM_RSRC3_GFX90A:ACCUM_OFFSET: 31
; COMPUTE_PGM_RSRC3_GFX90A:TG_SPLIT: 0
	.section	.text._ZN9rocsolver6v33100L18getri_kernel_smallILi23EdPKPdEEvT1_iilPiilS6_bb,"axG",@progbits,_ZN9rocsolver6v33100L18getri_kernel_smallILi23EdPKPdEEvT1_iilPiilS6_bb,comdat
	.globl	_ZN9rocsolver6v33100L18getri_kernel_smallILi23EdPKPdEEvT1_iilPiilS6_bb ; -- Begin function _ZN9rocsolver6v33100L18getri_kernel_smallILi23EdPKPdEEvT1_iilPiilS6_bb
	.p2align	8
	.type	_ZN9rocsolver6v33100L18getri_kernel_smallILi23EdPKPdEEvT1_iilPiilS6_bb,@function
_ZN9rocsolver6v33100L18getri_kernel_smallILi23EdPKPdEEvT1_iilPiilS6_bb: ; @_ZN9rocsolver6v33100L18getri_kernel_smallILi23EdPKPdEEvT1_iilPiilS6_bb
; %bb.0:
	s_add_u32 flat_scratch_lo, s6, s9
	s_addc_u32 flat_scratch_hi, s7, 0
	s_add_u32 s0, s0, s9
	s_addc_u32 s1, s1, 0
	v_cmp_gt_u32_e32 vcc, 23, v0
	s_and_saveexec_b64 s[6:7], vcc
	s_cbranch_execz .LBB86_100
; %bb.1:
	s_load_dword s20, s[4:5], 0x38
	s_load_dwordx2 s[6:7], s[4:5], 0x0
	s_load_dwordx4 s[12:15], s[4:5], 0x28
	s_waitcnt lgkmcnt(0)
	s_bitcmp1_b32 s20, 8
	s_cselect_b64 s[16:17], -1, 0
	s_ashr_i32 s9, s8, 31
	s_lshl_b64 s[10:11], s[8:9], 3
	s_add_u32 s6, s6, s10
	s_addc_u32 s7, s7, s11
	s_load_dwordx2 s[18:19], s[6:7], 0x0
	s_bfe_u32 s6, s20, 0x10008
	s_cmp_eq_u32 s6, 0
                                        ; implicit-def: $sgpr10_sgpr11
	s_cbranch_scc1 .LBB86_3
; %bb.2:
	s_load_dword s6, s[4:5], 0x20
	s_load_dwordx2 s[10:11], s[4:5], 0x18
	s_mul_i32 s7, s8, s13
	s_mul_hi_u32 s13, s8, s12
	s_add_i32 s13, s13, s7
	s_mul_i32 s21, s9, s12
	s_add_i32 s13, s13, s21
	s_mul_i32 s12, s8, s12
	s_waitcnt lgkmcnt(0)
	s_ashr_i32 s7, s6, 31
	s_lshl_b64 s[12:13], s[12:13], 2
	s_add_u32 s10, s10, s12
	s_addc_u32 s11, s11, s13
	s_lshl_b64 s[6:7], s[6:7], 2
	s_add_u32 s10, s10, s6
	s_addc_u32 s11, s11, s7
.LBB86_3:
	s_load_dwordx2 s[6:7], s[4:5], 0x8
	v_lshlrev_b32_e32 v1, 3, v0
	s_waitcnt lgkmcnt(0)
	s_ashr_i32 s5, s6, 31
	s_mov_b32 s4, s6
	s_lshl_b64 s[4:5], s[4:5], 3
	s_add_u32 s4, s18, s4
	s_addc_u32 s5, s19, s5
	v_mov_b32_e32 v3, s5
	v_add_co_u32_e32 v2, vcc, s4, v1
	s_ashr_i32 s13, s7, 31
	s_mov_b32 s12, s7
	s_add_i32 s6, s7, s7
	v_addc_co_u32_e32 v3, vcc, 0, v3, vcc
	s_lshl_b64 s[12:13], s[12:13], 3
	v_add_u32_e32 v8, s6, v0
	v_mov_b32_e32 v5, s13
	v_add_co_u32_e32 v4, vcc, s12, v2
	v_ashrrev_i32_e32 v9, 31, v8
	v_addc_co_u32_e32 v5, vcc, v3, v5, vcc
	v_lshlrev_b64 v[6:7], 3, v[8:9]
	v_add_u32_e32 v10, s7, v8
	v_mov_b32_e32 v9, s5
	v_add_co_u32_e32 v6, vcc, s4, v6
	v_ashrrev_i32_e32 v11, 31, v10
	v_addc_co_u32_e32 v7, vcc, v9, v7, vcc
	v_lshlrev_b64 v[8:9], 3, v[10:11]
	;; [unrolled: 6-line block ×4, first 2 shown]
	v_mov_b32_e32 v15, s5
	v_add_co_u32_e32 v12, vcc, s4, v12
	v_add_u32_e32 v14, s7, v14
	v_addc_co_u32_e32 v13, vcc, v15, v13, vcc
	v_ashrrev_i32_e32 v15, 31, v14
	v_add_u32_e32 v16, s7, v14
	v_lshlrev_b64 v[14:15], 3, v[14:15]
	v_mov_b32_e32 v17, s5
	v_add_co_u32_e32 v14, vcc, s4, v14
	v_addc_co_u32_e32 v15, vcc, v17, v15, vcc
	v_ashrrev_i32_e32 v17, 31, v16
	v_add_u32_e32 v18, s7, v16
	v_lshlrev_b64 v[16:17], 3, v[16:17]
	v_mov_b32_e32 v19, s5
	v_add_co_u32_e32 v16, vcc, s4, v16
	;; [unrolled: 6-line block ×16, first 2 shown]
	global_load_dwordx2 v[48:49], v1, s[4:5]
	global_load_dwordx2 v[50:51], v[4:5], off
	global_load_dwordx2 v[52:53], v[6:7], off
	;; [unrolled: 1-line block ×17, first 2 shown]
	v_addc_co_u32_e32 v45, vcc, v84, v45, vcc
	global_load_dwordx2 v[84:85], v[38:39], off
	global_load_dwordx2 v[86:87], v[40:41], off
	;; [unrolled: 1-line block ×4, first 2 shown]
	v_ashrrev_i32_e32 v47, 31, v46
	v_lshlrev_b64 v[46:47], 3, v[46:47]
	v_mov_b32_e32 v92, s5
	v_add_co_u32_e32 v46, vcc, s4, v46
	v_addc_co_u32_e32 v47, vcc, v92, v47, vcc
	global_load_dwordx2 v[92:93], v[46:47], off
	s_bitcmp0_b32 s20, 0
	s_mov_b64 s[6:7], -1
	s_waitcnt vmcnt(22)
	buffer_store_dword v49, off, s[0:3], 0 offset:4
	buffer_store_dword v48, off, s[0:3], 0
	s_waitcnt vmcnt(23)
	buffer_store_dword v51, off, s[0:3], 0 offset:12
	buffer_store_dword v50, off, s[0:3], 0 offset:8
	s_waitcnt vmcnt(24)
	buffer_store_dword v53, off, s[0:3], 0 offset:20
	buffer_store_dword v52, off, s[0:3], 0 offset:16
	;; [unrolled: 3-line block ×22, first 2 shown]
	s_cbranch_scc1 .LBB86_98
; %bb.4:
	v_cmp_eq_u32_e64 s[4:5], 0, v0
	s_and_saveexec_b64 s[6:7], s[4:5]
	s_cbranch_execz .LBB86_6
; %bb.5:
	v_mov_b32_e32 v48, 0
	ds_write_b32 v48, v48 offset:184
.LBB86_6:
	s_or_b64 exec, exec, s[6:7]
	v_mov_b32_e32 v48, 0
	v_lshl_add_u32 v48, v0, 3, v48
	s_waitcnt lgkmcnt(0)
	; wave barrier
	s_waitcnt lgkmcnt(0)
	buffer_load_dword v50, v48, s[0:3], 0 offen
	buffer_load_dword v51, v48, s[0:3], 0 offen offset:4
	s_waitcnt vmcnt(0)
	v_cmp_eq_f64_e32 vcc, 0, v[50:51]
	s_and_saveexec_b64 s[12:13], vcc
	s_cbranch_execz .LBB86_10
; %bb.7:
	v_mov_b32_e32 v49, 0
	ds_read_b32 v51, v49 offset:184
	v_add_u32_e32 v50, 1, v0
	s_waitcnt lgkmcnt(0)
	v_readfirstlane_b32 s6, v51
	s_cmp_eq_u32 s6, 0
	s_cselect_b64 s[18:19], -1, 0
	v_cmp_gt_i32_e32 vcc, s6, v50
	s_or_b64 s[18:19], s[18:19], vcc
	s_and_b64 exec, exec, s[18:19]
	s_cbranch_execz .LBB86_10
; %bb.8:
	s_mov_b64 s[18:19], 0
	v_mov_b32_e32 v51, s6
.LBB86_9:                               ; =>This Inner Loop Header: Depth=1
	ds_cmpst_rtn_b32 v51, v49, v51, v50 offset:184
	s_waitcnt lgkmcnt(0)
	v_cmp_ne_u32_e32 vcc, 0, v51
	v_cmp_le_i32_e64 s[6:7], v51, v50
	s_and_b64 s[6:7], vcc, s[6:7]
	s_and_b64 s[6:7], exec, s[6:7]
	s_or_b64 s[18:19], s[6:7], s[18:19]
	s_andn2_b64 exec, exec, s[18:19]
	s_cbranch_execnz .LBB86_9
.LBB86_10:
	s_or_b64 exec, exec, s[12:13]
	v_mov_b32_e32 v50, 0
	s_waitcnt lgkmcnt(0)
	; wave barrier
	ds_read_b32 v49, v50 offset:184
	s_and_saveexec_b64 s[6:7], s[4:5]
	s_cbranch_execz .LBB86_12
; %bb.11:
	s_lshl_b64 s[12:13], s[8:9], 2
	s_add_u32 s12, s14, s12
	s_addc_u32 s13, s15, s13
	s_waitcnt lgkmcnt(0)
	global_store_dword v50, v49, s[12:13]
.LBB86_12:
	s_or_b64 exec, exec, s[6:7]
	s_waitcnt lgkmcnt(0)
	v_cmp_ne_u32_e32 vcc, 0, v49
	s_mov_b64 s[6:7], 0
	s_cbranch_vccnz .LBB86_98
; %bb.13:
	buffer_load_dword v50, v48, s[0:3], 0 offen
	buffer_load_dword v51, v48, s[0:3], 0 offen offset:4
	s_waitcnt vmcnt(0)
	v_div_scale_f64 v[52:53], s[6:7], v[50:51], v[50:51], 1.0
	v_rcp_f64_e32 v[54:55], v[52:53]
	v_div_scale_f64 v[56:57], vcc, 1.0, v[50:51], 1.0
	v_fma_f64 v[58:59], -v[52:53], v[54:55], 1.0
	v_fmac_f64_e32 v[54:55], v[54:55], v[58:59]
	v_fma_f64 v[58:59], -v[52:53], v[54:55], 1.0
	v_fmac_f64_e32 v[54:55], v[54:55], v[58:59]
	v_mul_f64 v[58:59], v[56:57], v[54:55]
	v_fma_f64 v[52:53], -v[52:53], v[58:59], v[56:57]
	v_div_fmas_f64 v[52:53], v[52:53], v[54:55], v[58:59]
	v_div_fixup_f64 v[52:53], v[52:53], v[50:51], 1.0
	buffer_store_dword v53, v48, s[0:3], 0 offen offset:4
	buffer_store_dword v52, v48, s[0:3], 0 offen
	buffer_load_dword v55, off, s[0:3], 0 offset:12
	buffer_load_dword v54, off, s[0:3], 0 offset:8
	v_add_u32_e32 v50, 0xc0, v1
	v_xor_b32_e32 v53, 0x80000000, v53
	s_waitcnt vmcnt(0)
	ds_write2_b64 v1, v[52:53], v[54:55] offset1:24
	s_waitcnt lgkmcnt(0)
	; wave barrier
	s_waitcnt lgkmcnt(0)
	s_and_saveexec_b64 s[6:7], s[4:5]
	s_cbranch_execz .LBB86_15
; %bb.14:
	buffer_load_dword v52, v48, s[0:3], 0 offen
	buffer_load_dword v53, v48, s[0:3], 0 offen offset:4
	v_mov_b32_e32 v49, 0
	ds_read_b64 v[54:55], v50
	ds_read_b64 v[56:57], v49 offset:8
	s_waitcnt vmcnt(0) lgkmcnt(1)
	v_fma_f64 v[52:53], v[52:53], v[54:55], 0
	s_waitcnt lgkmcnt(0)
	v_mul_f64 v[52:53], v[52:53], v[56:57]
	buffer_store_dword v52, off, s[0:3], 0 offset:8
	buffer_store_dword v53, off, s[0:3], 0 offset:12
.LBB86_15:
	s_or_b64 exec, exec, s[6:7]
	s_waitcnt lgkmcnt(0)
	; wave barrier
	buffer_load_dword v52, off, s[0:3], 0 offset:16
	buffer_load_dword v53, off, s[0:3], 0 offset:20
	v_cmp_gt_u32_e32 vcc, 2, v0
	s_waitcnt vmcnt(0)
	ds_write_b64 v50, v[52:53]
	s_waitcnt lgkmcnt(0)
	; wave barrier
	s_waitcnt lgkmcnt(0)
	s_and_saveexec_b64 s[6:7], vcc
	s_cbranch_execz .LBB86_17
; %bb.16:
	buffer_load_dword v49, v48, s[0:3], 0 offen offset:4
	buffer_load_dword v56, off, s[0:3], 0 offset:8
	s_nop 0
	buffer_load_dword v48, v48, s[0:3], 0 offen
	s_nop 0
	buffer_load_dword v57, off, s[0:3], 0 offset:12
	ds_read_b64 v[58:59], v50
	v_mov_b32_e32 v51, 0
	ds_read2_b64 v[52:55], v51 offset0:2 offset1:25
	s_waitcnt vmcnt(1) lgkmcnt(1)
	v_fma_f64 v[48:49], v[48:49], v[58:59], 0
	s_waitcnt vmcnt(0) lgkmcnt(0)
	v_fma_f64 v[54:55], v[56:57], v[54:55], v[48:49]
	v_cndmask_b32_e64 v49, v49, v55, s[4:5]
	v_cndmask_b32_e64 v48, v48, v54, s[4:5]
	v_mul_f64 v[48:49], v[48:49], v[52:53]
	buffer_store_dword v49, off, s[0:3], 0 offset:20
	buffer_store_dword v48, off, s[0:3], 0 offset:16
.LBB86_17:
	s_or_b64 exec, exec, s[6:7]
	s_waitcnt lgkmcnt(0)
	; wave barrier
	buffer_load_dword v48, off, s[0:3], 0 offset:24
	buffer_load_dword v49, off, s[0:3], 0 offset:28
	v_cmp_gt_u32_e32 vcc, 3, v0
	v_add_u32_e32 v51, -1, v0
	s_waitcnt vmcnt(0)
	ds_write_b64 v50, v[48:49]
	s_waitcnt lgkmcnt(0)
	; wave barrier
	s_waitcnt lgkmcnt(0)
	s_and_saveexec_b64 s[4:5], vcc
	s_cbranch_execz .LBB86_21
; %bb.18:
	v_add_u32_e32 v52, -1, v0
	v_add_u32_e32 v53, 0xc0, v1
	v_add_u32_e32 v54, 0, v1
	s_mov_b64 s[6:7], 0
	v_pk_mov_b32 v[48:49], 0, 0
.LBB86_19:                              ; =>This Inner Loop Header: Depth=1
	buffer_load_dword v56, v54, s[0:3], 0 offen
	buffer_load_dword v57, v54, s[0:3], 0 offen offset:4
	ds_read_b64 v[58:59], v53
	v_add_u32_e32 v52, 1, v52
	v_cmp_lt_u32_e32 vcc, 1, v52
	v_add_u32_e32 v53, 8, v53
	v_add_u32_e32 v54, 8, v54
	s_or_b64 s[6:7], vcc, s[6:7]
	s_waitcnt vmcnt(0) lgkmcnt(0)
	v_fmac_f64_e32 v[48:49], v[56:57], v[58:59]
	s_andn2_b64 exec, exec, s[6:7]
	s_cbranch_execnz .LBB86_19
; %bb.20:
	s_or_b64 exec, exec, s[6:7]
	v_mov_b32_e32 v52, 0
	ds_read_b64 v[52:53], v52 offset:24
	s_waitcnt lgkmcnt(0)
	v_mul_f64 v[48:49], v[48:49], v[52:53]
	buffer_store_dword v49, off, s[0:3], 0 offset:28
	buffer_store_dword v48, off, s[0:3], 0 offset:24
.LBB86_21:
	s_or_b64 exec, exec, s[4:5]
	s_waitcnt lgkmcnt(0)
	; wave barrier
	buffer_load_dword v48, off, s[0:3], 0 offset:32
	buffer_load_dword v49, off, s[0:3], 0 offset:36
	v_cmp_gt_u32_e32 vcc, 4, v0
	s_waitcnt vmcnt(0)
	ds_write_b64 v50, v[48:49]
	s_waitcnt lgkmcnt(0)
	; wave barrier
	s_waitcnt lgkmcnt(0)
	s_and_saveexec_b64 s[4:5], vcc
	s_cbranch_execz .LBB86_25
; %bb.22:
	v_add_u32_e32 v52, -1, v0
	v_add_u32_e32 v53, 0xc0, v1
	v_add_u32_e32 v54, 0, v1
	s_mov_b64 s[6:7], 0
	v_pk_mov_b32 v[48:49], 0, 0
.LBB86_23:                              ; =>This Inner Loop Header: Depth=1
	buffer_load_dword v56, v54, s[0:3], 0 offen
	buffer_load_dword v57, v54, s[0:3], 0 offen offset:4
	ds_read_b64 v[58:59], v53
	v_add_u32_e32 v52, 1, v52
	v_cmp_lt_u32_e32 vcc, 2, v52
	v_add_u32_e32 v53, 8, v53
	v_add_u32_e32 v54, 8, v54
	s_or_b64 s[6:7], vcc, s[6:7]
	s_waitcnt vmcnt(0) lgkmcnt(0)
	v_fmac_f64_e32 v[48:49], v[56:57], v[58:59]
	s_andn2_b64 exec, exec, s[6:7]
	s_cbranch_execnz .LBB86_23
; %bb.24:
	s_or_b64 exec, exec, s[6:7]
	v_mov_b32_e32 v52, 0
	ds_read_b64 v[52:53], v52 offset:32
	s_waitcnt lgkmcnt(0)
	v_mul_f64 v[48:49], v[48:49], v[52:53]
	buffer_store_dword v49, off, s[0:3], 0 offset:36
	buffer_store_dword v48, off, s[0:3], 0 offset:32
.LBB86_25:
	s_or_b64 exec, exec, s[4:5]
	s_waitcnt lgkmcnt(0)
	; wave barrier
	buffer_load_dword v48, off, s[0:3], 0 offset:40
	buffer_load_dword v49, off, s[0:3], 0 offset:44
	v_cmp_gt_u32_e32 vcc, 5, v0
	;; [unrolled: 41-line block ×18, first 2 shown]
	s_waitcnt vmcnt(0)
	ds_write_b64 v50, v[48:49]
	s_waitcnt lgkmcnt(0)
	; wave barrier
	s_waitcnt lgkmcnt(0)
	s_and_saveexec_b64 s[4:5], vcc
	s_cbranch_execz .LBB86_93
; %bb.90:
	v_add_u32_e32 v52, -1, v0
	v_add_u32_e32 v53, 0xc0, v1
	v_add_u32_e32 v54, 0, v1
	s_mov_b64 s[6:7], 0
	v_pk_mov_b32 v[48:49], 0, 0
.LBB86_91:                              ; =>This Inner Loop Header: Depth=1
	buffer_load_dword v56, v54, s[0:3], 0 offen
	buffer_load_dword v57, v54, s[0:3], 0 offen offset:4
	ds_read_b64 v[58:59], v53
	v_add_u32_e32 v52, 1, v52
	v_cmp_lt_u32_e32 vcc, 19, v52
	v_add_u32_e32 v53, 8, v53
	v_add_u32_e32 v54, 8, v54
	s_or_b64 s[6:7], vcc, s[6:7]
	s_waitcnt vmcnt(0) lgkmcnt(0)
	v_fmac_f64_e32 v[48:49], v[56:57], v[58:59]
	s_andn2_b64 exec, exec, s[6:7]
	s_cbranch_execnz .LBB86_91
; %bb.92:
	s_or_b64 exec, exec, s[6:7]
	v_mov_b32_e32 v52, 0
	ds_read_b64 v[52:53], v52 offset:168
	s_waitcnt lgkmcnt(0)
	v_mul_f64 v[48:49], v[48:49], v[52:53]
	buffer_store_dword v49, off, s[0:3], 0 offset:172
	buffer_store_dword v48, off, s[0:3], 0 offset:168
.LBB86_93:
	s_or_b64 exec, exec, s[4:5]
	s_waitcnt lgkmcnt(0)
	; wave barrier
	buffer_load_dword v48, off, s[0:3], 0 offset:176
	buffer_load_dword v49, off, s[0:3], 0 offset:180
	v_cmp_ne_u32_e32 vcc, 22, v0
	s_waitcnt vmcnt(0)
	ds_write_b64 v50, v[48:49]
	s_waitcnt lgkmcnt(0)
	; wave barrier
	s_waitcnt lgkmcnt(0)
	s_and_saveexec_b64 s[4:5], vcc
	s_cbranch_execz .LBB86_97
; %bb.94:
	v_add_u32_e32 v50, 0xc0, v1
	v_add_u32_e32 v1, 0, v1
	s_mov_b64 s[6:7], 0
	v_pk_mov_b32 v[48:49], 0, 0
.LBB86_95:                              ; =>This Inner Loop Header: Depth=1
	buffer_load_dword v52, v1, s[0:3], 0 offen
	buffer_load_dword v53, v1, s[0:3], 0 offen offset:4
	ds_read_b64 v[54:55], v50
	v_add_u32_e32 v51, 1, v51
	v_cmp_lt_u32_e32 vcc, 20, v51
	v_add_u32_e32 v50, 8, v50
	v_add_u32_e32 v1, 8, v1
	s_or_b64 s[6:7], vcc, s[6:7]
	s_waitcnt vmcnt(0) lgkmcnt(0)
	v_fmac_f64_e32 v[48:49], v[52:53], v[54:55]
	s_andn2_b64 exec, exec, s[6:7]
	s_cbranch_execnz .LBB86_95
; %bb.96:
	s_or_b64 exec, exec, s[6:7]
	v_mov_b32_e32 v1, 0
	ds_read_b64 v[50:51], v1 offset:176
	s_waitcnt lgkmcnt(0)
	v_mul_f64 v[48:49], v[48:49], v[50:51]
	buffer_store_dword v49, off, s[0:3], 0 offset:180
	buffer_store_dword v48, off, s[0:3], 0 offset:176
.LBB86_97:
	s_or_b64 exec, exec, s[4:5]
	s_mov_b64 s[6:7], -1
	s_waitcnt lgkmcnt(0)
	; wave barrier
.LBB86_98:
	s_and_b64 vcc, exec, s[6:7]
	s_cbranch_vccz .LBB86_100
; %bb.99:
	s_lshl_b64 s[4:5], s[8:9], 2
	s_add_u32 s4, s14, s4
	s_addc_u32 s5, s15, s5
	v_mov_b32_e32 v1, 0
	global_load_dword v1, v1, s[4:5]
	s_waitcnt vmcnt(0)
	v_cmp_ne_u32_e32 vcc, 0, v1
	s_cbranch_vccz .LBB86_101
.LBB86_100:
	s_endpgm
.LBB86_101:
	v_mov_b32_e32 v1, 0xc0
	v_lshl_add_u32 v1, v0, 3, v1
	v_cmp_eq_u32_e32 vcc, 22, v0
	s_and_saveexec_b64 s[4:5], vcc
	s_cbranch_execz .LBB86_103
; %bb.102:
	buffer_load_dword v48, off, s[0:3], 0 offset:168
	buffer_load_dword v49, off, s[0:3], 0 offset:172
	v_mov_b32_e32 v50, 0
	buffer_store_dword v50, off, s[0:3], 0 offset:168
	buffer_store_dword v50, off, s[0:3], 0 offset:172
	s_waitcnt vmcnt(2)
	ds_write_b64 v1, v[48:49]
.LBB86_103:
	s_or_b64 exec, exec, s[4:5]
	s_waitcnt lgkmcnt(0)
	; wave barrier
	s_waitcnt lgkmcnt(0)
	buffer_load_dword v50, off, s[0:3], 0 offset:176
	buffer_load_dword v51, off, s[0:3], 0 offset:180
	;; [unrolled: 1-line block ×4, first 2 shown]
	v_mov_b32_e32 v48, 0
	ds_read_b64 v[54:55], v48 offset:368
	v_cmp_lt_u32_e32 vcc, 20, v0
	s_waitcnt vmcnt(2) lgkmcnt(0)
	v_fma_f64 v[50:51], v[50:51], v[54:55], 0
	s_waitcnt vmcnt(0)
	v_add_f64 v[50:51], v[52:53], -v[50:51]
	buffer_store_dword v50, off, s[0:3], 0 offset:168
	buffer_store_dword v51, off, s[0:3], 0 offset:172
	s_and_saveexec_b64 s[4:5], vcc
	s_cbranch_execz .LBB86_105
; %bb.104:
	buffer_load_dword v50, off, s[0:3], 0 offset:160
	buffer_load_dword v51, off, s[0:3], 0 offset:164
	s_waitcnt vmcnt(0)
	ds_write_b64 v1, v[50:51]
	buffer_store_dword v48, off, s[0:3], 0 offset:160
	buffer_store_dword v48, off, s[0:3], 0 offset:164
.LBB86_105:
	s_or_b64 exec, exec, s[4:5]
	s_waitcnt lgkmcnt(0)
	; wave barrier
	s_waitcnt lgkmcnt(0)
	buffer_load_dword v52, off, s[0:3], 0 offset:168
	buffer_load_dword v53, off, s[0:3], 0 offset:172
	;; [unrolled: 1-line block ×6, first 2 shown]
	ds_read2_b64 v[48:51], v48 offset0:45 offset1:46
	v_cmp_lt_u32_e32 vcc, 19, v0
	s_waitcnt vmcnt(4) lgkmcnt(0)
	v_fma_f64 v[48:49], v[52:53], v[48:49], 0
	s_waitcnt vmcnt(2)
	v_fmac_f64_e32 v[48:49], v[54:55], v[50:51]
	s_waitcnt vmcnt(0)
	v_add_f64 v[48:49], v[56:57], -v[48:49]
	buffer_store_dword v48, off, s[0:3], 0 offset:160
	buffer_store_dword v49, off, s[0:3], 0 offset:164
	s_and_saveexec_b64 s[4:5], vcc
	s_cbranch_execz .LBB86_107
; %bb.106:
	buffer_load_dword v48, off, s[0:3], 0 offset:152
	buffer_load_dword v49, off, s[0:3], 0 offset:156
	v_mov_b32_e32 v50, 0
	buffer_store_dword v50, off, s[0:3], 0 offset:152
	buffer_store_dword v50, off, s[0:3], 0 offset:156
	s_waitcnt vmcnt(2)
	ds_write_b64 v1, v[48:49]
.LBB86_107:
	s_or_b64 exec, exec, s[4:5]
	s_waitcnt lgkmcnt(0)
	; wave barrier
	s_waitcnt lgkmcnt(0)
	buffer_load_dword v54, off, s[0:3], 0 offset:160
	buffer_load_dword v55, off, s[0:3], 0 offset:164
	buffer_load_dword v56, off, s[0:3], 0 offset:168
	buffer_load_dword v57, off, s[0:3], 0 offset:172
	buffer_load_dword v58, off, s[0:3], 0 offset:176
	buffer_load_dword v59, off, s[0:3], 0 offset:180
	buffer_load_dword v60, off, s[0:3], 0 offset:152
	buffer_load_dword v61, off, s[0:3], 0 offset:156
	v_mov_b32_e32 v48, 0
	ds_read_b128 v[50:53], v48 offset:352
	ds_read_b64 v[62:63], v48 offset:368
	v_cmp_lt_u32_e32 vcc, 18, v0
	s_waitcnt vmcnt(6) lgkmcnt(1)
	v_fma_f64 v[50:51], v[54:55], v[50:51], 0
	s_waitcnt vmcnt(4)
	v_fmac_f64_e32 v[50:51], v[56:57], v[52:53]
	s_waitcnt vmcnt(2) lgkmcnt(0)
	v_fmac_f64_e32 v[50:51], v[58:59], v[62:63]
	s_waitcnt vmcnt(0)
	v_add_f64 v[50:51], v[60:61], -v[50:51]
	buffer_store_dword v50, off, s[0:3], 0 offset:152
	buffer_store_dword v51, off, s[0:3], 0 offset:156
	s_and_saveexec_b64 s[4:5], vcc
	s_cbranch_execz .LBB86_109
; %bb.108:
	buffer_load_dword v50, off, s[0:3], 0 offset:144
	buffer_load_dword v51, off, s[0:3], 0 offset:148
	s_waitcnt vmcnt(0)
	ds_write_b64 v1, v[50:51]
	buffer_store_dword v48, off, s[0:3], 0 offset:144
	buffer_store_dword v48, off, s[0:3], 0 offset:148
.LBB86_109:
	s_or_b64 exec, exec, s[4:5]
	s_waitcnt lgkmcnt(0)
	; wave barrier
	s_waitcnt lgkmcnt(0)
	buffer_load_dword v58, off, s[0:3], 0 offset:152
	buffer_load_dword v59, off, s[0:3], 0 offset:156
	;; [unrolled: 1-line block ×10, first 2 shown]
	ds_read2_b64 v[50:53], v48 offset0:43 offset1:44
	ds_read2_b64 v[54:57], v48 offset0:45 offset1:46
	v_cmp_lt_u32_e32 vcc, 17, v0
	s_waitcnt vmcnt(8) lgkmcnt(1)
	v_fma_f64 v[48:49], v[58:59], v[50:51], 0
	s_waitcnt vmcnt(6)
	v_fmac_f64_e32 v[48:49], v[60:61], v[52:53]
	s_waitcnt vmcnt(4) lgkmcnt(0)
	v_fmac_f64_e32 v[48:49], v[62:63], v[54:55]
	s_waitcnt vmcnt(2)
	v_fmac_f64_e32 v[48:49], v[64:65], v[56:57]
	s_waitcnt vmcnt(0)
	v_add_f64 v[48:49], v[66:67], -v[48:49]
	buffer_store_dword v48, off, s[0:3], 0 offset:144
	buffer_store_dword v49, off, s[0:3], 0 offset:148
	s_and_saveexec_b64 s[4:5], vcc
	s_cbranch_execz .LBB86_111
; %bb.110:
	buffer_load_dword v48, off, s[0:3], 0 offset:136
	buffer_load_dword v49, off, s[0:3], 0 offset:140
	v_mov_b32_e32 v50, 0
	buffer_store_dword v50, off, s[0:3], 0 offset:136
	buffer_store_dword v50, off, s[0:3], 0 offset:140
	s_waitcnt vmcnt(2)
	ds_write_b64 v1, v[48:49]
.LBB86_111:
	s_or_b64 exec, exec, s[4:5]
	s_waitcnt lgkmcnt(0)
	; wave barrier
	s_waitcnt lgkmcnt(0)
	buffer_load_dword v58, off, s[0:3], 0 offset:144
	buffer_load_dword v59, off, s[0:3], 0 offset:148
	buffer_load_dword v60, off, s[0:3], 0 offset:152
	buffer_load_dword v61, off, s[0:3], 0 offset:156
	buffer_load_dword v62, off, s[0:3], 0 offset:160
	buffer_load_dword v63, off, s[0:3], 0 offset:164
	buffer_load_dword v64, off, s[0:3], 0 offset:168
	buffer_load_dword v65, off, s[0:3], 0 offset:172
	buffer_load_dword v66, off, s[0:3], 0 offset:176
	buffer_load_dword v67, off, s[0:3], 0 offset:180
	buffer_load_dword v68, off, s[0:3], 0 offset:136
	buffer_load_dword v69, off, s[0:3], 0 offset:140
	v_mov_b32_e32 v48, 0
	ds_read_b128 v[50:53], v48 offset:336
	ds_read_b128 v[54:57], v48 offset:352
	ds_read_b64 v[70:71], v48 offset:368
	v_cmp_lt_u32_e32 vcc, 16, v0
	s_waitcnt vmcnt(10) lgkmcnt(2)
	v_fma_f64 v[50:51], v[58:59], v[50:51], 0
	s_waitcnt vmcnt(8)
	v_fmac_f64_e32 v[50:51], v[60:61], v[52:53]
	s_waitcnt vmcnt(6) lgkmcnt(1)
	v_fmac_f64_e32 v[50:51], v[62:63], v[54:55]
	s_waitcnt vmcnt(4)
	v_fmac_f64_e32 v[50:51], v[64:65], v[56:57]
	s_waitcnt vmcnt(2) lgkmcnt(0)
	v_fmac_f64_e32 v[50:51], v[66:67], v[70:71]
	s_waitcnt vmcnt(0)
	v_add_f64 v[50:51], v[68:69], -v[50:51]
	buffer_store_dword v50, off, s[0:3], 0 offset:136
	buffer_store_dword v51, off, s[0:3], 0 offset:140
	s_and_saveexec_b64 s[4:5], vcc
	s_cbranch_execz .LBB86_113
; %bb.112:
	buffer_load_dword v50, off, s[0:3], 0 offset:128
	buffer_load_dword v51, off, s[0:3], 0 offset:132
	s_waitcnt vmcnt(0)
	ds_write_b64 v1, v[50:51]
	buffer_store_dword v48, off, s[0:3], 0 offset:128
	buffer_store_dword v48, off, s[0:3], 0 offset:132
.LBB86_113:
	s_or_b64 exec, exec, s[4:5]
	s_waitcnt lgkmcnt(0)
	; wave barrier
	s_waitcnt lgkmcnt(0)
	buffer_load_dword v62, off, s[0:3], 0 offset:136
	buffer_load_dword v63, off, s[0:3], 0 offset:140
	;; [unrolled: 1-line block ×14, first 2 shown]
	ds_read2_b64 v[50:53], v48 offset0:41 offset1:42
	ds_read2_b64 v[54:57], v48 offset0:43 offset1:44
	;; [unrolled: 1-line block ×3, first 2 shown]
	v_cmp_lt_u32_e32 vcc, 15, v0
	s_waitcnt vmcnt(12) lgkmcnt(2)
	v_fma_f64 v[48:49], v[62:63], v[50:51], 0
	s_waitcnt vmcnt(10)
	v_fmac_f64_e32 v[48:49], v[64:65], v[52:53]
	s_waitcnt vmcnt(8) lgkmcnt(1)
	v_fmac_f64_e32 v[48:49], v[66:67], v[54:55]
	s_waitcnt vmcnt(6)
	v_fmac_f64_e32 v[48:49], v[68:69], v[56:57]
	s_waitcnt vmcnt(4) lgkmcnt(0)
	v_fmac_f64_e32 v[48:49], v[70:71], v[58:59]
	s_waitcnt vmcnt(2)
	v_fmac_f64_e32 v[48:49], v[72:73], v[60:61]
	s_waitcnt vmcnt(0)
	v_add_f64 v[48:49], v[74:75], -v[48:49]
	buffer_store_dword v48, off, s[0:3], 0 offset:128
	buffer_store_dword v49, off, s[0:3], 0 offset:132
	s_and_saveexec_b64 s[4:5], vcc
	s_cbranch_execz .LBB86_115
; %bb.114:
	buffer_load_dword v48, off, s[0:3], 0 offset:120
	buffer_load_dword v49, off, s[0:3], 0 offset:124
	v_mov_b32_e32 v50, 0
	buffer_store_dword v50, off, s[0:3], 0 offset:120
	buffer_store_dword v50, off, s[0:3], 0 offset:124
	s_waitcnt vmcnt(2)
	ds_write_b64 v1, v[48:49]
.LBB86_115:
	s_or_b64 exec, exec, s[4:5]
	s_waitcnt lgkmcnt(0)
	; wave barrier
	s_waitcnt lgkmcnt(0)
	buffer_load_dword v62, off, s[0:3], 0 offset:128
	buffer_load_dword v63, off, s[0:3], 0 offset:132
	buffer_load_dword v64, off, s[0:3], 0 offset:136
	buffer_load_dword v65, off, s[0:3], 0 offset:140
	buffer_load_dword v66, off, s[0:3], 0 offset:144
	buffer_load_dword v67, off, s[0:3], 0 offset:148
	buffer_load_dword v68, off, s[0:3], 0 offset:152
	buffer_load_dword v69, off, s[0:3], 0 offset:156
	buffer_load_dword v70, off, s[0:3], 0 offset:160
	buffer_load_dword v71, off, s[0:3], 0 offset:164
	buffer_load_dword v72, off, s[0:3], 0 offset:168
	buffer_load_dword v73, off, s[0:3], 0 offset:172
	buffer_load_dword v74, off, s[0:3], 0 offset:176
	buffer_load_dword v75, off, s[0:3], 0 offset:180
	buffer_load_dword v76, off, s[0:3], 0 offset:120
	buffer_load_dword v77, off, s[0:3], 0 offset:124
	v_mov_b32_e32 v48, 0
	ds_read_b128 v[50:53], v48 offset:320
	ds_read_b128 v[54:57], v48 offset:336
	;; [unrolled: 1-line block ×3, first 2 shown]
	ds_read_b64 v[78:79], v48 offset:368
	v_cmp_lt_u32_e32 vcc, 14, v0
	s_waitcnt vmcnt(14) lgkmcnt(3)
	v_fma_f64 v[50:51], v[62:63], v[50:51], 0
	s_waitcnt vmcnt(12)
	v_fmac_f64_e32 v[50:51], v[64:65], v[52:53]
	s_waitcnt vmcnt(10) lgkmcnt(2)
	v_fmac_f64_e32 v[50:51], v[66:67], v[54:55]
	s_waitcnt vmcnt(8)
	v_fmac_f64_e32 v[50:51], v[68:69], v[56:57]
	s_waitcnt vmcnt(6) lgkmcnt(1)
	v_fmac_f64_e32 v[50:51], v[70:71], v[58:59]
	;; [unrolled: 4-line block ×3, first 2 shown]
	s_waitcnt vmcnt(0)
	v_add_f64 v[50:51], v[76:77], -v[50:51]
	buffer_store_dword v50, off, s[0:3], 0 offset:120
	buffer_store_dword v51, off, s[0:3], 0 offset:124
	s_and_saveexec_b64 s[4:5], vcc
	s_cbranch_execz .LBB86_117
; %bb.116:
	buffer_load_dword v50, off, s[0:3], 0 offset:112
	buffer_load_dword v51, off, s[0:3], 0 offset:116
	s_waitcnt vmcnt(0)
	ds_write_b64 v1, v[50:51]
	buffer_store_dword v48, off, s[0:3], 0 offset:112
	buffer_store_dword v48, off, s[0:3], 0 offset:116
.LBB86_117:
	s_or_b64 exec, exec, s[4:5]
	s_waitcnt lgkmcnt(0)
	; wave barrier
	s_waitcnt lgkmcnt(0)
	buffer_load_dword v66, off, s[0:3], 0 offset:120
	buffer_load_dword v67, off, s[0:3], 0 offset:124
	;; [unrolled: 1-line block ×18, first 2 shown]
	ds_read2_b64 v[50:53], v48 offset0:39 offset1:40
	ds_read2_b64 v[54:57], v48 offset0:41 offset1:42
	;; [unrolled: 1-line block ×4, first 2 shown]
	v_cmp_lt_u32_e32 vcc, 13, v0
	s_waitcnt vmcnt(16) lgkmcnt(3)
	v_fma_f64 v[48:49], v[66:67], v[50:51], 0
	s_waitcnt vmcnt(14)
	v_fmac_f64_e32 v[48:49], v[68:69], v[52:53]
	s_waitcnt vmcnt(12) lgkmcnt(2)
	v_fmac_f64_e32 v[48:49], v[70:71], v[54:55]
	s_waitcnt vmcnt(10)
	v_fmac_f64_e32 v[48:49], v[72:73], v[56:57]
	s_waitcnt vmcnt(8) lgkmcnt(1)
	v_fmac_f64_e32 v[48:49], v[74:75], v[58:59]
	;; [unrolled: 4-line block ×3, first 2 shown]
	s_waitcnt vmcnt(2)
	v_fmac_f64_e32 v[48:49], v[80:81], v[64:65]
	s_waitcnt vmcnt(0)
	v_add_f64 v[48:49], v[82:83], -v[48:49]
	buffer_store_dword v48, off, s[0:3], 0 offset:112
	buffer_store_dword v49, off, s[0:3], 0 offset:116
	s_and_saveexec_b64 s[4:5], vcc
	s_cbranch_execz .LBB86_119
; %bb.118:
	buffer_load_dword v48, off, s[0:3], 0 offset:104
	buffer_load_dword v49, off, s[0:3], 0 offset:108
	v_mov_b32_e32 v50, 0
	buffer_store_dword v50, off, s[0:3], 0 offset:104
	buffer_store_dword v50, off, s[0:3], 0 offset:108
	s_waitcnt vmcnt(2)
	ds_write_b64 v1, v[48:49]
.LBB86_119:
	s_or_b64 exec, exec, s[4:5]
	s_waitcnt lgkmcnt(0)
	; wave barrier
	s_waitcnt lgkmcnt(0)
	buffer_load_dword v66, off, s[0:3], 0 offset:112
	buffer_load_dword v67, off, s[0:3], 0 offset:116
	;; [unrolled: 1-line block ×20, first 2 shown]
	v_mov_b32_e32 v48, 0
	ds_read_b128 v[50:53], v48 offset:304
	ds_read_b128 v[54:57], v48 offset:320
	;; [unrolled: 1-line block ×4, first 2 shown]
	ds_read_b64 v[86:87], v48 offset:368
	v_cmp_lt_u32_e32 vcc, 12, v0
	s_waitcnt vmcnt(18) lgkmcnt(4)
	v_fma_f64 v[50:51], v[66:67], v[50:51], 0
	s_waitcnt vmcnt(16)
	v_fmac_f64_e32 v[50:51], v[68:69], v[52:53]
	s_waitcnt vmcnt(14) lgkmcnt(3)
	v_fmac_f64_e32 v[50:51], v[70:71], v[54:55]
	s_waitcnt vmcnt(12)
	v_fmac_f64_e32 v[50:51], v[72:73], v[56:57]
	s_waitcnt vmcnt(10) lgkmcnt(2)
	v_fmac_f64_e32 v[50:51], v[74:75], v[58:59]
	;; [unrolled: 4-line block ×3, first 2 shown]
	s_waitcnt vmcnt(2)
	v_fmac_f64_e32 v[50:51], v[82:83], v[64:65]
	s_waitcnt lgkmcnt(0)
	v_fmac_f64_e32 v[50:51], v[80:81], v[86:87]
	s_waitcnt vmcnt(0)
	v_add_f64 v[50:51], v[84:85], -v[50:51]
	buffer_store_dword v50, off, s[0:3], 0 offset:104
	buffer_store_dword v51, off, s[0:3], 0 offset:108
	s_and_saveexec_b64 s[4:5], vcc
	s_cbranch_execz .LBB86_121
; %bb.120:
	buffer_load_dword v50, off, s[0:3], 0 offset:96
	buffer_load_dword v51, off, s[0:3], 0 offset:100
	s_waitcnt vmcnt(0)
	ds_write_b64 v1, v[50:51]
	buffer_store_dword v48, off, s[0:3], 0 offset:96
	buffer_store_dword v48, off, s[0:3], 0 offset:100
.LBB86_121:
	s_or_b64 exec, exec, s[4:5]
	s_waitcnt lgkmcnt(0)
	; wave barrier
	s_waitcnt lgkmcnt(0)
	buffer_load_dword v70, off, s[0:3], 0 offset:104
	buffer_load_dword v71, off, s[0:3], 0 offset:108
	;; [unrolled: 1-line block ×22, first 2 shown]
	ds_read2_b64 v[50:53], v48 offset0:37 offset1:38
	ds_read2_b64 v[54:57], v48 offset0:39 offset1:40
	ds_read2_b64 v[58:61], v48 offset0:41 offset1:42
	ds_read2_b64 v[62:65], v48 offset0:43 offset1:44
	ds_read2_b64 v[66:69], v48 offset0:45 offset1:46
	v_cmp_lt_u32_e32 vcc, 11, v0
	s_waitcnt vmcnt(20) lgkmcnt(4)
	v_fma_f64 v[48:49], v[70:71], v[50:51], 0
	s_waitcnt vmcnt(18)
	v_fmac_f64_e32 v[48:49], v[72:73], v[52:53]
	s_waitcnt vmcnt(16) lgkmcnt(3)
	v_fmac_f64_e32 v[48:49], v[74:75], v[54:55]
	s_waitcnt vmcnt(14)
	v_fmac_f64_e32 v[48:49], v[76:77], v[56:57]
	s_waitcnt vmcnt(12) lgkmcnt(2)
	v_fmac_f64_e32 v[48:49], v[78:79], v[58:59]
	;; [unrolled: 4-line block ×3, first 2 shown]
	s_waitcnt vmcnt(3)
	v_fmac_f64_e32 v[48:49], v[88:89], v[64:65]
	s_waitcnt lgkmcnt(0)
	v_fmac_f64_e32 v[48:49], v[86:87], v[66:67]
	s_waitcnt vmcnt(2)
	v_fmac_f64_e32 v[48:49], v[84:85], v[68:69]
	s_waitcnt vmcnt(0)
	v_add_f64 v[48:49], v[90:91], -v[48:49]
	buffer_store_dword v48, off, s[0:3], 0 offset:96
	buffer_store_dword v49, off, s[0:3], 0 offset:100
	s_and_saveexec_b64 s[4:5], vcc
	s_cbranch_execz .LBB86_123
; %bb.122:
	buffer_load_dword v48, off, s[0:3], 0 offset:88
	buffer_load_dword v49, off, s[0:3], 0 offset:92
	v_mov_b32_e32 v50, 0
	buffer_store_dword v50, off, s[0:3], 0 offset:88
	buffer_store_dword v50, off, s[0:3], 0 offset:92
	s_waitcnt vmcnt(2)
	ds_write_b64 v1, v[48:49]
.LBB86_123:
	s_or_b64 exec, exec, s[4:5]
	s_waitcnt lgkmcnt(0)
	; wave barrier
	s_waitcnt lgkmcnt(0)
	buffer_load_dword v70, off, s[0:3], 0 offset:96
	buffer_load_dword v71, off, s[0:3], 0 offset:100
	;; [unrolled: 1-line block ×24, first 2 shown]
	v_mov_b32_e32 v48, 0
	ds_read_b128 v[50:53], v48 offset:288
	ds_read_b128 v[54:57], v48 offset:304
	;; [unrolled: 1-line block ×5, first 2 shown]
	ds_read_b64 v[94:95], v48 offset:368
	v_cmp_lt_u32_e32 vcc, 10, v0
	s_waitcnt vmcnt(22) lgkmcnt(5)
	v_fma_f64 v[50:51], v[70:71], v[50:51], 0
	s_waitcnt vmcnt(20)
	v_fmac_f64_e32 v[50:51], v[72:73], v[52:53]
	s_waitcnt vmcnt(18) lgkmcnt(4)
	v_fmac_f64_e32 v[50:51], v[74:75], v[54:55]
	s_waitcnt vmcnt(16)
	v_fmac_f64_e32 v[50:51], v[76:77], v[56:57]
	s_waitcnt vmcnt(14) lgkmcnt(3)
	v_fmac_f64_e32 v[50:51], v[78:79], v[58:59]
	;; [unrolled: 4-line block ×3, first 2 shown]
	s_waitcnt vmcnt(4)
	v_fmac_f64_e32 v[50:51], v[90:91], v[64:65]
	s_waitcnt lgkmcnt(1)
	v_fmac_f64_e32 v[50:51], v[88:89], v[66:67]
	s_waitcnt vmcnt(3)
	v_fmac_f64_e32 v[50:51], v[86:87], v[68:69]
	s_waitcnt vmcnt(2) lgkmcnt(0)
	v_fmac_f64_e32 v[50:51], v[84:85], v[94:95]
	s_waitcnt vmcnt(0)
	v_add_f64 v[50:51], v[92:93], -v[50:51]
	buffer_store_dword v51, off, s[0:3], 0 offset:92
	buffer_store_dword v50, off, s[0:3], 0 offset:88
	s_and_saveexec_b64 s[4:5], vcc
	s_cbranch_execz .LBB86_125
; %bb.124:
	buffer_load_dword v50, off, s[0:3], 0 offset:80
	buffer_load_dword v51, off, s[0:3], 0 offset:84
	s_waitcnt vmcnt(0)
	ds_write_b64 v1, v[50:51]
	buffer_store_dword v48, off, s[0:3], 0 offset:80
	buffer_store_dword v48, off, s[0:3], 0 offset:84
.LBB86_125:
	s_or_b64 exec, exec, s[4:5]
	s_waitcnt lgkmcnt(0)
	; wave barrier
	s_waitcnt lgkmcnt(0)
	buffer_load_dword v74, off, s[0:3], 0 offset:88
	buffer_load_dword v75, off, s[0:3], 0 offset:92
	;; [unrolled: 1-line block ×26, first 2 shown]
	ds_read2_b64 v[50:53], v48 offset0:35 offset1:36
	ds_read2_b64 v[54:57], v48 offset0:37 offset1:38
	;; [unrolled: 1-line block ×6, first 2 shown]
	v_cmp_lt_u32_e32 vcc, 9, v0
	s_waitcnt vmcnt(24) lgkmcnt(5)
	v_fma_f64 v[48:49], v[74:75], v[50:51], 0
	s_waitcnt vmcnt(22)
	v_fmac_f64_e32 v[48:49], v[76:77], v[52:53]
	s_waitcnt vmcnt(20) lgkmcnt(4)
	v_fmac_f64_e32 v[48:49], v[78:79], v[54:55]
	s_waitcnt vmcnt(18)
	v_fmac_f64_e32 v[48:49], v[80:81], v[56:57]
	s_waitcnt vmcnt(16) lgkmcnt(3)
	v_fmac_f64_e32 v[48:49], v[82:83], v[58:59]
	;; [unrolled: 4-line block ×3, first 2 shown]
	s_waitcnt vmcnt(5)
	v_fmac_f64_e32 v[48:49], v[94:95], v[64:65]
	s_waitcnt lgkmcnt(1)
	v_fmac_f64_e32 v[48:49], v[92:93], v[66:67]
	v_fmac_f64_e32 v[48:49], v[90:91], v[68:69]
	s_waitcnt vmcnt(4) lgkmcnt(0)
	v_fmac_f64_e32 v[48:49], v[88:89], v[70:71]
	s_waitcnt vmcnt(2)
	v_fmac_f64_e32 v[48:49], v[96:97], v[72:73]
	s_waitcnt vmcnt(0)
	v_add_f64 v[48:49], v[98:99], -v[48:49]
	buffer_store_dword v49, off, s[0:3], 0 offset:84
	buffer_store_dword v48, off, s[0:3], 0 offset:80
	s_and_saveexec_b64 s[4:5], vcc
	s_cbranch_execz .LBB86_127
; %bb.126:
	buffer_load_dword v48, off, s[0:3], 0 offset:72
	buffer_load_dword v49, off, s[0:3], 0 offset:76
	v_mov_b32_e32 v50, 0
	buffer_store_dword v50, off, s[0:3], 0 offset:72
	buffer_store_dword v50, off, s[0:3], 0 offset:76
	s_waitcnt vmcnt(2)
	ds_write_b64 v1, v[48:49]
.LBB86_127:
	s_or_b64 exec, exec, s[4:5]
	s_waitcnt lgkmcnt(0)
	; wave barrier
	s_waitcnt lgkmcnt(0)
	buffer_load_dword v74, off, s[0:3], 0 offset:80
	buffer_load_dword v75, off, s[0:3], 0 offset:84
	;; [unrolled: 1-line block ×28, first 2 shown]
	v_mov_b32_e32 v48, 0
	ds_read_b128 v[50:53], v48 offset:272
	ds_read_b128 v[54:57], v48 offset:288
	;; [unrolled: 1-line block ×6, first 2 shown]
	ds_read_b64 v[102:103], v48 offset:368
	v_cmp_lt_u32_e32 vcc, 8, v0
	s_waitcnt vmcnt(26) lgkmcnt(6)
	v_fma_f64 v[50:51], v[74:75], v[50:51], 0
	s_waitcnt vmcnt(24)
	v_fmac_f64_e32 v[50:51], v[76:77], v[52:53]
	s_waitcnt vmcnt(22) lgkmcnt(5)
	v_fmac_f64_e32 v[50:51], v[78:79], v[54:55]
	s_waitcnt vmcnt(20)
	v_fmac_f64_e32 v[50:51], v[80:81], v[56:57]
	s_waitcnt vmcnt(18) lgkmcnt(4)
	v_fmac_f64_e32 v[50:51], v[82:83], v[58:59]
	;; [unrolled: 4-line block ×3, first 2 shown]
	s_waitcnt vmcnt(6)
	v_fmac_f64_e32 v[50:51], v[94:95], v[64:65]
	s_waitcnt lgkmcnt(2)
	v_fmac_f64_e32 v[50:51], v[92:93], v[66:67]
	v_fmac_f64_e32 v[50:51], v[90:91], v[68:69]
	s_waitcnt lgkmcnt(1)
	v_fmac_f64_e32 v[50:51], v[88:89], v[70:71]
	s_waitcnt vmcnt(2)
	v_fmac_f64_e32 v[50:51], v[98:99], v[72:73]
	s_waitcnt lgkmcnt(0)
	v_fmac_f64_e32 v[50:51], v[96:97], v[102:103]
	s_waitcnt vmcnt(0)
	v_add_f64 v[50:51], v[100:101], -v[50:51]
	buffer_store_dword v51, off, s[0:3], 0 offset:76
	buffer_store_dword v50, off, s[0:3], 0 offset:72
	s_and_saveexec_b64 s[4:5], vcc
	s_cbranch_execz .LBB86_129
; %bb.128:
	buffer_load_dword v50, off, s[0:3], 0 offset:64
	buffer_load_dword v51, off, s[0:3], 0 offset:68
	s_waitcnt vmcnt(0)
	ds_write_b64 v1, v[50:51]
	buffer_store_dword v48, off, s[0:3], 0 offset:64
	buffer_store_dword v48, off, s[0:3], 0 offset:68
.LBB86_129:
	s_or_b64 exec, exec, s[4:5]
	s_waitcnt lgkmcnt(0)
	; wave barrier
	s_waitcnt lgkmcnt(0)
	buffer_load_dword v78, off, s[0:3], 0 offset:72
	buffer_load_dword v79, off, s[0:3], 0 offset:76
	;; [unrolled: 1-line block ×30, first 2 shown]
	ds_read2_b64 v[50:53], v48 offset0:33 offset1:34
	ds_read2_b64 v[54:57], v48 offset0:35 offset1:36
	;; [unrolled: 1-line block ×7, first 2 shown]
	v_cmp_lt_u32_e32 vcc, 7, v0
	s_waitcnt vmcnt(28) lgkmcnt(6)
	v_fma_f64 v[48:49], v[78:79], v[50:51], 0
	s_waitcnt vmcnt(26)
	v_fmac_f64_e32 v[48:49], v[80:81], v[52:53]
	s_waitcnt vmcnt(24) lgkmcnt(5)
	v_fmac_f64_e32 v[48:49], v[82:83], v[54:55]
	s_waitcnt vmcnt(22)
	v_fmac_f64_e32 v[48:49], v[84:85], v[56:57]
	s_waitcnt vmcnt(20) lgkmcnt(4)
	v_fmac_f64_e32 v[48:49], v[86:87], v[58:59]
	;; [unrolled: 4-line block ×3, first 2 shown]
	s_waitcnt vmcnt(8)
	v_fmac_f64_e32 v[48:49], v[98:99], v[64:65]
	s_waitcnt lgkmcnt(2)
	v_fmac_f64_e32 v[48:49], v[96:97], v[66:67]
	v_fmac_f64_e32 v[48:49], v[94:95], v[68:69]
	s_waitcnt lgkmcnt(1)
	v_fmac_f64_e32 v[48:49], v[92:93], v[70:71]
	s_waitcnt vmcnt(3)
	v_fmac_f64_e32 v[48:49], v[104:105], v[72:73]
	s_waitcnt lgkmcnt(0)
	v_fmac_f64_e32 v[48:49], v[102:103], v[74:75]
	s_waitcnt vmcnt(2)
	v_fmac_f64_e32 v[48:49], v[100:101], v[76:77]
	s_waitcnt vmcnt(0)
	v_add_f64 v[48:49], v[106:107], -v[48:49]
	buffer_store_dword v49, off, s[0:3], 0 offset:68
	buffer_store_dword v48, off, s[0:3], 0 offset:64
	s_and_saveexec_b64 s[4:5], vcc
	s_cbranch_execz .LBB86_131
; %bb.130:
	buffer_load_dword v48, off, s[0:3], 0 offset:56
	buffer_load_dword v49, off, s[0:3], 0 offset:60
	v_mov_b32_e32 v50, 0
	buffer_store_dword v50, off, s[0:3], 0 offset:56
	buffer_store_dword v50, off, s[0:3], 0 offset:60
	s_waitcnt vmcnt(2)
	ds_write_b64 v1, v[48:49]
.LBB86_131:
	s_or_b64 exec, exec, s[4:5]
	s_waitcnt lgkmcnt(0)
	; wave barrier
	s_waitcnt lgkmcnt(0)
	buffer_load_dword v78, off, s[0:3], 0 offset:64
	buffer_load_dword v79, off, s[0:3], 0 offset:68
	;; [unrolled: 1-line block ×32, first 2 shown]
	v_mov_b32_e32 v48, 0
	ds_read_b128 v[50:53], v48 offset:256
	ds_read_b128 v[54:57], v48 offset:272
	;; [unrolled: 1-line block ×7, first 2 shown]
	ds_read_b64 v[110:111], v48 offset:368
	v_cmp_lt_u32_e32 vcc, 6, v0
	s_waitcnt vmcnt(30) lgkmcnt(7)
	v_fma_f64 v[50:51], v[78:79], v[50:51], 0
	s_waitcnt vmcnt(28)
	v_fmac_f64_e32 v[50:51], v[80:81], v[52:53]
	s_waitcnt vmcnt(26) lgkmcnt(6)
	v_fmac_f64_e32 v[50:51], v[82:83], v[54:55]
	s_waitcnt vmcnt(24)
	v_fmac_f64_e32 v[50:51], v[84:85], v[56:57]
	s_waitcnt vmcnt(22) lgkmcnt(5)
	v_fmac_f64_e32 v[50:51], v[86:87], v[58:59]
	;; [unrolled: 4-line block ×3, first 2 shown]
	s_waitcnt vmcnt(10)
	v_fmac_f64_e32 v[50:51], v[98:99], v[64:65]
	s_waitcnt lgkmcnt(3)
	v_fmac_f64_e32 v[50:51], v[96:97], v[66:67]
	v_fmac_f64_e32 v[50:51], v[94:95], v[68:69]
	s_waitcnt lgkmcnt(2)
	v_fmac_f64_e32 v[50:51], v[92:93], v[70:71]
	s_waitcnt vmcnt(4)
	v_fmac_f64_e32 v[50:51], v[106:107], v[72:73]
	s_waitcnt lgkmcnt(1)
	v_fmac_f64_e32 v[50:51], v[104:105], v[74:75]
	s_waitcnt vmcnt(3)
	v_fmac_f64_e32 v[50:51], v[102:103], v[76:77]
	s_waitcnt vmcnt(2) lgkmcnt(0)
	v_fmac_f64_e32 v[50:51], v[100:101], v[110:111]
	s_waitcnt vmcnt(0)
	v_add_f64 v[50:51], v[108:109], -v[50:51]
	buffer_store_dword v51, off, s[0:3], 0 offset:60
	buffer_store_dword v50, off, s[0:3], 0 offset:56
	s_and_saveexec_b64 s[4:5], vcc
	s_cbranch_execz .LBB86_133
; %bb.132:
	buffer_load_dword v50, off, s[0:3], 0 offset:48
	buffer_load_dword v51, off, s[0:3], 0 offset:52
	s_waitcnt vmcnt(0)
	ds_write_b64 v1, v[50:51]
	buffer_store_dword v48, off, s[0:3], 0 offset:48
	buffer_store_dword v48, off, s[0:3], 0 offset:52
.LBB86_133:
	s_or_b64 exec, exec, s[4:5]
	s_waitcnt lgkmcnt(0)
	; wave barrier
	s_waitcnt lgkmcnt(0)
	buffer_load_dword v82, off, s[0:3], 0 offset:56
	buffer_load_dword v83, off, s[0:3], 0 offset:60
	buffer_load_dword v84, off, s[0:3], 0 offset:64
	buffer_load_dword v85, off, s[0:3], 0 offset:68
	buffer_load_dword v86, off, s[0:3], 0 offset:72
	buffer_load_dword v87, off, s[0:3], 0 offset:76
	buffer_load_dword v88, off, s[0:3], 0 offset:80
	buffer_load_dword v89, off, s[0:3], 0 offset:84
	buffer_load_dword v90, off, s[0:3], 0 offset:88
	buffer_load_dword v91, off, s[0:3], 0 offset:92
	buffer_load_dword v92, off, s[0:3], 0 offset:96
	buffer_load_dword v93, off, s[0:3], 0 offset:100
	buffer_load_dword v94, off, s[0:3], 0 offset:104
	buffer_load_dword v95, off, s[0:3], 0 offset:108
	buffer_load_dword v97, off, s[0:3], 0 offset:140
	buffer_load_dword v96, off, s[0:3], 0 offset:136
	buffer_load_dword v99, off, s[0:3], 0 offset:132
	buffer_load_dword v98, off, s[0:3], 0 offset:128
	buffer_load_dword v101, off, s[0:3], 0 offset:124
	buffer_load_dword v100, off, s[0:3], 0 offset:120
	buffer_load_dword v103, off, s[0:3], 0 offset:116
	buffer_load_dword v102, off, s[0:3], 0 offset:112
	buffer_load_dword v104, off, s[0:3], 0 offset:168
	buffer_load_dword v107, off, s[0:3], 0 offset:164
	buffer_load_dword v106, off, s[0:3], 0 offset:160
	buffer_load_dword v109, off, s[0:3], 0 offset:156
	buffer_load_dword v108, off, s[0:3], 0 offset:152
	buffer_load_dword v111, off, s[0:3], 0 offset:148
	buffer_load_dword v110, off, s[0:3], 0 offset:144
	buffer_load_dword v105, off, s[0:3], 0 offset:172
	buffer_load_dword v113, off, s[0:3], 0 offset:180
	buffer_load_dword v112, off, s[0:3], 0 offset:176
	buffer_load_dword v114, off, s[0:3], 0 offset:48
	buffer_load_dword v115, off, s[0:3], 0 offset:52
	ds_read2_b64 v[50:53], v48 offset0:31 offset1:32
	ds_read2_b64 v[54:57], v48 offset0:33 offset1:34
	;; [unrolled: 1-line block ×8, first 2 shown]
	v_cmp_lt_u32_e32 vcc, 5, v0
	s_waitcnt vmcnt(32) lgkmcnt(7)
	v_fma_f64 v[48:49], v[82:83], v[50:51], 0
	s_waitcnt vmcnt(30)
	v_fmac_f64_e32 v[48:49], v[84:85], v[52:53]
	s_waitcnt vmcnt(28) lgkmcnt(6)
	v_fmac_f64_e32 v[48:49], v[86:87], v[54:55]
	s_waitcnt vmcnt(26)
	v_fmac_f64_e32 v[48:49], v[88:89], v[56:57]
	s_waitcnt vmcnt(24) lgkmcnt(5)
	v_fmac_f64_e32 v[48:49], v[90:91], v[58:59]
	;; [unrolled: 4-line block ×3, first 2 shown]
	s_waitcnt vmcnt(12)
	v_fmac_f64_e32 v[48:49], v[102:103], v[64:65]
	s_waitcnt lgkmcnt(3)
	v_fmac_f64_e32 v[48:49], v[100:101], v[66:67]
	v_fmac_f64_e32 v[48:49], v[98:99], v[68:69]
	s_waitcnt lgkmcnt(2)
	v_fmac_f64_e32 v[48:49], v[96:97], v[70:71]
	s_waitcnt vmcnt(5)
	v_fmac_f64_e32 v[48:49], v[110:111], v[72:73]
	s_waitcnt lgkmcnt(1)
	v_fmac_f64_e32 v[48:49], v[108:109], v[74:75]
	v_fmac_f64_e32 v[48:49], v[106:107], v[76:77]
	s_waitcnt vmcnt(4) lgkmcnt(0)
	v_fmac_f64_e32 v[48:49], v[104:105], v[78:79]
	s_waitcnt vmcnt(2)
	v_fmac_f64_e32 v[48:49], v[112:113], v[80:81]
	s_waitcnt vmcnt(0)
	v_add_f64 v[48:49], v[114:115], -v[48:49]
	buffer_store_dword v49, off, s[0:3], 0 offset:52
	buffer_store_dword v48, off, s[0:3], 0 offset:48
	s_and_saveexec_b64 s[4:5], vcc
	s_cbranch_execz .LBB86_135
; %bb.134:
	buffer_load_dword v48, off, s[0:3], 0 offset:40
	buffer_load_dword v49, off, s[0:3], 0 offset:44
	v_mov_b32_e32 v50, 0
	buffer_store_dword v50, off, s[0:3], 0 offset:40
	buffer_store_dword v50, off, s[0:3], 0 offset:44
	s_waitcnt vmcnt(2)
	ds_write_b64 v1, v[48:49]
.LBB86_135:
	s_or_b64 exec, exec, s[4:5]
	s_waitcnt lgkmcnt(0)
	; wave barrier
	s_waitcnt lgkmcnt(0)
	buffer_load_dword v82, off, s[0:3], 0 offset:48
	buffer_load_dword v83, off, s[0:3], 0 offset:52
	;; [unrolled: 1-line block ×36, first 2 shown]
	v_mov_b32_e32 v48, 0
	ds_read_b128 v[50:53], v48 offset:240
	ds_read_b128 v[54:57], v48 offset:256
	;; [unrolled: 1-line block ×8, first 2 shown]
	ds_read_b64 v[118:119], v48 offset:368
	v_cmp_lt_u32_e32 vcc, 4, v0
	s_waitcnt vmcnt(34) lgkmcnt(8)
	v_fma_f64 v[50:51], v[82:83], v[50:51], 0
	s_waitcnt vmcnt(32)
	v_fmac_f64_e32 v[50:51], v[84:85], v[52:53]
	s_waitcnt vmcnt(30) lgkmcnt(7)
	v_fmac_f64_e32 v[50:51], v[86:87], v[54:55]
	s_waitcnt vmcnt(28)
	v_fmac_f64_e32 v[50:51], v[88:89], v[56:57]
	s_waitcnt vmcnt(26) lgkmcnt(6)
	v_fmac_f64_e32 v[50:51], v[90:91], v[58:59]
	;; [unrolled: 4-line block ×3, first 2 shown]
	s_waitcnt vmcnt(14)
	v_fmac_f64_e32 v[50:51], v[102:103], v[64:65]
	s_waitcnt lgkmcnt(4)
	v_fmac_f64_e32 v[50:51], v[100:101], v[66:67]
	v_fmac_f64_e32 v[50:51], v[98:99], v[68:69]
	s_waitcnt lgkmcnt(3)
	v_fmac_f64_e32 v[50:51], v[96:97], v[70:71]
	s_waitcnt vmcnt(6)
	v_fmac_f64_e32 v[50:51], v[110:111], v[72:73]
	s_waitcnt lgkmcnt(2)
	v_fmac_f64_e32 v[50:51], v[108:109], v[74:75]
	v_fmac_f64_e32 v[50:51], v[106:107], v[76:77]
	s_waitcnt lgkmcnt(1)
	v_fmac_f64_e32 v[50:51], v[104:105], v[78:79]
	s_waitcnt vmcnt(2)
	v_fmac_f64_e32 v[50:51], v[114:115], v[80:81]
	s_waitcnt lgkmcnt(0)
	v_fmac_f64_e32 v[50:51], v[112:113], v[118:119]
	s_waitcnt vmcnt(0)
	v_add_f64 v[50:51], v[116:117], -v[50:51]
	buffer_store_dword v51, off, s[0:3], 0 offset:44
	buffer_store_dword v50, off, s[0:3], 0 offset:40
	s_and_saveexec_b64 s[4:5], vcc
	s_cbranch_execz .LBB86_137
; %bb.136:
	buffer_load_dword v50, off, s[0:3], 0 offset:32
	buffer_load_dword v51, off, s[0:3], 0 offset:36
	s_waitcnt vmcnt(0)
	ds_write_b64 v1, v[50:51]
	buffer_store_dword v48, off, s[0:3], 0 offset:32
	buffer_store_dword v48, off, s[0:3], 0 offset:36
.LBB86_137:
	s_or_b64 exec, exec, s[4:5]
	s_waitcnt lgkmcnt(0)
	; wave barrier
	s_waitcnt lgkmcnt(0)
	buffer_load_dword v86, off, s[0:3], 0 offset:40
	buffer_load_dword v87, off, s[0:3], 0 offset:44
	;; [unrolled: 1-line block ×38, first 2 shown]
	ds_read2_b64 v[50:53], v48 offset0:29 offset1:30
	ds_read2_b64 v[54:57], v48 offset0:31 offset1:32
	;; [unrolled: 1-line block ×9, first 2 shown]
	v_cmp_lt_u32_e32 vcc, 3, v0
	s_waitcnt vmcnt(36) lgkmcnt(8)
	v_fma_f64 v[48:49], v[86:87], v[50:51], 0
	s_waitcnt vmcnt(34)
	v_fmac_f64_e32 v[48:49], v[88:89], v[52:53]
	s_waitcnt vmcnt(32) lgkmcnt(7)
	v_fmac_f64_e32 v[48:49], v[90:91], v[54:55]
	s_waitcnt vmcnt(30)
	v_fmac_f64_e32 v[48:49], v[92:93], v[56:57]
	s_waitcnt vmcnt(28) lgkmcnt(6)
	v_fmac_f64_e32 v[48:49], v[94:95], v[58:59]
	;; [unrolled: 4-line block ×3, first 2 shown]
	s_waitcnt vmcnt(16)
	v_fmac_f64_e32 v[48:49], v[106:107], v[64:65]
	s_waitcnt lgkmcnt(4)
	v_fmac_f64_e32 v[48:49], v[104:105], v[66:67]
	v_fmac_f64_e32 v[48:49], v[102:103], v[68:69]
	s_waitcnt lgkmcnt(3)
	v_fmac_f64_e32 v[48:49], v[100:101], v[70:71]
	s_waitcnt vmcnt(8)
	v_fmac_f64_e32 v[48:49], v[114:115], v[72:73]
	s_waitcnt lgkmcnt(2)
	v_fmac_f64_e32 v[48:49], v[112:113], v[74:75]
	v_fmac_f64_e32 v[48:49], v[110:111], v[76:77]
	s_waitcnt lgkmcnt(1)
	v_fmac_f64_e32 v[48:49], v[108:109], v[78:79]
	s_waitcnt vmcnt(3)
	v_fmac_f64_e32 v[48:49], v[120:121], v[80:81]
	s_waitcnt lgkmcnt(0)
	v_fmac_f64_e32 v[48:49], v[118:119], v[82:83]
	s_waitcnt vmcnt(2)
	v_fmac_f64_e32 v[48:49], v[116:117], v[84:85]
	s_waitcnt vmcnt(0)
	v_add_f64 v[48:49], v[122:123], -v[48:49]
	buffer_store_dword v49, off, s[0:3], 0 offset:36
	buffer_store_dword v48, off, s[0:3], 0 offset:32
	s_and_saveexec_b64 s[4:5], vcc
	s_cbranch_execz .LBB86_139
; %bb.138:
	buffer_load_dword v48, off, s[0:3], 0 offset:24
	buffer_load_dword v49, off, s[0:3], 0 offset:28
	v_mov_b32_e32 v50, 0
	buffer_store_dword v50, off, s[0:3], 0 offset:24
	buffer_store_dword v50, off, s[0:3], 0 offset:28
	s_waitcnt vmcnt(2)
	ds_write_b64 v1, v[48:49]
.LBB86_139:
	s_or_b64 exec, exec, s[4:5]
	s_waitcnt lgkmcnt(0)
	; wave barrier
	s_waitcnt lgkmcnt(0)
	buffer_load_dword v48, off, s[0:3], 0 offset:24
	buffer_load_dword v49, off, s[0:3], 0 offset:28
	;; [unrolled: 1-line block ×16, first 2 shown]
	v_mov_b32_e32 v52, 0
	ds_read_b128 v[54:57], v52 offset:224
	ds_read_b128 v[58:61], v52 offset:240
	;; [unrolled: 1-line block ×4, first 2 shown]
	v_cmp_lt_u32_e32 vcc, 2, v0
	s_waitcnt vmcnt(12) lgkmcnt(3)
	v_fma_f64 v[50:51], v[50:51], v[54:55], 0
	buffer_load_dword v55, off, s[0:3], 0 offset:92
	buffer_load_dword v54, off, s[0:3], 0 offset:88
	s_waitcnt vmcnt(12)
	v_fmac_f64_e32 v[50:51], v[70:71], v[56:57]
	s_waitcnt vmcnt(10) lgkmcnt(2)
	v_fmac_f64_e32 v[50:51], v[72:73], v[58:59]
	buffer_load_dword v59, off, s[0:3], 0 offset:100
	buffer_load_dword v58, off, s[0:3], 0 offset:96
	s_waitcnt vmcnt(10)
	v_fmac_f64_e32 v[50:51], v[74:75], v[60:61]
	s_waitcnt vmcnt(8) lgkmcnt(1)
	v_fmac_f64_e32 v[50:51], v[76:77], v[62:63]
	s_waitcnt vmcnt(6)
	v_fmac_f64_e32 v[50:51], v[78:79], v[64:65]
	s_waitcnt vmcnt(4) lgkmcnt(0)
	v_fmac_f64_e32 v[50:51], v[80:81], v[66:67]
	s_waitcnt vmcnt(2)
	v_fmac_f64_e32 v[50:51], v[54:55], v[68:69]
	ds_read_b128 v[54:57], v52 offset:288
	s_waitcnt vmcnt(0) lgkmcnt(0)
	v_fmac_f64_e32 v[50:51], v[58:59], v[54:55]
	buffer_load_dword v55, off, s[0:3], 0 offset:108
	buffer_load_dword v54, off, s[0:3], 0 offset:104
	buffer_load_dword v59, off, s[0:3], 0 offset:116
	buffer_load_dword v58, off, s[0:3], 0 offset:112
	s_waitcnt vmcnt(2)
	v_fmac_f64_e32 v[50:51], v[54:55], v[56:57]
	ds_read_b128 v[54:57], v52 offset:304
	s_waitcnt vmcnt(0) lgkmcnt(0)
	v_fmac_f64_e32 v[50:51], v[58:59], v[54:55]
	buffer_load_dword v55, off, s[0:3], 0 offset:124
	buffer_load_dword v54, off, s[0:3], 0 offset:120
	buffer_load_dword v59, off, s[0:3], 0 offset:132
	buffer_load_dword v58, off, s[0:3], 0 offset:128
	;; [unrolled: 9-line block ×4, first 2 shown]
	s_waitcnt vmcnt(2)
	v_fmac_f64_e32 v[50:51], v[54:55], v[56:57]
	ds_read_b128 v[54:57], v52 offset:352
	s_waitcnt vmcnt(0) lgkmcnt(0)
	v_fmac_f64_e32 v[50:51], v[58:59], v[54:55]
	buffer_load_dword v55, off, s[0:3], 0 offset:172
	buffer_load_dword v54, off, s[0:3], 0 offset:168
	s_waitcnt vmcnt(0)
	v_fmac_f64_e32 v[50:51], v[54:55], v[56:57]
	buffer_load_dword v55, off, s[0:3], 0 offset:180
	buffer_load_dword v54, off, s[0:3], 0 offset:176
	ds_read_b64 v[56:57], v52 offset:368
	s_waitcnt vmcnt(0) lgkmcnt(0)
	v_fmac_f64_e32 v[50:51], v[54:55], v[56:57]
	v_add_f64 v[48:49], v[48:49], -v[50:51]
	buffer_store_dword v49, off, s[0:3], 0 offset:28
	buffer_store_dword v48, off, s[0:3], 0 offset:24
	s_and_saveexec_b64 s[4:5], vcc
	s_cbranch_execz .LBB86_141
; %bb.140:
	buffer_load_dword v48, off, s[0:3], 0 offset:16
	buffer_load_dword v49, off, s[0:3], 0 offset:20
	s_waitcnt vmcnt(0)
	ds_write_b64 v1, v[48:49]
	buffer_store_dword v52, off, s[0:3], 0 offset:16
	buffer_store_dword v52, off, s[0:3], 0 offset:20
.LBB86_141:
	s_or_b64 exec, exec, s[4:5]
	s_waitcnt lgkmcnt(0)
	; wave barrier
	s_waitcnt lgkmcnt(0)
	buffer_load_dword v48, off, s[0:3], 0 offset:16
	buffer_load_dword v49, off, s[0:3], 0 offset:20
	buffer_load_dword v50, off, s[0:3], 0 offset:24
	buffer_load_dword v51, off, s[0:3], 0 offset:28
	buffer_load_dword v58, off, s[0:3], 0 offset:32
	buffer_load_dword v59, off, s[0:3], 0 offset:36
	buffer_load_dword v60, off, s[0:3], 0 offset:40
	buffer_load_dword v61, off, s[0:3], 0 offset:44
	buffer_load_dword v62, off, s[0:3], 0 offset:48
	buffer_load_dword v63, off, s[0:3], 0 offset:52
	buffer_load_dword v64, off, s[0:3], 0 offset:56
	buffer_load_dword v65, off, s[0:3], 0 offset:60
	buffer_load_dword v66, off, s[0:3], 0 offset:64
	buffer_load_dword v67, off, s[0:3], 0 offset:68
	buffer_load_dword v68, off, s[0:3], 0 offset:72
	buffer_load_dword v69, off, s[0:3], 0 offset:76
	ds_read2_b64 v[54:57], v52 offset0:27 offset1:28
	v_cmp_lt_u32_e32 vcc, 1, v0
	s_waitcnt vmcnt(12) lgkmcnt(0)
	v_fma_f64 v[50:51], v[50:51], v[54:55], 0
	s_waitcnt vmcnt(10)
	v_fmac_f64_e32 v[50:51], v[58:59], v[56:57]
	ds_read2_b64 v[54:57], v52 offset0:29 offset1:30
	s_waitcnt vmcnt(8) lgkmcnt(0)
	v_fmac_f64_e32 v[50:51], v[60:61], v[54:55]
	s_waitcnt vmcnt(6)
	v_fmac_f64_e32 v[50:51], v[62:63], v[56:57]
	ds_read2_b64 v[54:57], v52 offset0:31 offset1:32
	s_waitcnt vmcnt(4) lgkmcnt(0)
	v_fmac_f64_e32 v[50:51], v[64:65], v[54:55]
	;; [unrolled: 5-line block ×3, first 2 shown]
	buffer_load_dword v55, off, s[0:3], 0 offset:84
	buffer_load_dword v54, off, s[0:3], 0 offset:80
	buffer_load_dword v59, off, s[0:3], 0 offset:92
	buffer_load_dword v58, off, s[0:3], 0 offset:88
	s_waitcnt vmcnt(2)
	v_fmac_f64_e32 v[50:51], v[54:55], v[56:57]
	ds_read2_b64 v[54:57], v52 offset0:35 offset1:36
	s_waitcnt vmcnt(0) lgkmcnt(0)
	v_fmac_f64_e32 v[50:51], v[58:59], v[54:55]
	buffer_load_dword v55, off, s[0:3], 0 offset:100
	buffer_load_dword v54, off, s[0:3], 0 offset:96
	buffer_load_dword v59, off, s[0:3], 0 offset:108
	buffer_load_dword v58, off, s[0:3], 0 offset:104
	s_waitcnt vmcnt(2)
	v_fmac_f64_e32 v[50:51], v[54:55], v[56:57]
	ds_read2_b64 v[54:57], v52 offset0:37 offset1:38
	s_waitcnt vmcnt(0) lgkmcnt(0)
	v_fmac_f64_e32 v[50:51], v[58:59], v[54:55]
	;; [unrolled: 9-line block ×5, first 2 shown]
	buffer_load_dword v55, off, s[0:3], 0 offset:164
	buffer_load_dword v54, off, s[0:3], 0 offset:160
	s_waitcnt vmcnt(0)
	v_fmac_f64_e32 v[50:51], v[54:55], v[56:57]
	buffer_load_dword v57, off, s[0:3], 0 offset:172
	buffer_load_dword v56, off, s[0:3], 0 offset:168
	ds_read2_b64 v[52:55], v52 offset0:45 offset1:46
	s_waitcnt vmcnt(0) lgkmcnt(0)
	v_fmac_f64_e32 v[50:51], v[56:57], v[52:53]
	buffer_load_dword v53, off, s[0:3], 0 offset:180
	buffer_load_dword v52, off, s[0:3], 0 offset:176
	s_waitcnt vmcnt(0)
	v_fmac_f64_e32 v[50:51], v[52:53], v[54:55]
	v_add_f64 v[48:49], v[48:49], -v[50:51]
	buffer_store_dword v49, off, s[0:3], 0 offset:20
	buffer_store_dword v48, off, s[0:3], 0 offset:16
	s_and_saveexec_b64 s[4:5], vcc
	s_cbranch_execz .LBB86_143
; %bb.142:
	buffer_load_dword v48, off, s[0:3], 0 offset:8
	buffer_load_dword v49, off, s[0:3], 0 offset:12
	v_mov_b32_e32 v50, 0
	buffer_store_dword v50, off, s[0:3], 0 offset:8
	buffer_store_dword v50, off, s[0:3], 0 offset:12
	s_waitcnt vmcnt(2)
	ds_write_b64 v1, v[48:49]
.LBB86_143:
	s_or_b64 exec, exec, s[4:5]
	s_waitcnt lgkmcnt(0)
	; wave barrier
	s_waitcnt lgkmcnt(0)
	buffer_load_dword v48, off, s[0:3], 0 offset:8
	buffer_load_dword v49, off, s[0:3], 0 offset:12
	;; [unrolled: 1-line block ×16, first 2 shown]
	v_mov_b32_e32 v52, 0
	ds_read_b128 v[54:57], v52 offset:208
	ds_read_b128 v[58:61], v52 offset:224
	;; [unrolled: 1-line block ×4, first 2 shown]
	v_cmp_ne_u32_e32 vcc, 0, v0
	s_waitcnt vmcnt(12) lgkmcnt(3)
	v_fma_f64 v[50:51], v[50:51], v[54:55], 0
	buffer_load_dword v55, off, s[0:3], 0 offset:76
	buffer_load_dword v54, off, s[0:3], 0 offset:72
	s_waitcnt vmcnt(12)
	v_fmac_f64_e32 v[50:51], v[70:71], v[56:57]
	s_waitcnt vmcnt(10) lgkmcnt(2)
	v_fmac_f64_e32 v[50:51], v[72:73], v[58:59]
	buffer_load_dword v59, off, s[0:3], 0 offset:84
	buffer_load_dword v58, off, s[0:3], 0 offset:80
	s_waitcnt vmcnt(10)
	v_fmac_f64_e32 v[50:51], v[74:75], v[60:61]
	s_waitcnt vmcnt(8) lgkmcnt(1)
	v_fmac_f64_e32 v[50:51], v[76:77], v[62:63]
	s_waitcnt vmcnt(6)
	v_fmac_f64_e32 v[50:51], v[78:79], v[64:65]
	s_waitcnt vmcnt(4) lgkmcnt(0)
	v_fmac_f64_e32 v[50:51], v[80:81], v[66:67]
	s_waitcnt vmcnt(2)
	v_fmac_f64_e32 v[50:51], v[54:55], v[68:69]
	ds_read_b128 v[54:57], v52 offset:272
	s_waitcnt vmcnt(0) lgkmcnt(0)
	v_fmac_f64_e32 v[50:51], v[58:59], v[54:55]
	buffer_load_dword v55, off, s[0:3], 0 offset:92
	buffer_load_dword v54, off, s[0:3], 0 offset:88
	buffer_load_dword v59, off, s[0:3], 0 offset:100
	buffer_load_dword v58, off, s[0:3], 0 offset:96
	s_waitcnt vmcnt(2)
	v_fmac_f64_e32 v[50:51], v[54:55], v[56:57]
	ds_read_b128 v[54:57], v52 offset:288
	s_waitcnt vmcnt(0) lgkmcnt(0)
	v_fmac_f64_e32 v[50:51], v[58:59], v[54:55]
	buffer_load_dword v55, off, s[0:3], 0 offset:108
	buffer_load_dword v54, off, s[0:3], 0 offset:104
	buffer_load_dword v59, off, s[0:3], 0 offset:116
	buffer_load_dword v58, off, s[0:3], 0 offset:112
	;; [unrolled: 9-line block ×5, first 2 shown]
	s_waitcnt vmcnt(2)
	v_fmac_f64_e32 v[50:51], v[54:55], v[56:57]
	ds_read_b128 v[54:57], v52 offset:352
	s_waitcnt vmcnt(0) lgkmcnt(0)
	v_fmac_f64_e32 v[50:51], v[58:59], v[54:55]
	buffer_load_dword v55, off, s[0:3], 0 offset:172
	buffer_load_dword v54, off, s[0:3], 0 offset:168
	s_waitcnt vmcnt(0)
	v_fmac_f64_e32 v[50:51], v[54:55], v[56:57]
	buffer_load_dword v55, off, s[0:3], 0 offset:180
	buffer_load_dword v54, off, s[0:3], 0 offset:176
	ds_read_b64 v[56:57], v52 offset:368
	s_waitcnt vmcnt(0) lgkmcnt(0)
	v_fmac_f64_e32 v[50:51], v[54:55], v[56:57]
	v_add_f64 v[48:49], v[48:49], -v[50:51]
	buffer_store_dword v49, off, s[0:3], 0 offset:12
	buffer_store_dword v48, off, s[0:3], 0 offset:8
	s_and_saveexec_b64 s[4:5], vcc
	s_cbranch_execz .LBB86_145
; %bb.144:
	buffer_load_dword v48, off, s[0:3], 0
	buffer_load_dword v49, off, s[0:3], 0 offset:4
	s_waitcnt vmcnt(0)
	ds_write_b64 v1, v[48:49]
	buffer_store_dword v52, off, s[0:3], 0
	buffer_store_dword v52, off, s[0:3], 0 offset:4
.LBB86_145:
	s_or_b64 exec, exec, s[4:5]
	s_waitcnt lgkmcnt(0)
	; wave barrier
	s_waitcnt lgkmcnt(0)
	buffer_load_dword v0, off, s[0:3], 0
	buffer_load_dword v1, off, s[0:3], 0 offset:4
	buffer_load_dword v54, off, s[0:3], 0 offset:8
	;; [unrolled: 1-line block ×15, first 2 shown]
	ds_read2_b64 v[48:51], v52 offset0:25 offset1:26
	s_and_b64 vcc, exec, s[16:17]
	s_waitcnt vmcnt(12) lgkmcnt(0)
	v_fma_f64 v[48:49], v[54:55], v[48:49], 0
	s_waitcnt vmcnt(10)
	v_fmac_f64_e32 v[48:49], v[56:57], v[50:51]
	ds_read2_b64 v[54:57], v52 offset0:27 offset1:28
	s_waitcnt vmcnt(8) lgkmcnt(0)
	v_fmac_f64_e32 v[48:49], v[58:59], v[54:55]
	s_waitcnt vmcnt(6)
	v_fmac_f64_e32 v[48:49], v[60:61], v[56:57]
	ds_read2_b64 v[54:57], v52 offset0:29 offset1:30
	s_waitcnt vmcnt(4) lgkmcnt(0)
	v_fmac_f64_e32 v[48:49], v[62:63], v[54:55]
	s_waitcnt vmcnt(2)
	v_fmac_f64_e32 v[48:49], v[64:65], v[56:57]
	ds_read2_b64 v[54:57], v52 offset0:31 offset1:32
	buffer_load_dword v51, off, s[0:3], 0 offset:68
	buffer_load_dword v50, off, s[0:3], 0 offset:64
	s_waitcnt vmcnt(2) lgkmcnt(0)
	v_fmac_f64_e32 v[48:49], v[66:67], v[54:55]
	s_waitcnt vmcnt(0)
	v_fmac_f64_e32 v[48:49], v[50:51], v[56:57]
	buffer_load_dword v51, off, s[0:3], 0 offset:76
	buffer_load_dword v50, off, s[0:3], 0 offset:72
	ds_read2_b64 v[54:57], v52 offset0:33 offset1:34
	s_waitcnt vmcnt(0) lgkmcnt(0)
	v_fmac_f64_e32 v[48:49], v[50:51], v[54:55]
	buffer_load_dword v51, off, s[0:3], 0 offset:84
	buffer_load_dword v50, off, s[0:3], 0 offset:80
	s_waitcnt vmcnt(0)
	v_fmac_f64_e32 v[48:49], v[50:51], v[56:57]
	buffer_load_dword v51, off, s[0:3], 0 offset:92
	buffer_load_dword v50, off, s[0:3], 0 offset:88
	ds_read2_b64 v[54:57], v52 offset0:35 offset1:36
	s_waitcnt vmcnt(0) lgkmcnt(0)
	v_fmac_f64_e32 v[48:49], v[50:51], v[54:55]
	buffer_load_dword v51, off, s[0:3], 0 offset:100
	buffer_load_dword v50, off, s[0:3], 0 offset:96
	;; [unrolled: 9-line block ×7, first 2 shown]
	s_waitcnt vmcnt(0)
	v_fmac_f64_e32 v[48:49], v[52:53], v[54:55]
	v_add_f64 v[0:1], v[0:1], -v[48:49]
	buffer_store_dword v1, off, s[0:3], 0 offset:4
	buffer_store_dword v0, off, s[0:3], 0
	s_cbranch_vccz .LBB86_191
; %bb.146:
	v_pk_mov_b32 v[0:1], s[10:11], s[10:11] op_sel:[0,1]
	flat_load_dword v0, v[0:1] offset:84
	s_waitcnt vmcnt(0) lgkmcnt(0)
	v_add_u32_e32 v0, -1, v0
	v_cmp_ne_u32_e32 vcc, 21, v0
	s_and_saveexec_b64 s[4:5], vcc
	s_cbranch_execz .LBB86_148
; %bb.147:
	v_mov_b32_e32 v1, 0
	v_lshl_add_u32 v0, v0, 3, v1
	buffer_load_dword v1, v0, s[0:3], 0 offen
	buffer_load_dword v48, v0, s[0:3], 0 offen offset:4
	s_waitcnt vmcnt(1)
	buffer_store_dword v1, off, s[0:3], 0 offset:168
	s_waitcnt vmcnt(1)
	buffer_store_dword v48, off, s[0:3], 0 offset:172
	buffer_store_dword v50, v0, s[0:3], 0 offen
	buffer_store_dword v51, v0, s[0:3], 0 offen offset:4
.LBB86_148:
	s_or_b64 exec, exec, s[4:5]
	v_pk_mov_b32 v[0:1], s[10:11], s[10:11] op_sel:[0,1]
	flat_load_dword v0, v[0:1] offset:80
	s_waitcnt vmcnt(0) lgkmcnt(0)
	v_add_u32_e32 v0, -1, v0
	v_cmp_ne_u32_e32 vcc, 20, v0
	s_and_saveexec_b64 s[4:5], vcc
	s_cbranch_execz .LBB86_150
; %bb.149:
	v_mov_b32_e32 v1, 0
	v_lshl_add_u32 v0, v0, 3, v1
	buffer_load_dword v1, v0, s[0:3], 0 offen
	buffer_load_dword v48, v0, s[0:3], 0 offen offset:4
	buffer_load_dword v49, off, s[0:3], 0 offset:164
	buffer_load_dword v50, off, s[0:3], 0 offset:160
	s_waitcnt vmcnt(3)
	buffer_store_dword v1, off, s[0:3], 0 offset:160
	s_waitcnt vmcnt(3)
	buffer_store_dword v48, off, s[0:3], 0 offset:164
	s_waitcnt vmcnt(3)
	buffer_store_dword v49, v0, s[0:3], 0 offen offset:4
	s_waitcnt vmcnt(3)
	buffer_store_dword v50, v0, s[0:3], 0 offen
.LBB86_150:
	s_or_b64 exec, exec, s[4:5]
	v_pk_mov_b32 v[0:1], s[10:11], s[10:11] op_sel:[0,1]
	flat_load_dword v0, v[0:1] offset:76
	s_waitcnt vmcnt(0) lgkmcnt(0)
	v_add_u32_e32 v0, -1, v0
	v_cmp_ne_u32_e32 vcc, 19, v0
	s_and_saveexec_b64 s[4:5], vcc
	s_cbranch_execz .LBB86_152
; %bb.151:
	v_mov_b32_e32 v1, 0
	v_lshl_add_u32 v0, v0, 3, v1
	buffer_load_dword v1, v0, s[0:3], 0 offen
	buffer_load_dword v48, v0, s[0:3], 0 offen offset:4
	buffer_load_dword v49, off, s[0:3], 0 offset:152
	buffer_load_dword v50, off, s[0:3], 0 offset:156
	s_waitcnt vmcnt(3)
	buffer_store_dword v1, off, s[0:3], 0 offset:152
	s_waitcnt vmcnt(3)
	buffer_store_dword v48, off, s[0:3], 0 offset:156
	s_waitcnt vmcnt(3)
	buffer_store_dword v49, v0, s[0:3], 0 offen
	s_waitcnt vmcnt(3)
	buffer_store_dword v50, v0, s[0:3], 0 offen offset:4
.LBB86_152:
	s_or_b64 exec, exec, s[4:5]
	v_pk_mov_b32 v[0:1], s[10:11], s[10:11] op_sel:[0,1]
	flat_load_dword v0, v[0:1] offset:72
	s_waitcnt vmcnt(0) lgkmcnt(0)
	v_add_u32_e32 v0, -1, v0
	v_cmp_ne_u32_e32 vcc, 18, v0
	s_and_saveexec_b64 s[4:5], vcc
	s_cbranch_execz .LBB86_154
; %bb.153:
	v_mov_b32_e32 v1, 0
	v_lshl_add_u32 v0, v0, 3, v1
	buffer_load_dword v1, v0, s[0:3], 0 offen
	buffer_load_dword v48, v0, s[0:3], 0 offen offset:4
	buffer_load_dword v49, off, s[0:3], 0 offset:148
	buffer_load_dword v50, off, s[0:3], 0 offset:144
	s_waitcnt vmcnt(3)
	buffer_store_dword v1, off, s[0:3], 0 offset:144
	s_waitcnt vmcnt(3)
	buffer_store_dword v48, off, s[0:3], 0 offset:148
	s_waitcnt vmcnt(3)
	buffer_store_dword v49, v0, s[0:3], 0 offen offset:4
	s_waitcnt vmcnt(3)
	buffer_store_dword v50, v0, s[0:3], 0 offen
.LBB86_154:
	s_or_b64 exec, exec, s[4:5]
	v_pk_mov_b32 v[0:1], s[10:11], s[10:11] op_sel:[0,1]
	flat_load_dword v0, v[0:1] offset:68
	s_waitcnt vmcnt(0) lgkmcnt(0)
	v_add_u32_e32 v0, -1, v0
	v_cmp_ne_u32_e32 vcc, 17, v0
	s_and_saveexec_b64 s[4:5], vcc
	s_cbranch_execz .LBB86_156
; %bb.155:
	v_mov_b32_e32 v1, 0
	v_lshl_add_u32 v0, v0, 3, v1
	buffer_load_dword v1, v0, s[0:3], 0 offen
	buffer_load_dword v48, v0, s[0:3], 0 offen offset:4
	buffer_load_dword v49, off, s[0:3], 0 offset:136
	buffer_load_dword v50, off, s[0:3], 0 offset:140
	s_waitcnt vmcnt(3)
	buffer_store_dword v1, off, s[0:3], 0 offset:136
	s_waitcnt vmcnt(3)
	buffer_store_dword v48, off, s[0:3], 0 offset:140
	s_waitcnt vmcnt(3)
	buffer_store_dword v49, v0, s[0:3], 0 offen
	s_waitcnt vmcnt(3)
	buffer_store_dword v50, v0, s[0:3], 0 offen offset:4
.LBB86_156:
	;; [unrolled: 48-line block ×10, first 2 shown]
	s_or_b64 exec, exec, s[4:5]
	v_pk_mov_b32 v[0:1], s[10:11], s[10:11] op_sel:[0,1]
	flat_load_dword v48, v[0:1]
	s_nop 0
	buffer_load_dword v0, off, s[0:3], 0
	buffer_load_dword v1, off, s[0:3], 0 offset:4
	s_waitcnt vmcnt(0) lgkmcnt(0)
	v_add_u32_e32 v48, -1, v48
	v_cmp_ne_u32_e32 vcc, 0, v48
	s_and_saveexec_b64 s[4:5], vcc
	s_cbranch_execz .LBB86_190
; %bb.189:
	v_mov_b32_e32 v49, 0
	v_lshl_add_u32 v48, v48, 3, v49
	buffer_load_dword v49, v48, s[0:3], 0 offen offset:4
	buffer_load_dword v50, v48, s[0:3], 0 offen
	s_waitcnt vmcnt(1)
	buffer_store_dword v49, off, s[0:3], 0 offset:4
	s_waitcnt vmcnt(1)
	buffer_store_dword v50, off, s[0:3], 0
	buffer_store_dword v1, v48, s[0:3], 0 offen offset:4
	buffer_store_dword v0, v48, s[0:3], 0 offen
	buffer_load_dword v0, off, s[0:3], 0
	s_nop 0
	buffer_load_dword v1, off, s[0:3], 0 offset:4
.LBB86_190:
	s_or_b64 exec, exec, s[4:5]
.LBB86_191:
	buffer_load_dword v48, off, s[0:3], 0 offset:8
	buffer_load_dword v49, off, s[0:3], 0 offset:12
	;; [unrolled: 1-line block ×44, first 2 shown]
	s_waitcnt vmcnt(44)
	global_store_dwordx2 v[2:3], v[0:1], off
	s_waitcnt vmcnt(43)
	global_store_dwordx2 v[4:5], v[48:49], off
	;; [unrolled: 2-line block ×23, first 2 shown]
	s_endpgm
	.section	.rodata,"a",@progbits
	.p2align	6, 0x0
	.amdhsa_kernel _ZN9rocsolver6v33100L18getri_kernel_smallILi23EdPKPdEEvT1_iilPiilS6_bb
		.amdhsa_group_segment_fixed_size 376
		.amdhsa_private_segment_fixed_size 192
		.amdhsa_kernarg_size 60
		.amdhsa_user_sgpr_count 8
		.amdhsa_user_sgpr_private_segment_buffer 1
		.amdhsa_user_sgpr_dispatch_ptr 0
		.amdhsa_user_sgpr_queue_ptr 0
		.amdhsa_user_sgpr_kernarg_segment_ptr 1
		.amdhsa_user_sgpr_dispatch_id 0
		.amdhsa_user_sgpr_flat_scratch_init 1
		.amdhsa_user_sgpr_kernarg_preload_length 0
		.amdhsa_user_sgpr_kernarg_preload_offset 0
		.amdhsa_user_sgpr_private_segment_size 0
		.amdhsa_uses_dynamic_stack 0
		.amdhsa_system_sgpr_private_segment_wavefront_offset 1
		.amdhsa_system_sgpr_workgroup_id_x 1
		.amdhsa_system_sgpr_workgroup_id_y 0
		.amdhsa_system_sgpr_workgroup_id_z 0
		.amdhsa_system_sgpr_workgroup_info 0
		.amdhsa_system_vgpr_workitem_id 0
		.amdhsa_next_free_vgpr 124
		.amdhsa_next_free_sgpr 22
		.amdhsa_accum_offset 124
		.amdhsa_reserve_vcc 1
		.amdhsa_reserve_flat_scratch 1
		.amdhsa_float_round_mode_32 0
		.amdhsa_float_round_mode_16_64 0
		.amdhsa_float_denorm_mode_32 3
		.amdhsa_float_denorm_mode_16_64 3
		.amdhsa_dx10_clamp 1
		.amdhsa_ieee_mode 1
		.amdhsa_fp16_overflow 0
		.amdhsa_tg_split 0
		.amdhsa_exception_fp_ieee_invalid_op 0
		.amdhsa_exception_fp_denorm_src 0
		.amdhsa_exception_fp_ieee_div_zero 0
		.amdhsa_exception_fp_ieee_overflow 0
		.amdhsa_exception_fp_ieee_underflow 0
		.amdhsa_exception_fp_ieee_inexact 0
		.amdhsa_exception_int_div_zero 0
	.end_amdhsa_kernel
	.section	.text._ZN9rocsolver6v33100L18getri_kernel_smallILi23EdPKPdEEvT1_iilPiilS6_bb,"axG",@progbits,_ZN9rocsolver6v33100L18getri_kernel_smallILi23EdPKPdEEvT1_iilPiilS6_bb,comdat
.Lfunc_end86:
	.size	_ZN9rocsolver6v33100L18getri_kernel_smallILi23EdPKPdEEvT1_iilPiilS6_bb, .Lfunc_end86-_ZN9rocsolver6v33100L18getri_kernel_smallILi23EdPKPdEEvT1_iilPiilS6_bb
                                        ; -- End function
	.section	.AMDGPU.csdata,"",@progbits
; Kernel info:
; codeLenInByte = 19264
; NumSgprs: 28
; NumVgprs: 124
; NumAgprs: 0
; TotalNumVgprs: 124
; ScratchSize: 192
; MemoryBound: 0
; FloatMode: 240
; IeeeMode: 1
; LDSByteSize: 376 bytes/workgroup (compile time only)
; SGPRBlocks: 3
; VGPRBlocks: 15
; NumSGPRsForWavesPerEU: 28
; NumVGPRsForWavesPerEU: 124
; AccumOffset: 124
; Occupancy: 4
; WaveLimiterHint : 1
; COMPUTE_PGM_RSRC2:SCRATCH_EN: 1
; COMPUTE_PGM_RSRC2:USER_SGPR: 8
; COMPUTE_PGM_RSRC2:TRAP_HANDLER: 0
; COMPUTE_PGM_RSRC2:TGID_X_EN: 1
; COMPUTE_PGM_RSRC2:TGID_Y_EN: 0
; COMPUTE_PGM_RSRC2:TGID_Z_EN: 0
; COMPUTE_PGM_RSRC2:TIDIG_COMP_CNT: 0
; COMPUTE_PGM_RSRC3_GFX90A:ACCUM_OFFSET: 30
; COMPUTE_PGM_RSRC3_GFX90A:TG_SPLIT: 0
	.section	.text._ZN9rocsolver6v33100L18getri_kernel_smallILi24EdPKPdEEvT1_iilPiilS6_bb,"axG",@progbits,_ZN9rocsolver6v33100L18getri_kernel_smallILi24EdPKPdEEvT1_iilPiilS6_bb,comdat
	.globl	_ZN9rocsolver6v33100L18getri_kernel_smallILi24EdPKPdEEvT1_iilPiilS6_bb ; -- Begin function _ZN9rocsolver6v33100L18getri_kernel_smallILi24EdPKPdEEvT1_iilPiilS6_bb
	.p2align	8
	.type	_ZN9rocsolver6v33100L18getri_kernel_smallILi24EdPKPdEEvT1_iilPiilS6_bb,@function
_ZN9rocsolver6v33100L18getri_kernel_smallILi24EdPKPdEEvT1_iilPiilS6_bb: ; @_ZN9rocsolver6v33100L18getri_kernel_smallILi24EdPKPdEEvT1_iilPiilS6_bb
; %bb.0:
	s_add_u32 flat_scratch_lo, s6, s9
	s_addc_u32 flat_scratch_hi, s7, 0
	s_add_u32 s0, s0, s9
	s_addc_u32 s1, s1, 0
	v_cmp_gt_u32_e32 vcc, 24, v0
	s_and_saveexec_b64 s[6:7], vcc
	s_cbranch_execz .LBB87_104
; %bb.1:
	s_load_dword s20, s[4:5], 0x38
	s_load_dwordx2 s[6:7], s[4:5], 0x0
	s_load_dwordx4 s[12:15], s[4:5], 0x28
	s_waitcnt lgkmcnt(0)
	s_bitcmp1_b32 s20, 8
	s_cselect_b64 s[16:17], -1, 0
	s_ashr_i32 s9, s8, 31
	s_lshl_b64 s[10:11], s[8:9], 3
	s_add_u32 s6, s6, s10
	s_addc_u32 s7, s7, s11
	s_load_dwordx2 s[18:19], s[6:7], 0x0
	s_bfe_u32 s6, s20, 0x10008
	s_cmp_eq_u32 s6, 0
                                        ; implicit-def: $sgpr10_sgpr11
	s_cbranch_scc1 .LBB87_3
; %bb.2:
	s_load_dword s6, s[4:5], 0x20
	s_load_dwordx2 s[10:11], s[4:5], 0x18
	s_mul_i32 s7, s8, s13
	s_mul_hi_u32 s13, s8, s12
	s_add_i32 s13, s13, s7
	s_mul_i32 s21, s9, s12
	s_add_i32 s13, s13, s21
	s_mul_i32 s12, s8, s12
	s_waitcnt lgkmcnt(0)
	s_ashr_i32 s7, s6, 31
	s_lshl_b64 s[12:13], s[12:13], 2
	s_add_u32 s10, s10, s12
	s_addc_u32 s11, s11, s13
	s_lshl_b64 s[6:7], s[6:7], 2
	s_add_u32 s10, s10, s6
	s_addc_u32 s11, s11, s7
.LBB87_3:
	s_load_dwordx2 s[6:7], s[4:5], 0x8
	v_lshlrev_b32_e32 v1, 3, v0
	s_waitcnt lgkmcnt(0)
	s_ashr_i32 s5, s6, 31
	s_mov_b32 s4, s6
	s_lshl_b64 s[4:5], s[4:5], 3
	s_add_u32 s4, s18, s4
	s_addc_u32 s5, s19, s5
	v_mov_b32_e32 v3, s5
	v_add_co_u32_e32 v2, vcc, s4, v1
	s_ashr_i32 s13, s7, 31
	s_mov_b32 s12, s7
	s_add_i32 s6, s7, s7
	v_addc_co_u32_e32 v3, vcc, 0, v3, vcc
	s_lshl_b64 s[12:13], s[12:13], 3
	v_add_u32_e32 v8, s6, v0
	v_mov_b32_e32 v5, s13
	v_add_co_u32_e32 v4, vcc, s12, v2
	v_ashrrev_i32_e32 v9, 31, v8
	v_addc_co_u32_e32 v5, vcc, v3, v5, vcc
	v_lshlrev_b64 v[6:7], 3, v[8:9]
	v_add_u32_e32 v10, s7, v8
	v_mov_b32_e32 v9, s5
	v_add_co_u32_e32 v6, vcc, s4, v6
	v_ashrrev_i32_e32 v11, 31, v10
	v_addc_co_u32_e32 v7, vcc, v9, v7, vcc
	v_lshlrev_b64 v[8:9], 3, v[10:11]
	;; [unrolled: 6-line block ×17, first 2 shown]
	v_mov_b32_e32 v41, s5
	v_add_co_u32_e32 v38, vcc, s4, v38
	v_add_u32_e32 v40, s7, v40
	v_addc_co_u32_e32 v39, vcc, v41, v39, vcc
	v_ashrrev_i32_e32 v41, 31, v40
	v_add_u32_e32 v42, s7, v40
	v_lshlrev_b64 v[40:41], 3, v[40:41]
	v_mov_b32_e32 v43, s5
	v_add_co_u32_e32 v40, vcc, s4, v40
	v_addc_co_u32_e32 v41, vcc, v43, v41, vcc
	v_ashrrev_i32_e32 v43, 31, v42
	v_add_u32_e32 v44, s7, v42
	v_lshlrev_b64 v[42:43], 3, v[42:43]
	v_mov_b32_e32 v45, s5
	v_add_co_u32_e32 v42, vcc, s4, v42
	;; [unrolled: 6-line block ×4, first 2 shown]
	global_load_dwordx2 v[50:51], v1, s[4:5]
	global_load_dwordx2 v[52:53], v[4:5], off
	global_load_dwordx2 v[54:55], v[6:7], off
	;; [unrolled: 1-line block ×18, first 2 shown]
	v_addc_co_u32_e32 v47, vcc, v88, v47, vcc
	global_load_dwordx2 v[88:89], v[40:41], off
	global_load_dwordx2 v[90:91], v[42:43], off
	;; [unrolled: 1-line block ×4, first 2 shown]
	v_ashrrev_i32_e32 v49, 31, v48
	v_lshlrev_b64 v[48:49], 3, v[48:49]
	v_mov_b32_e32 v96, s5
	v_add_co_u32_e32 v48, vcc, s4, v48
	v_addc_co_u32_e32 v49, vcc, v96, v49, vcc
	global_load_dwordx2 v[96:97], v[48:49], off
	s_bitcmp0_b32 s20, 0
	s_mov_b64 s[6:7], -1
	s_waitcnt vmcnt(23)
	buffer_store_dword v51, off, s[0:3], 0 offset:4
	buffer_store_dword v50, off, s[0:3], 0
	s_waitcnt vmcnt(24)
	buffer_store_dword v53, off, s[0:3], 0 offset:12
	buffer_store_dword v52, off, s[0:3], 0 offset:8
	s_waitcnt vmcnt(25)
	buffer_store_dword v55, off, s[0:3], 0 offset:20
	buffer_store_dword v54, off, s[0:3], 0 offset:16
	s_waitcnt vmcnt(26)
	buffer_store_dword v57, off, s[0:3], 0 offset:28
	buffer_store_dword v56, off, s[0:3], 0 offset:24
	s_waitcnt vmcnt(27)
	buffer_store_dword v59, off, s[0:3], 0 offset:36
	buffer_store_dword v58, off, s[0:3], 0 offset:32
	s_waitcnt vmcnt(28)
	buffer_store_dword v61, off, s[0:3], 0 offset:44
	buffer_store_dword v60, off, s[0:3], 0 offset:40
	s_waitcnt vmcnt(29)
	buffer_store_dword v63, off, s[0:3], 0 offset:52
	buffer_store_dword v62, off, s[0:3], 0 offset:48
	s_waitcnt vmcnt(30)
	buffer_store_dword v65, off, s[0:3], 0 offset:60
	buffer_store_dword v64, off, s[0:3], 0 offset:56
	s_waitcnt vmcnt(31)
	buffer_store_dword v67, off, s[0:3], 0 offset:68
	buffer_store_dword v66, off, s[0:3], 0 offset:64
	s_waitcnt vmcnt(32)
	buffer_store_dword v68, off, s[0:3], 0 offset:72
	buffer_store_dword v69, off, s[0:3], 0 offset:76
	s_waitcnt vmcnt(33)
	buffer_store_dword v70, off, s[0:3], 0 offset:80
	buffer_store_dword v71, off, s[0:3], 0 offset:84
	s_waitcnt vmcnt(34)
	buffer_store_dword v72, off, s[0:3], 0 offset:88
	buffer_store_dword v73, off, s[0:3], 0 offset:92
	s_waitcnt vmcnt(35)
	buffer_store_dword v74, off, s[0:3], 0 offset:96
	buffer_store_dword v75, off, s[0:3], 0 offset:100
	s_waitcnt vmcnt(36)
	buffer_store_dword v76, off, s[0:3], 0 offset:104
	buffer_store_dword v77, off, s[0:3], 0 offset:108
	s_waitcnt vmcnt(37)
	buffer_store_dword v79, off, s[0:3], 0 offset:116
	buffer_store_dword v78, off, s[0:3], 0 offset:112
	s_waitcnt vmcnt(38)
	buffer_store_dword v80, off, s[0:3], 0 offset:120
	buffer_store_dword v81, off, s[0:3], 0 offset:124
	s_waitcnt vmcnt(39)
	buffer_store_dword v82, off, s[0:3], 0 offset:128
	buffer_store_dword v83, off, s[0:3], 0 offset:132
	s_waitcnt vmcnt(40)
	buffer_store_dword v84, off, s[0:3], 0 offset:136
	buffer_store_dword v85, off, s[0:3], 0 offset:140
	s_waitcnt vmcnt(41)
	buffer_store_dword v86, off, s[0:3], 0 offset:144
	buffer_store_dword v87, off, s[0:3], 0 offset:148
	s_waitcnt vmcnt(42)
	buffer_store_dword v89, off, s[0:3], 0 offset:156
	buffer_store_dword v88, off, s[0:3], 0 offset:152
	s_waitcnt vmcnt(43)
	buffer_store_dword v91, off, s[0:3], 0 offset:164
	buffer_store_dword v90, off, s[0:3], 0 offset:160
	s_waitcnt vmcnt(44)
	buffer_store_dword v92, off, s[0:3], 0 offset:168
	buffer_store_dword v93, off, s[0:3], 0 offset:172
	s_waitcnt vmcnt(45)
	buffer_store_dword v94, off, s[0:3], 0 offset:176
	buffer_store_dword v95, off, s[0:3], 0 offset:180
	s_waitcnt vmcnt(46)
	buffer_store_dword v96, off, s[0:3], 0 offset:184
	buffer_store_dword v97, off, s[0:3], 0 offset:188
	s_cbranch_scc1 .LBB87_102
; %bb.4:
	v_cmp_eq_u32_e64 s[4:5], 0, v0
	s_and_saveexec_b64 s[6:7], s[4:5]
	s_cbranch_execz .LBB87_6
; %bb.5:
	v_mov_b32_e32 v50, 0
	ds_write_b32 v50, v50 offset:384
.LBB87_6:
	s_or_b64 exec, exec, s[6:7]
	v_mov_b32_e32 v50, 0
	v_lshl_add_u32 v50, v0, 3, v50
	s_waitcnt lgkmcnt(0)
	; wave barrier
	s_waitcnt lgkmcnt(0)
	buffer_load_dword v52, v50, s[0:3], 0 offen
	buffer_load_dword v53, v50, s[0:3], 0 offen offset:4
	s_waitcnt vmcnt(0)
	v_cmp_eq_f64_e32 vcc, 0, v[52:53]
	s_and_saveexec_b64 s[12:13], vcc
	s_cbranch_execz .LBB87_10
; %bb.7:
	v_mov_b32_e32 v51, 0
	ds_read_b32 v53, v51 offset:384
	v_add_u32_e32 v52, 1, v0
	s_waitcnt lgkmcnt(0)
	v_readfirstlane_b32 s6, v53
	s_cmp_eq_u32 s6, 0
	s_cselect_b64 s[18:19], -1, 0
	v_cmp_gt_i32_e32 vcc, s6, v52
	s_or_b64 s[18:19], s[18:19], vcc
	s_and_b64 exec, exec, s[18:19]
	s_cbranch_execz .LBB87_10
; %bb.8:
	s_mov_b64 s[18:19], 0
	v_mov_b32_e32 v53, s6
.LBB87_9:                               ; =>This Inner Loop Header: Depth=1
	ds_cmpst_rtn_b32 v53, v51, v53, v52 offset:384
	s_waitcnt lgkmcnt(0)
	v_cmp_ne_u32_e32 vcc, 0, v53
	v_cmp_le_i32_e64 s[6:7], v53, v52
	s_and_b64 s[6:7], vcc, s[6:7]
	s_and_b64 s[6:7], exec, s[6:7]
	s_or_b64 s[18:19], s[6:7], s[18:19]
	s_andn2_b64 exec, exec, s[18:19]
	s_cbranch_execnz .LBB87_9
.LBB87_10:
	s_or_b64 exec, exec, s[12:13]
	v_mov_b32_e32 v52, 0
	s_waitcnt lgkmcnt(0)
	; wave barrier
	ds_read_b32 v51, v52 offset:384
	s_and_saveexec_b64 s[6:7], s[4:5]
	s_cbranch_execz .LBB87_12
; %bb.11:
	s_lshl_b64 s[12:13], s[8:9], 2
	s_add_u32 s12, s14, s12
	s_addc_u32 s13, s15, s13
	s_waitcnt lgkmcnt(0)
	global_store_dword v52, v51, s[12:13]
.LBB87_12:
	s_or_b64 exec, exec, s[6:7]
	s_waitcnt lgkmcnt(0)
	v_cmp_ne_u32_e32 vcc, 0, v51
	s_mov_b64 s[6:7], 0
	s_cbranch_vccnz .LBB87_102
; %bb.13:
	buffer_load_dword v52, v50, s[0:3], 0 offen
	buffer_load_dword v53, v50, s[0:3], 0 offen offset:4
	s_waitcnt vmcnt(0)
	v_div_scale_f64 v[54:55], s[6:7], v[52:53], v[52:53], 1.0
	v_rcp_f64_e32 v[56:57], v[54:55]
	v_div_scale_f64 v[58:59], vcc, 1.0, v[52:53], 1.0
	v_fma_f64 v[60:61], -v[54:55], v[56:57], 1.0
	v_fmac_f64_e32 v[56:57], v[56:57], v[60:61]
	v_fma_f64 v[60:61], -v[54:55], v[56:57], 1.0
	v_fmac_f64_e32 v[56:57], v[56:57], v[60:61]
	v_mul_f64 v[60:61], v[58:59], v[56:57]
	v_fma_f64 v[54:55], -v[54:55], v[60:61], v[58:59]
	v_div_fmas_f64 v[54:55], v[54:55], v[56:57], v[60:61]
	v_div_fixup_f64 v[54:55], v[54:55], v[52:53], 1.0
	buffer_store_dword v55, v50, s[0:3], 0 offen offset:4
	buffer_store_dword v54, v50, s[0:3], 0 offen
	buffer_load_dword v57, off, s[0:3], 0 offset:12
	buffer_load_dword v56, off, s[0:3], 0 offset:8
	v_add_u32_e32 v52, 0xc0, v1
	v_xor_b32_e32 v55, 0x80000000, v55
	s_waitcnt vmcnt(0)
	ds_write2_b64 v1, v[54:55], v[56:57] offset1:24
	s_waitcnt lgkmcnt(0)
	; wave barrier
	s_waitcnt lgkmcnt(0)
	s_and_saveexec_b64 s[6:7], s[4:5]
	s_cbranch_execz .LBB87_15
; %bb.14:
	buffer_load_dword v54, v50, s[0:3], 0 offen
	buffer_load_dword v55, v50, s[0:3], 0 offen offset:4
	v_mov_b32_e32 v51, 0
	ds_read_b64 v[56:57], v52
	ds_read_b64 v[58:59], v51 offset:8
	s_waitcnt vmcnt(0) lgkmcnt(1)
	v_fma_f64 v[54:55], v[54:55], v[56:57], 0
	s_waitcnt lgkmcnt(0)
	v_mul_f64 v[54:55], v[54:55], v[58:59]
	buffer_store_dword v54, off, s[0:3], 0 offset:8
	buffer_store_dword v55, off, s[0:3], 0 offset:12
.LBB87_15:
	s_or_b64 exec, exec, s[6:7]
	s_waitcnt lgkmcnt(0)
	; wave barrier
	buffer_load_dword v54, off, s[0:3], 0 offset:16
	buffer_load_dword v55, off, s[0:3], 0 offset:20
	v_cmp_gt_u32_e32 vcc, 2, v0
	s_waitcnt vmcnt(0)
	ds_write_b64 v52, v[54:55]
	s_waitcnt lgkmcnt(0)
	; wave barrier
	s_waitcnt lgkmcnt(0)
	s_and_saveexec_b64 s[6:7], vcc
	s_cbranch_execz .LBB87_17
; %bb.16:
	buffer_load_dword v51, v50, s[0:3], 0 offen offset:4
	buffer_load_dword v58, off, s[0:3], 0 offset:8
	s_nop 0
	buffer_load_dword v50, v50, s[0:3], 0 offen
	s_nop 0
	buffer_load_dword v59, off, s[0:3], 0 offset:12
	ds_read_b64 v[60:61], v52
	v_mov_b32_e32 v53, 0
	ds_read2_b64 v[54:57], v53 offset0:2 offset1:25
	s_waitcnt vmcnt(1) lgkmcnt(1)
	v_fma_f64 v[50:51], v[50:51], v[60:61], 0
	s_waitcnt vmcnt(0) lgkmcnt(0)
	v_fma_f64 v[56:57], v[58:59], v[56:57], v[50:51]
	v_cndmask_b32_e64 v51, v51, v57, s[4:5]
	v_cndmask_b32_e64 v50, v50, v56, s[4:5]
	v_mul_f64 v[50:51], v[50:51], v[54:55]
	buffer_store_dword v51, off, s[0:3], 0 offset:20
	buffer_store_dword v50, off, s[0:3], 0 offset:16
.LBB87_17:
	s_or_b64 exec, exec, s[6:7]
	s_waitcnt lgkmcnt(0)
	; wave barrier
	buffer_load_dword v50, off, s[0:3], 0 offset:24
	buffer_load_dword v51, off, s[0:3], 0 offset:28
	v_cmp_gt_u32_e32 vcc, 3, v0
	v_add_u32_e32 v53, -1, v0
	s_waitcnt vmcnt(0)
	ds_write_b64 v52, v[50:51]
	s_waitcnt lgkmcnt(0)
	; wave barrier
	s_waitcnt lgkmcnt(0)
	s_and_saveexec_b64 s[4:5], vcc
	s_cbranch_execz .LBB87_21
; %bb.18:
	v_add_u32_e32 v54, -1, v0
	v_add_u32_e32 v55, 0xc0, v1
	v_add_u32_e32 v56, 0, v1
	s_mov_b64 s[6:7], 0
	v_pk_mov_b32 v[50:51], 0, 0
.LBB87_19:                              ; =>This Inner Loop Header: Depth=1
	buffer_load_dword v58, v56, s[0:3], 0 offen
	buffer_load_dword v59, v56, s[0:3], 0 offen offset:4
	ds_read_b64 v[60:61], v55
	v_add_u32_e32 v54, 1, v54
	v_cmp_lt_u32_e32 vcc, 1, v54
	v_add_u32_e32 v55, 8, v55
	v_add_u32_e32 v56, 8, v56
	s_or_b64 s[6:7], vcc, s[6:7]
	s_waitcnt vmcnt(0) lgkmcnt(0)
	v_fmac_f64_e32 v[50:51], v[58:59], v[60:61]
	s_andn2_b64 exec, exec, s[6:7]
	s_cbranch_execnz .LBB87_19
; %bb.20:
	s_or_b64 exec, exec, s[6:7]
	v_mov_b32_e32 v54, 0
	ds_read_b64 v[54:55], v54 offset:24
	s_waitcnt lgkmcnt(0)
	v_mul_f64 v[50:51], v[50:51], v[54:55]
	buffer_store_dword v51, off, s[0:3], 0 offset:28
	buffer_store_dword v50, off, s[0:3], 0 offset:24
.LBB87_21:
	s_or_b64 exec, exec, s[4:5]
	s_waitcnt lgkmcnt(0)
	; wave barrier
	buffer_load_dword v50, off, s[0:3], 0 offset:32
	buffer_load_dword v51, off, s[0:3], 0 offset:36
	v_cmp_gt_u32_e32 vcc, 4, v0
	s_waitcnt vmcnt(0)
	ds_write_b64 v52, v[50:51]
	s_waitcnt lgkmcnt(0)
	; wave barrier
	s_waitcnt lgkmcnt(0)
	s_and_saveexec_b64 s[4:5], vcc
	s_cbranch_execz .LBB87_25
; %bb.22:
	v_add_u32_e32 v54, -1, v0
	v_add_u32_e32 v55, 0xc0, v1
	v_add_u32_e32 v56, 0, v1
	s_mov_b64 s[6:7], 0
	v_pk_mov_b32 v[50:51], 0, 0
.LBB87_23:                              ; =>This Inner Loop Header: Depth=1
	buffer_load_dword v58, v56, s[0:3], 0 offen
	buffer_load_dword v59, v56, s[0:3], 0 offen offset:4
	ds_read_b64 v[60:61], v55
	v_add_u32_e32 v54, 1, v54
	v_cmp_lt_u32_e32 vcc, 2, v54
	v_add_u32_e32 v55, 8, v55
	v_add_u32_e32 v56, 8, v56
	s_or_b64 s[6:7], vcc, s[6:7]
	s_waitcnt vmcnt(0) lgkmcnt(0)
	v_fmac_f64_e32 v[50:51], v[58:59], v[60:61]
	s_andn2_b64 exec, exec, s[6:7]
	s_cbranch_execnz .LBB87_23
; %bb.24:
	s_or_b64 exec, exec, s[6:7]
	v_mov_b32_e32 v54, 0
	ds_read_b64 v[54:55], v54 offset:32
	s_waitcnt lgkmcnt(0)
	v_mul_f64 v[50:51], v[50:51], v[54:55]
	buffer_store_dword v51, off, s[0:3], 0 offset:36
	buffer_store_dword v50, off, s[0:3], 0 offset:32
.LBB87_25:
	s_or_b64 exec, exec, s[4:5]
	s_waitcnt lgkmcnt(0)
	; wave barrier
	buffer_load_dword v50, off, s[0:3], 0 offset:40
	buffer_load_dword v51, off, s[0:3], 0 offset:44
	v_cmp_gt_u32_e32 vcc, 5, v0
	;; [unrolled: 41-line block ×19, first 2 shown]
	s_waitcnt vmcnt(0)
	ds_write_b64 v52, v[50:51]
	s_waitcnt lgkmcnt(0)
	; wave barrier
	s_waitcnt lgkmcnt(0)
	s_and_saveexec_b64 s[4:5], vcc
	s_cbranch_execz .LBB87_97
; %bb.94:
	v_add_u32_e32 v54, -1, v0
	v_add_u32_e32 v55, 0xc0, v1
	v_add_u32_e32 v56, 0, v1
	s_mov_b64 s[6:7], 0
	v_pk_mov_b32 v[50:51], 0, 0
.LBB87_95:                              ; =>This Inner Loop Header: Depth=1
	buffer_load_dword v58, v56, s[0:3], 0 offen
	buffer_load_dword v59, v56, s[0:3], 0 offen offset:4
	ds_read_b64 v[60:61], v55
	v_add_u32_e32 v54, 1, v54
	v_cmp_lt_u32_e32 vcc, 20, v54
	v_add_u32_e32 v55, 8, v55
	v_add_u32_e32 v56, 8, v56
	s_or_b64 s[6:7], vcc, s[6:7]
	s_waitcnt vmcnt(0) lgkmcnt(0)
	v_fmac_f64_e32 v[50:51], v[58:59], v[60:61]
	s_andn2_b64 exec, exec, s[6:7]
	s_cbranch_execnz .LBB87_95
; %bb.96:
	s_or_b64 exec, exec, s[6:7]
	v_mov_b32_e32 v54, 0
	ds_read_b64 v[54:55], v54 offset:176
	s_waitcnt lgkmcnt(0)
	v_mul_f64 v[50:51], v[50:51], v[54:55]
	buffer_store_dword v51, off, s[0:3], 0 offset:180
	buffer_store_dword v50, off, s[0:3], 0 offset:176
.LBB87_97:
	s_or_b64 exec, exec, s[4:5]
	s_waitcnt lgkmcnt(0)
	; wave barrier
	buffer_load_dword v50, off, s[0:3], 0 offset:184
	buffer_load_dword v51, off, s[0:3], 0 offset:188
	v_cmp_ne_u32_e32 vcc, 23, v0
	s_waitcnt vmcnt(0)
	ds_write_b64 v52, v[50:51]
	s_waitcnt lgkmcnt(0)
	; wave barrier
	s_waitcnt lgkmcnt(0)
	s_and_saveexec_b64 s[4:5], vcc
	s_cbranch_execz .LBB87_101
; %bb.98:
	v_add_u32_e32 v52, 0xc0, v1
	v_add_u32_e32 v1, 0, v1
	s_mov_b64 s[6:7], 0
	v_pk_mov_b32 v[50:51], 0, 0
.LBB87_99:                              ; =>This Inner Loop Header: Depth=1
	buffer_load_dword v54, v1, s[0:3], 0 offen
	buffer_load_dword v55, v1, s[0:3], 0 offen offset:4
	ds_read_b64 v[56:57], v52
	v_add_u32_e32 v53, 1, v53
	v_cmp_lt_u32_e32 vcc, 21, v53
	v_add_u32_e32 v52, 8, v52
	v_add_u32_e32 v1, 8, v1
	s_or_b64 s[6:7], vcc, s[6:7]
	s_waitcnt vmcnt(0) lgkmcnt(0)
	v_fmac_f64_e32 v[50:51], v[54:55], v[56:57]
	s_andn2_b64 exec, exec, s[6:7]
	s_cbranch_execnz .LBB87_99
; %bb.100:
	s_or_b64 exec, exec, s[6:7]
	v_mov_b32_e32 v1, 0
	ds_read_b64 v[52:53], v1 offset:184
	s_waitcnt lgkmcnt(0)
	v_mul_f64 v[50:51], v[50:51], v[52:53]
	buffer_store_dword v51, off, s[0:3], 0 offset:188
	buffer_store_dword v50, off, s[0:3], 0 offset:184
.LBB87_101:
	s_or_b64 exec, exec, s[4:5]
	s_mov_b64 s[6:7], -1
	s_waitcnt lgkmcnt(0)
	; wave barrier
.LBB87_102:
	s_and_b64 vcc, exec, s[6:7]
	s_cbranch_vccz .LBB87_104
; %bb.103:
	s_lshl_b64 s[4:5], s[8:9], 2
	s_add_u32 s4, s14, s4
	s_addc_u32 s5, s15, s5
	v_mov_b32_e32 v1, 0
	global_load_dword v1, v1, s[4:5]
	s_waitcnt vmcnt(0)
	v_cmp_ne_u32_e32 vcc, 0, v1
	s_cbranch_vccz .LBB87_105
.LBB87_104:
	s_endpgm
.LBB87_105:
	v_mov_b32_e32 v1, 0xc0
	v_lshl_add_u32 v1, v0, 3, v1
	v_cmp_eq_u32_e32 vcc, 23, v0
	s_and_saveexec_b64 s[4:5], vcc
	s_cbranch_execz .LBB87_107
; %bb.106:
	buffer_load_dword v50, off, s[0:3], 0 offset:176
	buffer_load_dword v51, off, s[0:3], 0 offset:180
	v_mov_b32_e32 v52, 0
	buffer_store_dword v52, off, s[0:3], 0 offset:176
	buffer_store_dword v52, off, s[0:3], 0 offset:180
	s_waitcnt vmcnt(2)
	ds_write_b64 v1, v[50:51]
.LBB87_107:
	s_or_b64 exec, exec, s[4:5]
	s_waitcnt lgkmcnt(0)
	; wave barrier
	s_waitcnt lgkmcnt(0)
	buffer_load_dword v52, off, s[0:3], 0 offset:184
	buffer_load_dword v53, off, s[0:3], 0 offset:188
	;; [unrolled: 1-line block ×4, first 2 shown]
	v_mov_b32_e32 v50, 0
	ds_read_b64 v[56:57], v50 offset:376
	v_cmp_lt_u32_e32 vcc, 21, v0
	s_waitcnt vmcnt(2) lgkmcnt(0)
	v_fma_f64 v[52:53], v[52:53], v[56:57], 0
	s_waitcnt vmcnt(0)
	v_add_f64 v[52:53], v[54:55], -v[52:53]
	buffer_store_dword v52, off, s[0:3], 0 offset:176
	buffer_store_dword v53, off, s[0:3], 0 offset:180
	s_and_saveexec_b64 s[4:5], vcc
	s_cbranch_execz .LBB87_109
; %bb.108:
	buffer_load_dword v52, off, s[0:3], 0 offset:168
	buffer_load_dword v53, off, s[0:3], 0 offset:172
	s_waitcnt vmcnt(0)
	ds_write_b64 v1, v[52:53]
	buffer_store_dword v50, off, s[0:3], 0 offset:168
	buffer_store_dword v50, off, s[0:3], 0 offset:172
.LBB87_109:
	s_or_b64 exec, exec, s[4:5]
	s_waitcnt lgkmcnt(0)
	; wave barrier
	s_waitcnt lgkmcnt(0)
	buffer_load_dword v54, off, s[0:3], 0 offset:176
	buffer_load_dword v55, off, s[0:3], 0 offset:180
	;; [unrolled: 1-line block ×6, first 2 shown]
	ds_read_b128 v[50:53], v50 offset:368
	v_cmp_lt_u32_e32 vcc, 20, v0
	s_waitcnt vmcnt(4) lgkmcnt(0)
	v_fma_f64 v[50:51], v[54:55], v[50:51], 0
	s_waitcnt vmcnt(2)
	v_fmac_f64_e32 v[50:51], v[56:57], v[52:53]
	s_waitcnt vmcnt(0)
	v_add_f64 v[50:51], v[58:59], -v[50:51]
	buffer_store_dword v50, off, s[0:3], 0 offset:168
	buffer_store_dword v51, off, s[0:3], 0 offset:172
	s_and_saveexec_b64 s[4:5], vcc
	s_cbranch_execz .LBB87_111
; %bb.110:
	buffer_load_dword v50, off, s[0:3], 0 offset:160
	buffer_load_dword v51, off, s[0:3], 0 offset:164
	v_mov_b32_e32 v52, 0
	buffer_store_dword v52, off, s[0:3], 0 offset:160
	buffer_store_dword v52, off, s[0:3], 0 offset:164
	s_waitcnt vmcnt(2)
	ds_write_b64 v1, v[50:51]
.LBB87_111:
	s_or_b64 exec, exec, s[4:5]
	s_waitcnt lgkmcnt(0)
	; wave barrier
	s_waitcnt lgkmcnt(0)
	buffer_load_dword v56, off, s[0:3], 0 offset:168
	buffer_load_dword v57, off, s[0:3], 0 offset:172
	;; [unrolled: 1-line block ×8, first 2 shown]
	v_mov_b32_e32 v50, 0
	ds_read2_b64 v[52:55], v50 offset0:45 offset1:46
	ds_read_b64 v[64:65], v50 offset:376
	v_cmp_lt_u32_e32 vcc, 19, v0
	s_waitcnt vmcnt(6) lgkmcnt(1)
	v_fma_f64 v[52:53], v[56:57], v[52:53], 0
	s_waitcnt vmcnt(4)
	v_fmac_f64_e32 v[52:53], v[58:59], v[54:55]
	s_waitcnt vmcnt(2) lgkmcnt(0)
	v_fmac_f64_e32 v[52:53], v[60:61], v[64:65]
	s_waitcnt vmcnt(0)
	v_add_f64 v[52:53], v[62:63], -v[52:53]
	buffer_store_dword v52, off, s[0:3], 0 offset:160
	buffer_store_dword v53, off, s[0:3], 0 offset:164
	s_and_saveexec_b64 s[4:5], vcc
	s_cbranch_execz .LBB87_113
; %bb.112:
	buffer_load_dword v52, off, s[0:3], 0 offset:152
	buffer_load_dword v53, off, s[0:3], 0 offset:156
	s_waitcnt vmcnt(0)
	ds_write_b64 v1, v[52:53]
	buffer_store_dword v50, off, s[0:3], 0 offset:152
	buffer_store_dword v50, off, s[0:3], 0 offset:156
.LBB87_113:
	s_or_b64 exec, exec, s[4:5]
	s_waitcnt lgkmcnt(0)
	; wave barrier
	s_waitcnt lgkmcnt(0)
	buffer_load_dword v60, off, s[0:3], 0 offset:160
	buffer_load_dword v61, off, s[0:3], 0 offset:164
	;; [unrolled: 1-line block ×10, first 2 shown]
	ds_read_b128 v[52:55], v50 offset:352
	ds_read_b128 v[56:59], v50 offset:368
	v_cmp_lt_u32_e32 vcc, 18, v0
	s_waitcnt vmcnt(8) lgkmcnt(1)
	v_fma_f64 v[50:51], v[60:61], v[52:53], 0
	s_waitcnt vmcnt(6)
	v_fmac_f64_e32 v[50:51], v[62:63], v[54:55]
	s_waitcnt vmcnt(4) lgkmcnt(0)
	v_fmac_f64_e32 v[50:51], v[64:65], v[56:57]
	s_waitcnt vmcnt(2)
	v_fmac_f64_e32 v[50:51], v[66:67], v[58:59]
	s_waitcnt vmcnt(0)
	v_add_f64 v[50:51], v[68:69], -v[50:51]
	buffer_store_dword v50, off, s[0:3], 0 offset:152
	buffer_store_dword v51, off, s[0:3], 0 offset:156
	s_and_saveexec_b64 s[4:5], vcc
	s_cbranch_execz .LBB87_115
; %bb.114:
	buffer_load_dword v50, off, s[0:3], 0 offset:144
	buffer_load_dword v51, off, s[0:3], 0 offset:148
	v_mov_b32_e32 v52, 0
	buffer_store_dword v52, off, s[0:3], 0 offset:144
	buffer_store_dword v52, off, s[0:3], 0 offset:148
	s_waitcnt vmcnt(2)
	ds_write_b64 v1, v[50:51]
.LBB87_115:
	s_or_b64 exec, exec, s[4:5]
	s_waitcnt lgkmcnt(0)
	; wave barrier
	s_waitcnt lgkmcnt(0)
	buffer_load_dword v60, off, s[0:3], 0 offset:152
	buffer_load_dword v61, off, s[0:3], 0 offset:156
	;; [unrolled: 1-line block ×12, first 2 shown]
	v_mov_b32_e32 v50, 0
	ds_read2_b64 v[52:55], v50 offset0:43 offset1:44
	ds_read2_b64 v[56:59], v50 offset0:45 offset1:46
	ds_read_b64 v[72:73], v50 offset:376
	v_cmp_lt_u32_e32 vcc, 17, v0
	s_waitcnt vmcnt(10) lgkmcnt(2)
	v_fma_f64 v[52:53], v[60:61], v[52:53], 0
	s_waitcnt vmcnt(8)
	v_fmac_f64_e32 v[52:53], v[62:63], v[54:55]
	s_waitcnt vmcnt(6) lgkmcnt(1)
	v_fmac_f64_e32 v[52:53], v[64:65], v[56:57]
	s_waitcnt vmcnt(4)
	v_fmac_f64_e32 v[52:53], v[66:67], v[58:59]
	s_waitcnt vmcnt(2) lgkmcnt(0)
	v_fmac_f64_e32 v[52:53], v[68:69], v[72:73]
	s_waitcnt vmcnt(0)
	v_add_f64 v[52:53], v[70:71], -v[52:53]
	buffer_store_dword v52, off, s[0:3], 0 offset:144
	buffer_store_dword v53, off, s[0:3], 0 offset:148
	s_and_saveexec_b64 s[4:5], vcc
	s_cbranch_execz .LBB87_117
; %bb.116:
	buffer_load_dword v52, off, s[0:3], 0 offset:136
	buffer_load_dword v53, off, s[0:3], 0 offset:140
	s_waitcnt vmcnt(0)
	ds_write_b64 v1, v[52:53]
	buffer_store_dword v50, off, s[0:3], 0 offset:136
	buffer_store_dword v50, off, s[0:3], 0 offset:140
.LBB87_117:
	s_or_b64 exec, exec, s[4:5]
	s_waitcnt lgkmcnt(0)
	; wave barrier
	s_waitcnt lgkmcnt(0)
	buffer_load_dword v64, off, s[0:3], 0 offset:144
	buffer_load_dword v65, off, s[0:3], 0 offset:148
	buffer_load_dword v66, off, s[0:3], 0 offset:152
	buffer_load_dword v67, off, s[0:3], 0 offset:156
	buffer_load_dword v68, off, s[0:3], 0 offset:160
	buffer_load_dword v69, off, s[0:3], 0 offset:164
	buffer_load_dword v70, off, s[0:3], 0 offset:168
	buffer_load_dword v71, off, s[0:3], 0 offset:172
	buffer_load_dword v72, off, s[0:3], 0 offset:176
	buffer_load_dword v73, off, s[0:3], 0 offset:180
	buffer_load_dword v74, off, s[0:3], 0 offset:184
	buffer_load_dword v75, off, s[0:3], 0 offset:188
	buffer_load_dword v76, off, s[0:3], 0 offset:136
	buffer_load_dword v77, off, s[0:3], 0 offset:140
	ds_read_b128 v[52:55], v50 offset:336
	ds_read_b128 v[56:59], v50 offset:352
	;; [unrolled: 1-line block ×3, first 2 shown]
	v_cmp_lt_u32_e32 vcc, 16, v0
	s_waitcnt vmcnt(12) lgkmcnt(2)
	v_fma_f64 v[50:51], v[64:65], v[52:53], 0
	s_waitcnt vmcnt(10)
	v_fmac_f64_e32 v[50:51], v[66:67], v[54:55]
	s_waitcnt vmcnt(8) lgkmcnt(1)
	v_fmac_f64_e32 v[50:51], v[68:69], v[56:57]
	s_waitcnt vmcnt(6)
	v_fmac_f64_e32 v[50:51], v[70:71], v[58:59]
	s_waitcnt vmcnt(4) lgkmcnt(0)
	v_fmac_f64_e32 v[50:51], v[72:73], v[60:61]
	s_waitcnt vmcnt(2)
	v_fmac_f64_e32 v[50:51], v[74:75], v[62:63]
	s_waitcnt vmcnt(0)
	v_add_f64 v[50:51], v[76:77], -v[50:51]
	buffer_store_dword v50, off, s[0:3], 0 offset:136
	buffer_store_dword v51, off, s[0:3], 0 offset:140
	s_and_saveexec_b64 s[4:5], vcc
	s_cbranch_execz .LBB87_119
; %bb.118:
	buffer_load_dword v50, off, s[0:3], 0 offset:128
	buffer_load_dword v51, off, s[0:3], 0 offset:132
	v_mov_b32_e32 v52, 0
	buffer_store_dword v52, off, s[0:3], 0 offset:128
	buffer_store_dword v52, off, s[0:3], 0 offset:132
	s_waitcnt vmcnt(2)
	ds_write_b64 v1, v[50:51]
.LBB87_119:
	s_or_b64 exec, exec, s[4:5]
	s_waitcnt lgkmcnt(0)
	; wave barrier
	s_waitcnt lgkmcnt(0)
	buffer_load_dword v64, off, s[0:3], 0 offset:136
	buffer_load_dword v65, off, s[0:3], 0 offset:140
	;; [unrolled: 1-line block ×16, first 2 shown]
	v_mov_b32_e32 v50, 0
	ds_read2_b64 v[52:55], v50 offset0:41 offset1:42
	ds_read2_b64 v[56:59], v50 offset0:43 offset1:44
	;; [unrolled: 1-line block ×3, first 2 shown]
	ds_read_b64 v[80:81], v50 offset:376
	v_cmp_lt_u32_e32 vcc, 15, v0
	s_waitcnt vmcnt(14) lgkmcnt(3)
	v_fma_f64 v[52:53], v[64:65], v[52:53], 0
	s_waitcnt vmcnt(12)
	v_fmac_f64_e32 v[52:53], v[66:67], v[54:55]
	s_waitcnt vmcnt(10) lgkmcnt(2)
	v_fmac_f64_e32 v[52:53], v[68:69], v[56:57]
	s_waitcnt vmcnt(8)
	v_fmac_f64_e32 v[52:53], v[70:71], v[58:59]
	s_waitcnt vmcnt(6) lgkmcnt(1)
	v_fmac_f64_e32 v[52:53], v[72:73], v[60:61]
	;; [unrolled: 4-line block ×3, first 2 shown]
	s_waitcnt vmcnt(0)
	v_add_f64 v[52:53], v[78:79], -v[52:53]
	buffer_store_dword v52, off, s[0:3], 0 offset:128
	buffer_store_dword v53, off, s[0:3], 0 offset:132
	s_and_saveexec_b64 s[4:5], vcc
	s_cbranch_execz .LBB87_121
; %bb.120:
	buffer_load_dword v52, off, s[0:3], 0 offset:120
	buffer_load_dword v53, off, s[0:3], 0 offset:124
	s_waitcnt vmcnt(0)
	ds_write_b64 v1, v[52:53]
	buffer_store_dword v50, off, s[0:3], 0 offset:120
	buffer_store_dword v50, off, s[0:3], 0 offset:124
.LBB87_121:
	s_or_b64 exec, exec, s[4:5]
	s_waitcnt lgkmcnt(0)
	; wave barrier
	s_waitcnt lgkmcnt(0)
	buffer_load_dword v68, off, s[0:3], 0 offset:128
	buffer_load_dword v69, off, s[0:3], 0 offset:132
	;; [unrolled: 1-line block ×18, first 2 shown]
	ds_read_b128 v[52:55], v50 offset:320
	ds_read_b128 v[56:59], v50 offset:336
	;; [unrolled: 1-line block ×4, first 2 shown]
	v_cmp_lt_u32_e32 vcc, 14, v0
	s_waitcnt vmcnt(16) lgkmcnt(3)
	v_fma_f64 v[50:51], v[68:69], v[52:53], 0
	s_waitcnt vmcnt(14)
	v_fmac_f64_e32 v[50:51], v[70:71], v[54:55]
	s_waitcnt vmcnt(12) lgkmcnt(2)
	v_fmac_f64_e32 v[50:51], v[72:73], v[56:57]
	s_waitcnt vmcnt(10)
	v_fmac_f64_e32 v[50:51], v[74:75], v[58:59]
	s_waitcnt vmcnt(8) lgkmcnt(1)
	v_fmac_f64_e32 v[50:51], v[76:77], v[60:61]
	;; [unrolled: 4-line block ×3, first 2 shown]
	s_waitcnt vmcnt(2)
	v_fmac_f64_e32 v[50:51], v[82:83], v[66:67]
	s_waitcnt vmcnt(0)
	v_add_f64 v[50:51], v[84:85], -v[50:51]
	buffer_store_dword v50, off, s[0:3], 0 offset:120
	buffer_store_dword v51, off, s[0:3], 0 offset:124
	s_and_saveexec_b64 s[4:5], vcc
	s_cbranch_execz .LBB87_123
; %bb.122:
	buffer_load_dword v50, off, s[0:3], 0 offset:112
	buffer_load_dword v51, off, s[0:3], 0 offset:116
	v_mov_b32_e32 v52, 0
	buffer_store_dword v52, off, s[0:3], 0 offset:112
	buffer_store_dword v52, off, s[0:3], 0 offset:116
	s_waitcnt vmcnt(2)
	ds_write_b64 v1, v[50:51]
.LBB87_123:
	s_or_b64 exec, exec, s[4:5]
	s_waitcnt lgkmcnt(0)
	; wave barrier
	s_waitcnt lgkmcnt(0)
	buffer_load_dword v68, off, s[0:3], 0 offset:120
	buffer_load_dword v69, off, s[0:3], 0 offset:124
	;; [unrolled: 1-line block ×20, first 2 shown]
	v_mov_b32_e32 v50, 0
	ds_read2_b64 v[52:55], v50 offset0:39 offset1:40
	ds_read2_b64 v[56:59], v50 offset0:41 offset1:42
	;; [unrolled: 1-line block ×4, first 2 shown]
	ds_read_b64 v[88:89], v50 offset:376
	v_cmp_lt_u32_e32 vcc, 13, v0
	s_waitcnt vmcnt(18) lgkmcnt(4)
	v_fma_f64 v[52:53], v[68:69], v[52:53], 0
	s_waitcnt vmcnt(16)
	v_fmac_f64_e32 v[52:53], v[70:71], v[54:55]
	s_waitcnt vmcnt(14) lgkmcnt(3)
	v_fmac_f64_e32 v[52:53], v[72:73], v[56:57]
	s_waitcnt vmcnt(12)
	v_fmac_f64_e32 v[52:53], v[74:75], v[58:59]
	s_waitcnt vmcnt(10) lgkmcnt(2)
	v_fmac_f64_e32 v[52:53], v[76:77], v[60:61]
	;; [unrolled: 4-line block ×3, first 2 shown]
	s_waitcnt vmcnt(2)
	v_fmac_f64_e32 v[52:53], v[84:85], v[66:67]
	s_waitcnt lgkmcnt(0)
	v_fmac_f64_e32 v[52:53], v[82:83], v[88:89]
	s_waitcnt vmcnt(0)
	v_add_f64 v[52:53], v[86:87], -v[52:53]
	buffer_store_dword v52, off, s[0:3], 0 offset:112
	buffer_store_dword v53, off, s[0:3], 0 offset:116
	s_and_saveexec_b64 s[4:5], vcc
	s_cbranch_execz .LBB87_125
; %bb.124:
	buffer_load_dword v52, off, s[0:3], 0 offset:104
	buffer_load_dword v53, off, s[0:3], 0 offset:108
	s_waitcnt vmcnt(0)
	ds_write_b64 v1, v[52:53]
	buffer_store_dword v50, off, s[0:3], 0 offset:104
	buffer_store_dword v50, off, s[0:3], 0 offset:108
.LBB87_125:
	s_or_b64 exec, exec, s[4:5]
	s_waitcnt lgkmcnt(0)
	; wave barrier
	s_waitcnt lgkmcnt(0)
	buffer_load_dword v72, off, s[0:3], 0 offset:112
	buffer_load_dword v73, off, s[0:3], 0 offset:116
	;; [unrolled: 1-line block ×22, first 2 shown]
	ds_read_b128 v[52:55], v50 offset:304
	ds_read_b128 v[56:59], v50 offset:320
	;; [unrolled: 1-line block ×5, first 2 shown]
	v_cmp_lt_u32_e32 vcc, 12, v0
	s_waitcnt vmcnt(20) lgkmcnt(4)
	v_fma_f64 v[50:51], v[72:73], v[52:53], 0
	s_waitcnt vmcnt(18)
	v_fmac_f64_e32 v[50:51], v[74:75], v[54:55]
	s_waitcnt vmcnt(16) lgkmcnt(3)
	v_fmac_f64_e32 v[50:51], v[76:77], v[56:57]
	s_waitcnt vmcnt(14)
	v_fmac_f64_e32 v[50:51], v[78:79], v[58:59]
	s_waitcnt vmcnt(12) lgkmcnt(2)
	v_fmac_f64_e32 v[50:51], v[80:81], v[60:61]
	;; [unrolled: 4-line block ×3, first 2 shown]
	s_waitcnt vmcnt(3)
	v_fmac_f64_e32 v[50:51], v[90:91], v[66:67]
	s_waitcnt lgkmcnt(0)
	v_fmac_f64_e32 v[50:51], v[88:89], v[68:69]
	s_waitcnt vmcnt(2)
	v_fmac_f64_e32 v[50:51], v[86:87], v[70:71]
	s_waitcnt vmcnt(0)
	v_add_f64 v[50:51], v[92:93], -v[50:51]
	buffer_store_dword v50, off, s[0:3], 0 offset:104
	buffer_store_dword v51, off, s[0:3], 0 offset:108
	s_and_saveexec_b64 s[4:5], vcc
	s_cbranch_execz .LBB87_127
; %bb.126:
	buffer_load_dword v50, off, s[0:3], 0 offset:96
	buffer_load_dword v51, off, s[0:3], 0 offset:100
	v_mov_b32_e32 v52, 0
	buffer_store_dword v52, off, s[0:3], 0 offset:96
	buffer_store_dword v52, off, s[0:3], 0 offset:100
	s_waitcnt vmcnt(2)
	ds_write_b64 v1, v[50:51]
.LBB87_127:
	s_or_b64 exec, exec, s[4:5]
	s_waitcnt lgkmcnt(0)
	; wave barrier
	s_waitcnt lgkmcnt(0)
	buffer_load_dword v72, off, s[0:3], 0 offset:104
	buffer_load_dword v73, off, s[0:3], 0 offset:108
	;; [unrolled: 1-line block ×24, first 2 shown]
	v_mov_b32_e32 v50, 0
	ds_read2_b64 v[52:55], v50 offset0:37 offset1:38
	ds_read2_b64 v[56:59], v50 offset0:39 offset1:40
	ds_read2_b64 v[60:63], v50 offset0:41 offset1:42
	ds_read2_b64 v[64:67], v50 offset0:43 offset1:44
	ds_read2_b64 v[68:71], v50 offset0:45 offset1:46
	ds_read_b64 v[96:97], v50 offset:376
	v_cmp_lt_u32_e32 vcc, 11, v0
	s_waitcnt vmcnt(22) lgkmcnt(5)
	v_fma_f64 v[52:53], v[72:73], v[52:53], 0
	s_waitcnt vmcnt(20)
	v_fmac_f64_e32 v[52:53], v[74:75], v[54:55]
	s_waitcnt vmcnt(18) lgkmcnt(4)
	v_fmac_f64_e32 v[52:53], v[76:77], v[56:57]
	s_waitcnt vmcnt(16)
	v_fmac_f64_e32 v[52:53], v[78:79], v[58:59]
	s_waitcnt vmcnt(14) lgkmcnt(3)
	v_fmac_f64_e32 v[52:53], v[80:81], v[60:61]
	;; [unrolled: 4-line block ×3, first 2 shown]
	s_waitcnt vmcnt(4)
	v_fmac_f64_e32 v[52:53], v[92:93], v[66:67]
	s_waitcnt lgkmcnt(1)
	v_fmac_f64_e32 v[52:53], v[90:91], v[68:69]
	s_waitcnt vmcnt(3)
	v_fmac_f64_e32 v[52:53], v[88:89], v[70:71]
	s_waitcnt vmcnt(2) lgkmcnt(0)
	v_fmac_f64_e32 v[52:53], v[86:87], v[96:97]
	s_waitcnt vmcnt(0)
	v_add_f64 v[52:53], v[94:95], -v[52:53]
	buffer_store_dword v53, off, s[0:3], 0 offset:100
	buffer_store_dword v52, off, s[0:3], 0 offset:96
	s_and_saveexec_b64 s[4:5], vcc
	s_cbranch_execz .LBB87_129
; %bb.128:
	buffer_load_dword v52, off, s[0:3], 0 offset:88
	buffer_load_dword v53, off, s[0:3], 0 offset:92
	s_waitcnt vmcnt(0)
	ds_write_b64 v1, v[52:53]
	buffer_store_dword v50, off, s[0:3], 0 offset:88
	buffer_store_dword v50, off, s[0:3], 0 offset:92
.LBB87_129:
	s_or_b64 exec, exec, s[4:5]
	s_waitcnt lgkmcnt(0)
	; wave barrier
	s_waitcnt lgkmcnt(0)
	buffer_load_dword v76, off, s[0:3], 0 offset:96
	buffer_load_dword v77, off, s[0:3], 0 offset:100
	buffer_load_dword v78, off, s[0:3], 0 offset:104
	buffer_load_dword v79, off, s[0:3], 0 offset:108
	buffer_load_dword v80, off, s[0:3], 0 offset:112
	buffer_load_dword v81, off, s[0:3], 0 offset:116
	buffer_load_dword v82, off, s[0:3], 0 offset:120
	buffer_load_dword v83, off, s[0:3], 0 offset:124
	buffer_load_dword v84, off, s[0:3], 0 offset:128
	buffer_load_dword v85, off, s[0:3], 0 offset:132
	buffer_load_dword v86, off, s[0:3], 0 offset:136
	buffer_load_dword v87, off, s[0:3], 0 offset:140
	buffer_load_dword v88, off, s[0:3], 0 offset:144
	buffer_load_dword v89, off, s[0:3], 0 offset:148
	buffer_load_dword v90, off, s[0:3], 0 offset:176
	buffer_load_dword v93, off, s[0:3], 0 offset:172
	buffer_load_dword v92, off, s[0:3], 0 offset:168
	buffer_load_dword v95, off, s[0:3], 0 offset:164
	buffer_load_dword v94, off, s[0:3], 0 offset:160
	buffer_load_dword v97, off, s[0:3], 0 offset:156
	buffer_load_dword v96, off, s[0:3], 0 offset:152
	buffer_load_dword v91, off, s[0:3], 0 offset:180
	buffer_load_dword v99, off, s[0:3], 0 offset:188
	buffer_load_dword v98, off, s[0:3], 0 offset:184
	buffer_load_dword v100, off, s[0:3], 0 offset:88
	buffer_load_dword v101, off, s[0:3], 0 offset:92
	ds_read_b128 v[52:55], v50 offset:288
	ds_read_b128 v[56:59], v50 offset:304
	;; [unrolled: 1-line block ×6, first 2 shown]
	v_cmp_lt_u32_e32 vcc, 10, v0
	s_waitcnt vmcnt(24) lgkmcnt(5)
	v_fma_f64 v[50:51], v[76:77], v[52:53], 0
	s_waitcnt vmcnt(22)
	v_fmac_f64_e32 v[50:51], v[78:79], v[54:55]
	s_waitcnt vmcnt(20) lgkmcnt(4)
	v_fmac_f64_e32 v[50:51], v[80:81], v[56:57]
	s_waitcnt vmcnt(18)
	v_fmac_f64_e32 v[50:51], v[82:83], v[58:59]
	s_waitcnt vmcnt(16) lgkmcnt(3)
	v_fmac_f64_e32 v[50:51], v[84:85], v[60:61]
	;; [unrolled: 4-line block ×3, first 2 shown]
	s_waitcnt vmcnt(5)
	v_fmac_f64_e32 v[50:51], v[96:97], v[66:67]
	s_waitcnt lgkmcnt(1)
	v_fmac_f64_e32 v[50:51], v[94:95], v[68:69]
	v_fmac_f64_e32 v[50:51], v[92:93], v[70:71]
	s_waitcnt vmcnt(4) lgkmcnt(0)
	v_fmac_f64_e32 v[50:51], v[90:91], v[72:73]
	s_waitcnt vmcnt(2)
	v_fmac_f64_e32 v[50:51], v[98:99], v[74:75]
	s_waitcnt vmcnt(0)
	v_add_f64 v[50:51], v[100:101], -v[50:51]
	buffer_store_dword v51, off, s[0:3], 0 offset:92
	buffer_store_dword v50, off, s[0:3], 0 offset:88
	s_and_saveexec_b64 s[4:5], vcc
	s_cbranch_execz .LBB87_131
; %bb.130:
	buffer_load_dword v50, off, s[0:3], 0 offset:80
	buffer_load_dword v51, off, s[0:3], 0 offset:84
	v_mov_b32_e32 v52, 0
	buffer_store_dword v52, off, s[0:3], 0 offset:80
	buffer_store_dword v52, off, s[0:3], 0 offset:84
	s_waitcnt vmcnt(2)
	ds_write_b64 v1, v[50:51]
.LBB87_131:
	s_or_b64 exec, exec, s[4:5]
	s_waitcnt lgkmcnt(0)
	; wave barrier
	s_waitcnt lgkmcnt(0)
	buffer_load_dword v76, off, s[0:3], 0 offset:88
	buffer_load_dword v77, off, s[0:3], 0 offset:92
	;; [unrolled: 1-line block ×28, first 2 shown]
	v_mov_b32_e32 v50, 0
	ds_read2_b64 v[52:55], v50 offset0:35 offset1:36
	ds_read2_b64 v[56:59], v50 offset0:37 offset1:38
	;; [unrolled: 1-line block ×6, first 2 shown]
	ds_read_b64 v[104:105], v50 offset:376
	v_cmp_lt_u32_e32 vcc, 9, v0
	s_waitcnt vmcnt(26) lgkmcnt(6)
	v_fma_f64 v[52:53], v[76:77], v[52:53], 0
	s_waitcnt vmcnt(24)
	v_fmac_f64_e32 v[52:53], v[78:79], v[54:55]
	s_waitcnt vmcnt(22) lgkmcnt(5)
	v_fmac_f64_e32 v[52:53], v[80:81], v[56:57]
	s_waitcnt vmcnt(20)
	v_fmac_f64_e32 v[52:53], v[82:83], v[58:59]
	s_waitcnt vmcnt(18) lgkmcnt(4)
	v_fmac_f64_e32 v[52:53], v[84:85], v[60:61]
	;; [unrolled: 4-line block ×3, first 2 shown]
	s_waitcnt vmcnt(6)
	v_fmac_f64_e32 v[52:53], v[96:97], v[66:67]
	s_waitcnt lgkmcnt(2)
	v_fmac_f64_e32 v[52:53], v[94:95], v[68:69]
	v_fmac_f64_e32 v[52:53], v[92:93], v[70:71]
	s_waitcnt lgkmcnt(1)
	v_fmac_f64_e32 v[52:53], v[90:91], v[72:73]
	s_waitcnt vmcnt(2)
	v_fmac_f64_e32 v[52:53], v[100:101], v[74:75]
	s_waitcnt lgkmcnt(0)
	v_fmac_f64_e32 v[52:53], v[98:99], v[104:105]
	s_waitcnt vmcnt(0)
	v_add_f64 v[52:53], v[102:103], -v[52:53]
	buffer_store_dword v53, off, s[0:3], 0 offset:84
	buffer_store_dword v52, off, s[0:3], 0 offset:80
	s_and_saveexec_b64 s[4:5], vcc
	s_cbranch_execz .LBB87_133
; %bb.132:
	buffer_load_dword v52, off, s[0:3], 0 offset:72
	buffer_load_dword v53, off, s[0:3], 0 offset:76
	s_waitcnt vmcnt(0)
	ds_write_b64 v1, v[52:53]
	buffer_store_dword v50, off, s[0:3], 0 offset:72
	buffer_store_dword v50, off, s[0:3], 0 offset:76
.LBB87_133:
	s_or_b64 exec, exec, s[4:5]
	s_waitcnt lgkmcnt(0)
	; wave barrier
	s_waitcnt lgkmcnt(0)
	buffer_load_dword v80, off, s[0:3], 0 offset:80
	buffer_load_dword v81, off, s[0:3], 0 offset:84
	;; [unrolled: 1-line block ×30, first 2 shown]
	ds_read_b128 v[52:55], v50 offset:272
	ds_read_b128 v[56:59], v50 offset:288
	;; [unrolled: 1-line block ×7, first 2 shown]
	v_cmp_lt_u32_e32 vcc, 8, v0
	s_waitcnt vmcnt(28) lgkmcnt(6)
	v_fma_f64 v[50:51], v[80:81], v[52:53], 0
	s_waitcnt vmcnt(26)
	v_fmac_f64_e32 v[50:51], v[82:83], v[54:55]
	s_waitcnt vmcnt(24) lgkmcnt(5)
	v_fmac_f64_e32 v[50:51], v[84:85], v[56:57]
	s_waitcnt vmcnt(22)
	v_fmac_f64_e32 v[50:51], v[86:87], v[58:59]
	s_waitcnt vmcnt(20) lgkmcnt(4)
	v_fmac_f64_e32 v[50:51], v[88:89], v[60:61]
	;; [unrolled: 4-line block ×3, first 2 shown]
	s_waitcnt vmcnt(8)
	v_fmac_f64_e32 v[50:51], v[100:101], v[66:67]
	s_waitcnt lgkmcnt(2)
	v_fmac_f64_e32 v[50:51], v[98:99], v[68:69]
	v_fmac_f64_e32 v[50:51], v[96:97], v[70:71]
	s_waitcnt lgkmcnt(1)
	v_fmac_f64_e32 v[50:51], v[94:95], v[72:73]
	s_waitcnt vmcnt(3)
	v_fmac_f64_e32 v[50:51], v[106:107], v[74:75]
	s_waitcnt lgkmcnt(0)
	v_fmac_f64_e32 v[50:51], v[104:105], v[76:77]
	s_waitcnt vmcnt(2)
	v_fmac_f64_e32 v[50:51], v[102:103], v[78:79]
	s_waitcnt vmcnt(0)
	v_add_f64 v[50:51], v[108:109], -v[50:51]
	buffer_store_dword v51, off, s[0:3], 0 offset:76
	buffer_store_dword v50, off, s[0:3], 0 offset:72
	s_and_saveexec_b64 s[4:5], vcc
	s_cbranch_execz .LBB87_135
; %bb.134:
	buffer_load_dword v50, off, s[0:3], 0 offset:64
	buffer_load_dword v51, off, s[0:3], 0 offset:68
	v_mov_b32_e32 v52, 0
	buffer_store_dword v52, off, s[0:3], 0 offset:64
	buffer_store_dword v52, off, s[0:3], 0 offset:68
	s_waitcnt vmcnt(2)
	ds_write_b64 v1, v[50:51]
.LBB87_135:
	s_or_b64 exec, exec, s[4:5]
	s_waitcnt lgkmcnt(0)
	; wave barrier
	s_waitcnt lgkmcnt(0)
	buffer_load_dword v80, off, s[0:3], 0 offset:72
	buffer_load_dword v81, off, s[0:3], 0 offset:76
	;; [unrolled: 1-line block ×32, first 2 shown]
	v_mov_b32_e32 v50, 0
	ds_read2_b64 v[52:55], v50 offset0:33 offset1:34
	ds_read2_b64 v[56:59], v50 offset0:35 offset1:36
	;; [unrolled: 1-line block ×7, first 2 shown]
	ds_read_b64 v[112:113], v50 offset:376
	v_cmp_lt_u32_e32 vcc, 7, v0
	s_waitcnt vmcnt(30) lgkmcnt(7)
	v_fma_f64 v[52:53], v[80:81], v[52:53], 0
	s_waitcnt vmcnt(28)
	v_fmac_f64_e32 v[52:53], v[82:83], v[54:55]
	s_waitcnt vmcnt(26) lgkmcnt(6)
	v_fmac_f64_e32 v[52:53], v[84:85], v[56:57]
	s_waitcnt vmcnt(24)
	v_fmac_f64_e32 v[52:53], v[86:87], v[58:59]
	s_waitcnt vmcnt(22) lgkmcnt(5)
	v_fmac_f64_e32 v[52:53], v[88:89], v[60:61]
	;; [unrolled: 4-line block ×3, first 2 shown]
	s_waitcnt vmcnt(10)
	v_fmac_f64_e32 v[52:53], v[100:101], v[66:67]
	s_waitcnt lgkmcnt(3)
	v_fmac_f64_e32 v[52:53], v[98:99], v[68:69]
	v_fmac_f64_e32 v[52:53], v[96:97], v[70:71]
	s_waitcnt lgkmcnt(2)
	v_fmac_f64_e32 v[52:53], v[94:95], v[72:73]
	s_waitcnt vmcnt(4)
	v_fmac_f64_e32 v[52:53], v[108:109], v[74:75]
	s_waitcnt lgkmcnt(1)
	v_fmac_f64_e32 v[52:53], v[106:107], v[76:77]
	s_waitcnt vmcnt(3)
	v_fmac_f64_e32 v[52:53], v[104:105], v[78:79]
	s_waitcnt vmcnt(2) lgkmcnt(0)
	v_fmac_f64_e32 v[52:53], v[102:103], v[112:113]
	s_waitcnt vmcnt(0)
	v_add_f64 v[52:53], v[110:111], -v[52:53]
	buffer_store_dword v53, off, s[0:3], 0 offset:68
	buffer_store_dword v52, off, s[0:3], 0 offset:64
	s_and_saveexec_b64 s[4:5], vcc
	s_cbranch_execz .LBB87_137
; %bb.136:
	buffer_load_dword v52, off, s[0:3], 0 offset:56
	buffer_load_dword v53, off, s[0:3], 0 offset:60
	s_waitcnt vmcnt(0)
	ds_write_b64 v1, v[52:53]
	buffer_store_dword v50, off, s[0:3], 0 offset:56
	buffer_store_dword v50, off, s[0:3], 0 offset:60
.LBB87_137:
	s_or_b64 exec, exec, s[4:5]
	s_waitcnt lgkmcnt(0)
	; wave barrier
	s_waitcnt lgkmcnt(0)
	buffer_load_dword v84, off, s[0:3], 0 offset:64
	buffer_load_dword v85, off, s[0:3], 0 offset:68
	;; [unrolled: 1-line block ×34, first 2 shown]
	ds_read_b128 v[52:55], v50 offset:256
	ds_read_b128 v[56:59], v50 offset:272
	ds_read_b128 v[60:63], v50 offset:288
	ds_read_b128 v[64:67], v50 offset:304
	ds_read_b128 v[68:71], v50 offset:320
	ds_read_b128 v[72:75], v50 offset:336
	ds_read_b128 v[76:79], v50 offset:352
	ds_read_b128 v[80:83], v50 offset:368
	v_cmp_lt_u32_e32 vcc, 6, v0
	s_waitcnt vmcnt(32) lgkmcnt(7)
	v_fma_f64 v[50:51], v[84:85], v[52:53], 0
	s_waitcnt vmcnt(30)
	v_fmac_f64_e32 v[50:51], v[86:87], v[54:55]
	s_waitcnt vmcnt(28) lgkmcnt(6)
	v_fmac_f64_e32 v[50:51], v[88:89], v[56:57]
	s_waitcnt vmcnt(26)
	v_fmac_f64_e32 v[50:51], v[90:91], v[58:59]
	s_waitcnt vmcnt(24) lgkmcnt(5)
	v_fmac_f64_e32 v[50:51], v[92:93], v[60:61]
	;; [unrolled: 4-line block ×3, first 2 shown]
	s_waitcnt vmcnt(12)
	v_fmac_f64_e32 v[50:51], v[104:105], v[66:67]
	s_waitcnt lgkmcnt(3)
	v_fmac_f64_e32 v[50:51], v[102:103], v[68:69]
	v_fmac_f64_e32 v[50:51], v[100:101], v[70:71]
	s_waitcnt lgkmcnt(2)
	v_fmac_f64_e32 v[50:51], v[98:99], v[72:73]
	s_waitcnt vmcnt(5)
	v_fmac_f64_e32 v[50:51], v[112:113], v[74:75]
	s_waitcnt lgkmcnt(1)
	v_fmac_f64_e32 v[50:51], v[110:111], v[76:77]
	v_fmac_f64_e32 v[50:51], v[108:109], v[78:79]
	s_waitcnt vmcnt(4) lgkmcnt(0)
	v_fmac_f64_e32 v[50:51], v[106:107], v[80:81]
	s_waitcnt vmcnt(2)
	v_fmac_f64_e32 v[50:51], v[114:115], v[82:83]
	s_waitcnt vmcnt(0)
	v_add_f64 v[50:51], v[116:117], -v[50:51]
	buffer_store_dword v51, off, s[0:3], 0 offset:60
	buffer_store_dword v50, off, s[0:3], 0 offset:56
	s_and_saveexec_b64 s[4:5], vcc
	s_cbranch_execz .LBB87_139
; %bb.138:
	buffer_load_dword v50, off, s[0:3], 0 offset:48
	buffer_load_dword v51, off, s[0:3], 0 offset:52
	v_mov_b32_e32 v52, 0
	buffer_store_dword v52, off, s[0:3], 0 offset:48
	buffer_store_dword v52, off, s[0:3], 0 offset:52
	s_waitcnt vmcnt(2)
	ds_write_b64 v1, v[50:51]
.LBB87_139:
	s_or_b64 exec, exec, s[4:5]
	s_waitcnt lgkmcnt(0)
	; wave barrier
	s_waitcnt lgkmcnt(0)
	buffer_load_dword v84, off, s[0:3], 0 offset:56
	buffer_load_dword v85, off, s[0:3], 0 offset:60
	;; [unrolled: 1-line block ×36, first 2 shown]
	v_mov_b32_e32 v50, 0
	ds_read2_b64 v[52:55], v50 offset0:31 offset1:32
	ds_read2_b64 v[56:59], v50 offset0:33 offset1:34
	ds_read2_b64 v[60:63], v50 offset0:35 offset1:36
	ds_read2_b64 v[64:67], v50 offset0:37 offset1:38
	ds_read2_b64 v[68:71], v50 offset0:39 offset1:40
	ds_read2_b64 v[72:75], v50 offset0:41 offset1:42
	ds_read2_b64 v[76:79], v50 offset0:43 offset1:44
	ds_read2_b64 v[80:83], v50 offset0:45 offset1:46
	ds_read_b64 v[120:121], v50 offset:376
	v_cmp_lt_u32_e32 vcc, 5, v0
	s_waitcnt vmcnt(34) lgkmcnt(8)
	v_fma_f64 v[52:53], v[84:85], v[52:53], 0
	s_waitcnt vmcnt(32)
	v_fmac_f64_e32 v[52:53], v[86:87], v[54:55]
	s_waitcnt vmcnt(30) lgkmcnt(7)
	v_fmac_f64_e32 v[52:53], v[88:89], v[56:57]
	s_waitcnt vmcnt(28)
	v_fmac_f64_e32 v[52:53], v[90:91], v[58:59]
	s_waitcnt vmcnt(26) lgkmcnt(6)
	v_fmac_f64_e32 v[52:53], v[92:93], v[60:61]
	;; [unrolled: 4-line block ×3, first 2 shown]
	s_waitcnt vmcnt(14)
	v_fmac_f64_e32 v[52:53], v[104:105], v[66:67]
	s_waitcnt lgkmcnt(4)
	v_fmac_f64_e32 v[52:53], v[102:103], v[68:69]
	v_fmac_f64_e32 v[52:53], v[100:101], v[70:71]
	s_waitcnt lgkmcnt(3)
	v_fmac_f64_e32 v[52:53], v[98:99], v[72:73]
	s_waitcnt vmcnt(6)
	v_fmac_f64_e32 v[52:53], v[112:113], v[74:75]
	s_waitcnt lgkmcnt(2)
	v_fmac_f64_e32 v[52:53], v[110:111], v[76:77]
	v_fmac_f64_e32 v[52:53], v[108:109], v[78:79]
	s_waitcnt lgkmcnt(1)
	v_fmac_f64_e32 v[52:53], v[106:107], v[80:81]
	s_waitcnt vmcnt(2)
	v_fmac_f64_e32 v[52:53], v[116:117], v[82:83]
	s_waitcnt lgkmcnt(0)
	v_fmac_f64_e32 v[52:53], v[114:115], v[120:121]
	s_waitcnt vmcnt(0)
	v_add_f64 v[52:53], v[118:119], -v[52:53]
	buffer_store_dword v53, off, s[0:3], 0 offset:52
	buffer_store_dword v52, off, s[0:3], 0 offset:48
	s_and_saveexec_b64 s[4:5], vcc
	s_cbranch_execz .LBB87_141
; %bb.140:
	buffer_load_dword v52, off, s[0:3], 0 offset:40
	buffer_load_dword v53, off, s[0:3], 0 offset:44
	s_waitcnt vmcnt(0)
	ds_write_b64 v1, v[52:53]
	buffer_store_dword v50, off, s[0:3], 0 offset:40
	buffer_store_dword v50, off, s[0:3], 0 offset:44
.LBB87_141:
	s_or_b64 exec, exec, s[4:5]
	s_waitcnt lgkmcnt(0)
	; wave barrier
	s_waitcnt lgkmcnt(0)
	buffer_load_dword v88, off, s[0:3], 0 offset:48
	buffer_load_dword v89, off, s[0:3], 0 offset:52
	;; [unrolled: 1-line block ×38, first 2 shown]
	ds_read_b128 v[52:55], v50 offset:240
	ds_read_b128 v[56:59], v50 offset:256
	;; [unrolled: 1-line block ×9, first 2 shown]
	v_cmp_lt_u32_e32 vcc, 4, v0
	s_waitcnt vmcnt(36) lgkmcnt(8)
	v_fma_f64 v[50:51], v[88:89], v[52:53], 0
	s_waitcnt vmcnt(34)
	v_fmac_f64_e32 v[50:51], v[90:91], v[54:55]
	s_waitcnt vmcnt(32) lgkmcnt(7)
	v_fmac_f64_e32 v[50:51], v[92:93], v[56:57]
	s_waitcnt vmcnt(30)
	v_fmac_f64_e32 v[50:51], v[94:95], v[58:59]
	s_waitcnt vmcnt(28) lgkmcnt(6)
	v_fmac_f64_e32 v[50:51], v[96:97], v[60:61]
	;; [unrolled: 4-line block ×3, first 2 shown]
	s_waitcnt vmcnt(16)
	v_fmac_f64_e32 v[50:51], v[108:109], v[66:67]
	s_waitcnt lgkmcnt(4)
	v_fmac_f64_e32 v[50:51], v[106:107], v[68:69]
	v_fmac_f64_e32 v[50:51], v[104:105], v[70:71]
	s_waitcnt lgkmcnt(3)
	v_fmac_f64_e32 v[50:51], v[102:103], v[72:73]
	s_waitcnt vmcnt(8)
	v_fmac_f64_e32 v[50:51], v[116:117], v[74:75]
	s_waitcnt lgkmcnt(2)
	v_fmac_f64_e32 v[50:51], v[114:115], v[76:77]
	v_fmac_f64_e32 v[50:51], v[112:113], v[78:79]
	s_waitcnt lgkmcnt(1)
	v_fmac_f64_e32 v[50:51], v[110:111], v[80:81]
	s_waitcnt vmcnt(3)
	v_fmac_f64_e32 v[50:51], v[122:123], v[82:83]
	s_waitcnt lgkmcnt(0)
	v_fmac_f64_e32 v[50:51], v[120:121], v[84:85]
	s_waitcnt vmcnt(2)
	v_fmac_f64_e32 v[50:51], v[118:119], v[86:87]
	s_waitcnt vmcnt(0)
	v_add_f64 v[50:51], v[124:125], -v[50:51]
	buffer_store_dword v51, off, s[0:3], 0 offset:44
	buffer_store_dword v50, off, s[0:3], 0 offset:40
	s_and_saveexec_b64 s[4:5], vcc
	s_cbranch_execz .LBB87_143
; %bb.142:
	buffer_load_dword v50, off, s[0:3], 0 offset:32
	buffer_load_dword v51, off, s[0:3], 0 offset:36
	v_mov_b32_e32 v52, 0
	buffer_store_dword v52, off, s[0:3], 0 offset:32
	buffer_store_dword v52, off, s[0:3], 0 offset:36
	s_waitcnt vmcnt(2)
	ds_write_b64 v1, v[50:51]
.LBB87_143:
	s_or_b64 exec, exec, s[4:5]
	s_waitcnt lgkmcnt(0)
	; wave barrier
	s_waitcnt lgkmcnt(0)
	buffer_load_dword v50, off, s[0:3], 0 offset:32
	buffer_load_dword v51, off, s[0:3], 0 offset:36
	buffer_load_dword v52, off, s[0:3], 0 offset:40
	buffer_load_dword v53, off, s[0:3], 0 offset:44
	buffer_load_dword v60, off, s[0:3], 0 offset:48
	buffer_load_dword v61, off, s[0:3], 0 offset:52
	buffer_load_dword v62, off, s[0:3], 0 offset:56
	buffer_load_dword v63, off, s[0:3], 0 offset:60
	buffer_load_dword v64, off, s[0:3], 0 offset:64
	buffer_load_dword v65, off, s[0:3], 0 offset:68
	buffer_load_dword v66, off, s[0:3], 0 offset:72
	buffer_load_dword v67, off, s[0:3], 0 offset:76
	buffer_load_dword v68, off, s[0:3], 0 offset:80
	buffer_load_dword v69, off, s[0:3], 0 offset:84
	buffer_load_dword v70, off, s[0:3], 0 offset:88
	buffer_load_dword v71, off, s[0:3], 0 offset:92
	v_mov_b32_e32 v54, 0
	ds_read2_b64 v[56:59], v54 offset0:29 offset1:30
	v_cmp_lt_u32_e32 vcc, 3, v0
	s_waitcnt vmcnt(12) lgkmcnt(0)
	v_fma_f64 v[52:53], v[52:53], v[56:57], 0
	s_waitcnt vmcnt(10)
	v_fmac_f64_e32 v[52:53], v[60:61], v[58:59]
	ds_read2_b64 v[56:59], v54 offset0:31 offset1:32
	s_waitcnt vmcnt(8) lgkmcnt(0)
	v_fmac_f64_e32 v[52:53], v[62:63], v[56:57]
	s_waitcnt vmcnt(6)
	v_fmac_f64_e32 v[52:53], v[64:65], v[58:59]
	ds_read2_b64 v[56:59], v54 offset0:33 offset1:34
	s_waitcnt vmcnt(4) lgkmcnt(0)
	v_fmac_f64_e32 v[52:53], v[66:67], v[56:57]
	s_waitcnt vmcnt(2)
	v_fmac_f64_e32 v[52:53], v[68:69], v[58:59]
	ds_read2_b64 v[56:59], v54 offset0:35 offset1:36
	s_waitcnt vmcnt(0) lgkmcnt(0)
	v_fmac_f64_e32 v[52:53], v[70:71], v[56:57]
	buffer_load_dword v57, off, s[0:3], 0 offset:100
	buffer_load_dword v56, off, s[0:3], 0 offset:96
	buffer_load_dword v61, off, s[0:3], 0 offset:108
	buffer_load_dword v60, off, s[0:3], 0 offset:104
	s_waitcnt vmcnt(2)
	v_fmac_f64_e32 v[52:53], v[56:57], v[58:59]
	ds_read2_b64 v[56:59], v54 offset0:37 offset1:38
	s_waitcnt vmcnt(0) lgkmcnt(0)
	v_fmac_f64_e32 v[52:53], v[60:61], v[56:57]
	buffer_load_dword v57, off, s[0:3], 0 offset:116
	buffer_load_dword v56, off, s[0:3], 0 offset:112
	buffer_load_dword v61, off, s[0:3], 0 offset:124
	buffer_load_dword v60, off, s[0:3], 0 offset:120
	s_waitcnt vmcnt(2)
	v_fmac_f64_e32 v[52:53], v[56:57], v[58:59]
	ds_read2_b64 v[56:59], v54 offset0:39 offset1:40
	s_waitcnt vmcnt(0) lgkmcnt(0)
	v_fmac_f64_e32 v[52:53], v[60:61], v[56:57]
	;; [unrolled: 9-line block ×5, first 2 shown]
	buffer_load_dword v57, off, s[0:3], 0 offset:180
	buffer_load_dword v56, off, s[0:3], 0 offset:176
	s_waitcnt vmcnt(0)
	v_fmac_f64_e32 v[52:53], v[56:57], v[58:59]
	buffer_load_dword v57, off, s[0:3], 0 offset:188
	buffer_load_dword v56, off, s[0:3], 0 offset:184
	ds_read_b64 v[58:59], v54 offset:376
	s_waitcnt vmcnt(0) lgkmcnt(0)
	v_fmac_f64_e32 v[52:53], v[56:57], v[58:59]
	v_add_f64 v[50:51], v[50:51], -v[52:53]
	buffer_store_dword v51, off, s[0:3], 0 offset:36
	buffer_store_dword v50, off, s[0:3], 0 offset:32
	s_and_saveexec_b64 s[4:5], vcc
	s_cbranch_execz .LBB87_145
; %bb.144:
	buffer_load_dword v50, off, s[0:3], 0 offset:24
	buffer_load_dword v51, off, s[0:3], 0 offset:28
	s_waitcnt vmcnt(0)
	ds_write_b64 v1, v[50:51]
	buffer_store_dword v54, off, s[0:3], 0 offset:24
	buffer_store_dword v54, off, s[0:3], 0 offset:28
.LBB87_145:
	s_or_b64 exec, exec, s[4:5]
	s_waitcnt lgkmcnt(0)
	; wave barrier
	s_waitcnt lgkmcnt(0)
	buffer_load_dword v50, off, s[0:3], 0 offset:24
	buffer_load_dword v51, off, s[0:3], 0 offset:28
	;; [unrolled: 1-line block ×16, first 2 shown]
	ds_read_b128 v[56:59], v54 offset:224
	ds_read_b128 v[60:63], v54 offset:240
	;; [unrolled: 1-line block ×4, first 2 shown]
	v_cmp_lt_u32_e32 vcc, 2, v0
	s_waitcnt vmcnt(12) lgkmcnt(3)
	v_fma_f64 v[52:53], v[52:53], v[56:57], 0
	buffer_load_dword v57, off, s[0:3], 0 offset:92
	buffer_load_dword v56, off, s[0:3], 0 offset:88
	s_waitcnt vmcnt(12)
	v_fmac_f64_e32 v[52:53], v[72:73], v[58:59]
	s_waitcnt vmcnt(10) lgkmcnt(2)
	v_fmac_f64_e32 v[52:53], v[74:75], v[60:61]
	buffer_load_dword v61, off, s[0:3], 0 offset:100
	buffer_load_dword v60, off, s[0:3], 0 offset:96
	s_waitcnt vmcnt(10)
	v_fmac_f64_e32 v[52:53], v[76:77], v[62:63]
	s_waitcnt vmcnt(8) lgkmcnt(1)
	v_fmac_f64_e32 v[52:53], v[78:79], v[64:65]
	s_waitcnt vmcnt(6)
	v_fmac_f64_e32 v[52:53], v[80:81], v[66:67]
	s_waitcnt vmcnt(4) lgkmcnt(0)
	v_fmac_f64_e32 v[52:53], v[82:83], v[68:69]
	s_waitcnt vmcnt(2)
	v_fmac_f64_e32 v[52:53], v[56:57], v[70:71]
	ds_read_b128 v[56:59], v54 offset:288
	s_waitcnt vmcnt(0) lgkmcnt(0)
	v_fmac_f64_e32 v[52:53], v[60:61], v[56:57]
	buffer_load_dword v57, off, s[0:3], 0 offset:108
	buffer_load_dword v56, off, s[0:3], 0 offset:104
	buffer_load_dword v61, off, s[0:3], 0 offset:116
	buffer_load_dword v60, off, s[0:3], 0 offset:112
	s_waitcnt vmcnt(2)
	v_fmac_f64_e32 v[52:53], v[56:57], v[58:59]
	ds_read_b128 v[56:59], v54 offset:304
	s_waitcnt vmcnt(0) lgkmcnt(0)
	v_fmac_f64_e32 v[52:53], v[60:61], v[56:57]
	buffer_load_dword v57, off, s[0:3], 0 offset:124
	buffer_load_dword v56, off, s[0:3], 0 offset:120
	buffer_load_dword v61, off, s[0:3], 0 offset:132
	buffer_load_dword v60, off, s[0:3], 0 offset:128
	;; [unrolled: 9-line block ×4, first 2 shown]
	s_waitcnt vmcnt(2)
	v_fmac_f64_e32 v[52:53], v[56:57], v[58:59]
	ds_read_b128 v[56:59], v54 offset:352
	s_waitcnt vmcnt(0) lgkmcnt(0)
	v_fmac_f64_e32 v[52:53], v[60:61], v[56:57]
	buffer_load_dword v57, off, s[0:3], 0 offset:172
	buffer_load_dword v56, off, s[0:3], 0 offset:168
	s_waitcnt vmcnt(0)
	v_fmac_f64_e32 v[52:53], v[56:57], v[58:59]
	buffer_load_dword v59, off, s[0:3], 0 offset:180
	buffer_load_dword v58, off, s[0:3], 0 offset:176
	ds_read_b128 v[54:57], v54 offset:368
	s_waitcnt vmcnt(0) lgkmcnt(0)
	v_fmac_f64_e32 v[52:53], v[58:59], v[54:55]
	buffer_load_dword v55, off, s[0:3], 0 offset:188
	buffer_load_dword v54, off, s[0:3], 0 offset:184
	s_waitcnt vmcnt(0)
	v_fmac_f64_e32 v[52:53], v[54:55], v[56:57]
	v_add_f64 v[50:51], v[50:51], -v[52:53]
	buffer_store_dword v51, off, s[0:3], 0 offset:28
	buffer_store_dword v50, off, s[0:3], 0 offset:24
	s_and_saveexec_b64 s[4:5], vcc
	s_cbranch_execz .LBB87_147
; %bb.146:
	buffer_load_dword v50, off, s[0:3], 0 offset:16
	buffer_load_dword v51, off, s[0:3], 0 offset:20
	v_mov_b32_e32 v52, 0
	buffer_store_dword v52, off, s[0:3], 0 offset:16
	buffer_store_dword v52, off, s[0:3], 0 offset:20
	s_waitcnt vmcnt(2)
	ds_write_b64 v1, v[50:51]
.LBB87_147:
	s_or_b64 exec, exec, s[4:5]
	s_waitcnt lgkmcnt(0)
	; wave barrier
	s_waitcnt lgkmcnt(0)
	buffer_load_dword v50, off, s[0:3], 0 offset:16
	buffer_load_dword v51, off, s[0:3], 0 offset:20
	buffer_load_dword v52, off, s[0:3], 0 offset:24
	buffer_load_dword v53, off, s[0:3], 0 offset:28
	buffer_load_dword v60, off, s[0:3], 0 offset:32
	buffer_load_dword v61, off, s[0:3], 0 offset:36
	buffer_load_dword v62, off, s[0:3], 0 offset:40
	buffer_load_dword v63, off, s[0:3], 0 offset:44
	buffer_load_dword v64, off, s[0:3], 0 offset:48
	buffer_load_dword v65, off, s[0:3], 0 offset:52
	buffer_load_dword v66, off, s[0:3], 0 offset:56
	buffer_load_dword v67, off, s[0:3], 0 offset:60
	buffer_load_dword v68, off, s[0:3], 0 offset:64
	buffer_load_dword v69, off, s[0:3], 0 offset:68
	buffer_load_dword v70, off, s[0:3], 0 offset:72
	buffer_load_dword v71, off, s[0:3], 0 offset:76
	v_mov_b32_e32 v54, 0
	ds_read2_b64 v[56:59], v54 offset0:27 offset1:28
	v_cmp_lt_u32_e32 vcc, 1, v0
	s_waitcnt vmcnt(12) lgkmcnt(0)
	v_fma_f64 v[52:53], v[52:53], v[56:57], 0
	s_waitcnt vmcnt(10)
	v_fmac_f64_e32 v[52:53], v[60:61], v[58:59]
	ds_read2_b64 v[56:59], v54 offset0:29 offset1:30
	s_waitcnt vmcnt(8) lgkmcnt(0)
	v_fmac_f64_e32 v[52:53], v[62:63], v[56:57]
	s_waitcnt vmcnt(6)
	v_fmac_f64_e32 v[52:53], v[64:65], v[58:59]
	ds_read2_b64 v[56:59], v54 offset0:31 offset1:32
	s_waitcnt vmcnt(4) lgkmcnt(0)
	v_fmac_f64_e32 v[52:53], v[66:67], v[56:57]
	;; [unrolled: 5-line block ×3, first 2 shown]
	buffer_load_dword v57, off, s[0:3], 0 offset:84
	buffer_load_dword v56, off, s[0:3], 0 offset:80
	buffer_load_dword v61, off, s[0:3], 0 offset:92
	buffer_load_dword v60, off, s[0:3], 0 offset:88
	s_waitcnt vmcnt(2)
	v_fmac_f64_e32 v[52:53], v[56:57], v[58:59]
	ds_read2_b64 v[56:59], v54 offset0:35 offset1:36
	s_waitcnt vmcnt(0) lgkmcnt(0)
	v_fmac_f64_e32 v[52:53], v[60:61], v[56:57]
	buffer_load_dword v57, off, s[0:3], 0 offset:100
	buffer_load_dword v56, off, s[0:3], 0 offset:96
	buffer_load_dword v61, off, s[0:3], 0 offset:108
	buffer_load_dword v60, off, s[0:3], 0 offset:104
	s_waitcnt vmcnt(2)
	v_fmac_f64_e32 v[52:53], v[56:57], v[58:59]
	ds_read2_b64 v[56:59], v54 offset0:37 offset1:38
	s_waitcnt vmcnt(0) lgkmcnt(0)
	v_fmac_f64_e32 v[52:53], v[60:61], v[56:57]
	;; [unrolled: 9-line block ×6, first 2 shown]
	buffer_load_dword v57, off, s[0:3], 0 offset:180
	buffer_load_dword v56, off, s[0:3], 0 offset:176
	s_waitcnt vmcnt(0)
	v_fmac_f64_e32 v[52:53], v[56:57], v[58:59]
	buffer_load_dword v57, off, s[0:3], 0 offset:188
	buffer_load_dword v56, off, s[0:3], 0 offset:184
	ds_read_b64 v[58:59], v54 offset:376
	s_waitcnt vmcnt(0) lgkmcnt(0)
	v_fmac_f64_e32 v[52:53], v[56:57], v[58:59]
	v_add_f64 v[50:51], v[50:51], -v[52:53]
	buffer_store_dword v51, off, s[0:3], 0 offset:20
	buffer_store_dword v50, off, s[0:3], 0 offset:16
	s_and_saveexec_b64 s[4:5], vcc
	s_cbranch_execz .LBB87_149
; %bb.148:
	buffer_load_dword v50, off, s[0:3], 0 offset:8
	buffer_load_dword v51, off, s[0:3], 0 offset:12
	s_waitcnt vmcnt(0)
	ds_write_b64 v1, v[50:51]
	buffer_store_dword v54, off, s[0:3], 0 offset:8
	buffer_store_dword v54, off, s[0:3], 0 offset:12
.LBB87_149:
	s_or_b64 exec, exec, s[4:5]
	s_waitcnt lgkmcnt(0)
	; wave barrier
	s_waitcnt lgkmcnt(0)
	buffer_load_dword v50, off, s[0:3], 0 offset:8
	buffer_load_dword v51, off, s[0:3], 0 offset:12
	;; [unrolled: 1-line block ×16, first 2 shown]
	ds_read_b128 v[56:59], v54 offset:208
	ds_read_b128 v[60:63], v54 offset:224
	;; [unrolled: 1-line block ×4, first 2 shown]
	v_cmp_ne_u32_e32 vcc, 0, v0
	s_waitcnt vmcnt(12) lgkmcnt(3)
	v_fma_f64 v[52:53], v[52:53], v[56:57], 0
	buffer_load_dword v57, off, s[0:3], 0 offset:76
	buffer_load_dword v56, off, s[0:3], 0 offset:72
	s_waitcnt vmcnt(12)
	v_fmac_f64_e32 v[52:53], v[72:73], v[58:59]
	s_waitcnt vmcnt(10) lgkmcnt(2)
	v_fmac_f64_e32 v[52:53], v[74:75], v[60:61]
	buffer_load_dword v61, off, s[0:3], 0 offset:84
	buffer_load_dword v60, off, s[0:3], 0 offset:80
	s_waitcnt vmcnt(10)
	v_fmac_f64_e32 v[52:53], v[76:77], v[62:63]
	s_waitcnt vmcnt(8) lgkmcnt(1)
	v_fmac_f64_e32 v[52:53], v[78:79], v[64:65]
	s_waitcnt vmcnt(6)
	v_fmac_f64_e32 v[52:53], v[80:81], v[66:67]
	s_waitcnt vmcnt(4) lgkmcnt(0)
	v_fmac_f64_e32 v[52:53], v[82:83], v[68:69]
	s_waitcnt vmcnt(2)
	v_fmac_f64_e32 v[52:53], v[56:57], v[70:71]
	ds_read_b128 v[56:59], v54 offset:272
	s_waitcnt vmcnt(0) lgkmcnt(0)
	v_fmac_f64_e32 v[52:53], v[60:61], v[56:57]
	buffer_load_dword v57, off, s[0:3], 0 offset:92
	buffer_load_dword v56, off, s[0:3], 0 offset:88
	buffer_load_dword v61, off, s[0:3], 0 offset:100
	buffer_load_dword v60, off, s[0:3], 0 offset:96
	s_waitcnt vmcnt(2)
	v_fmac_f64_e32 v[52:53], v[56:57], v[58:59]
	ds_read_b128 v[56:59], v54 offset:288
	s_waitcnt vmcnt(0) lgkmcnt(0)
	v_fmac_f64_e32 v[52:53], v[60:61], v[56:57]
	buffer_load_dword v57, off, s[0:3], 0 offset:108
	buffer_load_dword v56, off, s[0:3], 0 offset:104
	buffer_load_dword v61, off, s[0:3], 0 offset:116
	buffer_load_dword v60, off, s[0:3], 0 offset:112
	;; [unrolled: 9-line block ×5, first 2 shown]
	s_waitcnt vmcnt(2)
	v_fmac_f64_e32 v[52:53], v[56:57], v[58:59]
	ds_read_b128 v[56:59], v54 offset:352
	s_waitcnt vmcnt(0) lgkmcnt(0)
	v_fmac_f64_e32 v[52:53], v[60:61], v[56:57]
	buffer_load_dword v57, off, s[0:3], 0 offset:172
	buffer_load_dword v56, off, s[0:3], 0 offset:168
	s_waitcnt vmcnt(0)
	v_fmac_f64_e32 v[52:53], v[56:57], v[58:59]
	buffer_load_dword v59, off, s[0:3], 0 offset:180
	buffer_load_dword v58, off, s[0:3], 0 offset:176
	ds_read_b128 v[54:57], v54 offset:368
	s_waitcnt vmcnt(0) lgkmcnt(0)
	v_fmac_f64_e32 v[52:53], v[58:59], v[54:55]
	buffer_load_dword v55, off, s[0:3], 0 offset:188
	buffer_load_dword v54, off, s[0:3], 0 offset:184
	s_waitcnt vmcnt(0)
	v_fmac_f64_e32 v[52:53], v[54:55], v[56:57]
	v_add_f64 v[50:51], v[50:51], -v[52:53]
	buffer_store_dword v51, off, s[0:3], 0 offset:12
	buffer_store_dword v50, off, s[0:3], 0 offset:8
	s_and_saveexec_b64 s[4:5], vcc
	s_cbranch_execz .LBB87_151
; %bb.150:
	buffer_load_dword v50, off, s[0:3], 0
	buffer_load_dword v51, off, s[0:3], 0 offset:4
	v_mov_b32_e32 v0, 0
	buffer_store_dword v0, off, s[0:3], 0
	buffer_store_dword v0, off, s[0:3], 0 offset:4
	s_waitcnt vmcnt(2)
	ds_write_b64 v1, v[50:51]
.LBB87_151:
	s_or_b64 exec, exec, s[4:5]
	s_waitcnt lgkmcnt(0)
	; wave barrier
	s_waitcnt lgkmcnt(0)
	buffer_load_dword v0, off, s[0:3], 0
	buffer_load_dword v1, off, s[0:3], 0 offset:4
	buffer_load_dword v54, off, s[0:3], 0 offset:8
	buffer_load_dword v55, off, s[0:3], 0 offset:12
	buffer_load_dword v56, off, s[0:3], 0 offset:16
	buffer_load_dword v57, off, s[0:3], 0 offset:20
	buffer_load_dword v58, off, s[0:3], 0 offset:24
	buffer_load_dword v59, off, s[0:3], 0 offset:28
	buffer_load_dword v60, off, s[0:3], 0 offset:32
	buffer_load_dword v61, off, s[0:3], 0 offset:36
	buffer_load_dword v62, off, s[0:3], 0 offset:40
	buffer_load_dword v63, off, s[0:3], 0 offset:44
	buffer_load_dword v64, off, s[0:3], 0 offset:48
	buffer_load_dword v65, off, s[0:3], 0 offset:52
	buffer_load_dword v66, off, s[0:3], 0 offset:56
	buffer_load_dword v67, off, s[0:3], 0 offset:60
	v_mov_b32_e32 v68, 0
	ds_read2_b64 v[50:53], v68 offset0:25 offset1:26
	s_and_b64 vcc, exec, s[16:17]
	s_waitcnt vmcnt(12) lgkmcnt(0)
	v_fma_f64 v[50:51], v[54:55], v[50:51], 0
	s_waitcnt vmcnt(10)
	v_fmac_f64_e32 v[50:51], v[56:57], v[52:53]
	ds_read2_b64 v[52:55], v68 offset0:27 offset1:28
	s_waitcnt vmcnt(8) lgkmcnt(0)
	v_fmac_f64_e32 v[50:51], v[58:59], v[52:53]
	s_waitcnt vmcnt(6)
	v_fmac_f64_e32 v[50:51], v[60:61], v[54:55]
	ds_read2_b64 v[52:55], v68 offset0:29 offset1:30
	s_waitcnt vmcnt(4) lgkmcnt(0)
	v_fmac_f64_e32 v[50:51], v[62:63], v[52:53]
	;; [unrolled: 5-line block ×3, first 2 shown]
	buffer_load_dword v53, off, s[0:3], 0 offset:68
	buffer_load_dword v52, off, s[0:3], 0 offset:64
	buffer_load_dword v57, off, s[0:3], 0 offset:76
	buffer_load_dword v56, off, s[0:3], 0 offset:72
	s_waitcnt vmcnt(2)
	v_fmac_f64_e32 v[50:51], v[52:53], v[54:55]
	ds_read2_b64 v[52:55], v68 offset0:33 offset1:34
	s_waitcnt vmcnt(0) lgkmcnt(0)
	v_fmac_f64_e32 v[50:51], v[56:57], v[52:53]
	buffer_load_dword v53, off, s[0:3], 0 offset:84
	buffer_load_dword v52, off, s[0:3], 0 offset:80
	buffer_load_dword v57, off, s[0:3], 0 offset:92
	buffer_load_dword v56, off, s[0:3], 0 offset:88
	s_waitcnt vmcnt(2)
	v_fmac_f64_e32 v[50:51], v[52:53], v[54:55]
	ds_read2_b64 v[52:55], v68 offset0:35 offset1:36
	s_waitcnt vmcnt(0) lgkmcnt(0)
	v_fmac_f64_e32 v[50:51], v[56:57], v[52:53]
	;; [unrolled: 9-line block ×7, first 2 shown]
	buffer_load_dword v53, off, s[0:3], 0 offset:180
	buffer_load_dword v52, off, s[0:3], 0 offset:176
	s_waitcnt vmcnt(0)
	v_fmac_f64_e32 v[50:51], v[52:53], v[54:55]
	buffer_load_dword v55, off, s[0:3], 0 offset:188
	buffer_load_dword v54, off, s[0:3], 0 offset:184
	ds_read_b64 v[56:57], v68 offset:376
	s_waitcnt vmcnt(0) lgkmcnt(0)
	v_fmac_f64_e32 v[50:51], v[54:55], v[56:57]
	v_add_f64 v[0:1], v[0:1], -v[50:51]
	buffer_store_dword v1, off, s[0:3], 0 offset:4
	buffer_store_dword v0, off, s[0:3], 0
	s_cbranch_vccz .LBB87_199
; %bb.152:
	v_pk_mov_b32 v[0:1], s[10:11], s[10:11] op_sel:[0,1]
	flat_load_dword v0, v[0:1] offset:88
	s_waitcnt vmcnt(0) lgkmcnt(0)
	v_add_u32_e32 v0, -1, v0
	v_cmp_ne_u32_e32 vcc, 22, v0
	s_and_saveexec_b64 s[4:5], vcc
	s_cbranch_execz .LBB87_154
; %bb.153:
	v_mov_b32_e32 v1, 0
	v_lshl_add_u32 v0, v0, 3, v1
	buffer_load_dword v1, v0, s[0:3], 0 offen offset:4
	buffer_load_dword v50, v0, s[0:3], 0 offen
	s_waitcnt vmcnt(1)
	buffer_store_dword v1, off, s[0:3], 0 offset:180
	s_waitcnt vmcnt(1)
	buffer_store_dword v50, off, s[0:3], 0 offset:176
	buffer_store_dword v53, v0, s[0:3], 0 offen offset:4
	buffer_store_dword v52, v0, s[0:3], 0 offen
.LBB87_154:
	s_or_b64 exec, exec, s[4:5]
	v_pk_mov_b32 v[0:1], s[10:11], s[10:11] op_sel:[0,1]
	flat_load_dword v0, v[0:1] offset:84
	s_waitcnt vmcnt(0) lgkmcnt(0)
	v_add_u32_e32 v0, -1, v0
	v_cmp_ne_u32_e32 vcc, 21, v0
	s_and_saveexec_b64 s[4:5], vcc
	s_cbranch_execz .LBB87_156
; %bb.155:
	v_mov_b32_e32 v1, 0
	v_lshl_add_u32 v0, v0, 3, v1
	buffer_load_dword v1, v0, s[0:3], 0 offen
	buffer_load_dword v50, v0, s[0:3], 0 offen offset:4
	buffer_load_dword v51, off, s[0:3], 0 offset:168
	buffer_load_dword v52, off, s[0:3], 0 offset:172
	s_waitcnt vmcnt(3)
	buffer_store_dword v1, off, s[0:3], 0 offset:168
	s_waitcnt vmcnt(3)
	buffer_store_dword v50, off, s[0:3], 0 offset:172
	s_waitcnt vmcnt(3)
	buffer_store_dword v51, v0, s[0:3], 0 offen
	s_waitcnt vmcnt(3)
	buffer_store_dword v52, v0, s[0:3], 0 offen offset:4
.LBB87_156:
	s_or_b64 exec, exec, s[4:5]
	v_pk_mov_b32 v[0:1], s[10:11], s[10:11] op_sel:[0,1]
	flat_load_dword v0, v[0:1] offset:80
	s_waitcnt vmcnt(0) lgkmcnt(0)
	v_add_u32_e32 v0, -1, v0
	v_cmp_ne_u32_e32 vcc, 20, v0
	s_and_saveexec_b64 s[4:5], vcc
	s_cbranch_execz .LBB87_158
; %bb.157:
	v_mov_b32_e32 v1, 0
	v_lshl_add_u32 v0, v0, 3, v1
	buffer_load_dword v1, v0, s[0:3], 0 offen
	buffer_load_dword v50, v0, s[0:3], 0 offen offset:4
	buffer_load_dword v51, off, s[0:3], 0 offset:164
	buffer_load_dword v52, off, s[0:3], 0 offset:160
	s_waitcnt vmcnt(3)
	buffer_store_dword v1, off, s[0:3], 0 offset:160
	s_waitcnt vmcnt(3)
	buffer_store_dword v50, off, s[0:3], 0 offset:164
	s_waitcnt vmcnt(3)
	buffer_store_dword v51, v0, s[0:3], 0 offen offset:4
	s_waitcnt vmcnt(3)
	buffer_store_dword v52, v0, s[0:3], 0 offen
.LBB87_158:
	s_or_b64 exec, exec, s[4:5]
	v_pk_mov_b32 v[0:1], s[10:11], s[10:11] op_sel:[0,1]
	flat_load_dword v0, v[0:1] offset:76
	s_waitcnt vmcnt(0) lgkmcnt(0)
	v_add_u32_e32 v0, -1, v0
	v_cmp_ne_u32_e32 vcc, 19, v0
	s_and_saveexec_b64 s[4:5], vcc
	s_cbranch_execz .LBB87_160
; %bb.159:
	v_mov_b32_e32 v1, 0
	v_lshl_add_u32 v0, v0, 3, v1
	buffer_load_dword v1, v0, s[0:3], 0 offen
	buffer_load_dword v50, v0, s[0:3], 0 offen offset:4
	buffer_load_dword v51, off, s[0:3], 0 offset:152
	buffer_load_dword v52, off, s[0:3], 0 offset:156
	s_waitcnt vmcnt(3)
	buffer_store_dword v1, off, s[0:3], 0 offset:152
	s_waitcnt vmcnt(3)
	buffer_store_dword v50, off, s[0:3], 0 offset:156
	s_waitcnt vmcnt(3)
	buffer_store_dword v51, v0, s[0:3], 0 offen
	s_waitcnt vmcnt(3)
	buffer_store_dword v52, v0, s[0:3], 0 offen offset:4
.LBB87_160:
	s_or_b64 exec, exec, s[4:5]
	v_pk_mov_b32 v[0:1], s[10:11], s[10:11] op_sel:[0,1]
	flat_load_dword v0, v[0:1] offset:72
	s_waitcnt vmcnt(0) lgkmcnt(0)
	v_add_u32_e32 v0, -1, v0
	v_cmp_ne_u32_e32 vcc, 18, v0
	s_and_saveexec_b64 s[4:5], vcc
	s_cbranch_execz .LBB87_162
; %bb.161:
	v_mov_b32_e32 v1, 0
	v_lshl_add_u32 v0, v0, 3, v1
	buffer_load_dword v1, v0, s[0:3], 0 offen
	buffer_load_dword v50, v0, s[0:3], 0 offen offset:4
	buffer_load_dword v51, off, s[0:3], 0 offset:148
	buffer_load_dword v52, off, s[0:3], 0 offset:144
	s_waitcnt vmcnt(3)
	buffer_store_dword v1, off, s[0:3], 0 offset:144
	s_waitcnt vmcnt(3)
	buffer_store_dword v50, off, s[0:3], 0 offset:148
	s_waitcnt vmcnt(3)
	buffer_store_dword v51, v0, s[0:3], 0 offen offset:4
	s_waitcnt vmcnt(3)
	buffer_store_dword v52, v0, s[0:3], 0 offen
.LBB87_162:
	;; [unrolled: 48-line block ×10, first 2 shown]
	s_or_b64 exec, exec, s[4:5]
	v_pk_mov_b32 v[0:1], s[10:11], s[10:11] op_sel:[0,1]
	flat_load_dword v0, v[0:1] offset:4
	s_waitcnt vmcnt(0) lgkmcnt(0)
	v_add_u32_e32 v0, -1, v0
	v_cmp_ne_u32_e32 vcc, 1, v0
	s_and_saveexec_b64 s[4:5], vcc
	s_cbranch_execz .LBB87_196
; %bb.195:
	v_mov_b32_e32 v1, 0
	v_lshl_add_u32 v0, v0, 3, v1
	buffer_load_dword v1, v0, s[0:3], 0 offen
	buffer_load_dword v50, v0, s[0:3], 0 offen offset:4
	buffer_load_dword v51, off, s[0:3], 0 offset:8
	buffer_load_dword v52, off, s[0:3], 0 offset:12
	s_waitcnt vmcnt(3)
	buffer_store_dword v1, off, s[0:3], 0 offset:8
	s_waitcnt vmcnt(3)
	buffer_store_dword v50, off, s[0:3], 0 offset:12
	s_waitcnt vmcnt(3)
	buffer_store_dword v51, v0, s[0:3], 0 offen
	s_waitcnt vmcnt(3)
	buffer_store_dword v52, v0, s[0:3], 0 offen offset:4
.LBB87_196:
	s_or_b64 exec, exec, s[4:5]
	v_pk_mov_b32 v[0:1], s[10:11], s[10:11] op_sel:[0,1]
	flat_load_dword v50, v[0:1]
	s_nop 0
	buffer_load_dword v0, off, s[0:3], 0
	buffer_load_dword v1, off, s[0:3], 0 offset:4
	s_waitcnt vmcnt(0) lgkmcnt(0)
	v_add_u32_e32 v50, -1, v50
	v_cmp_ne_u32_e32 vcc, 0, v50
	s_and_saveexec_b64 s[4:5], vcc
	s_cbranch_execz .LBB87_198
; %bb.197:
	v_mov_b32_e32 v51, 0
	v_lshl_add_u32 v50, v50, 3, v51
	buffer_load_dword v51, v50, s[0:3], 0 offen offset:4
	buffer_load_dword v52, v50, s[0:3], 0 offen
	s_waitcnt vmcnt(1)
	buffer_store_dword v51, off, s[0:3], 0 offset:4
	s_waitcnt vmcnt(1)
	buffer_store_dword v52, off, s[0:3], 0
	buffer_store_dword v1, v50, s[0:3], 0 offen offset:4
	buffer_store_dword v0, v50, s[0:3], 0 offen
	buffer_load_dword v0, off, s[0:3], 0
	s_nop 0
	buffer_load_dword v1, off, s[0:3], 0 offset:4
.LBB87_198:
	s_or_b64 exec, exec, s[4:5]
.LBB87_199:
	buffer_load_dword v50, off, s[0:3], 0 offset:8
	buffer_load_dword v51, off, s[0:3], 0 offset:12
	;; [unrolled: 1-line block ×46, first 2 shown]
	s_waitcnt vmcnt(46)
	global_store_dwordx2 v[2:3], v[0:1], off
	s_waitcnt vmcnt(45)
	global_store_dwordx2 v[4:5], v[50:51], off
	;; [unrolled: 2-line block ×24, first 2 shown]
	s_endpgm
	.section	.rodata,"a",@progbits
	.p2align	6, 0x0
	.amdhsa_kernel _ZN9rocsolver6v33100L18getri_kernel_smallILi24EdPKPdEEvT1_iilPiilS6_bb
		.amdhsa_group_segment_fixed_size 392
		.amdhsa_private_segment_fixed_size 208
		.amdhsa_kernarg_size 60
		.amdhsa_user_sgpr_count 8
		.amdhsa_user_sgpr_private_segment_buffer 1
		.amdhsa_user_sgpr_dispatch_ptr 0
		.amdhsa_user_sgpr_queue_ptr 0
		.amdhsa_user_sgpr_kernarg_segment_ptr 1
		.amdhsa_user_sgpr_dispatch_id 0
		.amdhsa_user_sgpr_flat_scratch_init 1
		.amdhsa_user_sgpr_kernarg_preload_length 0
		.amdhsa_user_sgpr_kernarg_preload_offset 0
		.amdhsa_user_sgpr_private_segment_size 0
		.amdhsa_uses_dynamic_stack 0
		.amdhsa_system_sgpr_private_segment_wavefront_offset 1
		.amdhsa_system_sgpr_workgroup_id_x 1
		.amdhsa_system_sgpr_workgroup_id_y 0
		.amdhsa_system_sgpr_workgroup_id_z 0
		.amdhsa_system_sgpr_workgroup_info 0
		.amdhsa_system_vgpr_workitem_id 0
		.amdhsa_next_free_vgpr 126
		.amdhsa_next_free_sgpr 22
		.amdhsa_accum_offset 128
		.amdhsa_reserve_vcc 1
		.amdhsa_reserve_flat_scratch 1
		.amdhsa_float_round_mode_32 0
		.amdhsa_float_round_mode_16_64 0
		.amdhsa_float_denorm_mode_32 3
		.amdhsa_float_denorm_mode_16_64 3
		.amdhsa_dx10_clamp 1
		.amdhsa_ieee_mode 1
		.amdhsa_fp16_overflow 0
		.amdhsa_tg_split 0
		.amdhsa_exception_fp_ieee_invalid_op 0
		.amdhsa_exception_fp_denorm_src 0
		.amdhsa_exception_fp_ieee_div_zero 0
		.amdhsa_exception_fp_ieee_overflow 0
		.amdhsa_exception_fp_ieee_underflow 0
		.amdhsa_exception_fp_ieee_inexact 0
		.amdhsa_exception_int_div_zero 0
	.end_amdhsa_kernel
	.section	.text._ZN9rocsolver6v33100L18getri_kernel_smallILi24EdPKPdEEvT1_iilPiilS6_bb,"axG",@progbits,_ZN9rocsolver6v33100L18getri_kernel_smallILi24EdPKPdEEvT1_iilPiilS6_bb,comdat
.Lfunc_end87:
	.size	_ZN9rocsolver6v33100L18getri_kernel_smallILi24EdPKPdEEvT1_iilPiilS6_bb, .Lfunc_end87-_ZN9rocsolver6v33100L18getri_kernel_smallILi24EdPKPdEEvT1_iilPiilS6_bb
                                        ; -- End function
	.section	.AMDGPU.csdata,"",@progbits
; Kernel info:
; codeLenInByte = 20436
; NumSgprs: 28
; NumVgprs: 126
; NumAgprs: 0
; TotalNumVgprs: 126
; ScratchSize: 208
; MemoryBound: 0
; FloatMode: 240
; IeeeMode: 1
; LDSByteSize: 392 bytes/workgroup (compile time only)
; SGPRBlocks: 3
; VGPRBlocks: 15
; NumSGPRsForWavesPerEU: 28
; NumVGPRsForWavesPerEU: 126
; AccumOffset: 128
; Occupancy: 4
; WaveLimiterHint : 1
; COMPUTE_PGM_RSRC2:SCRATCH_EN: 1
; COMPUTE_PGM_RSRC2:USER_SGPR: 8
; COMPUTE_PGM_RSRC2:TRAP_HANDLER: 0
; COMPUTE_PGM_RSRC2:TGID_X_EN: 1
; COMPUTE_PGM_RSRC2:TGID_Y_EN: 0
; COMPUTE_PGM_RSRC2:TGID_Z_EN: 0
; COMPUTE_PGM_RSRC2:TIDIG_COMP_CNT: 0
; COMPUTE_PGM_RSRC3_GFX90A:ACCUM_OFFSET: 31
; COMPUTE_PGM_RSRC3_GFX90A:TG_SPLIT: 0
	.section	.text._ZN9rocsolver6v33100L18getri_kernel_smallILi25EdPKPdEEvT1_iilPiilS6_bb,"axG",@progbits,_ZN9rocsolver6v33100L18getri_kernel_smallILi25EdPKPdEEvT1_iilPiilS6_bb,comdat
	.globl	_ZN9rocsolver6v33100L18getri_kernel_smallILi25EdPKPdEEvT1_iilPiilS6_bb ; -- Begin function _ZN9rocsolver6v33100L18getri_kernel_smallILi25EdPKPdEEvT1_iilPiilS6_bb
	.p2align	8
	.type	_ZN9rocsolver6v33100L18getri_kernel_smallILi25EdPKPdEEvT1_iilPiilS6_bb,@function
_ZN9rocsolver6v33100L18getri_kernel_smallILi25EdPKPdEEvT1_iilPiilS6_bb: ; @_ZN9rocsolver6v33100L18getri_kernel_smallILi25EdPKPdEEvT1_iilPiilS6_bb
; %bb.0:
	s_add_u32 flat_scratch_lo, s6, s9
	s_addc_u32 flat_scratch_hi, s7, 0
	s_add_u32 s0, s0, s9
	s_addc_u32 s1, s1, 0
	v_cmp_gt_u32_e32 vcc, 25, v0
	s_and_saveexec_b64 s[6:7], vcc
	s_cbranch_execz .LBB88_108
; %bb.1:
	s_load_dword s18, s[4:5], 0x38
	s_load_dwordx2 s[6:7], s[4:5], 0x0
	s_load_dwordx4 s[12:15], s[4:5], 0x28
	s_waitcnt lgkmcnt(0)
	s_bitcmp1_b32 s18, 8
	s_cselect_b64 s[16:17], -1, 0
	s_ashr_i32 s9, s8, 31
	s_lshl_b64 s[10:11], s[8:9], 3
	s_add_u32 s6, s6, s10
	s_addc_u32 s7, s7, s11
	s_load_dwordx2 s[6:7], s[6:7], 0x0
	s_bfe_u32 s10, s18, 0x10008
	s_cmp_eq_u32 s10, 0
                                        ; implicit-def: $sgpr10_sgpr11
	s_cbranch_scc1 .LBB88_3
; %bb.2:
	s_load_dword s10, s[4:5], 0x20
	s_load_dwordx2 s[20:21], s[4:5], 0x18
	s_mul_i32 s11, s8, s13
	s_mul_hi_u32 s13, s8, s12
	s_add_i32 s13, s13, s11
	s_mul_i32 s19, s9, s12
	s_add_i32 s13, s13, s19
	s_mul_i32 s12, s8, s12
	s_waitcnt lgkmcnt(0)
	s_ashr_i32 s11, s10, 31
	s_lshl_b64 s[12:13], s[12:13], 2
	s_add_u32 s12, s20, s12
	s_addc_u32 s13, s21, s13
	s_lshl_b64 s[10:11], s[10:11], 2
	s_add_u32 s10, s12, s10
	s_addc_u32 s11, s13, s11
.LBB88_3:
	s_load_dwordx2 s[4:5], s[4:5], 0x8
	v_lshlrev_b32_e32 v1, 3, v0
	s_waitcnt lgkmcnt(0)
	s_ashr_i32 s13, s4, 31
	s_mov_b32 s12, s4
	s_lshl_b64 s[12:13], s[12:13], 3
	s_add_u32 s6, s6, s12
	s_addc_u32 s7, s7, s13
	v_mov_b32_e32 v3, s7
	v_add_co_u32_e32 v2, vcc, s6, v1
	s_ashr_i32 s13, s5, 31
	s_mov_b32 s12, s5
	s_add_i32 s4, s5, s5
	v_addc_co_u32_e32 v3, vcc, 0, v3, vcc
	s_lshl_b64 s[12:13], s[12:13], 3
	v_add_u32_e32 v8, s4, v0
	v_mov_b32_e32 v5, s13
	v_add_co_u32_e32 v4, vcc, s12, v2
	v_ashrrev_i32_e32 v9, 31, v8
	v_addc_co_u32_e32 v5, vcc, v3, v5, vcc
	v_lshlrev_b64 v[6:7], 3, v[8:9]
	v_add_u32_e32 v10, s5, v8
	v_mov_b32_e32 v9, s7
	v_add_co_u32_e32 v6, vcc, s6, v6
	v_ashrrev_i32_e32 v11, 31, v10
	v_addc_co_u32_e32 v7, vcc, v9, v7, vcc
	v_lshlrev_b64 v[8:9], 3, v[10:11]
	;; [unrolled: 6-line block ×22, first 2 shown]
	v_mov_b32_e32 v51, s7
	v_add_co_u32_e32 v48, vcc, s6, v48
	global_load_dwordx2 v[52:53], v1, s[6:7]
	global_load_dwordx2 v[60:61], v[4:5], off
	global_load_dwordx2 v[56:57], v[6:7], off
	;; [unrolled: 1-line block ×20, first 2 shown]
	v_addc_co_u32_e32 v49, vcc, v51, v49, vcc
	global_load_dwordx2 v[94:95], v[44:45], off
	global_load_dwordx2 v[96:97], v[46:47], off
	;; [unrolled: 1-line block ×3, first 2 shown]
	v_add_u32_e32 v50, s5, v50
	v_ashrrev_i32_e32 v51, 31, v50
	v_lshlrev_b64 v[50:51], 3, v[50:51]
	v_mov_b32_e32 v100, s7
	v_add_co_u32_e32 v50, vcc, s6, v50
	v_addc_co_u32_e32 v51, vcc, v100, v51, vcc
	global_load_dwordx2 v[100:101], v[50:51], off
	s_bitcmp0_b32 s18, 0
	s_mov_b64 s[6:7], -1
	s_waitcnt vmcnt(24)
	buffer_store_dword v53, off, s[0:3], 0 offset:4
	buffer_store_dword v52, off, s[0:3], 0
	s_waitcnt vmcnt(25)
	buffer_store_dword v61, off, s[0:3], 0 offset:12
	buffer_store_dword v60, off, s[0:3], 0 offset:8
	s_waitcnt vmcnt(26)
	buffer_store_dword v57, off, s[0:3], 0 offset:20
	buffer_store_dword v56, off, s[0:3], 0 offset:16
	;; [unrolled: 3-line block ×24, first 2 shown]
	s_cbranch_scc1 .LBB88_106
; %bb.4:
	v_cmp_eq_u32_e64 s[4:5], 0, v0
	s_and_saveexec_b64 s[6:7], s[4:5]
	s_cbranch_execz .LBB88_6
; %bb.5:
	v_mov_b32_e32 v52, 0
	ds_write_b32 v52, v52 offset:200
.LBB88_6:
	s_or_b64 exec, exec, s[6:7]
	v_mov_b32_e32 v52, 0
	v_lshl_add_u32 v52, v0, 3, v52
	s_waitcnt lgkmcnt(0)
	; wave barrier
	s_waitcnt lgkmcnt(0)
	buffer_load_dword v54, v52, s[0:3], 0 offen
	buffer_load_dword v55, v52, s[0:3], 0 offen offset:4
	s_waitcnt vmcnt(0)
	v_cmp_eq_f64_e32 vcc, 0, v[54:55]
	s_and_saveexec_b64 s[12:13], vcc
	s_cbranch_execz .LBB88_10
; %bb.7:
	v_mov_b32_e32 v53, 0
	ds_read_b32 v55, v53 offset:200
	v_add_u32_e32 v54, 1, v0
	s_waitcnt lgkmcnt(0)
	v_readfirstlane_b32 s6, v55
	s_cmp_eq_u32 s6, 0
	s_cselect_b64 s[18:19], -1, 0
	v_cmp_gt_i32_e32 vcc, s6, v54
	s_or_b64 s[18:19], s[18:19], vcc
	s_and_b64 exec, exec, s[18:19]
	s_cbranch_execz .LBB88_10
; %bb.8:
	s_mov_b64 s[18:19], 0
	v_mov_b32_e32 v55, s6
.LBB88_9:                               ; =>This Inner Loop Header: Depth=1
	ds_cmpst_rtn_b32 v55, v53, v55, v54 offset:200
	s_waitcnt lgkmcnt(0)
	v_cmp_ne_u32_e32 vcc, 0, v55
	v_cmp_le_i32_e64 s[6:7], v55, v54
	s_and_b64 s[6:7], vcc, s[6:7]
	s_and_b64 s[6:7], exec, s[6:7]
	s_or_b64 s[18:19], s[6:7], s[18:19]
	s_andn2_b64 exec, exec, s[18:19]
	s_cbranch_execnz .LBB88_9
.LBB88_10:
	s_or_b64 exec, exec, s[12:13]
	v_mov_b32_e32 v54, 0
	s_waitcnt lgkmcnt(0)
	; wave barrier
	ds_read_b32 v53, v54 offset:200
	s_and_saveexec_b64 s[6:7], s[4:5]
	s_cbranch_execz .LBB88_12
; %bb.11:
	s_lshl_b64 s[12:13], s[8:9], 2
	s_add_u32 s12, s14, s12
	s_addc_u32 s13, s15, s13
	s_waitcnt lgkmcnt(0)
	global_store_dword v54, v53, s[12:13]
.LBB88_12:
	s_or_b64 exec, exec, s[6:7]
	s_waitcnt lgkmcnt(0)
	v_cmp_ne_u32_e32 vcc, 0, v53
	s_mov_b64 s[6:7], 0
	s_cbranch_vccnz .LBB88_106
; %bb.13:
	buffer_load_dword v54, v52, s[0:3], 0 offen
	buffer_load_dword v55, v52, s[0:3], 0 offen offset:4
	s_waitcnt vmcnt(0)
	v_div_scale_f64 v[56:57], s[6:7], v[54:55], v[54:55], 1.0
	v_rcp_f64_e32 v[58:59], v[56:57]
	v_div_scale_f64 v[60:61], vcc, 1.0, v[54:55], 1.0
	v_fma_f64 v[62:63], -v[56:57], v[58:59], 1.0
	v_fmac_f64_e32 v[58:59], v[58:59], v[62:63]
	v_fma_f64 v[62:63], -v[56:57], v[58:59], 1.0
	v_fmac_f64_e32 v[58:59], v[58:59], v[62:63]
	v_mul_f64 v[62:63], v[60:61], v[58:59]
	v_fma_f64 v[56:57], -v[56:57], v[62:63], v[60:61]
	v_div_fmas_f64 v[56:57], v[56:57], v[58:59], v[62:63]
	v_div_fixup_f64 v[56:57], v[56:57], v[54:55], 1.0
	buffer_store_dword v57, v52, s[0:3], 0 offen offset:4
	buffer_store_dword v56, v52, s[0:3], 0 offen
	buffer_load_dword v59, off, s[0:3], 0 offset:12
	buffer_load_dword v58, off, s[0:3], 0 offset:8
	v_add_u32_e32 v54, 0xd0, v1
	v_xor_b32_e32 v57, 0x80000000, v57
	s_waitcnt vmcnt(0)
	ds_write2_b64 v1, v[56:57], v[58:59] offset1:26
	s_waitcnt lgkmcnt(0)
	; wave barrier
	s_waitcnt lgkmcnt(0)
	s_and_saveexec_b64 s[6:7], s[4:5]
	s_cbranch_execz .LBB88_15
; %bb.14:
	buffer_load_dword v56, v52, s[0:3], 0 offen
	buffer_load_dword v57, v52, s[0:3], 0 offen offset:4
	v_mov_b32_e32 v53, 0
	ds_read_b64 v[58:59], v54
	ds_read_b64 v[60:61], v53 offset:8
	s_waitcnt vmcnt(0) lgkmcnt(1)
	v_fma_f64 v[56:57], v[56:57], v[58:59], 0
	s_waitcnt lgkmcnt(0)
	v_mul_f64 v[56:57], v[56:57], v[60:61]
	buffer_store_dword v56, off, s[0:3], 0 offset:8
	buffer_store_dword v57, off, s[0:3], 0 offset:12
.LBB88_15:
	s_or_b64 exec, exec, s[6:7]
	s_waitcnt lgkmcnt(0)
	; wave barrier
	buffer_load_dword v56, off, s[0:3], 0 offset:16
	buffer_load_dword v57, off, s[0:3], 0 offset:20
	v_cmp_gt_u32_e32 vcc, 2, v0
	s_waitcnt vmcnt(0)
	ds_write_b64 v54, v[56:57]
	s_waitcnt lgkmcnt(0)
	; wave barrier
	s_waitcnt lgkmcnt(0)
	s_and_saveexec_b64 s[6:7], vcc
	s_cbranch_execz .LBB88_17
; %bb.16:
	buffer_load_dword v53, v52, s[0:3], 0 offen offset:4
	buffer_load_dword v60, off, s[0:3], 0 offset:8
	s_nop 0
	buffer_load_dword v52, v52, s[0:3], 0 offen
	s_nop 0
	buffer_load_dword v61, off, s[0:3], 0 offset:12
	ds_read_b64 v[62:63], v54
	v_mov_b32_e32 v55, 0
	ds_read2_b64 v[56:59], v55 offset0:2 offset1:27
	s_waitcnt vmcnt(1) lgkmcnt(1)
	v_fma_f64 v[52:53], v[52:53], v[62:63], 0
	s_waitcnt vmcnt(0) lgkmcnt(0)
	v_fma_f64 v[58:59], v[60:61], v[58:59], v[52:53]
	v_cndmask_b32_e64 v53, v53, v59, s[4:5]
	v_cndmask_b32_e64 v52, v52, v58, s[4:5]
	v_mul_f64 v[52:53], v[52:53], v[56:57]
	buffer_store_dword v53, off, s[0:3], 0 offset:20
	buffer_store_dword v52, off, s[0:3], 0 offset:16
.LBB88_17:
	s_or_b64 exec, exec, s[6:7]
	s_waitcnt lgkmcnt(0)
	; wave barrier
	buffer_load_dword v52, off, s[0:3], 0 offset:24
	buffer_load_dword v53, off, s[0:3], 0 offset:28
	v_cmp_gt_u32_e32 vcc, 3, v0
	v_add_u32_e32 v55, -1, v0
	s_waitcnt vmcnt(0)
	ds_write_b64 v54, v[52:53]
	s_waitcnt lgkmcnt(0)
	; wave barrier
	s_waitcnt lgkmcnt(0)
	s_and_saveexec_b64 s[4:5], vcc
	s_cbranch_execz .LBB88_21
; %bb.18:
	v_add_u32_e32 v56, -1, v0
	v_add_u32_e32 v57, 0xd0, v1
	v_add_u32_e32 v58, 0, v1
	s_mov_b64 s[6:7], 0
	v_pk_mov_b32 v[52:53], 0, 0
.LBB88_19:                              ; =>This Inner Loop Header: Depth=1
	buffer_load_dword v60, v58, s[0:3], 0 offen
	buffer_load_dword v61, v58, s[0:3], 0 offen offset:4
	ds_read_b64 v[62:63], v57
	v_add_u32_e32 v56, 1, v56
	v_cmp_lt_u32_e32 vcc, 1, v56
	v_add_u32_e32 v57, 8, v57
	v_add_u32_e32 v58, 8, v58
	s_or_b64 s[6:7], vcc, s[6:7]
	s_waitcnt vmcnt(0) lgkmcnt(0)
	v_fmac_f64_e32 v[52:53], v[60:61], v[62:63]
	s_andn2_b64 exec, exec, s[6:7]
	s_cbranch_execnz .LBB88_19
; %bb.20:
	s_or_b64 exec, exec, s[6:7]
	v_mov_b32_e32 v56, 0
	ds_read_b64 v[56:57], v56 offset:24
	s_waitcnt lgkmcnt(0)
	v_mul_f64 v[52:53], v[52:53], v[56:57]
	buffer_store_dword v53, off, s[0:3], 0 offset:28
	buffer_store_dword v52, off, s[0:3], 0 offset:24
.LBB88_21:
	s_or_b64 exec, exec, s[4:5]
	s_waitcnt lgkmcnt(0)
	; wave barrier
	buffer_load_dword v52, off, s[0:3], 0 offset:32
	buffer_load_dword v53, off, s[0:3], 0 offset:36
	v_cmp_gt_u32_e32 vcc, 4, v0
	s_waitcnt vmcnt(0)
	ds_write_b64 v54, v[52:53]
	s_waitcnt lgkmcnt(0)
	; wave barrier
	s_waitcnt lgkmcnt(0)
	s_and_saveexec_b64 s[4:5], vcc
	s_cbranch_execz .LBB88_25
; %bb.22:
	v_add_u32_e32 v56, -1, v0
	v_add_u32_e32 v57, 0xd0, v1
	v_add_u32_e32 v58, 0, v1
	s_mov_b64 s[6:7], 0
	v_pk_mov_b32 v[52:53], 0, 0
.LBB88_23:                              ; =>This Inner Loop Header: Depth=1
	buffer_load_dword v60, v58, s[0:3], 0 offen
	buffer_load_dword v61, v58, s[0:3], 0 offen offset:4
	ds_read_b64 v[62:63], v57
	v_add_u32_e32 v56, 1, v56
	v_cmp_lt_u32_e32 vcc, 2, v56
	v_add_u32_e32 v57, 8, v57
	v_add_u32_e32 v58, 8, v58
	s_or_b64 s[6:7], vcc, s[6:7]
	s_waitcnt vmcnt(0) lgkmcnt(0)
	v_fmac_f64_e32 v[52:53], v[60:61], v[62:63]
	s_andn2_b64 exec, exec, s[6:7]
	s_cbranch_execnz .LBB88_23
; %bb.24:
	s_or_b64 exec, exec, s[6:7]
	v_mov_b32_e32 v56, 0
	ds_read_b64 v[56:57], v56 offset:32
	s_waitcnt lgkmcnt(0)
	v_mul_f64 v[52:53], v[52:53], v[56:57]
	buffer_store_dword v53, off, s[0:3], 0 offset:36
	buffer_store_dword v52, off, s[0:3], 0 offset:32
.LBB88_25:
	s_or_b64 exec, exec, s[4:5]
	s_waitcnt lgkmcnt(0)
	; wave barrier
	buffer_load_dword v52, off, s[0:3], 0 offset:40
	buffer_load_dword v53, off, s[0:3], 0 offset:44
	v_cmp_gt_u32_e32 vcc, 5, v0
	;; [unrolled: 41-line block ×20, first 2 shown]
	s_waitcnt vmcnt(0)
	ds_write_b64 v54, v[52:53]
	s_waitcnt lgkmcnt(0)
	; wave barrier
	s_waitcnt lgkmcnt(0)
	s_and_saveexec_b64 s[4:5], vcc
	s_cbranch_execz .LBB88_101
; %bb.98:
	v_add_u32_e32 v56, -1, v0
	v_add_u32_e32 v57, 0xd0, v1
	v_add_u32_e32 v58, 0, v1
	s_mov_b64 s[6:7], 0
	v_pk_mov_b32 v[52:53], 0, 0
.LBB88_99:                              ; =>This Inner Loop Header: Depth=1
	buffer_load_dword v60, v58, s[0:3], 0 offen
	buffer_load_dword v61, v58, s[0:3], 0 offen offset:4
	ds_read_b64 v[62:63], v57
	v_add_u32_e32 v56, 1, v56
	v_cmp_lt_u32_e32 vcc, 21, v56
	v_add_u32_e32 v57, 8, v57
	v_add_u32_e32 v58, 8, v58
	s_or_b64 s[6:7], vcc, s[6:7]
	s_waitcnt vmcnt(0) lgkmcnt(0)
	v_fmac_f64_e32 v[52:53], v[60:61], v[62:63]
	s_andn2_b64 exec, exec, s[6:7]
	s_cbranch_execnz .LBB88_99
; %bb.100:
	s_or_b64 exec, exec, s[6:7]
	v_mov_b32_e32 v56, 0
	ds_read_b64 v[56:57], v56 offset:184
	s_waitcnt lgkmcnt(0)
	v_mul_f64 v[52:53], v[52:53], v[56:57]
	buffer_store_dword v53, off, s[0:3], 0 offset:188
	buffer_store_dword v52, off, s[0:3], 0 offset:184
.LBB88_101:
	s_or_b64 exec, exec, s[4:5]
	s_waitcnt lgkmcnt(0)
	; wave barrier
	buffer_load_dword v52, off, s[0:3], 0 offset:192
	buffer_load_dword v53, off, s[0:3], 0 offset:196
	v_cmp_ne_u32_e32 vcc, 24, v0
	s_waitcnt vmcnt(0)
	ds_write_b64 v54, v[52:53]
	s_waitcnt lgkmcnt(0)
	; wave barrier
	s_waitcnt lgkmcnt(0)
	s_and_saveexec_b64 s[4:5], vcc
	s_cbranch_execz .LBB88_105
; %bb.102:
	v_add_u32_e32 v54, 0xd0, v1
	v_add_u32_e32 v1, 0, v1
	s_mov_b64 s[6:7], 0
	v_pk_mov_b32 v[52:53], 0, 0
.LBB88_103:                             ; =>This Inner Loop Header: Depth=1
	buffer_load_dword v56, v1, s[0:3], 0 offen
	buffer_load_dword v57, v1, s[0:3], 0 offen offset:4
	ds_read_b64 v[58:59], v54
	v_add_u32_e32 v55, 1, v55
	v_cmp_lt_u32_e32 vcc, 22, v55
	v_add_u32_e32 v54, 8, v54
	v_add_u32_e32 v1, 8, v1
	s_or_b64 s[6:7], vcc, s[6:7]
	s_waitcnt vmcnt(0) lgkmcnt(0)
	v_fmac_f64_e32 v[52:53], v[56:57], v[58:59]
	s_andn2_b64 exec, exec, s[6:7]
	s_cbranch_execnz .LBB88_103
; %bb.104:
	s_or_b64 exec, exec, s[6:7]
	v_mov_b32_e32 v1, 0
	ds_read_b64 v[54:55], v1 offset:192
	s_waitcnt lgkmcnt(0)
	v_mul_f64 v[52:53], v[52:53], v[54:55]
	buffer_store_dword v53, off, s[0:3], 0 offset:196
	buffer_store_dword v52, off, s[0:3], 0 offset:192
.LBB88_105:
	s_or_b64 exec, exec, s[4:5]
	s_mov_b64 s[6:7], -1
	s_waitcnt lgkmcnt(0)
	; wave barrier
.LBB88_106:
	s_and_b64 vcc, exec, s[6:7]
	s_cbranch_vccz .LBB88_108
; %bb.107:
	s_lshl_b64 s[4:5], s[8:9], 2
	s_add_u32 s4, s14, s4
	s_addc_u32 s5, s15, s5
	v_mov_b32_e32 v1, 0
	global_load_dword v1, v1, s[4:5]
	s_waitcnt vmcnt(0)
	v_cmp_ne_u32_e32 vcc, 0, v1
	s_cbranch_vccz .LBB88_109
.LBB88_108:
	s_endpgm
.LBB88_109:
	v_mov_b32_e32 v1, 0xd0
	v_lshl_add_u32 v1, v0, 3, v1
	v_cmp_eq_u32_e32 vcc, 24, v0
	s_and_saveexec_b64 s[4:5], vcc
	s_cbranch_execz .LBB88_111
; %bb.110:
	buffer_load_dword v52, off, s[0:3], 0 offset:184
	buffer_load_dword v53, off, s[0:3], 0 offset:188
	v_mov_b32_e32 v54, 0
	buffer_store_dword v54, off, s[0:3], 0 offset:184
	buffer_store_dword v54, off, s[0:3], 0 offset:188
	s_waitcnt vmcnt(2)
	ds_write_b64 v1, v[52:53]
.LBB88_111:
	s_or_b64 exec, exec, s[4:5]
	s_waitcnt lgkmcnt(0)
	; wave barrier
	s_waitcnt lgkmcnt(0)
	buffer_load_dword v54, off, s[0:3], 0 offset:192
	buffer_load_dword v55, off, s[0:3], 0 offset:196
	;; [unrolled: 1-line block ×4, first 2 shown]
	v_mov_b32_e32 v52, 0
	ds_read_b64 v[58:59], v52 offset:400
	v_cmp_lt_u32_e32 vcc, 22, v0
	s_waitcnt vmcnt(2) lgkmcnt(0)
	v_fma_f64 v[54:55], v[54:55], v[58:59], 0
	s_waitcnt vmcnt(0)
	v_add_f64 v[54:55], v[56:57], -v[54:55]
	buffer_store_dword v54, off, s[0:3], 0 offset:184
	buffer_store_dword v55, off, s[0:3], 0 offset:188
	s_and_saveexec_b64 s[4:5], vcc
	s_cbranch_execz .LBB88_113
; %bb.112:
	buffer_load_dword v54, off, s[0:3], 0 offset:176
	buffer_load_dword v55, off, s[0:3], 0 offset:180
	s_waitcnt vmcnt(0)
	ds_write_b64 v1, v[54:55]
	buffer_store_dword v52, off, s[0:3], 0 offset:176
	buffer_store_dword v52, off, s[0:3], 0 offset:180
.LBB88_113:
	s_or_b64 exec, exec, s[4:5]
	s_waitcnt lgkmcnt(0)
	; wave barrier
	s_waitcnt lgkmcnt(0)
	buffer_load_dword v56, off, s[0:3], 0 offset:184
	buffer_load_dword v57, off, s[0:3], 0 offset:188
	;; [unrolled: 1-line block ×6, first 2 shown]
	ds_read2_b64 v[52:55], v52 offset0:49 offset1:50
	v_cmp_lt_u32_e32 vcc, 21, v0
	s_waitcnt vmcnt(4) lgkmcnt(0)
	v_fma_f64 v[52:53], v[56:57], v[52:53], 0
	s_waitcnt vmcnt(2)
	v_fmac_f64_e32 v[52:53], v[58:59], v[54:55]
	s_waitcnt vmcnt(0)
	v_add_f64 v[52:53], v[60:61], -v[52:53]
	buffer_store_dword v52, off, s[0:3], 0 offset:176
	buffer_store_dword v53, off, s[0:3], 0 offset:180
	s_and_saveexec_b64 s[4:5], vcc
	s_cbranch_execz .LBB88_115
; %bb.114:
	buffer_load_dword v52, off, s[0:3], 0 offset:168
	buffer_load_dword v53, off, s[0:3], 0 offset:172
	v_mov_b32_e32 v54, 0
	buffer_store_dword v54, off, s[0:3], 0 offset:168
	buffer_store_dword v54, off, s[0:3], 0 offset:172
	s_waitcnt vmcnt(2)
	ds_write_b64 v1, v[52:53]
.LBB88_115:
	s_or_b64 exec, exec, s[4:5]
	s_waitcnt lgkmcnt(0)
	; wave barrier
	s_waitcnt lgkmcnt(0)
	buffer_load_dword v58, off, s[0:3], 0 offset:176
	buffer_load_dword v59, off, s[0:3], 0 offset:180
	;; [unrolled: 1-line block ×8, first 2 shown]
	v_mov_b32_e32 v52, 0
	ds_read_b128 v[54:57], v52 offset:384
	ds_read_b64 v[66:67], v52 offset:400
	v_cmp_lt_u32_e32 vcc, 20, v0
	s_waitcnt vmcnt(6) lgkmcnt(1)
	v_fma_f64 v[54:55], v[58:59], v[54:55], 0
	s_waitcnt vmcnt(4)
	v_fmac_f64_e32 v[54:55], v[60:61], v[56:57]
	s_waitcnt vmcnt(2) lgkmcnt(0)
	v_fmac_f64_e32 v[54:55], v[62:63], v[66:67]
	s_waitcnt vmcnt(0)
	v_add_f64 v[54:55], v[64:65], -v[54:55]
	buffer_store_dword v54, off, s[0:3], 0 offset:168
	buffer_store_dword v55, off, s[0:3], 0 offset:172
	s_and_saveexec_b64 s[4:5], vcc
	s_cbranch_execz .LBB88_117
; %bb.116:
	buffer_load_dword v54, off, s[0:3], 0 offset:160
	buffer_load_dword v55, off, s[0:3], 0 offset:164
	s_waitcnt vmcnt(0)
	ds_write_b64 v1, v[54:55]
	buffer_store_dword v52, off, s[0:3], 0 offset:160
	buffer_store_dword v52, off, s[0:3], 0 offset:164
.LBB88_117:
	s_or_b64 exec, exec, s[4:5]
	s_waitcnt lgkmcnt(0)
	; wave barrier
	s_waitcnt lgkmcnt(0)
	buffer_load_dword v62, off, s[0:3], 0 offset:168
	buffer_load_dword v63, off, s[0:3], 0 offset:172
	;; [unrolled: 1-line block ×10, first 2 shown]
	ds_read2_b64 v[54:57], v52 offset0:47 offset1:48
	ds_read2_b64 v[58:61], v52 offset0:49 offset1:50
	v_cmp_lt_u32_e32 vcc, 19, v0
	s_waitcnt vmcnt(8) lgkmcnt(1)
	v_fma_f64 v[52:53], v[62:63], v[54:55], 0
	s_waitcnt vmcnt(6)
	v_fmac_f64_e32 v[52:53], v[64:65], v[56:57]
	s_waitcnt vmcnt(4) lgkmcnt(0)
	v_fmac_f64_e32 v[52:53], v[66:67], v[58:59]
	s_waitcnt vmcnt(2)
	v_fmac_f64_e32 v[52:53], v[68:69], v[60:61]
	s_waitcnt vmcnt(0)
	v_add_f64 v[52:53], v[70:71], -v[52:53]
	buffer_store_dword v52, off, s[0:3], 0 offset:160
	buffer_store_dword v53, off, s[0:3], 0 offset:164
	s_and_saveexec_b64 s[4:5], vcc
	s_cbranch_execz .LBB88_119
; %bb.118:
	buffer_load_dword v52, off, s[0:3], 0 offset:152
	buffer_load_dword v53, off, s[0:3], 0 offset:156
	v_mov_b32_e32 v54, 0
	buffer_store_dword v54, off, s[0:3], 0 offset:152
	buffer_store_dword v54, off, s[0:3], 0 offset:156
	s_waitcnt vmcnt(2)
	ds_write_b64 v1, v[52:53]
.LBB88_119:
	s_or_b64 exec, exec, s[4:5]
	s_waitcnt lgkmcnt(0)
	; wave barrier
	s_waitcnt lgkmcnt(0)
	buffer_load_dword v62, off, s[0:3], 0 offset:160
	buffer_load_dword v63, off, s[0:3], 0 offset:164
	;; [unrolled: 1-line block ×12, first 2 shown]
	v_mov_b32_e32 v52, 0
	ds_read_b128 v[54:57], v52 offset:368
	ds_read_b128 v[58:61], v52 offset:384
	ds_read_b64 v[74:75], v52 offset:400
	v_cmp_lt_u32_e32 vcc, 18, v0
	s_waitcnt vmcnt(10) lgkmcnt(2)
	v_fma_f64 v[54:55], v[62:63], v[54:55], 0
	s_waitcnt vmcnt(8)
	v_fmac_f64_e32 v[54:55], v[64:65], v[56:57]
	s_waitcnt vmcnt(6) lgkmcnt(1)
	v_fmac_f64_e32 v[54:55], v[66:67], v[58:59]
	s_waitcnt vmcnt(4)
	v_fmac_f64_e32 v[54:55], v[68:69], v[60:61]
	s_waitcnt vmcnt(2) lgkmcnt(0)
	v_fmac_f64_e32 v[54:55], v[70:71], v[74:75]
	s_waitcnt vmcnt(0)
	v_add_f64 v[54:55], v[72:73], -v[54:55]
	buffer_store_dword v54, off, s[0:3], 0 offset:152
	buffer_store_dword v55, off, s[0:3], 0 offset:156
	s_and_saveexec_b64 s[4:5], vcc
	s_cbranch_execz .LBB88_121
; %bb.120:
	buffer_load_dword v54, off, s[0:3], 0 offset:144
	buffer_load_dword v55, off, s[0:3], 0 offset:148
	s_waitcnt vmcnt(0)
	ds_write_b64 v1, v[54:55]
	buffer_store_dword v52, off, s[0:3], 0 offset:144
	buffer_store_dword v52, off, s[0:3], 0 offset:148
.LBB88_121:
	s_or_b64 exec, exec, s[4:5]
	s_waitcnt lgkmcnt(0)
	; wave barrier
	s_waitcnt lgkmcnt(0)
	buffer_load_dword v66, off, s[0:3], 0 offset:152
	buffer_load_dword v67, off, s[0:3], 0 offset:156
	;; [unrolled: 1-line block ×14, first 2 shown]
	ds_read2_b64 v[54:57], v52 offset0:45 offset1:46
	ds_read2_b64 v[58:61], v52 offset0:47 offset1:48
	;; [unrolled: 1-line block ×3, first 2 shown]
	v_cmp_lt_u32_e32 vcc, 17, v0
	s_waitcnt vmcnt(12) lgkmcnt(2)
	v_fma_f64 v[52:53], v[66:67], v[54:55], 0
	s_waitcnt vmcnt(10)
	v_fmac_f64_e32 v[52:53], v[68:69], v[56:57]
	s_waitcnt vmcnt(8) lgkmcnt(1)
	v_fmac_f64_e32 v[52:53], v[70:71], v[58:59]
	s_waitcnt vmcnt(6)
	v_fmac_f64_e32 v[52:53], v[72:73], v[60:61]
	s_waitcnt vmcnt(4) lgkmcnt(0)
	v_fmac_f64_e32 v[52:53], v[74:75], v[62:63]
	s_waitcnt vmcnt(2)
	v_fmac_f64_e32 v[52:53], v[76:77], v[64:65]
	s_waitcnt vmcnt(0)
	v_add_f64 v[52:53], v[78:79], -v[52:53]
	buffer_store_dword v52, off, s[0:3], 0 offset:144
	buffer_store_dword v53, off, s[0:3], 0 offset:148
	s_and_saveexec_b64 s[4:5], vcc
	s_cbranch_execz .LBB88_123
; %bb.122:
	buffer_load_dword v52, off, s[0:3], 0 offset:136
	buffer_load_dword v53, off, s[0:3], 0 offset:140
	v_mov_b32_e32 v54, 0
	buffer_store_dword v54, off, s[0:3], 0 offset:136
	buffer_store_dword v54, off, s[0:3], 0 offset:140
	s_waitcnt vmcnt(2)
	ds_write_b64 v1, v[52:53]
.LBB88_123:
	s_or_b64 exec, exec, s[4:5]
	s_waitcnt lgkmcnt(0)
	; wave barrier
	s_waitcnt lgkmcnt(0)
	buffer_load_dword v66, off, s[0:3], 0 offset:144
	buffer_load_dword v67, off, s[0:3], 0 offset:148
	;; [unrolled: 1-line block ×16, first 2 shown]
	v_mov_b32_e32 v52, 0
	ds_read_b128 v[54:57], v52 offset:352
	ds_read_b128 v[58:61], v52 offset:368
	;; [unrolled: 1-line block ×3, first 2 shown]
	ds_read_b64 v[82:83], v52 offset:400
	v_cmp_lt_u32_e32 vcc, 16, v0
	s_waitcnt vmcnt(14) lgkmcnt(3)
	v_fma_f64 v[54:55], v[66:67], v[54:55], 0
	s_waitcnt vmcnt(12)
	v_fmac_f64_e32 v[54:55], v[68:69], v[56:57]
	s_waitcnt vmcnt(10) lgkmcnt(2)
	v_fmac_f64_e32 v[54:55], v[70:71], v[58:59]
	s_waitcnt vmcnt(8)
	v_fmac_f64_e32 v[54:55], v[72:73], v[60:61]
	s_waitcnt vmcnt(6) lgkmcnt(1)
	v_fmac_f64_e32 v[54:55], v[74:75], v[62:63]
	;; [unrolled: 4-line block ×3, first 2 shown]
	s_waitcnt vmcnt(0)
	v_add_f64 v[54:55], v[80:81], -v[54:55]
	buffer_store_dword v54, off, s[0:3], 0 offset:136
	buffer_store_dword v55, off, s[0:3], 0 offset:140
	s_and_saveexec_b64 s[4:5], vcc
	s_cbranch_execz .LBB88_125
; %bb.124:
	buffer_load_dword v54, off, s[0:3], 0 offset:128
	buffer_load_dword v55, off, s[0:3], 0 offset:132
	s_waitcnt vmcnt(0)
	ds_write_b64 v1, v[54:55]
	buffer_store_dword v52, off, s[0:3], 0 offset:128
	buffer_store_dword v52, off, s[0:3], 0 offset:132
.LBB88_125:
	s_or_b64 exec, exec, s[4:5]
	s_waitcnt lgkmcnt(0)
	; wave barrier
	s_waitcnt lgkmcnt(0)
	buffer_load_dword v70, off, s[0:3], 0 offset:136
	buffer_load_dword v71, off, s[0:3], 0 offset:140
	;; [unrolled: 1-line block ×18, first 2 shown]
	ds_read2_b64 v[54:57], v52 offset0:43 offset1:44
	ds_read2_b64 v[58:61], v52 offset0:45 offset1:46
	ds_read2_b64 v[62:65], v52 offset0:47 offset1:48
	ds_read2_b64 v[66:69], v52 offset0:49 offset1:50
	v_cmp_lt_u32_e32 vcc, 15, v0
	s_waitcnt vmcnt(16) lgkmcnt(3)
	v_fma_f64 v[52:53], v[70:71], v[54:55], 0
	s_waitcnt vmcnt(14)
	v_fmac_f64_e32 v[52:53], v[72:73], v[56:57]
	s_waitcnt vmcnt(12) lgkmcnt(2)
	v_fmac_f64_e32 v[52:53], v[74:75], v[58:59]
	s_waitcnt vmcnt(10)
	v_fmac_f64_e32 v[52:53], v[76:77], v[60:61]
	s_waitcnt vmcnt(8) lgkmcnt(1)
	v_fmac_f64_e32 v[52:53], v[78:79], v[62:63]
	;; [unrolled: 4-line block ×3, first 2 shown]
	s_waitcnt vmcnt(2)
	v_fmac_f64_e32 v[52:53], v[84:85], v[68:69]
	s_waitcnt vmcnt(0)
	v_add_f64 v[52:53], v[86:87], -v[52:53]
	buffer_store_dword v52, off, s[0:3], 0 offset:128
	buffer_store_dword v53, off, s[0:3], 0 offset:132
	s_and_saveexec_b64 s[4:5], vcc
	s_cbranch_execz .LBB88_127
; %bb.126:
	buffer_load_dword v52, off, s[0:3], 0 offset:120
	buffer_load_dword v53, off, s[0:3], 0 offset:124
	v_mov_b32_e32 v54, 0
	buffer_store_dword v54, off, s[0:3], 0 offset:120
	buffer_store_dword v54, off, s[0:3], 0 offset:124
	s_waitcnt vmcnt(2)
	ds_write_b64 v1, v[52:53]
.LBB88_127:
	s_or_b64 exec, exec, s[4:5]
	s_waitcnt lgkmcnt(0)
	; wave barrier
	s_waitcnt lgkmcnt(0)
	buffer_load_dword v70, off, s[0:3], 0 offset:128
	buffer_load_dword v71, off, s[0:3], 0 offset:132
	;; [unrolled: 1-line block ×20, first 2 shown]
	v_mov_b32_e32 v52, 0
	ds_read_b128 v[54:57], v52 offset:336
	ds_read_b128 v[58:61], v52 offset:352
	;; [unrolled: 1-line block ×4, first 2 shown]
	ds_read_b64 v[90:91], v52 offset:400
	v_cmp_lt_u32_e32 vcc, 14, v0
	s_waitcnt vmcnt(18) lgkmcnt(4)
	v_fma_f64 v[54:55], v[70:71], v[54:55], 0
	s_waitcnt vmcnt(16)
	v_fmac_f64_e32 v[54:55], v[72:73], v[56:57]
	s_waitcnt vmcnt(14) lgkmcnt(3)
	v_fmac_f64_e32 v[54:55], v[74:75], v[58:59]
	s_waitcnt vmcnt(12)
	v_fmac_f64_e32 v[54:55], v[76:77], v[60:61]
	s_waitcnt vmcnt(10) lgkmcnt(2)
	v_fmac_f64_e32 v[54:55], v[78:79], v[62:63]
	;; [unrolled: 4-line block ×3, first 2 shown]
	s_waitcnt vmcnt(2)
	v_fmac_f64_e32 v[54:55], v[86:87], v[68:69]
	s_waitcnt lgkmcnt(0)
	v_fmac_f64_e32 v[54:55], v[84:85], v[90:91]
	s_waitcnt vmcnt(0)
	v_add_f64 v[54:55], v[88:89], -v[54:55]
	buffer_store_dword v54, off, s[0:3], 0 offset:120
	buffer_store_dword v55, off, s[0:3], 0 offset:124
	s_and_saveexec_b64 s[4:5], vcc
	s_cbranch_execz .LBB88_129
; %bb.128:
	buffer_load_dword v54, off, s[0:3], 0 offset:112
	buffer_load_dword v55, off, s[0:3], 0 offset:116
	s_waitcnt vmcnt(0)
	ds_write_b64 v1, v[54:55]
	buffer_store_dword v52, off, s[0:3], 0 offset:112
	buffer_store_dword v52, off, s[0:3], 0 offset:116
.LBB88_129:
	s_or_b64 exec, exec, s[4:5]
	s_waitcnt lgkmcnt(0)
	; wave barrier
	s_waitcnt lgkmcnt(0)
	buffer_load_dword v74, off, s[0:3], 0 offset:120
	buffer_load_dword v75, off, s[0:3], 0 offset:124
	;; [unrolled: 1-line block ×22, first 2 shown]
	ds_read2_b64 v[54:57], v52 offset0:41 offset1:42
	ds_read2_b64 v[58:61], v52 offset0:43 offset1:44
	ds_read2_b64 v[62:65], v52 offset0:45 offset1:46
	ds_read2_b64 v[66:69], v52 offset0:47 offset1:48
	ds_read2_b64 v[70:73], v52 offset0:49 offset1:50
	v_cmp_lt_u32_e32 vcc, 13, v0
	s_waitcnt vmcnt(20) lgkmcnt(4)
	v_fma_f64 v[52:53], v[74:75], v[54:55], 0
	s_waitcnt vmcnt(18)
	v_fmac_f64_e32 v[52:53], v[76:77], v[56:57]
	s_waitcnt vmcnt(16) lgkmcnt(3)
	v_fmac_f64_e32 v[52:53], v[78:79], v[58:59]
	s_waitcnt vmcnt(14)
	v_fmac_f64_e32 v[52:53], v[80:81], v[60:61]
	s_waitcnt vmcnt(12) lgkmcnt(2)
	v_fmac_f64_e32 v[52:53], v[82:83], v[62:63]
	;; [unrolled: 4-line block ×3, first 2 shown]
	s_waitcnt vmcnt(3)
	v_fmac_f64_e32 v[52:53], v[92:93], v[68:69]
	s_waitcnt lgkmcnt(0)
	v_fmac_f64_e32 v[52:53], v[90:91], v[70:71]
	s_waitcnt vmcnt(2)
	v_fmac_f64_e32 v[52:53], v[88:89], v[72:73]
	s_waitcnt vmcnt(0)
	v_add_f64 v[52:53], v[94:95], -v[52:53]
	buffer_store_dword v52, off, s[0:3], 0 offset:112
	buffer_store_dword v53, off, s[0:3], 0 offset:116
	s_and_saveexec_b64 s[4:5], vcc
	s_cbranch_execz .LBB88_131
; %bb.130:
	buffer_load_dword v52, off, s[0:3], 0 offset:104
	buffer_load_dword v53, off, s[0:3], 0 offset:108
	v_mov_b32_e32 v54, 0
	buffer_store_dword v54, off, s[0:3], 0 offset:104
	buffer_store_dword v54, off, s[0:3], 0 offset:108
	s_waitcnt vmcnt(2)
	ds_write_b64 v1, v[52:53]
.LBB88_131:
	s_or_b64 exec, exec, s[4:5]
	s_waitcnt lgkmcnt(0)
	; wave barrier
	s_waitcnt lgkmcnt(0)
	buffer_load_dword v74, off, s[0:3], 0 offset:112
	buffer_load_dword v75, off, s[0:3], 0 offset:116
	;; [unrolled: 1-line block ×24, first 2 shown]
	v_mov_b32_e32 v52, 0
	ds_read_b128 v[54:57], v52 offset:320
	ds_read_b128 v[58:61], v52 offset:336
	;; [unrolled: 1-line block ×5, first 2 shown]
	ds_read_b64 v[98:99], v52 offset:400
	v_cmp_lt_u32_e32 vcc, 12, v0
	s_waitcnt vmcnt(22) lgkmcnt(5)
	v_fma_f64 v[54:55], v[74:75], v[54:55], 0
	s_waitcnt vmcnt(20)
	v_fmac_f64_e32 v[54:55], v[76:77], v[56:57]
	s_waitcnt vmcnt(18) lgkmcnt(4)
	v_fmac_f64_e32 v[54:55], v[78:79], v[58:59]
	s_waitcnt vmcnt(16)
	v_fmac_f64_e32 v[54:55], v[80:81], v[60:61]
	s_waitcnt vmcnt(14) lgkmcnt(3)
	v_fmac_f64_e32 v[54:55], v[82:83], v[62:63]
	;; [unrolled: 4-line block ×3, first 2 shown]
	s_waitcnt vmcnt(4)
	v_fmac_f64_e32 v[54:55], v[94:95], v[68:69]
	s_waitcnt lgkmcnt(1)
	v_fmac_f64_e32 v[54:55], v[92:93], v[70:71]
	s_waitcnt vmcnt(3)
	v_fmac_f64_e32 v[54:55], v[90:91], v[72:73]
	s_waitcnt vmcnt(2) lgkmcnt(0)
	v_fmac_f64_e32 v[54:55], v[88:89], v[98:99]
	s_waitcnt vmcnt(0)
	v_add_f64 v[54:55], v[96:97], -v[54:55]
	buffer_store_dword v55, off, s[0:3], 0 offset:108
	buffer_store_dword v54, off, s[0:3], 0 offset:104
	s_and_saveexec_b64 s[4:5], vcc
	s_cbranch_execz .LBB88_133
; %bb.132:
	buffer_load_dword v54, off, s[0:3], 0 offset:96
	buffer_load_dword v55, off, s[0:3], 0 offset:100
	s_waitcnt vmcnt(0)
	ds_write_b64 v1, v[54:55]
	buffer_store_dword v52, off, s[0:3], 0 offset:96
	buffer_store_dword v52, off, s[0:3], 0 offset:100
.LBB88_133:
	s_or_b64 exec, exec, s[4:5]
	s_waitcnt lgkmcnt(0)
	; wave barrier
	s_waitcnt lgkmcnt(0)
	buffer_load_dword v78, off, s[0:3], 0 offset:104
	buffer_load_dword v79, off, s[0:3], 0 offset:108
	;; [unrolled: 1-line block ×26, first 2 shown]
	ds_read2_b64 v[54:57], v52 offset0:39 offset1:40
	ds_read2_b64 v[58:61], v52 offset0:41 offset1:42
	;; [unrolled: 1-line block ×6, first 2 shown]
	v_cmp_lt_u32_e32 vcc, 11, v0
	s_waitcnt vmcnt(24) lgkmcnt(5)
	v_fma_f64 v[52:53], v[78:79], v[54:55], 0
	s_waitcnt vmcnt(22)
	v_fmac_f64_e32 v[52:53], v[80:81], v[56:57]
	s_waitcnt vmcnt(20) lgkmcnt(4)
	v_fmac_f64_e32 v[52:53], v[82:83], v[58:59]
	s_waitcnt vmcnt(18)
	v_fmac_f64_e32 v[52:53], v[84:85], v[60:61]
	s_waitcnt vmcnt(16) lgkmcnt(3)
	v_fmac_f64_e32 v[52:53], v[86:87], v[62:63]
	;; [unrolled: 4-line block ×3, first 2 shown]
	s_waitcnt vmcnt(5)
	v_fmac_f64_e32 v[52:53], v[98:99], v[68:69]
	s_waitcnt lgkmcnt(1)
	v_fmac_f64_e32 v[52:53], v[96:97], v[70:71]
	v_fmac_f64_e32 v[52:53], v[94:95], v[72:73]
	s_waitcnt vmcnt(4) lgkmcnt(0)
	v_fmac_f64_e32 v[52:53], v[92:93], v[74:75]
	s_waitcnt vmcnt(2)
	v_fmac_f64_e32 v[52:53], v[100:101], v[76:77]
	s_waitcnt vmcnt(0)
	v_add_f64 v[52:53], v[102:103], -v[52:53]
	buffer_store_dword v53, off, s[0:3], 0 offset:100
	buffer_store_dword v52, off, s[0:3], 0 offset:96
	s_and_saveexec_b64 s[4:5], vcc
	s_cbranch_execz .LBB88_135
; %bb.134:
	buffer_load_dword v52, off, s[0:3], 0 offset:88
	buffer_load_dword v53, off, s[0:3], 0 offset:92
	v_mov_b32_e32 v54, 0
	buffer_store_dword v54, off, s[0:3], 0 offset:88
	buffer_store_dword v54, off, s[0:3], 0 offset:92
	s_waitcnt vmcnt(2)
	ds_write_b64 v1, v[52:53]
.LBB88_135:
	s_or_b64 exec, exec, s[4:5]
	s_waitcnt lgkmcnt(0)
	; wave barrier
	s_waitcnt lgkmcnt(0)
	buffer_load_dword v78, off, s[0:3], 0 offset:96
	buffer_load_dword v79, off, s[0:3], 0 offset:100
	buffer_load_dword v80, off, s[0:3], 0 offset:104
	buffer_load_dword v81, off, s[0:3], 0 offset:108
	buffer_load_dword v82, off, s[0:3], 0 offset:112
	buffer_load_dword v83, off, s[0:3], 0 offset:116
	buffer_load_dword v84, off, s[0:3], 0 offset:120
	buffer_load_dword v85, off, s[0:3], 0 offset:124
	buffer_load_dword v86, off, s[0:3], 0 offset:128
	buffer_load_dword v87, off, s[0:3], 0 offset:132
	buffer_load_dword v88, off, s[0:3], 0 offset:136
	buffer_load_dword v89, off, s[0:3], 0 offset:140
	buffer_load_dword v90, off, s[0:3], 0 offset:144
	buffer_load_dword v91, off, s[0:3], 0 offset:148
	buffer_load_dword v93, off, s[0:3], 0 offset:180
	buffer_load_dword v92, off, s[0:3], 0 offset:176
	buffer_load_dword v95, off, s[0:3], 0 offset:172
	buffer_load_dword v94, off, s[0:3], 0 offset:168
	buffer_load_dword v97, off, s[0:3], 0 offset:164
	buffer_load_dword v96, off, s[0:3], 0 offset:160
	buffer_load_dword v99, off, s[0:3], 0 offset:156
	buffer_load_dword v98, off, s[0:3], 0 offset:152
	buffer_load_dword v101, off, s[0:3], 0 offset:196
	buffer_load_dword v100, off, s[0:3], 0 offset:192
	buffer_load_dword v103, off, s[0:3], 0 offset:188
	buffer_load_dword v102, off, s[0:3], 0 offset:184
	buffer_load_dword v104, off, s[0:3], 0 offset:88
	buffer_load_dword v105, off, s[0:3], 0 offset:92
	v_mov_b32_e32 v52, 0
	ds_read_b128 v[54:57], v52 offset:304
	ds_read_b128 v[58:61], v52 offset:320
	;; [unrolled: 1-line block ×6, first 2 shown]
	ds_read_b64 v[106:107], v52 offset:400
	v_cmp_lt_u32_e32 vcc, 10, v0
	s_waitcnt vmcnt(26) lgkmcnt(6)
	v_fma_f64 v[54:55], v[78:79], v[54:55], 0
	s_waitcnt vmcnt(24)
	v_fmac_f64_e32 v[54:55], v[80:81], v[56:57]
	s_waitcnt vmcnt(22) lgkmcnt(5)
	v_fmac_f64_e32 v[54:55], v[82:83], v[58:59]
	s_waitcnt vmcnt(20)
	v_fmac_f64_e32 v[54:55], v[84:85], v[60:61]
	s_waitcnt vmcnt(18) lgkmcnt(4)
	v_fmac_f64_e32 v[54:55], v[86:87], v[62:63]
	;; [unrolled: 4-line block ×3, first 2 shown]
	s_waitcnt vmcnt(6)
	v_fmac_f64_e32 v[54:55], v[98:99], v[68:69]
	s_waitcnt lgkmcnt(2)
	v_fmac_f64_e32 v[54:55], v[96:97], v[70:71]
	v_fmac_f64_e32 v[54:55], v[94:95], v[72:73]
	s_waitcnt lgkmcnt(1)
	v_fmac_f64_e32 v[54:55], v[92:93], v[74:75]
	s_waitcnt vmcnt(2)
	v_fmac_f64_e32 v[54:55], v[102:103], v[76:77]
	s_waitcnt lgkmcnt(0)
	v_fmac_f64_e32 v[54:55], v[100:101], v[106:107]
	s_waitcnt vmcnt(0)
	v_add_f64 v[54:55], v[104:105], -v[54:55]
	buffer_store_dword v55, off, s[0:3], 0 offset:92
	buffer_store_dword v54, off, s[0:3], 0 offset:88
	s_and_saveexec_b64 s[4:5], vcc
	s_cbranch_execz .LBB88_137
; %bb.136:
	buffer_load_dword v54, off, s[0:3], 0 offset:80
	buffer_load_dword v55, off, s[0:3], 0 offset:84
	s_waitcnt vmcnt(0)
	ds_write_b64 v1, v[54:55]
	buffer_store_dword v52, off, s[0:3], 0 offset:80
	buffer_store_dword v52, off, s[0:3], 0 offset:84
.LBB88_137:
	s_or_b64 exec, exec, s[4:5]
	s_waitcnt lgkmcnt(0)
	; wave barrier
	s_waitcnt lgkmcnt(0)
	buffer_load_dword v82, off, s[0:3], 0 offset:88
	buffer_load_dword v83, off, s[0:3], 0 offset:92
	;; [unrolled: 1-line block ×30, first 2 shown]
	ds_read2_b64 v[54:57], v52 offset0:37 offset1:38
	ds_read2_b64 v[58:61], v52 offset0:39 offset1:40
	;; [unrolled: 1-line block ×7, first 2 shown]
	v_cmp_lt_u32_e32 vcc, 9, v0
	s_waitcnt vmcnt(28) lgkmcnt(6)
	v_fma_f64 v[52:53], v[82:83], v[54:55], 0
	s_waitcnt vmcnt(26)
	v_fmac_f64_e32 v[52:53], v[84:85], v[56:57]
	s_waitcnt vmcnt(24) lgkmcnt(5)
	v_fmac_f64_e32 v[52:53], v[86:87], v[58:59]
	s_waitcnt vmcnt(22)
	v_fmac_f64_e32 v[52:53], v[88:89], v[60:61]
	s_waitcnt vmcnt(20) lgkmcnt(4)
	v_fmac_f64_e32 v[52:53], v[90:91], v[62:63]
	s_waitcnt vmcnt(18)
	v_fmac_f64_e32 v[52:53], v[92:93], v[64:65]
	s_waitcnt vmcnt(16) lgkmcnt(3)
	v_fmac_f64_e32 v[52:53], v[94:95], v[66:67]
	s_waitcnt vmcnt(8)
	v_fmac_f64_e32 v[52:53], v[102:103], v[68:69]
	s_waitcnt lgkmcnt(2)
	v_fmac_f64_e32 v[52:53], v[100:101], v[70:71]
	v_fmac_f64_e32 v[52:53], v[98:99], v[72:73]
	s_waitcnt lgkmcnt(1)
	v_fmac_f64_e32 v[52:53], v[96:97], v[74:75]
	s_waitcnt vmcnt(3)
	v_fmac_f64_e32 v[52:53], v[108:109], v[76:77]
	s_waitcnt lgkmcnt(0)
	v_fmac_f64_e32 v[52:53], v[106:107], v[78:79]
	s_waitcnt vmcnt(2)
	v_fmac_f64_e32 v[52:53], v[104:105], v[80:81]
	s_waitcnt vmcnt(0)
	v_add_f64 v[52:53], v[110:111], -v[52:53]
	buffer_store_dword v53, off, s[0:3], 0 offset:84
	buffer_store_dword v52, off, s[0:3], 0 offset:80
	s_and_saveexec_b64 s[4:5], vcc
	s_cbranch_execz .LBB88_139
; %bb.138:
	buffer_load_dword v52, off, s[0:3], 0 offset:72
	buffer_load_dword v53, off, s[0:3], 0 offset:76
	v_mov_b32_e32 v54, 0
	buffer_store_dword v54, off, s[0:3], 0 offset:72
	buffer_store_dword v54, off, s[0:3], 0 offset:76
	s_waitcnt vmcnt(2)
	ds_write_b64 v1, v[52:53]
.LBB88_139:
	s_or_b64 exec, exec, s[4:5]
	s_waitcnt lgkmcnt(0)
	; wave barrier
	s_waitcnt lgkmcnt(0)
	buffer_load_dword v82, off, s[0:3], 0 offset:80
	buffer_load_dword v83, off, s[0:3], 0 offset:84
	;; [unrolled: 1-line block ×32, first 2 shown]
	v_mov_b32_e32 v52, 0
	ds_read_b128 v[54:57], v52 offset:288
	ds_read_b128 v[58:61], v52 offset:304
	;; [unrolled: 1-line block ×7, first 2 shown]
	ds_read_b64 v[114:115], v52 offset:400
	v_cmp_lt_u32_e32 vcc, 8, v0
	s_waitcnt vmcnt(30) lgkmcnt(7)
	v_fma_f64 v[54:55], v[82:83], v[54:55], 0
	s_waitcnt vmcnt(28)
	v_fmac_f64_e32 v[54:55], v[84:85], v[56:57]
	s_waitcnt vmcnt(26) lgkmcnt(6)
	v_fmac_f64_e32 v[54:55], v[86:87], v[58:59]
	s_waitcnt vmcnt(24)
	v_fmac_f64_e32 v[54:55], v[88:89], v[60:61]
	s_waitcnt vmcnt(22) lgkmcnt(5)
	v_fmac_f64_e32 v[54:55], v[90:91], v[62:63]
	;; [unrolled: 4-line block ×3, first 2 shown]
	s_waitcnt vmcnt(10)
	v_fmac_f64_e32 v[54:55], v[102:103], v[68:69]
	s_waitcnt lgkmcnt(3)
	v_fmac_f64_e32 v[54:55], v[100:101], v[70:71]
	v_fmac_f64_e32 v[54:55], v[98:99], v[72:73]
	s_waitcnt lgkmcnt(2)
	v_fmac_f64_e32 v[54:55], v[96:97], v[74:75]
	s_waitcnt vmcnt(4)
	v_fmac_f64_e32 v[54:55], v[110:111], v[76:77]
	s_waitcnt lgkmcnt(1)
	v_fmac_f64_e32 v[54:55], v[108:109], v[78:79]
	s_waitcnt vmcnt(3)
	v_fmac_f64_e32 v[54:55], v[106:107], v[80:81]
	s_waitcnt vmcnt(2) lgkmcnt(0)
	v_fmac_f64_e32 v[54:55], v[104:105], v[114:115]
	s_waitcnt vmcnt(0)
	v_add_f64 v[54:55], v[112:113], -v[54:55]
	buffer_store_dword v55, off, s[0:3], 0 offset:76
	buffer_store_dword v54, off, s[0:3], 0 offset:72
	s_and_saveexec_b64 s[4:5], vcc
	s_cbranch_execz .LBB88_141
; %bb.140:
	buffer_load_dword v54, off, s[0:3], 0 offset:64
	buffer_load_dword v55, off, s[0:3], 0 offset:68
	s_waitcnt vmcnt(0)
	ds_write_b64 v1, v[54:55]
	buffer_store_dword v52, off, s[0:3], 0 offset:64
	buffer_store_dword v52, off, s[0:3], 0 offset:68
.LBB88_141:
	s_or_b64 exec, exec, s[4:5]
	s_waitcnt lgkmcnt(0)
	; wave barrier
	s_waitcnt lgkmcnt(0)
	buffer_load_dword v86, off, s[0:3], 0 offset:72
	buffer_load_dword v87, off, s[0:3], 0 offset:76
	;; [unrolled: 1-line block ×34, first 2 shown]
	ds_read2_b64 v[54:57], v52 offset0:35 offset1:36
	ds_read2_b64 v[58:61], v52 offset0:37 offset1:38
	;; [unrolled: 1-line block ×8, first 2 shown]
	v_cmp_lt_u32_e32 vcc, 7, v0
	s_waitcnt vmcnt(32) lgkmcnt(7)
	v_fma_f64 v[52:53], v[86:87], v[54:55], 0
	s_waitcnt vmcnt(30)
	v_fmac_f64_e32 v[52:53], v[88:89], v[56:57]
	s_waitcnt vmcnt(28) lgkmcnt(6)
	v_fmac_f64_e32 v[52:53], v[90:91], v[58:59]
	s_waitcnt vmcnt(26)
	v_fmac_f64_e32 v[52:53], v[92:93], v[60:61]
	s_waitcnt vmcnt(24) lgkmcnt(5)
	v_fmac_f64_e32 v[52:53], v[94:95], v[62:63]
	;; [unrolled: 4-line block ×3, first 2 shown]
	s_waitcnt vmcnt(12)
	v_fmac_f64_e32 v[52:53], v[106:107], v[68:69]
	s_waitcnt lgkmcnt(3)
	v_fmac_f64_e32 v[52:53], v[104:105], v[70:71]
	v_fmac_f64_e32 v[52:53], v[102:103], v[72:73]
	s_waitcnt lgkmcnt(2)
	v_fmac_f64_e32 v[52:53], v[100:101], v[74:75]
	s_waitcnt vmcnt(5)
	v_fmac_f64_e32 v[52:53], v[114:115], v[76:77]
	s_waitcnt lgkmcnt(1)
	v_fmac_f64_e32 v[52:53], v[112:113], v[78:79]
	v_fmac_f64_e32 v[52:53], v[110:111], v[80:81]
	s_waitcnt vmcnt(4) lgkmcnt(0)
	v_fmac_f64_e32 v[52:53], v[108:109], v[82:83]
	s_waitcnt vmcnt(2)
	v_fmac_f64_e32 v[52:53], v[116:117], v[84:85]
	s_waitcnt vmcnt(0)
	v_add_f64 v[52:53], v[118:119], -v[52:53]
	buffer_store_dword v53, off, s[0:3], 0 offset:68
	buffer_store_dword v52, off, s[0:3], 0 offset:64
	s_and_saveexec_b64 s[4:5], vcc
	s_cbranch_execz .LBB88_143
; %bb.142:
	buffer_load_dword v52, off, s[0:3], 0 offset:56
	buffer_load_dword v53, off, s[0:3], 0 offset:60
	v_mov_b32_e32 v54, 0
	buffer_store_dword v54, off, s[0:3], 0 offset:56
	buffer_store_dword v54, off, s[0:3], 0 offset:60
	s_waitcnt vmcnt(2)
	ds_write_b64 v1, v[52:53]
.LBB88_143:
	s_or_b64 exec, exec, s[4:5]
	s_waitcnt lgkmcnt(0)
	; wave barrier
	s_waitcnt lgkmcnt(0)
	buffer_load_dword v86, off, s[0:3], 0 offset:64
	buffer_load_dword v87, off, s[0:3], 0 offset:68
	;; [unrolled: 1-line block ×36, first 2 shown]
	v_mov_b32_e32 v52, 0
	ds_read_b128 v[54:57], v52 offset:272
	ds_read_b128 v[58:61], v52 offset:288
	;; [unrolled: 1-line block ×8, first 2 shown]
	ds_read_b64 v[122:123], v52 offset:400
	v_cmp_lt_u32_e32 vcc, 6, v0
	s_waitcnt vmcnt(34) lgkmcnt(8)
	v_fma_f64 v[54:55], v[86:87], v[54:55], 0
	s_waitcnt vmcnt(32)
	v_fmac_f64_e32 v[54:55], v[88:89], v[56:57]
	s_waitcnt vmcnt(30) lgkmcnt(7)
	v_fmac_f64_e32 v[54:55], v[90:91], v[58:59]
	s_waitcnt vmcnt(28)
	v_fmac_f64_e32 v[54:55], v[92:93], v[60:61]
	s_waitcnt vmcnt(26) lgkmcnt(6)
	v_fmac_f64_e32 v[54:55], v[94:95], v[62:63]
	;; [unrolled: 4-line block ×3, first 2 shown]
	s_waitcnt vmcnt(14)
	v_fmac_f64_e32 v[54:55], v[106:107], v[68:69]
	s_waitcnt lgkmcnt(4)
	v_fmac_f64_e32 v[54:55], v[104:105], v[70:71]
	v_fmac_f64_e32 v[54:55], v[102:103], v[72:73]
	s_waitcnt lgkmcnt(3)
	v_fmac_f64_e32 v[54:55], v[100:101], v[74:75]
	s_waitcnt vmcnt(6)
	v_fmac_f64_e32 v[54:55], v[114:115], v[76:77]
	s_waitcnt lgkmcnt(2)
	v_fmac_f64_e32 v[54:55], v[112:113], v[78:79]
	v_fmac_f64_e32 v[54:55], v[110:111], v[80:81]
	s_waitcnt lgkmcnt(1)
	v_fmac_f64_e32 v[54:55], v[108:109], v[82:83]
	s_waitcnt vmcnt(2)
	v_fmac_f64_e32 v[54:55], v[118:119], v[84:85]
	s_waitcnt lgkmcnt(0)
	v_fmac_f64_e32 v[54:55], v[116:117], v[122:123]
	s_waitcnt vmcnt(0)
	v_add_f64 v[54:55], v[120:121], -v[54:55]
	buffer_store_dword v55, off, s[0:3], 0 offset:60
	buffer_store_dword v54, off, s[0:3], 0 offset:56
	s_and_saveexec_b64 s[4:5], vcc
	s_cbranch_execz .LBB88_145
; %bb.144:
	buffer_load_dword v54, off, s[0:3], 0 offset:48
	buffer_load_dword v55, off, s[0:3], 0 offset:52
	s_waitcnt vmcnt(0)
	ds_write_b64 v1, v[54:55]
	buffer_store_dword v52, off, s[0:3], 0 offset:48
	buffer_store_dword v52, off, s[0:3], 0 offset:52
.LBB88_145:
	s_or_b64 exec, exec, s[4:5]
	s_waitcnt lgkmcnt(0)
	; wave barrier
	s_waitcnt lgkmcnt(0)
	buffer_load_dword v90, off, s[0:3], 0 offset:56
	buffer_load_dword v91, off, s[0:3], 0 offset:60
	;; [unrolled: 1-line block ×38, first 2 shown]
	ds_read2_b64 v[54:57], v52 offset0:33 offset1:34
	ds_read2_b64 v[58:61], v52 offset0:35 offset1:36
	;; [unrolled: 1-line block ×9, first 2 shown]
	v_cmp_lt_u32_e32 vcc, 5, v0
	s_waitcnt vmcnt(36) lgkmcnt(8)
	v_fma_f64 v[52:53], v[90:91], v[54:55], 0
	s_waitcnt vmcnt(34)
	v_fmac_f64_e32 v[52:53], v[92:93], v[56:57]
	s_waitcnt vmcnt(32) lgkmcnt(7)
	v_fmac_f64_e32 v[52:53], v[94:95], v[58:59]
	s_waitcnt vmcnt(30)
	v_fmac_f64_e32 v[52:53], v[96:97], v[60:61]
	s_waitcnt vmcnt(28) lgkmcnt(6)
	v_fmac_f64_e32 v[52:53], v[98:99], v[62:63]
	;; [unrolled: 4-line block ×3, first 2 shown]
	s_waitcnt vmcnt(16)
	v_fmac_f64_e32 v[52:53], v[110:111], v[68:69]
	s_waitcnt lgkmcnt(4)
	v_fmac_f64_e32 v[52:53], v[108:109], v[70:71]
	v_fmac_f64_e32 v[52:53], v[106:107], v[72:73]
	s_waitcnt lgkmcnt(3)
	v_fmac_f64_e32 v[52:53], v[104:105], v[74:75]
	s_waitcnt vmcnt(8)
	v_fmac_f64_e32 v[52:53], v[118:119], v[76:77]
	s_waitcnt lgkmcnt(2)
	v_fmac_f64_e32 v[52:53], v[116:117], v[78:79]
	v_fmac_f64_e32 v[52:53], v[114:115], v[80:81]
	s_waitcnt lgkmcnt(1)
	v_fmac_f64_e32 v[52:53], v[112:113], v[82:83]
	s_waitcnt vmcnt(3)
	v_fmac_f64_e32 v[52:53], v[124:125], v[84:85]
	s_waitcnt lgkmcnt(0)
	v_fmac_f64_e32 v[52:53], v[122:123], v[86:87]
	s_waitcnt vmcnt(2)
	v_fmac_f64_e32 v[52:53], v[120:121], v[88:89]
	s_waitcnt vmcnt(0)
	v_add_f64 v[52:53], v[126:127], -v[52:53]
	buffer_store_dword v53, off, s[0:3], 0 offset:52
	buffer_store_dword v52, off, s[0:3], 0 offset:48
	s_and_saveexec_b64 s[4:5], vcc
	s_cbranch_execz .LBB88_147
; %bb.146:
	buffer_load_dword v52, off, s[0:3], 0 offset:40
	buffer_load_dword v53, off, s[0:3], 0 offset:44
	v_mov_b32_e32 v54, 0
	buffer_store_dword v54, off, s[0:3], 0 offset:40
	buffer_store_dword v54, off, s[0:3], 0 offset:44
	s_waitcnt vmcnt(2)
	ds_write_b64 v1, v[52:53]
.LBB88_147:
	s_or_b64 exec, exec, s[4:5]
	s_waitcnt lgkmcnt(0)
	; wave barrier
	s_waitcnt lgkmcnt(0)
	buffer_load_dword v52, off, s[0:3], 0 offset:40
	buffer_load_dword v53, off, s[0:3], 0 offset:44
	;; [unrolled: 1-line block ×16, first 2 shown]
	v_mov_b32_e32 v56, 0
	ds_read_b128 v[58:61], v56 offset:256
	ds_read_b128 v[62:65], v56 offset:272
	ds_read_b128 v[66:69], v56 offset:288
	ds_read_b128 v[70:73], v56 offset:304
	v_cmp_lt_u32_e32 vcc, 4, v0
	s_waitcnt vmcnt(12) lgkmcnt(3)
	v_fma_f64 v[54:55], v[54:55], v[58:59], 0
	buffer_load_dword v59, off, s[0:3], 0 offset:108
	buffer_load_dword v58, off, s[0:3], 0 offset:104
	s_waitcnt vmcnt(12)
	v_fmac_f64_e32 v[54:55], v[74:75], v[60:61]
	s_waitcnt vmcnt(10) lgkmcnt(2)
	v_fmac_f64_e32 v[54:55], v[76:77], v[62:63]
	buffer_load_dword v63, off, s[0:3], 0 offset:116
	buffer_load_dword v62, off, s[0:3], 0 offset:112
	s_waitcnt vmcnt(10)
	v_fmac_f64_e32 v[54:55], v[78:79], v[64:65]
	s_waitcnt vmcnt(8) lgkmcnt(1)
	v_fmac_f64_e32 v[54:55], v[80:81], v[66:67]
	s_waitcnt vmcnt(6)
	v_fmac_f64_e32 v[54:55], v[82:83], v[68:69]
	s_waitcnt vmcnt(4) lgkmcnt(0)
	v_fmac_f64_e32 v[54:55], v[84:85], v[70:71]
	s_waitcnt vmcnt(2)
	v_fmac_f64_e32 v[54:55], v[58:59], v[72:73]
	ds_read_b128 v[58:61], v56 offset:320
	s_waitcnt vmcnt(0) lgkmcnt(0)
	v_fmac_f64_e32 v[54:55], v[62:63], v[58:59]
	buffer_load_dword v59, off, s[0:3], 0 offset:124
	buffer_load_dword v58, off, s[0:3], 0 offset:120
	buffer_load_dword v63, off, s[0:3], 0 offset:132
	buffer_load_dword v62, off, s[0:3], 0 offset:128
	s_waitcnt vmcnt(2)
	v_fmac_f64_e32 v[54:55], v[58:59], v[60:61]
	ds_read_b128 v[58:61], v56 offset:336
	s_waitcnt vmcnt(0) lgkmcnt(0)
	v_fmac_f64_e32 v[54:55], v[62:63], v[58:59]
	buffer_load_dword v59, off, s[0:3], 0 offset:140
	buffer_load_dword v58, off, s[0:3], 0 offset:136
	buffer_load_dword v63, off, s[0:3], 0 offset:148
	buffer_load_dword v62, off, s[0:3], 0 offset:144
	;; [unrolled: 9-line block ×4, first 2 shown]
	s_waitcnt vmcnt(2)
	v_fmac_f64_e32 v[54:55], v[58:59], v[60:61]
	ds_read_b128 v[58:61], v56 offset:384
	s_waitcnt vmcnt(0) lgkmcnt(0)
	v_fmac_f64_e32 v[54:55], v[62:63], v[58:59]
	buffer_load_dword v59, off, s[0:3], 0 offset:188
	buffer_load_dword v58, off, s[0:3], 0 offset:184
	s_waitcnt vmcnt(0)
	v_fmac_f64_e32 v[54:55], v[58:59], v[60:61]
	buffer_load_dword v59, off, s[0:3], 0 offset:196
	buffer_load_dword v58, off, s[0:3], 0 offset:192
	ds_read_b64 v[60:61], v56 offset:400
	s_waitcnt vmcnt(0) lgkmcnt(0)
	v_fmac_f64_e32 v[54:55], v[58:59], v[60:61]
	v_add_f64 v[52:53], v[52:53], -v[54:55]
	buffer_store_dword v53, off, s[0:3], 0 offset:44
	buffer_store_dword v52, off, s[0:3], 0 offset:40
	s_and_saveexec_b64 s[4:5], vcc
	s_cbranch_execz .LBB88_149
; %bb.148:
	buffer_load_dword v52, off, s[0:3], 0 offset:32
	buffer_load_dword v53, off, s[0:3], 0 offset:36
	s_waitcnt vmcnt(0)
	ds_write_b64 v1, v[52:53]
	buffer_store_dword v56, off, s[0:3], 0 offset:32
	buffer_store_dword v56, off, s[0:3], 0 offset:36
.LBB88_149:
	s_or_b64 exec, exec, s[4:5]
	s_waitcnt lgkmcnt(0)
	; wave barrier
	s_waitcnt lgkmcnt(0)
	buffer_load_dword v52, off, s[0:3], 0 offset:32
	buffer_load_dword v53, off, s[0:3], 0 offset:36
	buffer_load_dword v54, off, s[0:3], 0 offset:40
	buffer_load_dword v55, off, s[0:3], 0 offset:44
	buffer_load_dword v62, off, s[0:3], 0 offset:48
	buffer_load_dword v63, off, s[0:3], 0 offset:52
	buffer_load_dword v64, off, s[0:3], 0 offset:56
	buffer_load_dword v65, off, s[0:3], 0 offset:60
	buffer_load_dword v66, off, s[0:3], 0 offset:64
	buffer_load_dword v67, off, s[0:3], 0 offset:68
	buffer_load_dword v68, off, s[0:3], 0 offset:72
	buffer_load_dword v69, off, s[0:3], 0 offset:76
	buffer_load_dword v70, off, s[0:3], 0 offset:80
	buffer_load_dword v71, off, s[0:3], 0 offset:84
	buffer_load_dword v72, off, s[0:3], 0 offset:88
	buffer_load_dword v73, off, s[0:3], 0 offset:92
	ds_read2_b64 v[58:61], v56 offset0:31 offset1:32
	v_cmp_lt_u32_e32 vcc, 3, v0
	s_waitcnt vmcnt(12) lgkmcnt(0)
	v_fma_f64 v[54:55], v[54:55], v[58:59], 0
	s_waitcnt vmcnt(10)
	v_fmac_f64_e32 v[54:55], v[62:63], v[60:61]
	ds_read2_b64 v[58:61], v56 offset0:33 offset1:34
	s_waitcnt vmcnt(8) lgkmcnt(0)
	v_fmac_f64_e32 v[54:55], v[64:65], v[58:59]
	s_waitcnt vmcnt(6)
	v_fmac_f64_e32 v[54:55], v[66:67], v[60:61]
	ds_read2_b64 v[58:61], v56 offset0:35 offset1:36
	s_waitcnt vmcnt(4) lgkmcnt(0)
	v_fmac_f64_e32 v[54:55], v[68:69], v[58:59]
	;; [unrolled: 5-line block ×3, first 2 shown]
	buffer_load_dword v59, off, s[0:3], 0 offset:100
	buffer_load_dword v58, off, s[0:3], 0 offset:96
	buffer_load_dword v63, off, s[0:3], 0 offset:108
	buffer_load_dword v62, off, s[0:3], 0 offset:104
	s_waitcnt vmcnt(2)
	v_fmac_f64_e32 v[54:55], v[58:59], v[60:61]
	ds_read2_b64 v[58:61], v56 offset0:39 offset1:40
	s_waitcnt vmcnt(0) lgkmcnt(0)
	v_fmac_f64_e32 v[54:55], v[62:63], v[58:59]
	buffer_load_dword v59, off, s[0:3], 0 offset:116
	buffer_load_dword v58, off, s[0:3], 0 offset:112
	buffer_load_dword v63, off, s[0:3], 0 offset:124
	buffer_load_dword v62, off, s[0:3], 0 offset:120
	s_waitcnt vmcnt(2)
	v_fmac_f64_e32 v[54:55], v[58:59], v[60:61]
	ds_read2_b64 v[58:61], v56 offset0:41 offset1:42
	s_waitcnt vmcnt(0) lgkmcnt(0)
	v_fmac_f64_e32 v[54:55], v[62:63], v[58:59]
	;; [unrolled: 9-line block ×5, first 2 shown]
	buffer_load_dword v59, off, s[0:3], 0 offset:180
	buffer_load_dword v58, off, s[0:3], 0 offset:176
	s_waitcnt vmcnt(0)
	v_fmac_f64_e32 v[54:55], v[58:59], v[60:61]
	buffer_load_dword v61, off, s[0:3], 0 offset:188
	buffer_load_dword v60, off, s[0:3], 0 offset:184
	ds_read2_b64 v[56:59], v56 offset0:49 offset1:50
	s_waitcnt vmcnt(0) lgkmcnt(0)
	v_fmac_f64_e32 v[54:55], v[60:61], v[56:57]
	buffer_load_dword v57, off, s[0:3], 0 offset:196
	buffer_load_dword v56, off, s[0:3], 0 offset:192
	s_waitcnt vmcnt(0)
	v_fmac_f64_e32 v[54:55], v[56:57], v[58:59]
	v_add_f64 v[52:53], v[52:53], -v[54:55]
	buffer_store_dword v53, off, s[0:3], 0 offset:36
	buffer_store_dword v52, off, s[0:3], 0 offset:32
	s_and_saveexec_b64 s[4:5], vcc
	s_cbranch_execz .LBB88_151
; %bb.150:
	buffer_load_dword v52, off, s[0:3], 0 offset:24
	buffer_load_dword v53, off, s[0:3], 0 offset:28
	v_mov_b32_e32 v54, 0
	buffer_store_dword v54, off, s[0:3], 0 offset:24
	buffer_store_dword v54, off, s[0:3], 0 offset:28
	s_waitcnt vmcnt(2)
	ds_write_b64 v1, v[52:53]
.LBB88_151:
	s_or_b64 exec, exec, s[4:5]
	s_waitcnt lgkmcnt(0)
	; wave barrier
	s_waitcnt lgkmcnt(0)
	buffer_load_dword v52, off, s[0:3], 0 offset:24
	buffer_load_dword v53, off, s[0:3], 0 offset:28
	;; [unrolled: 1-line block ×16, first 2 shown]
	v_mov_b32_e32 v56, 0
	ds_read_b128 v[58:61], v56 offset:240
	ds_read_b128 v[62:65], v56 offset:256
	;; [unrolled: 1-line block ×4, first 2 shown]
	v_cmp_lt_u32_e32 vcc, 2, v0
	s_waitcnt vmcnt(12) lgkmcnt(3)
	v_fma_f64 v[54:55], v[54:55], v[58:59], 0
	buffer_load_dword v59, off, s[0:3], 0 offset:92
	buffer_load_dword v58, off, s[0:3], 0 offset:88
	s_waitcnt vmcnt(12)
	v_fmac_f64_e32 v[54:55], v[74:75], v[60:61]
	s_waitcnt vmcnt(10) lgkmcnt(2)
	v_fmac_f64_e32 v[54:55], v[76:77], v[62:63]
	buffer_load_dword v63, off, s[0:3], 0 offset:100
	buffer_load_dword v62, off, s[0:3], 0 offset:96
	s_waitcnt vmcnt(10)
	v_fmac_f64_e32 v[54:55], v[78:79], v[64:65]
	s_waitcnt vmcnt(8) lgkmcnt(1)
	v_fmac_f64_e32 v[54:55], v[80:81], v[66:67]
	s_waitcnt vmcnt(6)
	v_fmac_f64_e32 v[54:55], v[82:83], v[68:69]
	s_waitcnt vmcnt(4) lgkmcnt(0)
	v_fmac_f64_e32 v[54:55], v[84:85], v[70:71]
	s_waitcnt vmcnt(2)
	v_fmac_f64_e32 v[54:55], v[58:59], v[72:73]
	ds_read_b128 v[58:61], v56 offset:304
	s_waitcnt vmcnt(0) lgkmcnt(0)
	v_fmac_f64_e32 v[54:55], v[62:63], v[58:59]
	buffer_load_dword v59, off, s[0:3], 0 offset:108
	buffer_load_dword v58, off, s[0:3], 0 offset:104
	buffer_load_dword v63, off, s[0:3], 0 offset:116
	buffer_load_dword v62, off, s[0:3], 0 offset:112
	s_waitcnt vmcnt(2)
	v_fmac_f64_e32 v[54:55], v[58:59], v[60:61]
	ds_read_b128 v[58:61], v56 offset:320
	s_waitcnt vmcnt(0) lgkmcnt(0)
	v_fmac_f64_e32 v[54:55], v[62:63], v[58:59]
	buffer_load_dword v59, off, s[0:3], 0 offset:124
	buffer_load_dword v58, off, s[0:3], 0 offset:120
	buffer_load_dword v63, off, s[0:3], 0 offset:132
	buffer_load_dword v62, off, s[0:3], 0 offset:128
	;; [unrolled: 9-line block ×5, first 2 shown]
	s_waitcnt vmcnt(2)
	v_fmac_f64_e32 v[54:55], v[58:59], v[60:61]
	ds_read_b128 v[58:61], v56 offset:384
	s_waitcnt vmcnt(0) lgkmcnt(0)
	v_fmac_f64_e32 v[54:55], v[62:63], v[58:59]
	buffer_load_dword v59, off, s[0:3], 0 offset:188
	buffer_load_dword v58, off, s[0:3], 0 offset:184
	s_waitcnt vmcnt(0)
	v_fmac_f64_e32 v[54:55], v[58:59], v[60:61]
	buffer_load_dword v59, off, s[0:3], 0 offset:196
	buffer_load_dword v58, off, s[0:3], 0 offset:192
	ds_read_b64 v[60:61], v56 offset:400
	s_waitcnt vmcnt(0) lgkmcnt(0)
	v_fmac_f64_e32 v[54:55], v[58:59], v[60:61]
	v_add_f64 v[52:53], v[52:53], -v[54:55]
	buffer_store_dword v53, off, s[0:3], 0 offset:28
	buffer_store_dword v52, off, s[0:3], 0 offset:24
	s_and_saveexec_b64 s[4:5], vcc
	s_cbranch_execz .LBB88_153
; %bb.152:
	buffer_load_dword v52, off, s[0:3], 0 offset:16
	buffer_load_dword v53, off, s[0:3], 0 offset:20
	s_waitcnt vmcnt(0)
	ds_write_b64 v1, v[52:53]
	buffer_store_dword v56, off, s[0:3], 0 offset:16
	buffer_store_dword v56, off, s[0:3], 0 offset:20
.LBB88_153:
	s_or_b64 exec, exec, s[4:5]
	s_waitcnt lgkmcnt(0)
	; wave barrier
	s_waitcnt lgkmcnt(0)
	buffer_load_dword v52, off, s[0:3], 0 offset:16
	buffer_load_dword v53, off, s[0:3], 0 offset:20
	;; [unrolled: 1-line block ×16, first 2 shown]
	ds_read2_b64 v[58:61], v56 offset0:29 offset1:30
	v_cmp_lt_u32_e32 vcc, 1, v0
	s_waitcnt vmcnt(12) lgkmcnt(0)
	v_fma_f64 v[54:55], v[54:55], v[58:59], 0
	s_waitcnt vmcnt(10)
	v_fmac_f64_e32 v[54:55], v[62:63], v[60:61]
	ds_read2_b64 v[58:61], v56 offset0:31 offset1:32
	s_waitcnt vmcnt(8) lgkmcnt(0)
	v_fmac_f64_e32 v[54:55], v[64:65], v[58:59]
	s_waitcnt vmcnt(6)
	v_fmac_f64_e32 v[54:55], v[66:67], v[60:61]
	ds_read2_b64 v[58:61], v56 offset0:33 offset1:34
	s_waitcnt vmcnt(4) lgkmcnt(0)
	v_fmac_f64_e32 v[54:55], v[68:69], v[58:59]
	;; [unrolled: 5-line block ×3, first 2 shown]
	buffer_load_dword v59, off, s[0:3], 0 offset:84
	buffer_load_dword v58, off, s[0:3], 0 offset:80
	buffer_load_dword v63, off, s[0:3], 0 offset:92
	buffer_load_dword v62, off, s[0:3], 0 offset:88
	s_waitcnt vmcnt(2)
	v_fmac_f64_e32 v[54:55], v[58:59], v[60:61]
	ds_read2_b64 v[58:61], v56 offset0:37 offset1:38
	s_waitcnt vmcnt(0) lgkmcnt(0)
	v_fmac_f64_e32 v[54:55], v[62:63], v[58:59]
	buffer_load_dword v59, off, s[0:3], 0 offset:100
	buffer_load_dword v58, off, s[0:3], 0 offset:96
	buffer_load_dword v63, off, s[0:3], 0 offset:108
	buffer_load_dword v62, off, s[0:3], 0 offset:104
	s_waitcnt vmcnt(2)
	v_fmac_f64_e32 v[54:55], v[58:59], v[60:61]
	ds_read2_b64 v[58:61], v56 offset0:39 offset1:40
	s_waitcnt vmcnt(0) lgkmcnt(0)
	v_fmac_f64_e32 v[54:55], v[62:63], v[58:59]
	;; [unrolled: 9-line block ×6, first 2 shown]
	buffer_load_dword v59, off, s[0:3], 0 offset:180
	buffer_load_dword v58, off, s[0:3], 0 offset:176
	s_waitcnt vmcnt(0)
	v_fmac_f64_e32 v[54:55], v[58:59], v[60:61]
	buffer_load_dword v61, off, s[0:3], 0 offset:188
	buffer_load_dword v60, off, s[0:3], 0 offset:184
	ds_read2_b64 v[56:59], v56 offset0:49 offset1:50
	s_waitcnt vmcnt(0) lgkmcnt(0)
	v_fmac_f64_e32 v[54:55], v[60:61], v[56:57]
	buffer_load_dword v57, off, s[0:3], 0 offset:196
	buffer_load_dword v56, off, s[0:3], 0 offset:192
	s_waitcnt vmcnt(0)
	v_fmac_f64_e32 v[54:55], v[56:57], v[58:59]
	v_add_f64 v[52:53], v[52:53], -v[54:55]
	buffer_store_dword v53, off, s[0:3], 0 offset:20
	buffer_store_dword v52, off, s[0:3], 0 offset:16
	s_and_saveexec_b64 s[4:5], vcc
	s_cbranch_execz .LBB88_155
; %bb.154:
	buffer_load_dword v52, off, s[0:3], 0 offset:8
	buffer_load_dword v53, off, s[0:3], 0 offset:12
	v_mov_b32_e32 v54, 0
	buffer_store_dword v54, off, s[0:3], 0 offset:8
	buffer_store_dword v54, off, s[0:3], 0 offset:12
	s_waitcnt vmcnt(2)
	ds_write_b64 v1, v[52:53]
.LBB88_155:
	s_or_b64 exec, exec, s[4:5]
	s_waitcnt lgkmcnt(0)
	; wave barrier
	s_waitcnt lgkmcnt(0)
	buffer_load_dword v52, off, s[0:3], 0 offset:8
	buffer_load_dword v53, off, s[0:3], 0 offset:12
	;; [unrolled: 1-line block ×16, first 2 shown]
	v_mov_b32_e32 v56, 0
	ds_read_b128 v[58:61], v56 offset:224
	ds_read_b128 v[62:65], v56 offset:240
	;; [unrolled: 1-line block ×4, first 2 shown]
	v_cmp_ne_u32_e32 vcc, 0, v0
	s_waitcnt vmcnt(12) lgkmcnt(3)
	v_fma_f64 v[54:55], v[54:55], v[58:59], 0
	buffer_load_dword v59, off, s[0:3], 0 offset:76
	buffer_load_dword v58, off, s[0:3], 0 offset:72
	s_waitcnt vmcnt(12)
	v_fmac_f64_e32 v[54:55], v[74:75], v[60:61]
	s_waitcnt vmcnt(10) lgkmcnt(2)
	v_fmac_f64_e32 v[54:55], v[76:77], v[62:63]
	buffer_load_dword v63, off, s[0:3], 0 offset:84
	buffer_load_dword v62, off, s[0:3], 0 offset:80
	s_waitcnt vmcnt(10)
	v_fmac_f64_e32 v[54:55], v[78:79], v[64:65]
	s_waitcnt vmcnt(8) lgkmcnt(1)
	v_fmac_f64_e32 v[54:55], v[80:81], v[66:67]
	s_waitcnt vmcnt(6)
	v_fmac_f64_e32 v[54:55], v[82:83], v[68:69]
	s_waitcnt vmcnt(4) lgkmcnt(0)
	v_fmac_f64_e32 v[54:55], v[84:85], v[70:71]
	s_waitcnt vmcnt(2)
	v_fmac_f64_e32 v[54:55], v[58:59], v[72:73]
	ds_read_b128 v[58:61], v56 offset:288
	s_waitcnt vmcnt(0) lgkmcnt(0)
	v_fmac_f64_e32 v[54:55], v[62:63], v[58:59]
	buffer_load_dword v59, off, s[0:3], 0 offset:92
	buffer_load_dword v58, off, s[0:3], 0 offset:88
	buffer_load_dword v63, off, s[0:3], 0 offset:100
	buffer_load_dword v62, off, s[0:3], 0 offset:96
	s_waitcnt vmcnt(2)
	v_fmac_f64_e32 v[54:55], v[58:59], v[60:61]
	ds_read_b128 v[58:61], v56 offset:304
	s_waitcnt vmcnt(0) lgkmcnt(0)
	v_fmac_f64_e32 v[54:55], v[62:63], v[58:59]
	buffer_load_dword v59, off, s[0:3], 0 offset:108
	buffer_load_dword v58, off, s[0:3], 0 offset:104
	buffer_load_dword v63, off, s[0:3], 0 offset:116
	buffer_load_dword v62, off, s[0:3], 0 offset:112
	;; [unrolled: 9-line block ×6, first 2 shown]
	s_waitcnt vmcnt(2)
	v_fmac_f64_e32 v[54:55], v[58:59], v[60:61]
	ds_read_b128 v[58:61], v56 offset:384
	s_waitcnt vmcnt(0) lgkmcnt(0)
	v_fmac_f64_e32 v[54:55], v[62:63], v[58:59]
	buffer_load_dword v59, off, s[0:3], 0 offset:188
	buffer_load_dword v58, off, s[0:3], 0 offset:184
	s_waitcnt vmcnt(0)
	v_fmac_f64_e32 v[54:55], v[58:59], v[60:61]
	buffer_load_dword v59, off, s[0:3], 0 offset:196
	buffer_load_dword v58, off, s[0:3], 0 offset:192
	ds_read_b64 v[60:61], v56 offset:400
	s_waitcnt vmcnt(0) lgkmcnt(0)
	v_fmac_f64_e32 v[54:55], v[58:59], v[60:61]
	v_add_f64 v[52:53], v[52:53], -v[54:55]
	buffer_store_dword v53, off, s[0:3], 0 offset:12
	buffer_store_dword v52, off, s[0:3], 0 offset:8
	s_and_saveexec_b64 s[4:5], vcc
	s_cbranch_execz .LBB88_157
; %bb.156:
	buffer_load_dword v52, off, s[0:3], 0
	buffer_load_dword v53, off, s[0:3], 0 offset:4
	s_waitcnt vmcnt(0)
	ds_write_b64 v1, v[52:53]
	buffer_store_dword v56, off, s[0:3], 0
	buffer_store_dword v56, off, s[0:3], 0 offset:4
.LBB88_157:
	s_or_b64 exec, exec, s[4:5]
	s_waitcnt lgkmcnt(0)
	; wave barrier
	s_waitcnt lgkmcnt(0)
	buffer_load_dword v0, off, s[0:3], 0
	buffer_load_dword v1, off, s[0:3], 0 offset:4
	buffer_load_dword v58, off, s[0:3], 0 offset:8
	;; [unrolled: 1-line block ×15, first 2 shown]
	ds_read2_b64 v[52:55], v56 offset0:27 offset1:28
	s_and_b64 vcc, exec, s[16:17]
	s_waitcnt vmcnt(12) lgkmcnt(0)
	v_fma_f64 v[52:53], v[58:59], v[52:53], 0
	s_waitcnt vmcnt(10)
	v_fmac_f64_e32 v[52:53], v[60:61], v[54:55]
	ds_read2_b64 v[58:61], v56 offset0:29 offset1:30
	s_waitcnt vmcnt(8) lgkmcnt(0)
	v_fmac_f64_e32 v[52:53], v[62:63], v[58:59]
	s_waitcnt vmcnt(6)
	v_fmac_f64_e32 v[52:53], v[64:65], v[60:61]
	ds_read2_b64 v[58:61], v56 offset0:31 offset1:32
	s_waitcnt vmcnt(4) lgkmcnt(0)
	v_fmac_f64_e32 v[52:53], v[66:67], v[58:59]
	s_waitcnt vmcnt(2)
	v_fmac_f64_e32 v[52:53], v[68:69], v[60:61]
	ds_read2_b64 v[58:61], v56 offset0:33 offset1:34
	buffer_load_dword v55, off, s[0:3], 0 offset:68
	buffer_load_dword v54, off, s[0:3], 0 offset:64
	s_waitcnt vmcnt(2) lgkmcnt(0)
	v_fmac_f64_e32 v[52:53], v[70:71], v[58:59]
	s_waitcnt vmcnt(0)
	v_fmac_f64_e32 v[52:53], v[54:55], v[60:61]
	buffer_load_dword v55, off, s[0:3], 0 offset:76
	buffer_load_dword v54, off, s[0:3], 0 offset:72
	ds_read2_b64 v[58:61], v56 offset0:35 offset1:36
	s_waitcnt vmcnt(0) lgkmcnt(0)
	v_fmac_f64_e32 v[52:53], v[54:55], v[58:59]
	buffer_load_dword v55, off, s[0:3], 0 offset:84
	buffer_load_dword v54, off, s[0:3], 0 offset:80
	s_waitcnt vmcnt(0)
	v_fmac_f64_e32 v[52:53], v[54:55], v[60:61]
	buffer_load_dword v55, off, s[0:3], 0 offset:92
	buffer_load_dword v54, off, s[0:3], 0 offset:88
	ds_read2_b64 v[58:61], v56 offset0:37 offset1:38
	s_waitcnt vmcnt(0) lgkmcnt(0)
	v_fmac_f64_e32 v[52:53], v[54:55], v[58:59]
	buffer_load_dword v55, off, s[0:3], 0 offset:100
	buffer_load_dword v54, off, s[0:3], 0 offset:96
	s_waitcnt vmcnt(0)
	v_fmac_f64_e32 v[52:53], v[54:55], v[60:61]
	buffer_load_dword v55, off, s[0:3], 0 offset:108
	buffer_load_dword v54, off, s[0:3], 0 offset:104
	ds_read2_b64 v[58:61], v56 offset0:39 offset1:40
	s_waitcnt vmcnt(0) lgkmcnt(0)
	v_fmac_f64_e32 v[52:53], v[54:55], v[58:59]
	buffer_load_dword v55, off, s[0:3], 0 offset:116
	buffer_load_dword v54, off, s[0:3], 0 offset:112
	s_waitcnt vmcnt(0)
	v_fmac_f64_e32 v[52:53], v[54:55], v[60:61]
	buffer_load_dword v55, off, s[0:3], 0 offset:124
	buffer_load_dword v54, off, s[0:3], 0 offset:120
	ds_read2_b64 v[58:61], v56 offset0:41 offset1:42
	s_waitcnt vmcnt(0) lgkmcnt(0)
	v_fmac_f64_e32 v[52:53], v[54:55], v[58:59]
	buffer_load_dword v55, off, s[0:3], 0 offset:132
	buffer_load_dword v54, off, s[0:3], 0 offset:128
	s_waitcnt vmcnt(0)
	v_fmac_f64_e32 v[52:53], v[54:55], v[60:61]
	buffer_load_dword v55, off, s[0:3], 0 offset:140
	buffer_load_dword v54, off, s[0:3], 0 offset:136
	ds_read2_b64 v[58:61], v56 offset0:43 offset1:44
	s_waitcnt vmcnt(0) lgkmcnt(0)
	v_fmac_f64_e32 v[52:53], v[54:55], v[58:59]
	buffer_load_dword v55, off, s[0:3], 0 offset:148
	buffer_load_dword v54, off, s[0:3], 0 offset:144
	s_waitcnt vmcnt(0)
	v_fmac_f64_e32 v[52:53], v[54:55], v[60:61]
	buffer_load_dword v55, off, s[0:3], 0 offset:156
	buffer_load_dword v54, off, s[0:3], 0 offset:152
	ds_read2_b64 v[58:61], v56 offset0:45 offset1:46
	s_waitcnt vmcnt(0) lgkmcnt(0)
	v_fmac_f64_e32 v[52:53], v[54:55], v[58:59]
	buffer_load_dword v55, off, s[0:3], 0 offset:164
	buffer_load_dword v54, off, s[0:3], 0 offset:160
	s_waitcnt vmcnt(0)
	v_fmac_f64_e32 v[52:53], v[54:55], v[60:61]
	buffer_load_dword v55, off, s[0:3], 0 offset:172
	buffer_load_dword v54, off, s[0:3], 0 offset:168
	ds_read2_b64 v[58:61], v56 offset0:47 offset1:48
	s_waitcnt vmcnt(0) lgkmcnt(0)
	v_fmac_f64_e32 v[52:53], v[54:55], v[58:59]
	buffer_load_dword v55, off, s[0:3], 0 offset:180
	buffer_load_dword v54, off, s[0:3], 0 offset:176
	s_waitcnt vmcnt(0)
	v_fmac_f64_e32 v[52:53], v[54:55], v[60:61]
	buffer_load_dword v55, off, s[0:3], 0 offset:188
	buffer_load_dword v54, off, s[0:3], 0 offset:184
	ds_read2_b64 v[56:59], v56 offset0:49 offset1:50
	s_waitcnt vmcnt(0) lgkmcnt(0)
	v_fmac_f64_e32 v[52:53], v[54:55], v[56:57]
	buffer_load_dword v57, off, s[0:3], 0 offset:196
	buffer_load_dword v56, off, s[0:3], 0 offset:192
	s_waitcnt vmcnt(0)
	v_fmac_f64_e32 v[52:53], v[56:57], v[58:59]
	v_add_f64 v[0:1], v[0:1], -v[52:53]
	buffer_store_dword v1, off, s[0:3], 0 offset:4
	buffer_store_dword v0, off, s[0:3], 0
	s_cbranch_vccz .LBB88_207
; %bb.158:
	v_pk_mov_b32 v[0:1], s[10:11], s[10:11] op_sel:[0,1]
	flat_load_dword v0, v[0:1] offset:92
	s_waitcnt vmcnt(0) lgkmcnt(0)
	v_add_u32_e32 v0, -1, v0
	v_cmp_ne_u32_e32 vcc, 23, v0
	s_and_saveexec_b64 s[4:5], vcc
	s_cbranch_execz .LBB88_160
; %bb.159:
	v_mov_b32_e32 v1, 0
	v_lshl_add_u32 v0, v0, 3, v1
	buffer_load_dword v1, v0, s[0:3], 0 offen
	buffer_load_dword v52, v0, s[0:3], 0 offen offset:4
	s_waitcnt vmcnt(1)
	buffer_store_dword v1, off, s[0:3], 0 offset:184
	s_waitcnt vmcnt(1)
	buffer_store_dword v52, off, s[0:3], 0 offset:188
	buffer_store_dword v54, v0, s[0:3], 0 offen
	buffer_store_dword v55, v0, s[0:3], 0 offen offset:4
.LBB88_160:
	s_or_b64 exec, exec, s[4:5]
	v_pk_mov_b32 v[0:1], s[10:11], s[10:11] op_sel:[0,1]
	flat_load_dword v0, v[0:1] offset:88
	s_waitcnt vmcnt(0) lgkmcnt(0)
	v_add_u32_e32 v0, -1, v0
	v_cmp_ne_u32_e32 vcc, 22, v0
	s_and_saveexec_b64 s[4:5], vcc
	s_cbranch_execz .LBB88_162
; %bb.161:
	v_mov_b32_e32 v1, 0
	v_lshl_add_u32 v0, v0, 3, v1
	buffer_load_dword v1, v0, s[0:3], 0 offen
	buffer_load_dword v52, v0, s[0:3], 0 offen offset:4
	buffer_load_dword v53, off, s[0:3], 0 offset:180
	buffer_load_dword v54, off, s[0:3], 0 offset:176
	s_waitcnt vmcnt(3)
	buffer_store_dword v1, off, s[0:3], 0 offset:176
	s_waitcnt vmcnt(3)
	buffer_store_dword v52, off, s[0:3], 0 offset:180
	s_waitcnt vmcnt(3)
	buffer_store_dword v53, v0, s[0:3], 0 offen offset:4
	s_waitcnt vmcnt(3)
	buffer_store_dword v54, v0, s[0:3], 0 offen
.LBB88_162:
	s_or_b64 exec, exec, s[4:5]
	v_pk_mov_b32 v[0:1], s[10:11], s[10:11] op_sel:[0,1]
	flat_load_dword v0, v[0:1] offset:84
	s_waitcnt vmcnt(0) lgkmcnt(0)
	v_add_u32_e32 v0, -1, v0
	v_cmp_ne_u32_e32 vcc, 21, v0
	s_and_saveexec_b64 s[4:5], vcc
	s_cbranch_execz .LBB88_164
; %bb.163:
	v_mov_b32_e32 v1, 0
	v_lshl_add_u32 v0, v0, 3, v1
	buffer_load_dword v1, v0, s[0:3], 0 offen
	buffer_load_dword v52, v0, s[0:3], 0 offen offset:4
	buffer_load_dword v53, off, s[0:3], 0 offset:168
	buffer_load_dword v54, off, s[0:3], 0 offset:172
	s_waitcnt vmcnt(3)
	buffer_store_dword v1, off, s[0:3], 0 offset:168
	s_waitcnt vmcnt(3)
	buffer_store_dword v52, off, s[0:3], 0 offset:172
	s_waitcnt vmcnt(3)
	buffer_store_dword v53, v0, s[0:3], 0 offen
	s_waitcnt vmcnt(3)
	buffer_store_dword v54, v0, s[0:3], 0 offen offset:4
.LBB88_164:
	s_or_b64 exec, exec, s[4:5]
	v_pk_mov_b32 v[0:1], s[10:11], s[10:11] op_sel:[0,1]
	flat_load_dword v0, v[0:1] offset:80
	s_waitcnt vmcnt(0) lgkmcnt(0)
	v_add_u32_e32 v0, -1, v0
	v_cmp_ne_u32_e32 vcc, 20, v0
	s_and_saveexec_b64 s[4:5], vcc
	s_cbranch_execz .LBB88_166
; %bb.165:
	v_mov_b32_e32 v1, 0
	v_lshl_add_u32 v0, v0, 3, v1
	buffer_load_dword v1, v0, s[0:3], 0 offen
	buffer_load_dword v52, v0, s[0:3], 0 offen offset:4
	buffer_load_dword v53, off, s[0:3], 0 offset:164
	buffer_load_dword v54, off, s[0:3], 0 offset:160
	s_waitcnt vmcnt(3)
	buffer_store_dword v1, off, s[0:3], 0 offset:160
	s_waitcnt vmcnt(3)
	buffer_store_dword v52, off, s[0:3], 0 offset:164
	s_waitcnt vmcnt(3)
	buffer_store_dword v53, v0, s[0:3], 0 offen offset:4
	s_waitcnt vmcnt(3)
	buffer_store_dword v54, v0, s[0:3], 0 offen
.LBB88_166:
	s_or_b64 exec, exec, s[4:5]
	v_pk_mov_b32 v[0:1], s[10:11], s[10:11] op_sel:[0,1]
	flat_load_dword v0, v[0:1] offset:76
	s_waitcnt vmcnt(0) lgkmcnt(0)
	v_add_u32_e32 v0, -1, v0
	v_cmp_ne_u32_e32 vcc, 19, v0
	s_and_saveexec_b64 s[4:5], vcc
	s_cbranch_execz .LBB88_168
; %bb.167:
	v_mov_b32_e32 v1, 0
	v_lshl_add_u32 v0, v0, 3, v1
	buffer_load_dword v1, v0, s[0:3], 0 offen
	buffer_load_dword v52, v0, s[0:3], 0 offen offset:4
	buffer_load_dword v53, off, s[0:3], 0 offset:152
	buffer_load_dword v54, off, s[0:3], 0 offset:156
	s_waitcnt vmcnt(3)
	buffer_store_dword v1, off, s[0:3], 0 offset:152
	s_waitcnt vmcnt(3)
	buffer_store_dword v52, off, s[0:3], 0 offset:156
	s_waitcnt vmcnt(3)
	buffer_store_dword v53, v0, s[0:3], 0 offen
	s_waitcnt vmcnt(3)
	buffer_store_dword v54, v0, s[0:3], 0 offen offset:4
.LBB88_168:
	;; [unrolled: 48-line block ×11, first 2 shown]
	s_or_b64 exec, exec, s[4:5]
	v_pk_mov_b32 v[0:1], s[10:11], s[10:11] op_sel:[0,1]
	flat_load_dword v52, v[0:1]
	s_nop 0
	buffer_load_dword v0, off, s[0:3], 0
	buffer_load_dword v1, off, s[0:3], 0 offset:4
	s_waitcnt vmcnt(0) lgkmcnt(0)
	v_add_u32_e32 v52, -1, v52
	v_cmp_ne_u32_e32 vcc, 0, v52
	s_and_saveexec_b64 s[4:5], vcc
	s_cbranch_execz .LBB88_206
; %bb.205:
	v_mov_b32_e32 v53, 0
	v_lshl_add_u32 v52, v52, 3, v53
	buffer_load_dword v53, v52, s[0:3], 0 offen offset:4
	buffer_load_dword v54, v52, s[0:3], 0 offen
	s_waitcnt vmcnt(1)
	buffer_store_dword v53, off, s[0:3], 0 offset:4
	s_waitcnt vmcnt(1)
	buffer_store_dword v54, off, s[0:3], 0
	buffer_store_dword v1, v52, s[0:3], 0 offen offset:4
	buffer_store_dword v0, v52, s[0:3], 0 offen
	buffer_load_dword v0, off, s[0:3], 0
	s_nop 0
	buffer_load_dword v1, off, s[0:3], 0 offset:4
.LBB88_206:
	s_or_b64 exec, exec, s[4:5]
.LBB88_207:
	buffer_load_dword v52, off, s[0:3], 0 offset:8
	buffer_load_dword v53, off, s[0:3], 0 offset:12
	;; [unrolled: 1-line block ×48, first 2 shown]
	s_waitcnt vmcnt(48)
	global_store_dwordx2 v[2:3], v[0:1], off
	s_waitcnt vmcnt(47)
	global_store_dwordx2 v[4:5], v[52:53], off
	;; [unrolled: 2-line block ×25, first 2 shown]
	s_endpgm
	.section	.rodata,"a",@progbits
	.p2align	6, 0x0
	.amdhsa_kernel _ZN9rocsolver6v33100L18getri_kernel_smallILi25EdPKPdEEvT1_iilPiilS6_bb
		.amdhsa_group_segment_fixed_size 408
		.amdhsa_private_segment_fixed_size 208
		.amdhsa_kernarg_size 60
		.amdhsa_user_sgpr_count 8
		.amdhsa_user_sgpr_private_segment_buffer 1
		.amdhsa_user_sgpr_dispatch_ptr 0
		.amdhsa_user_sgpr_queue_ptr 0
		.amdhsa_user_sgpr_kernarg_segment_ptr 1
		.amdhsa_user_sgpr_dispatch_id 0
		.amdhsa_user_sgpr_flat_scratch_init 1
		.amdhsa_user_sgpr_kernarg_preload_length 0
		.amdhsa_user_sgpr_kernarg_preload_offset 0
		.amdhsa_user_sgpr_private_segment_size 0
		.amdhsa_uses_dynamic_stack 0
		.amdhsa_system_sgpr_private_segment_wavefront_offset 1
		.amdhsa_system_sgpr_workgroup_id_x 1
		.amdhsa_system_sgpr_workgroup_id_y 0
		.amdhsa_system_sgpr_workgroup_id_z 0
		.amdhsa_system_sgpr_workgroup_info 0
		.amdhsa_system_vgpr_workitem_id 0
		.amdhsa_next_free_vgpr 128
		.amdhsa_next_free_sgpr 22
		.amdhsa_accum_offset 128
		.amdhsa_reserve_vcc 1
		.amdhsa_reserve_flat_scratch 1
		.amdhsa_float_round_mode_32 0
		.amdhsa_float_round_mode_16_64 0
		.amdhsa_float_denorm_mode_32 3
		.amdhsa_float_denorm_mode_16_64 3
		.amdhsa_dx10_clamp 1
		.amdhsa_ieee_mode 1
		.amdhsa_fp16_overflow 0
		.amdhsa_tg_split 0
		.amdhsa_exception_fp_ieee_invalid_op 0
		.amdhsa_exception_fp_denorm_src 0
		.amdhsa_exception_fp_ieee_div_zero 0
		.amdhsa_exception_fp_ieee_overflow 0
		.amdhsa_exception_fp_ieee_underflow 0
		.amdhsa_exception_fp_ieee_inexact 0
		.amdhsa_exception_int_div_zero 0
	.end_amdhsa_kernel
	.section	.text._ZN9rocsolver6v33100L18getri_kernel_smallILi25EdPKPdEEvT1_iilPiilS6_bb,"axG",@progbits,_ZN9rocsolver6v33100L18getri_kernel_smallILi25EdPKPdEEvT1_iilPiilS6_bb,comdat
.Lfunc_end88:
	.size	_ZN9rocsolver6v33100L18getri_kernel_smallILi25EdPKPdEEvT1_iilPiilS6_bb, .Lfunc_end88-_ZN9rocsolver6v33100L18getri_kernel_smallILi25EdPKPdEEvT1_iilPiilS6_bb
                                        ; -- End function
	.section	.AMDGPU.csdata,"",@progbits
; Kernel info:
; codeLenInByte = 21624
; NumSgprs: 28
; NumVgprs: 128
; NumAgprs: 0
; TotalNumVgprs: 128
; ScratchSize: 208
; MemoryBound: 0
; FloatMode: 240
; IeeeMode: 1
; LDSByteSize: 408 bytes/workgroup (compile time only)
; SGPRBlocks: 3
; VGPRBlocks: 15
; NumSGPRsForWavesPerEU: 28
; NumVGPRsForWavesPerEU: 128
; AccumOffset: 128
; Occupancy: 4
; WaveLimiterHint : 1
; COMPUTE_PGM_RSRC2:SCRATCH_EN: 1
; COMPUTE_PGM_RSRC2:USER_SGPR: 8
; COMPUTE_PGM_RSRC2:TRAP_HANDLER: 0
; COMPUTE_PGM_RSRC2:TGID_X_EN: 1
; COMPUTE_PGM_RSRC2:TGID_Y_EN: 0
; COMPUTE_PGM_RSRC2:TGID_Z_EN: 0
; COMPUTE_PGM_RSRC2:TIDIG_COMP_CNT: 0
; COMPUTE_PGM_RSRC3_GFX90A:ACCUM_OFFSET: 31
; COMPUTE_PGM_RSRC3_GFX90A:TG_SPLIT: 0
	.section	.text._ZN9rocsolver6v33100L18getri_kernel_smallILi26EdPKPdEEvT1_iilPiilS6_bb,"axG",@progbits,_ZN9rocsolver6v33100L18getri_kernel_smallILi26EdPKPdEEvT1_iilPiilS6_bb,comdat
	.globl	_ZN9rocsolver6v33100L18getri_kernel_smallILi26EdPKPdEEvT1_iilPiilS6_bb ; -- Begin function _ZN9rocsolver6v33100L18getri_kernel_smallILi26EdPKPdEEvT1_iilPiilS6_bb
	.p2align	8
	.type	_ZN9rocsolver6v33100L18getri_kernel_smallILi26EdPKPdEEvT1_iilPiilS6_bb,@function
_ZN9rocsolver6v33100L18getri_kernel_smallILi26EdPKPdEEvT1_iilPiilS6_bb: ; @_ZN9rocsolver6v33100L18getri_kernel_smallILi26EdPKPdEEvT1_iilPiilS6_bb
; %bb.0:
	s_add_u32 flat_scratch_lo, s6, s9
	s_addc_u32 flat_scratch_hi, s7, 0
	s_add_u32 s0, s0, s9
	s_addc_u32 s1, s1, 0
	v_cmp_gt_u32_e32 vcc, 26, v0
	s_and_saveexec_b64 s[6:7], vcc
	s_cbranch_execz .LBB89_112
; %bb.1:
	s_load_dword s18, s[4:5], 0x38
	s_load_dwordx2 s[6:7], s[4:5], 0x0
	s_load_dwordx4 s[12:15], s[4:5], 0x28
	s_waitcnt lgkmcnt(0)
	s_bitcmp1_b32 s18, 8
	s_cselect_b64 s[16:17], -1, 0
	s_ashr_i32 s9, s8, 31
	s_lshl_b64 s[10:11], s[8:9], 3
	s_add_u32 s6, s6, s10
	s_addc_u32 s7, s7, s11
	s_load_dwordx2 s[6:7], s[6:7], 0x0
	s_bfe_u32 s10, s18, 0x10008
	s_cmp_eq_u32 s10, 0
                                        ; implicit-def: $sgpr10_sgpr11
	s_cbranch_scc1 .LBB89_3
; %bb.2:
	s_load_dword s10, s[4:5], 0x20
	s_load_dwordx2 s[20:21], s[4:5], 0x18
	s_mul_i32 s11, s8, s13
	s_mul_hi_u32 s13, s8, s12
	s_add_i32 s13, s13, s11
	s_mul_i32 s19, s9, s12
	s_add_i32 s13, s13, s19
	s_mul_i32 s12, s8, s12
	s_waitcnt lgkmcnt(0)
	s_ashr_i32 s11, s10, 31
	s_lshl_b64 s[12:13], s[12:13], 2
	s_add_u32 s12, s20, s12
	s_addc_u32 s13, s21, s13
	s_lshl_b64 s[10:11], s[10:11], 2
	s_add_u32 s10, s12, s10
	s_addc_u32 s11, s13, s11
.LBB89_3:
	s_load_dwordx2 s[12:13], s[4:5], 0x8
	v_lshlrev_b32_e32 v1, 3, v0
	s_waitcnt lgkmcnt(0)
	s_ashr_i32 s5, s12, 31
	s_mov_b32 s4, s12
	s_lshl_b64 s[4:5], s[4:5], 3
	s_add_u32 s4, s6, s4
	s_addc_u32 s5, s7, s5
	s_add_i32 s12, s13, s13
	v_add_u32_e32 v4, s12, v0
	v_mov_b32_e32 v3, s5
	v_add_co_u32_e32 v2, vcc, s4, v1
	v_ashrrev_i32_e32 v5, 31, v4
	v_addc_co_u32_e32 v3, vcc, 0, v3, vcc
	v_add_u32_e32 v6, s13, v4
	v_lshlrev_b64 v[4:5], 3, v[4:5]
	v_mov_b32_e32 v9, s5
	v_ashrrev_i32_e32 v7, 31, v6
	v_add_co_u32_e32 v4, vcc, s4, v4
	v_add_u32_e32 v8, s13, v6
	v_addc_co_u32_e32 v5, vcc, v9, v5, vcc
	v_lshlrev_b64 v[6:7], 3, v[6:7]
	v_mov_b32_e32 v11, s5
	v_ashrrev_i32_e32 v9, 31, v8
	v_add_co_u32_e32 v6, vcc, s4, v6
	v_add_u32_e32 v10, s13, v8
	v_addc_co_u32_e32 v7, vcc, v11, v7, vcc
	;; [unrolled: 6-line block ×5, first 2 shown]
	v_lshlrev_b64 v[14:15], 3, v[14:15]
	v_mov_b32_e32 v19, s5
	v_add_co_u32_e32 v14, vcc, s4, v14
	v_ashrrev_i32_e32 v17, 31, v16
	v_add_u32_e32 v18, s13, v16
	v_addc_co_u32_e32 v15, vcc, v19, v15, vcc
	v_lshlrev_b64 v[16:17], 3, v[16:17]
	v_add_co_u32_e32 v16, vcc, s4, v16
	v_addc_co_u32_e32 v17, vcc, v19, v17, vcc
	v_ashrrev_i32_e32 v19, 31, v18
	v_add_u32_e32 v20, s13, v18
	v_lshlrev_b64 v[18:19], 3, v[18:19]
	v_mov_b32_e32 v21, s5
	v_add_co_u32_e32 v18, vcc, s4, v18
	v_addc_co_u32_e32 v19, vcc, v21, v19, vcc
	v_ashrrev_i32_e32 v21, 31, v20
	v_add_u32_e32 v22, s13, v20
	v_lshlrev_b64 v[20:21], 3, v[20:21]
	v_mov_b32_e32 v23, s5
	;; [unrolled: 6-line block ×11, first 2 shown]
	v_add_co_u32_e32 v38, vcc, s4, v38
	v_addc_co_u32_e32 v39, vcc, v41, v39, vcc
	v_ashrrev_i32_e32 v41, 31, v40
	v_add_u32_e32 v42, s13, v40
	v_lshlrev_b64 v[40:41], 3, v[40:41]
	v_add_u32_e32 v44, s13, v42
	v_mov_b32_e32 v43, s5
	v_add_co_u32_e32 v40, vcc, s4, v40
	v_add_u32_e32 v48, s13, v44
	v_addc_co_u32_e32 v41, vcc, v43, v41, vcc
	v_ashrrev_i32_e32 v43, 31, v42
	v_add_u32_e32 v50, s13, v48
	v_lshlrev_b64 v[42:43], 3, v[42:43]
	s_mov_b32 s20, s13
	s_ashr_i32 s21, s13, 31
	v_add_u32_e32 v46, s13, v50
	v_mov_b32_e32 v45, s5
	v_add_co_u32_e32 v42, vcc, s4, v42
	s_lshl_b64 s[6:7], s[20:21], 3
	v_ashrrev_i32_e32 v47, 31, v46
	v_addc_co_u32_e32 v43, vcc, v45, v43, vcc
	v_mov_b32_e32 v49, s7
	v_lshlrev_b64 v[52:53], 3, v[46:47]
	v_ashrrev_i32_e32 v45, 31, v44
	v_add_co_u32_e32 v46, vcc, s6, v2
	v_addc_co_u32_e32 v47, vcc, v3, v49, vcc
	v_lshlrev_b64 v[44:45], 3, v[44:45]
	v_mov_b32_e32 v49, s5
	v_add_co_u32_e32 v44, vcc, s4, v44
	v_addc_co_u32_e32 v45, vcc, v49, v45, vcc
	v_ashrrev_i32_e32 v49, 31, v48
	v_lshlrev_b64 v[48:49], 3, v[48:49]
	v_mov_b32_e32 v51, s5
	v_add_co_u32_e32 v48, vcc, s4, v48
	v_addc_co_u32_e32 v49, vcc, v51, v49, vcc
	v_ashrrev_i32_e32 v51, 31, v50
	v_lshlrev_b64 v[50:51], 3, v[50:51]
	v_mov_b32_e32 v96, s5
	v_add_co_u32_e32 v50, vcc, s4, v50
	global_load_dwordx2 v[54:55], v1, s[4:5]
	global_load_dwordx2 v[58:59], v[4:5], off
	global_load_dwordx2 v[56:57], v[46:47], off
	;; [unrolled: 1-line block ×20, first 2 shown]
	v_addc_co_u32_e32 v51, vcc, v96, v51, vcc
	global_load_dwordx2 v[96:97], v[42:43], off
	global_load_dwordx2 v[98:99], v[44:45], off
	;; [unrolled: 1-line block ×4, first 2 shown]
	v_mov_b32_e32 v104, s5
	v_add_co_u32_e32 v52, vcc, s4, v52
	v_addc_co_u32_e32 v53, vcc, v104, v53, vcc
	global_load_dwordx2 v[104:105], v[52:53], off
	s_bitcmp0_b32 s18, 0
	s_mov_b64 s[6:7], -1
	s_waitcnt vmcnt(25)
	buffer_store_dword v55, off, s[0:3], 0 offset:4
	buffer_store_dword v54, off, s[0:3], 0
	s_waitcnt vmcnt(25)
	buffer_store_dword v57, off, s[0:3], 0 offset:12
	buffer_store_dword v56, off, s[0:3], 0 offset:8
	;; [unrolled: 1-line block ×4, first 2 shown]
	s_waitcnt vmcnt(28)
	buffer_store_dword v61, off, s[0:3], 0 offset:28
	buffer_store_dword v60, off, s[0:3], 0 offset:24
	s_waitcnt vmcnt(29)
	buffer_store_dword v63, off, s[0:3], 0 offset:36
	buffer_store_dword v62, off, s[0:3], 0 offset:32
	;; [unrolled: 3-line block ×23, first 2 shown]
	s_cbranch_scc1 .LBB89_110
; %bb.4:
	v_cmp_eq_u32_e64 s[4:5], 0, v0
	s_and_saveexec_b64 s[6:7], s[4:5]
	s_cbranch_execz .LBB89_6
; %bb.5:
	v_mov_b32_e32 v54, 0
	ds_write_b32 v54, v54 offset:416
.LBB89_6:
	s_or_b64 exec, exec, s[6:7]
	v_mov_b32_e32 v54, 0
	v_lshl_add_u32 v54, v0, 3, v54
	s_waitcnt lgkmcnt(0)
	; wave barrier
	s_waitcnt lgkmcnt(0)
	buffer_load_dword v56, v54, s[0:3], 0 offen
	buffer_load_dword v57, v54, s[0:3], 0 offen offset:4
	s_waitcnt vmcnt(0)
	v_cmp_eq_f64_e32 vcc, 0, v[56:57]
	s_and_saveexec_b64 s[12:13], vcc
	s_cbranch_execz .LBB89_10
; %bb.7:
	v_mov_b32_e32 v55, 0
	ds_read_b32 v57, v55 offset:416
	v_add_u32_e32 v56, 1, v0
	s_waitcnt lgkmcnt(0)
	v_readfirstlane_b32 s6, v57
	s_cmp_eq_u32 s6, 0
	s_cselect_b64 s[18:19], -1, 0
	v_cmp_gt_i32_e32 vcc, s6, v56
	s_or_b64 s[18:19], s[18:19], vcc
	s_and_b64 exec, exec, s[18:19]
	s_cbranch_execz .LBB89_10
; %bb.8:
	s_mov_b64 s[18:19], 0
	v_mov_b32_e32 v57, s6
.LBB89_9:                               ; =>This Inner Loop Header: Depth=1
	ds_cmpst_rtn_b32 v57, v55, v57, v56 offset:416
	s_waitcnt lgkmcnt(0)
	v_cmp_ne_u32_e32 vcc, 0, v57
	v_cmp_le_i32_e64 s[6:7], v57, v56
	s_and_b64 s[6:7], vcc, s[6:7]
	s_and_b64 s[6:7], exec, s[6:7]
	s_or_b64 s[18:19], s[6:7], s[18:19]
	s_andn2_b64 exec, exec, s[18:19]
	s_cbranch_execnz .LBB89_9
.LBB89_10:
	s_or_b64 exec, exec, s[12:13]
	v_mov_b32_e32 v56, 0
	s_waitcnt lgkmcnt(0)
	; wave barrier
	ds_read_b32 v55, v56 offset:416
	s_and_saveexec_b64 s[6:7], s[4:5]
	s_cbranch_execz .LBB89_12
; %bb.11:
	s_lshl_b64 s[12:13], s[8:9], 2
	s_add_u32 s12, s14, s12
	s_addc_u32 s13, s15, s13
	s_waitcnt lgkmcnt(0)
	global_store_dword v56, v55, s[12:13]
.LBB89_12:
	s_or_b64 exec, exec, s[6:7]
	s_waitcnt lgkmcnt(0)
	v_cmp_ne_u32_e32 vcc, 0, v55
	s_mov_b64 s[6:7], 0
	s_cbranch_vccnz .LBB89_110
; %bb.13:
	buffer_load_dword v56, v54, s[0:3], 0 offen
	buffer_load_dword v57, v54, s[0:3], 0 offen offset:4
	s_waitcnt vmcnt(0)
	v_div_scale_f64 v[58:59], s[6:7], v[56:57], v[56:57], 1.0
	v_rcp_f64_e32 v[60:61], v[58:59]
	v_div_scale_f64 v[62:63], vcc, 1.0, v[56:57], 1.0
	v_fma_f64 v[64:65], -v[58:59], v[60:61], 1.0
	v_fmac_f64_e32 v[60:61], v[60:61], v[64:65]
	v_fma_f64 v[64:65], -v[58:59], v[60:61], 1.0
	v_fmac_f64_e32 v[60:61], v[60:61], v[64:65]
	v_mul_f64 v[64:65], v[62:63], v[60:61]
	v_fma_f64 v[58:59], -v[58:59], v[64:65], v[62:63]
	v_div_fmas_f64 v[58:59], v[58:59], v[60:61], v[64:65]
	v_div_fixup_f64 v[58:59], v[58:59], v[56:57], 1.0
	buffer_store_dword v59, v54, s[0:3], 0 offen offset:4
	buffer_store_dword v58, v54, s[0:3], 0 offen
	buffer_load_dword v61, off, s[0:3], 0 offset:12
	buffer_load_dword v60, off, s[0:3], 0 offset:8
	v_add_u32_e32 v56, 0xd0, v1
	v_xor_b32_e32 v59, 0x80000000, v59
	s_waitcnt vmcnt(0)
	ds_write2_b64 v1, v[58:59], v[60:61] offset1:26
	s_waitcnt lgkmcnt(0)
	; wave barrier
	s_waitcnt lgkmcnt(0)
	s_and_saveexec_b64 s[6:7], s[4:5]
	s_cbranch_execz .LBB89_15
; %bb.14:
	buffer_load_dword v58, v54, s[0:3], 0 offen
	buffer_load_dword v59, v54, s[0:3], 0 offen offset:4
	v_mov_b32_e32 v55, 0
	ds_read_b64 v[60:61], v56
	ds_read_b64 v[62:63], v55 offset:8
	s_waitcnt vmcnt(0) lgkmcnt(1)
	v_fma_f64 v[58:59], v[58:59], v[60:61], 0
	s_waitcnt lgkmcnt(0)
	v_mul_f64 v[58:59], v[58:59], v[62:63]
	buffer_store_dword v58, off, s[0:3], 0 offset:8
	buffer_store_dword v59, off, s[0:3], 0 offset:12
.LBB89_15:
	s_or_b64 exec, exec, s[6:7]
	s_waitcnt lgkmcnt(0)
	; wave barrier
	buffer_load_dword v58, off, s[0:3], 0 offset:16
	buffer_load_dword v59, off, s[0:3], 0 offset:20
	v_cmp_gt_u32_e32 vcc, 2, v0
	s_waitcnt vmcnt(0)
	ds_write_b64 v56, v[58:59]
	s_waitcnt lgkmcnt(0)
	; wave barrier
	s_waitcnt lgkmcnt(0)
	s_and_saveexec_b64 s[6:7], vcc
	s_cbranch_execz .LBB89_17
; %bb.16:
	buffer_load_dword v55, v54, s[0:3], 0 offen offset:4
	buffer_load_dword v62, off, s[0:3], 0 offset:8
	s_nop 0
	buffer_load_dword v54, v54, s[0:3], 0 offen
	s_nop 0
	buffer_load_dword v63, off, s[0:3], 0 offset:12
	ds_read_b64 v[64:65], v56
	v_mov_b32_e32 v57, 0
	ds_read2_b64 v[58:61], v57 offset0:2 offset1:27
	s_waitcnt vmcnt(1) lgkmcnt(1)
	v_fma_f64 v[54:55], v[54:55], v[64:65], 0
	s_waitcnt vmcnt(0) lgkmcnt(0)
	v_fma_f64 v[60:61], v[62:63], v[60:61], v[54:55]
	v_cndmask_b32_e64 v55, v55, v61, s[4:5]
	v_cndmask_b32_e64 v54, v54, v60, s[4:5]
	v_mul_f64 v[54:55], v[54:55], v[58:59]
	buffer_store_dword v55, off, s[0:3], 0 offset:20
	buffer_store_dword v54, off, s[0:3], 0 offset:16
.LBB89_17:
	s_or_b64 exec, exec, s[6:7]
	s_waitcnt lgkmcnt(0)
	; wave barrier
	buffer_load_dword v54, off, s[0:3], 0 offset:24
	buffer_load_dword v55, off, s[0:3], 0 offset:28
	v_cmp_gt_u32_e32 vcc, 3, v0
	v_add_u32_e32 v57, -1, v0
	s_waitcnt vmcnt(0)
	ds_write_b64 v56, v[54:55]
	s_waitcnt lgkmcnt(0)
	; wave barrier
	s_waitcnt lgkmcnt(0)
	s_and_saveexec_b64 s[4:5], vcc
	s_cbranch_execz .LBB89_21
; %bb.18:
	v_add_u32_e32 v58, -1, v0
	v_add_u32_e32 v59, 0xd0, v1
	v_add_u32_e32 v60, 0, v1
	s_mov_b64 s[6:7], 0
	v_pk_mov_b32 v[54:55], 0, 0
.LBB89_19:                              ; =>This Inner Loop Header: Depth=1
	buffer_load_dword v62, v60, s[0:3], 0 offen
	buffer_load_dword v63, v60, s[0:3], 0 offen offset:4
	ds_read_b64 v[64:65], v59
	v_add_u32_e32 v58, 1, v58
	v_cmp_lt_u32_e32 vcc, 1, v58
	v_add_u32_e32 v59, 8, v59
	v_add_u32_e32 v60, 8, v60
	s_or_b64 s[6:7], vcc, s[6:7]
	s_waitcnt vmcnt(0) lgkmcnt(0)
	v_fmac_f64_e32 v[54:55], v[62:63], v[64:65]
	s_andn2_b64 exec, exec, s[6:7]
	s_cbranch_execnz .LBB89_19
; %bb.20:
	s_or_b64 exec, exec, s[6:7]
	v_mov_b32_e32 v58, 0
	ds_read_b64 v[58:59], v58 offset:24
	s_waitcnt lgkmcnt(0)
	v_mul_f64 v[54:55], v[54:55], v[58:59]
	buffer_store_dword v55, off, s[0:3], 0 offset:28
	buffer_store_dword v54, off, s[0:3], 0 offset:24
.LBB89_21:
	s_or_b64 exec, exec, s[4:5]
	s_waitcnt lgkmcnt(0)
	; wave barrier
	buffer_load_dword v54, off, s[0:3], 0 offset:32
	buffer_load_dword v55, off, s[0:3], 0 offset:36
	v_cmp_gt_u32_e32 vcc, 4, v0
	s_waitcnt vmcnt(0)
	ds_write_b64 v56, v[54:55]
	s_waitcnt lgkmcnt(0)
	; wave barrier
	s_waitcnt lgkmcnt(0)
	s_and_saveexec_b64 s[4:5], vcc
	s_cbranch_execz .LBB89_25
; %bb.22:
	v_add_u32_e32 v58, -1, v0
	v_add_u32_e32 v59, 0xd0, v1
	v_add_u32_e32 v60, 0, v1
	s_mov_b64 s[6:7], 0
	v_pk_mov_b32 v[54:55], 0, 0
.LBB89_23:                              ; =>This Inner Loop Header: Depth=1
	buffer_load_dword v62, v60, s[0:3], 0 offen
	buffer_load_dword v63, v60, s[0:3], 0 offen offset:4
	ds_read_b64 v[64:65], v59
	v_add_u32_e32 v58, 1, v58
	v_cmp_lt_u32_e32 vcc, 2, v58
	v_add_u32_e32 v59, 8, v59
	v_add_u32_e32 v60, 8, v60
	s_or_b64 s[6:7], vcc, s[6:7]
	s_waitcnt vmcnt(0) lgkmcnt(0)
	v_fmac_f64_e32 v[54:55], v[62:63], v[64:65]
	s_andn2_b64 exec, exec, s[6:7]
	s_cbranch_execnz .LBB89_23
; %bb.24:
	s_or_b64 exec, exec, s[6:7]
	v_mov_b32_e32 v58, 0
	ds_read_b64 v[58:59], v58 offset:32
	s_waitcnt lgkmcnt(0)
	v_mul_f64 v[54:55], v[54:55], v[58:59]
	buffer_store_dword v55, off, s[0:3], 0 offset:36
	buffer_store_dword v54, off, s[0:3], 0 offset:32
.LBB89_25:
	s_or_b64 exec, exec, s[4:5]
	s_waitcnt lgkmcnt(0)
	; wave barrier
	buffer_load_dword v54, off, s[0:3], 0 offset:40
	buffer_load_dword v55, off, s[0:3], 0 offset:44
	v_cmp_gt_u32_e32 vcc, 5, v0
	s_waitcnt vmcnt(0)
	ds_write_b64 v56, v[54:55]
	s_waitcnt lgkmcnt(0)
	; wave barrier
	s_waitcnt lgkmcnt(0)
	s_and_saveexec_b64 s[4:5], vcc
	s_cbranch_execz .LBB89_29
; %bb.26:
	v_add_u32_e32 v58, -1, v0
	v_add_u32_e32 v59, 0xd0, v1
	v_add_u32_e32 v60, 0, v1
	s_mov_b64 s[6:7], 0
	v_pk_mov_b32 v[54:55], 0, 0
.LBB89_27:                              ; =>This Inner Loop Header: Depth=1
	buffer_load_dword v62, v60, s[0:3], 0 offen
	buffer_load_dword v63, v60, s[0:3], 0 offen offset:4
	ds_read_b64 v[64:65], v59
	v_add_u32_e32 v58, 1, v58
	v_cmp_lt_u32_e32 vcc, 3, v58
	v_add_u32_e32 v59, 8, v59
	v_add_u32_e32 v60, 8, v60
	s_or_b64 s[6:7], vcc, s[6:7]
	s_waitcnt vmcnt(0) lgkmcnt(0)
	v_fmac_f64_e32 v[54:55], v[62:63], v[64:65]
	s_andn2_b64 exec, exec, s[6:7]
	s_cbranch_execnz .LBB89_27
; %bb.28:
	s_or_b64 exec, exec, s[6:7]
	v_mov_b32_e32 v58, 0
	ds_read_b64 v[58:59], v58 offset:40
	s_waitcnt lgkmcnt(0)
	v_mul_f64 v[54:55], v[54:55], v[58:59]
	buffer_store_dword v55, off, s[0:3], 0 offset:44
	buffer_store_dword v54, off, s[0:3], 0 offset:40
.LBB89_29:
	s_or_b64 exec, exec, s[4:5]
	s_waitcnt lgkmcnt(0)
	; wave barrier
	buffer_load_dword v54, off, s[0:3], 0 offset:48
	buffer_load_dword v55, off, s[0:3], 0 offset:52
	v_cmp_gt_u32_e32 vcc, 6, v0
	s_waitcnt vmcnt(0)
	ds_write_b64 v56, v[54:55]
	s_waitcnt lgkmcnt(0)
	; wave barrier
	s_waitcnt lgkmcnt(0)
	s_and_saveexec_b64 s[4:5], vcc
	s_cbranch_execz .LBB89_33
; %bb.30:
	v_add_u32_e32 v58, -1, v0
	v_add_u32_e32 v59, 0xd0, v1
	v_add_u32_e32 v60, 0, v1
	s_mov_b64 s[6:7], 0
	v_pk_mov_b32 v[54:55], 0, 0
.LBB89_31:                              ; =>This Inner Loop Header: Depth=1
	buffer_load_dword v62, v60, s[0:3], 0 offen
	buffer_load_dword v63, v60, s[0:3], 0 offen offset:4
	ds_read_b64 v[64:65], v59
	v_add_u32_e32 v58, 1, v58
	v_cmp_lt_u32_e32 vcc, 4, v58
	v_add_u32_e32 v59, 8, v59
	v_add_u32_e32 v60, 8, v60
	s_or_b64 s[6:7], vcc, s[6:7]
	s_waitcnt vmcnt(0) lgkmcnt(0)
	v_fmac_f64_e32 v[54:55], v[62:63], v[64:65]
	s_andn2_b64 exec, exec, s[6:7]
	s_cbranch_execnz .LBB89_31
; %bb.32:
	s_or_b64 exec, exec, s[6:7]
	v_mov_b32_e32 v58, 0
	ds_read_b64 v[58:59], v58 offset:48
	s_waitcnt lgkmcnt(0)
	v_mul_f64 v[54:55], v[54:55], v[58:59]
	buffer_store_dword v55, off, s[0:3], 0 offset:52
	buffer_store_dword v54, off, s[0:3], 0 offset:48
.LBB89_33:
	s_or_b64 exec, exec, s[4:5]
	s_waitcnt lgkmcnt(0)
	; wave barrier
	buffer_load_dword v54, off, s[0:3], 0 offset:56
	buffer_load_dword v55, off, s[0:3], 0 offset:60
	v_cmp_gt_u32_e32 vcc, 7, v0
	s_waitcnt vmcnt(0)
	ds_write_b64 v56, v[54:55]
	s_waitcnt lgkmcnt(0)
	; wave barrier
	s_waitcnt lgkmcnt(0)
	s_and_saveexec_b64 s[4:5], vcc
	s_cbranch_execz .LBB89_37
; %bb.34:
	v_add_u32_e32 v58, -1, v0
	v_add_u32_e32 v59, 0xd0, v1
	v_add_u32_e32 v60, 0, v1
	s_mov_b64 s[6:7], 0
	v_pk_mov_b32 v[54:55], 0, 0
.LBB89_35:                              ; =>This Inner Loop Header: Depth=1
	buffer_load_dword v62, v60, s[0:3], 0 offen
	buffer_load_dword v63, v60, s[0:3], 0 offen offset:4
	ds_read_b64 v[64:65], v59
	v_add_u32_e32 v58, 1, v58
	v_cmp_lt_u32_e32 vcc, 5, v58
	v_add_u32_e32 v59, 8, v59
	v_add_u32_e32 v60, 8, v60
	s_or_b64 s[6:7], vcc, s[6:7]
	s_waitcnt vmcnt(0) lgkmcnt(0)
	v_fmac_f64_e32 v[54:55], v[62:63], v[64:65]
	s_andn2_b64 exec, exec, s[6:7]
	s_cbranch_execnz .LBB89_35
; %bb.36:
	s_or_b64 exec, exec, s[6:7]
	v_mov_b32_e32 v58, 0
	ds_read_b64 v[58:59], v58 offset:56
	s_waitcnt lgkmcnt(0)
	v_mul_f64 v[54:55], v[54:55], v[58:59]
	buffer_store_dword v55, off, s[0:3], 0 offset:60
	buffer_store_dword v54, off, s[0:3], 0 offset:56
.LBB89_37:
	s_or_b64 exec, exec, s[4:5]
	s_waitcnt lgkmcnt(0)
	; wave barrier
	buffer_load_dword v54, off, s[0:3], 0 offset:64
	buffer_load_dword v55, off, s[0:3], 0 offset:68
	v_cmp_gt_u32_e32 vcc, 8, v0
	s_waitcnt vmcnt(0)
	ds_write_b64 v56, v[54:55]
	s_waitcnt lgkmcnt(0)
	; wave barrier
	s_waitcnt lgkmcnt(0)
	s_and_saveexec_b64 s[4:5], vcc
	s_cbranch_execz .LBB89_41
; %bb.38:
	v_add_u32_e32 v58, -1, v0
	v_add_u32_e32 v59, 0xd0, v1
	v_add_u32_e32 v60, 0, v1
	s_mov_b64 s[6:7], 0
	v_pk_mov_b32 v[54:55], 0, 0
.LBB89_39:                              ; =>This Inner Loop Header: Depth=1
	buffer_load_dword v62, v60, s[0:3], 0 offen
	buffer_load_dword v63, v60, s[0:3], 0 offen offset:4
	ds_read_b64 v[64:65], v59
	v_add_u32_e32 v58, 1, v58
	v_cmp_lt_u32_e32 vcc, 6, v58
	v_add_u32_e32 v59, 8, v59
	v_add_u32_e32 v60, 8, v60
	s_or_b64 s[6:7], vcc, s[6:7]
	s_waitcnt vmcnt(0) lgkmcnt(0)
	v_fmac_f64_e32 v[54:55], v[62:63], v[64:65]
	s_andn2_b64 exec, exec, s[6:7]
	s_cbranch_execnz .LBB89_39
; %bb.40:
	s_or_b64 exec, exec, s[6:7]
	v_mov_b32_e32 v58, 0
	ds_read_b64 v[58:59], v58 offset:64
	s_waitcnt lgkmcnt(0)
	v_mul_f64 v[54:55], v[54:55], v[58:59]
	buffer_store_dword v55, off, s[0:3], 0 offset:68
	buffer_store_dword v54, off, s[0:3], 0 offset:64
.LBB89_41:
	s_or_b64 exec, exec, s[4:5]
	s_waitcnt lgkmcnt(0)
	; wave barrier
	buffer_load_dword v54, off, s[0:3], 0 offset:72
	buffer_load_dword v55, off, s[0:3], 0 offset:76
	v_cmp_gt_u32_e32 vcc, 9, v0
	s_waitcnt vmcnt(0)
	ds_write_b64 v56, v[54:55]
	s_waitcnt lgkmcnt(0)
	; wave barrier
	s_waitcnt lgkmcnt(0)
	s_and_saveexec_b64 s[4:5], vcc
	s_cbranch_execz .LBB89_45
; %bb.42:
	v_add_u32_e32 v58, -1, v0
	v_add_u32_e32 v59, 0xd0, v1
	v_add_u32_e32 v60, 0, v1
	s_mov_b64 s[6:7], 0
	v_pk_mov_b32 v[54:55], 0, 0
.LBB89_43:                              ; =>This Inner Loop Header: Depth=1
	buffer_load_dword v62, v60, s[0:3], 0 offen
	buffer_load_dword v63, v60, s[0:3], 0 offen offset:4
	ds_read_b64 v[64:65], v59
	v_add_u32_e32 v58, 1, v58
	v_cmp_lt_u32_e32 vcc, 7, v58
	v_add_u32_e32 v59, 8, v59
	v_add_u32_e32 v60, 8, v60
	s_or_b64 s[6:7], vcc, s[6:7]
	s_waitcnt vmcnt(0) lgkmcnt(0)
	v_fmac_f64_e32 v[54:55], v[62:63], v[64:65]
	s_andn2_b64 exec, exec, s[6:7]
	s_cbranch_execnz .LBB89_43
; %bb.44:
	s_or_b64 exec, exec, s[6:7]
	v_mov_b32_e32 v58, 0
	ds_read_b64 v[58:59], v58 offset:72
	s_waitcnt lgkmcnt(0)
	v_mul_f64 v[54:55], v[54:55], v[58:59]
	buffer_store_dword v55, off, s[0:3], 0 offset:76
	buffer_store_dword v54, off, s[0:3], 0 offset:72
.LBB89_45:
	s_or_b64 exec, exec, s[4:5]
	s_waitcnt lgkmcnt(0)
	; wave barrier
	buffer_load_dword v54, off, s[0:3], 0 offset:80
	buffer_load_dword v55, off, s[0:3], 0 offset:84
	v_cmp_gt_u32_e32 vcc, 10, v0
	s_waitcnt vmcnt(0)
	ds_write_b64 v56, v[54:55]
	s_waitcnt lgkmcnt(0)
	; wave barrier
	s_waitcnt lgkmcnt(0)
	s_and_saveexec_b64 s[4:5], vcc
	s_cbranch_execz .LBB89_49
; %bb.46:
	v_add_u32_e32 v58, -1, v0
	v_add_u32_e32 v59, 0xd0, v1
	v_add_u32_e32 v60, 0, v1
	s_mov_b64 s[6:7], 0
	v_pk_mov_b32 v[54:55], 0, 0
.LBB89_47:                              ; =>This Inner Loop Header: Depth=1
	buffer_load_dword v62, v60, s[0:3], 0 offen
	buffer_load_dword v63, v60, s[0:3], 0 offen offset:4
	ds_read_b64 v[64:65], v59
	v_add_u32_e32 v58, 1, v58
	v_cmp_lt_u32_e32 vcc, 8, v58
	v_add_u32_e32 v59, 8, v59
	v_add_u32_e32 v60, 8, v60
	s_or_b64 s[6:7], vcc, s[6:7]
	s_waitcnt vmcnt(0) lgkmcnt(0)
	v_fmac_f64_e32 v[54:55], v[62:63], v[64:65]
	s_andn2_b64 exec, exec, s[6:7]
	s_cbranch_execnz .LBB89_47
; %bb.48:
	s_or_b64 exec, exec, s[6:7]
	v_mov_b32_e32 v58, 0
	ds_read_b64 v[58:59], v58 offset:80
	s_waitcnt lgkmcnt(0)
	v_mul_f64 v[54:55], v[54:55], v[58:59]
	buffer_store_dword v55, off, s[0:3], 0 offset:84
	buffer_store_dword v54, off, s[0:3], 0 offset:80
.LBB89_49:
	s_or_b64 exec, exec, s[4:5]
	s_waitcnt lgkmcnt(0)
	; wave barrier
	buffer_load_dword v54, off, s[0:3], 0 offset:88
	buffer_load_dword v55, off, s[0:3], 0 offset:92
	v_cmp_gt_u32_e32 vcc, 11, v0
	s_waitcnt vmcnt(0)
	ds_write_b64 v56, v[54:55]
	s_waitcnt lgkmcnt(0)
	; wave barrier
	s_waitcnt lgkmcnt(0)
	s_and_saveexec_b64 s[4:5], vcc
	s_cbranch_execz .LBB89_53
; %bb.50:
	v_add_u32_e32 v58, -1, v0
	v_add_u32_e32 v59, 0xd0, v1
	v_add_u32_e32 v60, 0, v1
	s_mov_b64 s[6:7], 0
	v_pk_mov_b32 v[54:55], 0, 0
.LBB89_51:                              ; =>This Inner Loop Header: Depth=1
	buffer_load_dword v62, v60, s[0:3], 0 offen
	buffer_load_dword v63, v60, s[0:3], 0 offen offset:4
	ds_read_b64 v[64:65], v59
	v_add_u32_e32 v58, 1, v58
	v_cmp_lt_u32_e32 vcc, 9, v58
	v_add_u32_e32 v59, 8, v59
	v_add_u32_e32 v60, 8, v60
	s_or_b64 s[6:7], vcc, s[6:7]
	s_waitcnt vmcnt(0) lgkmcnt(0)
	v_fmac_f64_e32 v[54:55], v[62:63], v[64:65]
	s_andn2_b64 exec, exec, s[6:7]
	s_cbranch_execnz .LBB89_51
; %bb.52:
	s_or_b64 exec, exec, s[6:7]
	v_mov_b32_e32 v58, 0
	ds_read_b64 v[58:59], v58 offset:88
	s_waitcnt lgkmcnt(0)
	v_mul_f64 v[54:55], v[54:55], v[58:59]
	buffer_store_dword v55, off, s[0:3], 0 offset:92
	buffer_store_dword v54, off, s[0:3], 0 offset:88
.LBB89_53:
	s_or_b64 exec, exec, s[4:5]
	s_waitcnt lgkmcnt(0)
	; wave barrier
	buffer_load_dword v54, off, s[0:3], 0 offset:96
	buffer_load_dword v55, off, s[0:3], 0 offset:100
	v_cmp_gt_u32_e32 vcc, 12, v0
	s_waitcnt vmcnt(0)
	ds_write_b64 v56, v[54:55]
	s_waitcnt lgkmcnt(0)
	; wave barrier
	s_waitcnt lgkmcnt(0)
	s_and_saveexec_b64 s[4:5], vcc
	s_cbranch_execz .LBB89_57
; %bb.54:
	v_add_u32_e32 v58, -1, v0
	v_add_u32_e32 v59, 0xd0, v1
	v_add_u32_e32 v60, 0, v1
	s_mov_b64 s[6:7], 0
	v_pk_mov_b32 v[54:55], 0, 0
.LBB89_55:                              ; =>This Inner Loop Header: Depth=1
	buffer_load_dword v62, v60, s[0:3], 0 offen
	buffer_load_dword v63, v60, s[0:3], 0 offen offset:4
	ds_read_b64 v[64:65], v59
	v_add_u32_e32 v58, 1, v58
	v_cmp_lt_u32_e32 vcc, 10, v58
	v_add_u32_e32 v59, 8, v59
	v_add_u32_e32 v60, 8, v60
	s_or_b64 s[6:7], vcc, s[6:7]
	s_waitcnt vmcnt(0) lgkmcnt(0)
	v_fmac_f64_e32 v[54:55], v[62:63], v[64:65]
	s_andn2_b64 exec, exec, s[6:7]
	s_cbranch_execnz .LBB89_55
; %bb.56:
	s_or_b64 exec, exec, s[6:7]
	v_mov_b32_e32 v58, 0
	ds_read_b64 v[58:59], v58 offset:96
	s_waitcnt lgkmcnt(0)
	v_mul_f64 v[54:55], v[54:55], v[58:59]
	buffer_store_dword v55, off, s[0:3], 0 offset:100
	buffer_store_dword v54, off, s[0:3], 0 offset:96
.LBB89_57:
	s_or_b64 exec, exec, s[4:5]
	s_waitcnt lgkmcnt(0)
	; wave barrier
	buffer_load_dword v54, off, s[0:3], 0 offset:104
	buffer_load_dword v55, off, s[0:3], 0 offset:108
	v_cmp_gt_u32_e32 vcc, 13, v0
	s_waitcnt vmcnt(0)
	ds_write_b64 v56, v[54:55]
	s_waitcnt lgkmcnt(0)
	; wave barrier
	s_waitcnt lgkmcnt(0)
	s_and_saveexec_b64 s[4:5], vcc
	s_cbranch_execz .LBB89_61
; %bb.58:
	v_add_u32_e32 v58, -1, v0
	v_add_u32_e32 v59, 0xd0, v1
	v_add_u32_e32 v60, 0, v1
	s_mov_b64 s[6:7], 0
	v_pk_mov_b32 v[54:55], 0, 0
.LBB89_59:                              ; =>This Inner Loop Header: Depth=1
	buffer_load_dword v62, v60, s[0:3], 0 offen
	buffer_load_dword v63, v60, s[0:3], 0 offen offset:4
	ds_read_b64 v[64:65], v59
	v_add_u32_e32 v58, 1, v58
	v_cmp_lt_u32_e32 vcc, 11, v58
	v_add_u32_e32 v59, 8, v59
	v_add_u32_e32 v60, 8, v60
	s_or_b64 s[6:7], vcc, s[6:7]
	s_waitcnt vmcnt(0) lgkmcnt(0)
	v_fmac_f64_e32 v[54:55], v[62:63], v[64:65]
	s_andn2_b64 exec, exec, s[6:7]
	s_cbranch_execnz .LBB89_59
; %bb.60:
	s_or_b64 exec, exec, s[6:7]
	v_mov_b32_e32 v58, 0
	ds_read_b64 v[58:59], v58 offset:104
	s_waitcnt lgkmcnt(0)
	v_mul_f64 v[54:55], v[54:55], v[58:59]
	buffer_store_dword v55, off, s[0:3], 0 offset:108
	buffer_store_dword v54, off, s[0:3], 0 offset:104
.LBB89_61:
	s_or_b64 exec, exec, s[4:5]
	s_waitcnt lgkmcnt(0)
	; wave barrier
	buffer_load_dword v54, off, s[0:3], 0 offset:112
	buffer_load_dword v55, off, s[0:3], 0 offset:116
	v_cmp_gt_u32_e32 vcc, 14, v0
	s_waitcnt vmcnt(0)
	ds_write_b64 v56, v[54:55]
	s_waitcnt lgkmcnt(0)
	; wave barrier
	s_waitcnt lgkmcnt(0)
	s_and_saveexec_b64 s[4:5], vcc
	s_cbranch_execz .LBB89_65
; %bb.62:
	v_add_u32_e32 v58, -1, v0
	v_add_u32_e32 v59, 0xd0, v1
	v_add_u32_e32 v60, 0, v1
	s_mov_b64 s[6:7], 0
	v_pk_mov_b32 v[54:55], 0, 0
.LBB89_63:                              ; =>This Inner Loop Header: Depth=1
	buffer_load_dword v62, v60, s[0:3], 0 offen
	buffer_load_dword v63, v60, s[0:3], 0 offen offset:4
	ds_read_b64 v[64:65], v59
	v_add_u32_e32 v58, 1, v58
	v_cmp_lt_u32_e32 vcc, 12, v58
	v_add_u32_e32 v59, 8, v59
	v_add_u32_e32 v60, 8, v60
	s_or_b64 s[6:7], vcc, s[6:7]
	s_waitcnt vmcnt(0) lgkmcnt(0)
	v_fmac_f64_e32 v[54:55], v[62:63], v[64:65]
	s_andn2_b64 exec, exec, s[6:7]
	s_cbranch_execnz .LBB89_63
; %bb.64:
	s_or_b64 exec, exec, s[6:7]
	v_mov_b32_e32 v58, 0
	ds_read_b64 v[58:59], v58 offset:112
	s_waitcnt lgkmcnt(0)
	v_mul_f64 v[54:55], v[54:55], v[58:59]
	buffer_store_dword v55, off, s[0:3], 0 offset:116
	buffer_store_dword v54, off, s[0:3], 0 offset:112
.LBB89_65:
	s_or_b64 exec, exec, s[4:5]
	s_waitcnt lgkmcnt(0)
	; wave barrier
	buffer_load_dword v54, off, s[0:3], 0 offset:120
	buffer_load_dword v55, off, s[0:3], 0 offset:124
	v_cmp_gt_u32_e32 vcc, 15, v0
	s_waitcnt vmcnt(0)
	ds_write_b64 v56, v[54:55]
	s_waitcnt lgkmcnt(0)
	; wave barrier
	s_waitcnt lgkmcnt(0)
	s_and_saveexec_b64 s[4:5], vcc
	s_cbranch_execz .LBB89_69
; %bb.66:
	v_add_u32_e32 v58, -1, v0
	v_add_u32_e32 v59, 0xd0, v1
	v_add_u32_e32 v60, 0, v1
	s_mov_b64 s[6:7], 0
	v_pk_mov_b32 v[54:55], 0, 0
.LBB89_67:                              ; =>This Inner Loop Header: Depth=1
	buffer_load_dword v62, v60, s[0:3], 0 offen
	buffer_load_dword v63, v60, s[0:3], 0 offen offset:4
	ds_read_b64 v[64:65], v59
	v_add_u32_e32 v58, 1, v58
	v_cmp_lt_u32_e32 vcc, 13, v58
	v_add_u32_e32 v59, 8, v59
	v_add_u32_e32 v60, 8, v60
	s_or_b64 s[6:7], vcc, s[6:7]
	s_waitcnt vmcnt(0) lgkmcnt(0)
	v_fmac_f64_e32 v[54:55], v[62:63], v[64:65]
	s_andn2_b64 exec, exec, s[6:7]
	s_cbranch_execnz .LBB89_67
; %bb.68:
	s_or_b64 exec, exec, s[6:7]
	v_mov_b32_e32 v58, 0
	ds_read_b64 v[58:59], v58 offset:120
	s_waitcnt lgkmcnt(0)
	v_mul_f64 v[54:55], v[54:55], v[58:59]
	buffer_store_dword v55, off, s[0:3], 0 offset:124
	buffer_store_dword v54, off, s[0:3], 0 offset:120
.LBB89_69:
	s_or_b64 exec, exec, s[4:5]
	s_waitcnt lgkmcnt(0)
	; wave barrier
	buffer_load_dword v54, off, s[0:3], 0 offset:128
	buffer_load_dword v55, off, s[0:3], 0 offset:132
	v_cmp_gt_u32_e32 vcc, 16, v0
	s_waitcnt vmcnt(0)
	ds_write_b64 v56, v[54:55]
	s_waitcnt lgkmcnt(0)
	; wave barrier
	s_waitcnt lgkmcnt(0)
	s_and_saveexec_b64 s[4:5], vcc
	s_cbranch_execz .LBB89_73
; %bb.70:
	v_add_u32_e32 v58, -1, v0
	v_add_u32_e32 v59, 0xd0, v1
	v_add_u32_e32 v60, 0, v1
	s_mov_b64 s[6:7], 0
	v_pk_mov_b32 v[54:55], 0, 0
.LBB89_71:                              ; =>This Inner Loop Header: Depth=1
	buffer_load_dword v62, v60, s[0:3], 0 offen
	buffer_load_dword v63, v60, s[0:3], 0 offen offset:4
	ds_read_b64 v[64:65], v59
	v_add_u32_e32 v58, 1, v58
	v_cmp_lt_u32_e32 vcc, 14, v58
	v_add_u32_e32 v59, 8, v59
	v_add_u32_e32 v60, 8, v60
	s_or_b64 s[6:7], vcc, s[6:7]
	s_waitcnt vmcnt(0) lgkmcnt(0)
	v_fmac_f64_e32 v[54:55], v[62:63], v[64:65]
	s_andn2_b64 exec, exec, s[6:7]
	s_cbranch_execnz .LBB89_71
; %bb.72:
	s_or_b64 exec, exec, s[6:7]
	v_mov_b32_e32 v58, 0
	ds_read_b64 v[58:59], v58 offset:128
	s_waitcnt lgkmcnt(0)
	v_mul_f64 v[54:55], v[54:55], v[58:59]
	buffer_store_dword v55, off, s[0:3], 0 offset:132
	buffer_store_dword v54, off, s[0:3], 0 offset:128
.LBB89_73:
	s_or_b64 exec, exec, s[4:5]
	s_waitcnt lgkmcnt(0)
	; wave barrier
	buffer_load_dword v54, off, s[0:3], 0 offset:136
	buffer_load_dword v55, off, s[0:3], 0 offset:140
	v_cmp_gt_u32_e32 vcc, 17, v0
	s_waitcnt vmcnt(0)
	ds_write_b64 v56, v[54:55]
	s_waitcnt lgkmcnt(0)
	; wave barrier
	s_waitcnt lgkmcnt(0)
	s_and_saveexec_b64 s[4:5], vcc
	s_cbranch_execz .LBB89_77
; %bb.74:
	v_add_u32_e32 v58, -1, v0
	v_add_u32_e32 v59, 0xd0, v1
	v_add_u32_e32 v60, 0, v1
	s_mov_b64 s[6:7], 0
	v_pk_mov_b32 v[54:55], 0, 0
.LBB89_75:                              ; =>This Inner Loop Header: Depth=1
	buffer_load_dword v62, v60, s[0:3], 0 offen
	buffer_load_dword v63, v60, s[0:3], 0 offen offset:4
	ds_read_b64 v[64:65], v59
	v_add_u32_e32 v58, 1, v58
	v_cmp_lt_u32_e32 vcc, 15, v58
	v_add_u32_e32 v59, 8, v59
	v_add_u32_e32 v60, 8, v60
	s_or_b64 s[6:7], vcc, s[6:7]
	s_waitcnt vmcnt(0) lgkmcnt(0)
	v_fmac_f64_e32 v[54:55], v[62:63], v[64:65]
	s_andn2_b64 exec, exec, s[6:7]
	s_cbranch_execnz .LBB89_75
; %bb.76:
	s_or_b64 exec, exec, s[6:7]
	v_mov_b32_e32 v58, 0
	ds_read_b64 v[58:59], v58 offset:136
	s_waitcnt lgkmcnt(0)
	v_mul_f64 v[54:55], v[54:55], v[58:59]
	buffer_store_dword v55, off, s[0:3], 0 offset:140
	buffer_store_dword v54, off, s[0:3], 0 offset:136
.LBB89_77:
	s_or_b64 exec, exec, s[4:5]
	s_waitcnt lgkmcnt(0)
	; wave barrier
	buffer_load_dword v54, off, s[0:3], 0 offset:144
	buffer_load_dword v55, off, s[0:3], 0 offset:148
	v_cmp_gt_u32_e32 vcc, 18, v0
	s_waitcnt vmcnt(0)
	ds_write_b64 v56, v[54:55]
	s_waitcnt lgkmcnt(0)
	; wave barrier
	s_waitcnt lgkmcnt(0)
	s_and_saveexec_b64 s[4:5], vcc
	s_cbranch_execz .LBB89_81
; %bb.78:
	v_add_u32_e32 v58, -1, v0
	v_add_u32_e32 v59, 0xd0, v1
	v_add_u32_e32 v60, 0, v1
	s_mov_b64 s[6:7], 0
	v_pk_mov_b32 v[54:55], 0, 0
.LBB89_79:                              ; =>This Inner Loop Header: Depth=1
	buffer_load_dword v62, v60, s[0:3], 0 offen
	buffer_load_dword v63, v60, s[0:3], 0 offen offset:4
	ds_read_b64 v[64:65], v59
	v_add_u32_e32 v58, 1, v58
	v_cmp_lt_u32_e32 vcc, 16, v58
	v_add_u32_e32 v59, 8, v59
	v_add_u32_e32 v60, 8, v60
	s_or_b64 s[6:7], vcc, s[6:7]
	s_waitcnt vmcnt(0) lgkmcnt(0)
	v_fmac_f64_e32 v[54:55], v[62:63], v[64:65]
	s_andn2_b64 exec, exec, s[6:7]
	s_cbranch_execnz .LBB89_79
; %bb.80:
	s_or_b64 exec, exec, s[6:7]
	v_mov_b32_e32 v58, 0
	ds_read_b64 v[58:59], v58 offset:144
	s_waitcnt lgkmcnt(0)
	v_mul_f64 v[54:55], v[54:55], v[58:59]
	buffer_store_dword v55, off, s[0:3], 0 offset:148
	buffer_store_dword v54, off, s[0:3], 0 offset:144
.LBB89_81:
	s_or_b64 exec, exec, s[4:5]
	s_waitcnt lgkmcnt(0)
	; wave barrier
	buffer_load_dword v54, off, s[0:3], 0 offset:152
	buffer_load_dword v55, off, s[0:3], 0 offset:156
	v_cmp_gt_u32_e32 vcc, 19, v0
	s_waitcnt vmcnt(0)
	ds_write_b64 v56, v[54:55]
	s_waitcnt lgkmcnt(0)
	; wave barrier
	s_waitcnt lgkmcnt(0)
	s_and_saveexec_b64 s[4:5], vcc
	s_cbranch_execz .LBB89_85
; %bb.82:
	v_add_u32_e32 v58, -1, v0
	v_add_u32_e32 v59, 0xd0, v1
	v_add_u32_e32 v60, 0, v1
	s_mov_b64 s[6:7], 0
	v_pk_mov_b32 v[54:55], 0, 0
.LBB89_83:                              ; =>This Inner Loop Header: Depth=1
	buffer_load_dword v62, v60, s[0:3], 0 offen
	buffer_load_dword v63, v60, s[0:3], 0 offen offset:4
	ds_read_b64 v[64:65], v59
	v_add_u32_e32 v58, 1, v58
	v_cmp_lt_u32_e32 vcc, 17, v58
	v_add_u32_e32 v59, 8, v59
	v_add_u32_e32 v60, 8, v60
	s_or_b64 s[6:7], vcc, s[6:7]
	s_waitcnt vmcnt(0) lgkmcnt(0)
	v_fmac_f64_e32 v[54:55], v[62:63], v[64:65]
	s_andn2_b64 exec, exec, s[6:7]
	s_cbranch_execnz .LBB89_83
; %bb.84:
	s_or_b64 exec, exec, s[6:7]
	v_mov_b32_e32 v58, 0
	ds_read_b64 v[58:59], v58 offset:152
	s_waitcnt lgkmcnt(0)
	v_mul_f64 v[54:55], v[54:55], v[58:59]
	buffer_store_dword v55, off, s[0:3], 0 offset:156
	buffer_store_dword v54, off, s[0:3], 0 offset:152
.LBB89_85:
	s_or_b64 exec, exec, s[4:5]
	s_waitcnt lgkmcnt(0)
	; wave barrier
	buffer_load_dword v54, off, s[0:3], 0 offset:160
	buffer_load_dword v55, off, s[0:3], 0 offset:164
	v_cmp_gt_u32_e32 vcc, 20, v0
	s_waitcnt vmcnt(0)
	ds_write_b64 v56, v[54:55]
	s_waitcnt lgkmcnt(0)
	; wave barrier
	s_waitcnt lgkmcnt(0)
	s_and_saveexec_b64 s[4:5], vcc
	s_cbranch_execz .LBB89_89
; %bb.86:
	v_add_u32_e32 v58, -1, v0
	v_add_u32_e32 v59, 0xd0, v1
	v_add_u32_e32 v60, 0, v1
	s_mov_b64 s[6:7], 0
	v_pk_mov_b32 v[54:55], 0, 0
.LBB89_87:                              ; =>This Inner Loop Header: Depth=1
	buffer_load_dword v62, v60, s[0:3], 0 offen
	buffer_load_dword v63, v60, s[0:3], 0 offen offset:4
	ds_read_b64 v[64:65], v59
	v_add_u32_e32 v58, 1, v58
	v_cmp_lt_u32_e32 vcc, 18, v58
	v_add_u32_e32 v59, 8, v59
	v_add_u32_e32 v60, 8, v60
	s_or_b64 s[6:7], vcc, s[6:7]
	s_waitcnt vmcnt(0) lgkmcnt(0)
	v_fmac_f64_e32 v[54:55], v[62:63], v[64:65]
	s_andn2_b64 exec, exec, s[6:7]
	s_cbranch_execnz .LBB89_87
; %bb.88:
	s_or_b64 exec, exec, s[6:7]
	v_mov_b32_e32 v58, 0
	ds_read_b64 v[58:59], v58 offset:160
	s_waitcnt lgkmcnt(0)
	v_mul_f64 v[54:55], v[54:55], v[58:59]
	buffer_store_dword v55, off, s[0:3], 0 offset:164
	buffer_store_dword v54, off, s[0:3], 0 offset:160
.LBB89_89:
	s_or_b64 exec, exec, s[4:5]
	s_waitcnt lgkmcnt(0)
	; wave barrier
	buffer_load_dword v54, off, s[0:3], 0 offset:168
	buffer_load_dword v55, off, s[0:3], 0 offset:172
	v_cmp_gt_u32_e32 vcc, 21, v0
	s_waitcnt vmcnt(0)
	ds_write_b64 v56, v[54:55]
	s_waitcnt lgkmcnt(0)
	; wave barrier
	s_waitcnt lgkmcnt(0)
	s_and_saveexec_b64 s[4:5], vcc
	s_cbranch_execz .LBB89_93
; %bb.90:
	v_add_u32_e32 v58, -1, v0
	v_add_u32_e32 v59, 0xd0, v1
	v_add_u32_e32 v60, 0, v1
	s_mov_b64 s[6:7], 0
	v_pk_mov_b32 v[54:55], 0, 0
.LBB89_91:                              ; =>This Inner Loop Header: Depth=1
	buffer_load_dword v62, v60, s[0:3], 0 offen
	buffer_load_dword v63, v60, s[0:3], 0 offen offset:4
	ds_read_b64 v[64:65], v59
	v_add_u32_e32 v58, 1, v58
	v_cmp_lt_u32_e32 vcc, 19, v58
	v_add_u32_e32 v59, 8, v59
	v_add_u32_e32 v60, 8, v60
	s_or_b64 s[6:7], vcc, s[6:7]
	s_waitcnt vmcnt(0) lgkmcnt(0)
	v_fmac_f64_e32 v[54:55], v[62:63], v[64:65]
	s_andn2_b64 exec, exec, s[6:7]
	s_cbranch_execnz .LBB89_91
; %bb.92:
	s_or_b64 exec, exec, s[6:7]
	v_mov_b32_e32 v58, 0
	ds_read_b64 v[58:59], v58 offset:168
	s_waitcnt lgkmcnt(0)
	v_mul_f64 v[54:55], v[54:55], v[58:59]
	buffer_store_dword v55, off, s[0:3], 0 offset:172
	buffer_store_dword v54, off, s[0:3], 0 offset:168
.LBB89_93:
	s_or_b64 exec, exec, s[4:5]
	s_waitcnt lgkmcnt(0)
	; wave barrier
	buffer_load_dword v54, off, s[0:3], 0 offset:176
	buffer_load_dword v55, off, s[0:3], 0 offset:180
	v_cmp_gt_u32_e32 vcc, 22, v0
	s_waitcnt vmcnt(0)
	ds_write_b64 v56, v[54:55]
	s_waitcnt lgkmcnt(0)
	; wave barrier
	s_waitcnt lgkmcnt(0)
	s_and_saveexec_b64 s[4:5], vcc
	s_cbranch_execz .LBB89_97
; %bb.94:
	v_add_u32_e32 v58, -1, v0
	v_add_u32_e32 v59, 0xd0, v1
	v_add_u32_e32 v60, 0, v1
	s_mov_b64 s[6:7], 0
	v_pk_mov_b32 v[54:55], 0, 0
.LBB89_95:                              ; =>This Inner Loop Header: Depth=1
	buffer_load_dword v62, v60, s[0:3], 0 offen
	buffer_load_dword v63, v60, s[0:3], 0 offen offset:4
	ds_read_b64 v[64:65], v59
	v_add_u32_e32 v58, 1, v58
	v_cmp_lt_u32_e32 vcc, 20, v58
	v_add_u32_e32 v59, 8, v59
	v_add_u32_e32 v60, 8, v60
	s_or_b64 s[6:7], vcc, s[6:7]
	s_waitcnt vmcnt(0) lgkmcnt(0)
	v_fmac_f64_e32 v[54:55], v[62:63], v[64:65]
	s_andn2_b64 exec, exec, s[6:7]
	s_cbranch_execnz .LBB89_95
; %bb.96:
	s_or_b64 exec, exec, s[6:7]
	v_mov_b32_e32 v58, 0
	ds_read_b64 v[58:59], v58 offset:176
	s_waitcnt lgkmcnt(0)
	v_mul_f64 v[54:55], v[54:55], v[58:59]
	buffer_store_dword v55, off, s[0:3], 0 offset:180
	buffer_store_dword v54, off, s[0:3], 0 offset:176
.LBB89_97:
	s_or_b64 exec, exec, s[4:5]
	s_waitcnt lgkmcnt(0)
	; wave barrier
	buffer_load_dword v54, off, s[0:3], 0 offset:184
	buffer_load_dword v55, off, s[0:3], 0 offset:188
	v_cmp_gt_u32_e32 vcc, 23, v0
	s_waitcnt vmcnt(0)
	ds_write_b64 v56, v[54:55]
	s_waitcnt lgkmcnt(0)
	; wave barrier
	s_waitcnt lgkmcnt(0)
	s_and_saveexec_b64 s[4:5], vcc
	s_cbranch_execz .LBB89_101
; %bb.98:
	v_add_u32_e32 v58, -1, v0
	v_add_u32_e32 v59, 0xd0, v1
	v_add_u32_e32 v60, 0, v1
	s_mov_b64 s[6:7], 0
	v_pk_mov_b32 v[54:55], 0, 0
.LBB89_99:                              ; =>This Inner Loop Header: Depth=1
	buffer_load_dword v62, v60, s[0:3], 0 offen
	buffer_load_dword v63, v60, s[0:3], 0 offen offset:4
	ds_read_b64 v[64:65], v59
	v_add_u32_e32 v58, 1, v58
	v_cmp_lt_u32_e32 vcc, 21, v58
	v_add_u32_e32 v59, 8, v59
	v_add_u32_e32 v60, 8, v60
	s_or_b64 s[6:7], vcc, s[6:7]
	s_waitcnt vmcnt(0) lgkmcnt(0)
	v_fmac_f64_e32 v[54:55], v[62:63], v[64:65]
	s_andn2_b64 exec, exec, s[6:7]
	s_cbranch_execnz .LBB89_99
; %bb.100:
	s_or_b64 exec, exec, s[6:7]
	v_mov_b32_e32 v58, 0
	ds_read_b64 v[58:59], v58 offset:184
	s_waitcnt lgkmcnt(0)
	v_mul_f64 v[54:55], v[54:55], v[58:59]
	buffer_store_dword v55, off, s[0:3], 0 offset:188
	buffer_store_dword v54, off, s[0:3], 0 offset:184
.LBB89_101:
	s_or_b64 exec, exec, s[4:5]
	s_waitcnt lgkmcnt(0)
	; wave barrier
	buffer_load_dword v54, off, s[0:3], 0 offset:192
	buffer_load_dword v55, off, s[0:3], 0 offset:196
	v_cmp_gt_u32_e32 vcc, 24, v0
	s_waitcnt vmcnt(0)
	ds_write_b64 v56, v[54:55]
	s_waitcnt lgkmcnt(0)
	; wave barrier
	s_waitcnt lgkmcnt(0)
	s_and_saveexec_b64 s[4:5], vcc
	s_cbranch_execz .LBB89_105
; %bb.102:
	v_add_u32_e32 v58, -1, v0
	v_add_u32_e32 v59, 0xd0, v1
	v_add_u32_e32 v60, 0, v1
	s_mov_b64 s[6:7], 0
	v_pk_mov_b32 v[54:55], 0, 0
.LBB89_103:                             ; =>This Inner Loop Header: Depth=1
	buffer_load_dword v62, v60, s[0:3], 0 offen
	buffer_load_dword v63, v60, s[0:3], 0 offen offset:4
	ds_read_b64 v[64:65], v59
	v_add_u32_e32 v58, 1, v58
	v_cmp_lt_u32_e32 vcc, 22, v58
	v_add_u32_e32 v59, 8, v59
	v_add_u32_e32 v60, 8, v60
	s_or_b64 s[6:7], vcc, s[6:7]
	s_waitcnt vmcnt(0) lgkmcnt(0)
	v_fmac_f64_e32 v[54:55], v[62:63], v[64:65]
	s_andn2_b64 exec, exec, s[6:7]
	s_cbranch_execnz .LBB89_103
; %bb.104:
	s_or_b64 exec, exec, s[6:7]
	v_mov_b32_e32 v58, 0
	ds_read_b64 v[58:59], v58 offset:192
	s_waitcnt lgkmcnt(0)
	v_mul_f64 v[54:55], v[54:55], v[58:59]
	buffer_store_dword v55, off, s[0:3], 0 offset:196
	buffer_store_dword v54, off, s[0:3], 0 offset:192
.LBB89_105:
	s_or_b64 exec, exec, s[4:5]
	s_waitcnt lgkmcnt(0)
	; wave barrier
	buffer_load_dword v54, off, s[0:3], 0 offset:200
	buffer_load_dword v55, off, s[0:3], 0 offset:204
	v_cmp_ne_u32_e32 vcc, 25, v0
	s_waitcnt vmcnt(0)
	ds_write_b64 v56, v[54:55]
	s_waitcnt lgkmcnt(0)
	; wave barrier
	s_waitcnt lgkmcnt(0)
	s_and_saveexec_b64 s[4:5], vcc
	s_cbranch_execz .LBB89_109
; %bb.106:
	v_add_u32_e32 v56, 0xd0, v1
	v_add_u32_e32 v1, 0, v1
	s_mov_b64 s[6:7], 0
	v_pk_mov_b32 v[54:55], 0, 0
.LBB89_107:                             ; =>This Inner Loop Header: Depth=1
	buffer_load_dword v58, v1, s[0:3], 0 offen
	buffer_load_dword v59, v1, s[0:3], 0 offen offset:4
	ds_read_b64 v[60:61], v56
	v_add_u32_e32 v57, 1, v57
	v_cmp_lt_u32_e32 vcc, 23, v57
	v_add_u32_e32 v56, 8, v56
	v_add_u32_e32 v1, 8, v1
	s_or_b64 s[6:7], vcc, s[6:7]
	s_waitcnt vmcnt(0) lgkmcnt(0)
	v_fmac_f64_e32 v[54:55], v[58:59], v[60:61]
	s_andn2_b64 exec, exec, s[6:7]
	s_cbranch_execnz .LBB89_107
; %bb.108:
	s_or_b64 exec, exec, s[6:7]
	v_mov_b32_e32 v1, 0
	ds_read_b64 v[56:57], v1 offset:200
	s_waitcnt lgkmcnt(0)
	v_mul_f64 v[54:55], v[54:55], v[56:57]
	buffer_store_dword v55, off, s[0:3], 0 offset:204
	buffer_store_dword v54, off, s[0:3], 0 offset:200
.LBB89_109:
	s_or_b64 exec, exec, s[4:5]
	s_mov_b64 s[6:7], -1
	s_waitcnt lgkmcnt(0)
	; wave barrier
.LBB89_110:
	s_and_b64 vcc, exec, s[6:7]
	s_cbranch_vccz .LBB89_112
; %bb.111:
	s_lshl_b64 s[4:5], s[8:9], 2
	s_add_u32 s4, s14, s4
	s_addc_u32 s5, s15, s5
	v_mov_b32_e32 v1, 0
	global_load_dword v1, v1, s[4:5]
	s_waitcnt vmcnt(0)
	v_cmp_ne_u32_e32 vcc, 0, v1
	s_cbranch_vccz .LBB89_113
.LBB89_112:
	s_endpgm
.LBB89_113:
	v_mov_b32_e32 v1, 0xd0
	v_lshl_add_u32 v1, v0, 3, v1
	v_cmp_eq_u32_e32 vcc, 25, v0
	s_and_saveexec_b64 s[4:5], vcc
	s_cbranch_execz .LBB89_115
; %bb.114:
	buffer_load_dword v54, off, s[0:3], 0 offset:192
	buffer_load_dword v55, off, s[0:3], 0 offset:196
	v_mov_b32_e32 v56, 0
	buffer_store_dword v56, off, s[0:3], 0 offset:192
	buffer_store_dword v56, off, s[0:3], 0 offset:196
	s_waitcnt vmcnt(2)
	ds_write_b64 v1, v[54:55]
.LBB89_115:
	s_or_b64 exec, exec, s[4:5]
	s_waitcnt lgkmcnt(0)
	; wave barrier
	s_waitcnt lgkmcnt(0)
	buffer_load_dword v56, off, s[0:3], 0 offset:200
	buffer_load_dword v57, off, s[0:3], 0 offset:204
	;; [unrolled: 1-line block ×4, first 2 shown]
	v_mov_b32_e32 v54, 0
	ds_read_b64 v[60:61], v54 offset:408
	v_cmp_lt_u32_e32 vcc, 23, v0
	s_waitcnt vmcnt(2) lgkmcnt(0)
	v_fma_f64 v[56:57], v[56:57], v[60:61], 0
	s_waitcnt vmcnt(0)
	v_add_f64 v[56:57], v[58:59], -v[56:57]
	buffer_store_dword v56, off, s[0:3], 0 offset:192
	buffer_store_dword v57, off, s[0:3], 0 offset:196
	s_and_saveexec_b64 s[4:5], vcc
	s_cbranch_execz .LBB89_117
; %bb.116:
	buffer_load_dword v56, off, s[0:3], 0 offset:184
	buffer_load_dword v57, off, s[0:3], 0 offset:188
	s_waitcnt vmcnt(0)
	ds_write_b64 v1, v[56:57]
	buffer_store_dword v54, off, s[0:3], 0 offset:184
	buffer_store_dword v54, off, s[0:3], 0 offset:188
.LBB89_117:
	s_or_b64 exec, exec, s[4:5]
	s_waitcnt lgkmcnt(0)
	; wave barrier
	s_waitcnt lgkmcnt(0)
	buffer_load_dword v58, off, s[0:3], 0 offset:192
	buffer_load_dword v59, off, s[0:3], 0 offset:196
	;; [unrolled: 1-line block ×6, first 2 shown]
	ds_read_b128 v[54:57], v54 offset:400
	v_cmp_lt_u32_e32 vcc, 22, v0
	s_waitcnt vmcnt(4) lgkmcnt(0)
	v_fma_f64 v[54:55], v[58:59], v[54:55], 0
	s_waitcnt vmcnt(2)
	v_fmac_f64_e32 v[54:55], v[60:61], v[56:57]
	s_waitcnt vmcnt(0)
	v_add_f64 v[54:55], v[62:63], -v[54:55]
	buffer_store_dword v54, off, s[0:3], 0 offset:184
	buffer_store_dword v55, off, s[0:3], 0 offset:188
	s_and_saveexec_b64 s[4:5], vcc
	s_cbranch_execz .LBB89_119
; %bb.118:
	buffer_load_dword v54, off, s[0:3], 0 offset:176
	buffer_load_dword v55, off, s[0:3], 0 offset:180
	v_mov_b32_e32 v56, 0
	buffer_store_dword v56, off, s[0:3], 0 offset:176
	buffer_store_dword v56, off, s[0:3], 0 offset:180
	s_waitcnt vmcnt(2)
	ds_write_b64 v1, v[54:55]
.LBB89_119:
	s_or_b64 exec, exec, s[4:5]
	s_waitcnt lgkmcnt(0)
	; wave barrier
	s_waitcnt lgkmcnt(0)
	buffer_load_dword v60, off, s[0:3], 0 offset:184
	buffer_load_dword v61, off, s[0:3], 0 offset:188
	;; [unrolled: 1-line block ×8, first 2 shown]
	v_mov_b32_e32 v54, 0
	ds_read2_b64 v[56:59], v54 offset0:49 offset1:50
	ds_read_b64 v[68:69], v54 offset:408
	v_cmp_lt_u32_e32 vcc, 21, v0
	s_waitcnt vmcnt(6) lgkmcnt(1)
	v_fma_f64 v[56:57], v[60:61], v[56:57], 0
	s_waitcnt vmcnt(4)
	v_fmac_f64_e32 v[56:57], v[62:63], v[58:59]
	s_waitcnt vmcnt(2) lgkmcnt(0)
	v_fmac_f64_e32 v[56:57], v[64:65], v[68:69]
	s_waitcnt vmcnt(0)
	v_add_f64 v[56:57], v[66:67], -v[56:57]
	buffer_store_dword v56, off, s[0:3], 0 offset:176
	buffer_store_dword v57, off, s[0:3], 0 offset:180
	s_and_saveexec_b64 s[4:5], vcc
	s_cbranch_execz .LBB89_121
; %bb.120:
	buffer_load_dword v56, off, s[0:3], 0 offset:168
	buffer_load_dword v57, off, s[0:3], 0 offset:172
	s_waitcnt vmcnt(0)
	ds_write_b64 v1, v[56:57]
	buffer_store_dword v54, off, s[0:3], 0 offset:168
	buffer_store_dword v54, off, s[0:3], 0 offset:172
.LBB89_121:
	s_or_b64 exec, exec, s[4:5]
	s_waitcnt lgkmcnt(0)
	; wave barrier
	s_waitcnt lgkmcnt(0)
	buffer_load_dword v64, off, s[0:3], 0 offset:176
	buffer_load_dword v65, off, s[0:3], 0 offset:180
	buffer_load_dword v66, off, s[0:3], 0 offset:184
	buffer_load_dword v67, off, s[0:3], 0 offset:188
	buffer_load_dword v68, off, s[0:3], 0 offset:192
	buffer_load_dword v69, off, s[0:3], 0 offset:196
	buffer_load_dword v70, off, s[0:3], 0 offset:200
	buffer_load_dword v71, off, s[0:3], 0 offset:204
	buffer_load_dword v72, off, s[0:3], 0 offset:168
	buffer_load_dword v73, off, s[0:3], 0 offset:172
	ds_read_b128 v[56:59], v54 offset:384
	ds_read_b128 v[60:63], v54 offset:400
	v_cmp_lt_u32_e32 vcc, 20, v0
	s_waitcnt vmcnt(8) lgkmcnt(1)
	v_fma_f64 v[54:55], v[64:65], v[56:57], 0
	s_waitcnt vmcnt(6)
	v_fmac_f64_e32 v[54:55], v[66:67], v[58:59]
	s_waitcnt vmcnt(4) lgkmcnt(0)
	v_fmac_f64_e32 v[54:55], v[68:69], v[60:61]
	s_waitcnt vmcnt(2)
	v_fmac_f64_e32 v[54:55], v[70:71], v[62:63]
	s_waitcnt vmcnt(0)
	v_add_f64 v[54:55], v[72:73], -v[54:55]
	buffer_store_dword v54, off, s[0:3], 0 offset:168
	buffer_store_dword v55, off, s[0:3], 0 offset:172
	s_and_saveexec_b64 s[4:5], vcc
	s_cbranch_execz .LBB89_123
; %bb.122:
	buffer_load_dword v54, off, s[0:3], 0 offset:160
	buffer_load_dword v55, off, s[0:3], 0 offset:164
	v_mov_b32_e32 v56, 0
	buffer_store_dword v56, off, s[0:3], 0 offset:160
	buffer_store_dword v56, off, s[0:3], 0 offset:164
	s_waitcnt vmcnt(2)
	ds_write_b64 v1, v[54:55]
.LBB89_123:
	s_or_b64 exec, exec, s[4:5]
	s_waitcnt lgkmcnt(0)
	; wave barrier
	s_waitcnt lgkmcnt(0)
	buffer_load_dword v64, off, s[0:3], 0 offset:168
	buffer_load_dword v65, off, s[0:3], 0 offset:172
	;; [unrolled: 1-line block ×12, first 2 shown]
	v_mov_b32_e32 v54, 0
	ds_read2_b64 v[56:59], v54 offset0:47 offset1:48
	ds_read2_b64 v[60:63], v54 offset0:49 offset1:50
	ds_read_b64 v[76:77], v54 offset:408
	v_cmp_lt_u32_e32 vcc, 19, v0
	s_waitcnt vmcnt(10) lgkmcnt(2)
	v_fma_f64 v[56:57], v[64:65], v[56:57], 0
	s_waitcnt vmcnt(8)
	v_fmac_f64_e32 v[56:57], v[66:67], v[58:59]
	s_waitcnt vmcnt(6) lgkmcnt(1)
	v_fmac_f64_e32 v[56:57], v[68:69], v[60:61]
	s_waitcnt vmcnt(4)
	v_fmac_f64_e32 v[56:57], v[70:71], v[62:63]
	s_waitcnt vmcnt(2) lgkmcnt(0)
	v_fmac_f64_e32 v[56:57], v[72:73], v[76:77]
	s_waitcnt vmcnt(0)
	v_add_f64 v[56:57], v[74:75], -v[56:57]
	buffer_store_dword v56, off, s[0:3], 0 offset:160
	buffer_store_dword v57, off, s[0:3], 0 offset:164
	s_and_saveexec_b64 s[4:5], vcc
	s_cbranch_execz .LBB89_125
; %bb.124:
	buffer_load_dword v56, off, s[0:3], 0 offset:152
	buffer_load_dword v57, off, s[0:3], 0 offset:156
	s_waitcnt vmcnt(0)
	ds_write_b64 v1, v[56:57]
	buffer_store_dword v54, off, s[0:3], 0 offset:152
	buffer_store_dword v54, off, s[0:3], 0 offset:156
.LBB89_125:
	s_or_b64 exec, exec, s[4:5]
	s_waitcnt lgkmcnt(0)
	; wave barrier
	s_waitcnt lgkmcnt(0)
	buffer_load_dword v68, off, s[0:3], 0 offset:160
	buffer_load_dword v69, off, s[0:3], 0 offset:164
	;; [unrolled: 1-line block ×14, first 2 shown]
	ds_read_b128 v[56:59], v54 offset:368
	ds_read_b128 v[60:63], v54 offset:384
	;; [unrolled: 1-line block ×3, first 2 shown]
	v_cmp_lt_u32_e32 vcc, 18, v0
	s_waitcnt vmcnt(12) lgkmcnt(2)
	v_fma_f64 v[54:55], v[68:69], v[56:57], 0
	s_waitcnt vmcnt(10)
	v_fmac_f64_e32 v[54:55], v[70:71], v[58:59]
	s_waitcnt vmcnt(8) lgkmcnt(1)
	v_fmac_f64_e32 v[54:55], v[72:73], v[60:61]
	s_waitcnt vmcnt(6)
	v_fmac_f64_e32 v[54:55], v[74:75], v[62:63]
	s_waitcnt vmcnt(4) lgkmcnt(0)
	v_fmac_f64_e32 v[54:55], v[76:77], v[64:65]
	s_waitcnt vmcnt(2)
	v_fmac_f64_e32 v[54:55], v[78:79], v[66:67]
	s_waitcnt vmcnt(0)
	v_add_f64 v[54:55], v[80:81], -v[54:55]
	buffer_store_dword v54, off, s[0:3], 0 offset:152
	buffer_store_dword v55, off, s[0:3], 0 offset:156
	s_and_saveexec_b64 s[4:5], vcc
	s_cbranch_execz .LBB89_127
; %bb.126:
	buffer_load_dword v54, off, s[0:3], 0 offset:144
	buffer_load_dword v55, off, s[0:3], 0 offset:148
	v_mov_b32_e32 v56, 0
	buffer_store_dword v56, off, s[0:3], 0 offset:144
	buffer_store_dword v56, off, s[0:3], 0 offset:148
	s_waitcnt vmcnt(2)
	ds_write_b64 v1, v[54:55]
.LBB89_127:
	s_or_b64 exec, exec, s[4:5]
	s_waitcnt lgkmcnt(0)
	; wave barrier
	s_waitcnt lgkmcnt(0)
	buffer_load_dword v68, off, s[0:3], 0 offset:152
	buffer_load_dword v69, off, s[0:3], 0 offset:156
	;; [unrolled: 1-line block ×16, first 2 shown]
	v_mov_b32_e32 v54, 0
	ds_read2_b64 v[56:59], v54 offset0:45 offset1:46
	ds_read2_b64 v[60:63], v54 offset0:47 offset1:48
	;; [unrolled: 1-line block ×3, first 2 shown]
	ds_read_b64 v[84:85], v54 offset:408
	v_cmp_lt_u32_e32 vcc, 17, v0
	s_waitcnt vmcnt(14) lgkmcnt(3)
	v_fma_f64 v[56:57], v[68:69], v[56:57], 0
	s_waitcnt vmcnt(12)
	v_fmac_f64_e32 v[56:57], v[70:71], v[58:59]
	s_waitcnt vmcnt(10) lgkmcnt(2)
	v_fmac_f64_e32 v[56:57], v[72:73], v[60:61]
	s_waitcnt vmcnt(8)
	v_fmac_f64_e32 v[56:57], v[74:75], v[62:63]
	s_waitcnt vmcnt(6) lgkmcnt(1)
	v_fmac_f64_e32 v[56:57], v[76:77], v[64:65]
	;; [unrolled: 4-line block ×3, first 2 shown]
	s_waitcnt vmcnt(0)
	v_add_f64 v[56:57], v[82:83], -v[56:57]
	buffer_store_dword v56, off, s[0:3], 0 offset:144
	buffer_store_dword v57, off, s[0:3], 0 offset:148
	s_and_saveexec_b64 s[4:5], vcc
	s_cbranch_execz .LBB89_129
; %bb.128:
	buffer_load_dword v56, off, s[0:3], 0 offset:136
	buffer_load_dword v57, off, s[0:3], 0 offset:140
	s_waitcnt vmcnt(0)
	ds_write_b64 v1, v[56:57]
	buffer_store_dword v54, off, s[0:3], 0 offset:136
	buffer_store_dword v54, off, s[0:3], 0 offset:140
.LBB89_129:
	s_or_b64 exec, exec, s[4:5]
	s_waitcnt lgkmcnt(0)
	; wave barrier
	s_waitcnt lgkmcnt(0)
	buffer_load_dword v72, off, s[0:3], 0 offset:144
	buffer_load_dword v73, off, s[0:3], 0 offset:148
	;; [unrolled: 1-line block ×18, first 2 shown]
	ds_read_b128 v[56:59], v54 offset:352
	ds_read_b128 v[60:63], v54 offset:368
	;; [unrolled: 1-line block ×4, first 2 shown]
	v_cmp_lt_u32_e32 vcc, 16, v0
	s_waitcnt vmcnt(16) lgkmcnt(3)
	v_fma_f64 v[54:55], v[72:73], v[56:57], 0
	s_waitcnt vmcnt(14)
	v_fmac_f64_e32 v[54:55], v[74:75], v[58:59]
	s_waitcnt vmcnt(12) lgkmcnt(2)
	v_fmac_f64_e32 v[54:55], v[76:77], v[60:61]
	s_waitcnt vmcnt(10)
	v_fmac_f64_e32 v[54:55], v[78:79], v[62:63]
	s_waitcnt vmcnt(8) lgkmcnt(1)
	v_fmac_f64_e32 v[54:55], v[80:81], v[64:65]
	;; [unrolled: 4-line block ×3, first 2 shown]
	s_waitcnt vmcnt(2)
	v_fmac_f64_e32 v[54:55], v[86:87], v[70:71]
	s_waitcnt vmcnt(0)
	v_add_f64 v[54:55], v[88:89], -v[54:55]
	buffer_store_dword v54, off, s[0:3], 0 offset:136
	buffer_store_dword v55, off, s[0:3], 0 offset:140
	s_and_saveexec_b64 s[4:5], vcc
	s_cbranch_execz .LBB89_131
; %bb.130:
	buffer_load_dword v54, off, s[0:3], 0 offset:128
	buffer_load_dword v55, off, s[0:3], 0 offset:132
	v_mov_b32_e32 v56, 0
	buffer_store_dword v56, off, s[0:3], 0 offset:128
	buffer_store_dword v56, off, s[0:3], 0 offset:132
	s_waitcnt vmcnt(2)
	ds_write_b64 v1, v[54:55]
.LBB89_131:
	s_or_b64 exec, exec, s[4:5]
	s_waitcnt lgkmcnt(0)
	; wave barrier
	s_waitcnt lgkmcnt(0)
	buffer_load_dword v72, off, s[0:3], 0 offset:136
	buffer_load_dword v73, off, s[0:3], 0 offset:140
	;; [unrolled: 1-line block ×20, first 2 shown]
	v_mov_b32_e32 v54, 0
	ds_read2_b64 v[56:59], v54 offset0:43 offset1:44
	ds_read2_b64 v[60:63], v54 offset0:45 offset1:46
	;; [unrolled: 1-line block ×4, first 2 shown]
	ds_read_b64 v[92:93], v54 offset:408
	v_cmp_lt_u32_e32 vcc, 15, v0
	s_waitcnt vmcnt(18) lgkmcnt(4)
	v_fma_f64 v[56:57], v[72:73], v[56:57], 0
	s_waitcnt vmcnt(16)
	v_fmac_f64_e32 v[56:57], v[74:75], v[58:59]
	s_waitcnt vmcnt(14) lgkmcnt(3)
	v_fmac_f64_e32 v[56:57], v[76:77], v[60:61]
	s_waitcnt vmcnt(12)
	v_fmac_f64_e32 v[56:57], v[78:79], v[62:63]
	s_waitcnt vmcnt(10) lgkmcnt(2)
	v_fmac_f64_e32 v[56:57], v[80:81], v[64:65]
	s_waitcnt vmcnt(8)
	v_fmac_f64_e32 v[56:57], v[82:83], v[66:67]
	s_waitcnt vmcnt(6) lgkmcnt(1)
	v_fmac_f64_e32 v[56:57], v[84:85], v[68:69]
	s_waitcnt vmcnt(2)
	v_fmac_f64_e32 v[56:57], v[88:89], v[70:71]
	s_waitcnt lgkmcnt(0)
	v_fmac_f64_e32 v[56:57], v[86:87], v[92:93]
	s_waitcnt vmcnt(0)
	v_add_f64 v[56:57], v[90:91], -v[56:57]
	buffer_store_dword v56, off, s[0:3], 0 offset:128
	buffer_store_dword v57, off, s[0:3], 0 offset:132
	s_and_saveexec_b64 s[4:5], vcc
	s_cbranch_execz .LBB89_133
; %bb.132:
	buffer_load_dword v56, off, s[0:3], 0 offset:120
	buffer_load_dword v57, off, s[0:3], 0 offset:124
	s_waitcnt vmcnt(0)
	ds_write_b64 v1, v[56:57]
	buffer_store_dword v54, off, s[0:3], 0 offset:120
	buffer_store_dword v54, off, s[0:3], 0 offset:124
.LBB89_133:
	s_or_b64 exec, exec, s[4:5]
	s_waitcnt lgkmcnt(0)
	; wave barrier
	s_waitcnt lgkmcnt(0)
	buffer_load_dword v76, off, s[0:3], 0 offset:128
	buffer_load_dword v77, off, s[0:3], 0 offset:132
	;; [unrolled: 1-line block ×22, first 2 shown]
	ds_read_b128 v[56:59], v54 offset:336
	ds_read_b128 v[60:63], v54 offset:352
	;; [unrolled: 1-line block ×5, first 2 shown]
	v_cmp_lt_u32_e32 vcc, 14, v0
	s_waitcnt vmcnt(20) lgkmcnt(4)
	v_fma_f64 v[54:55], v[76:77], v[56:57], 0
	s_waitcnt vmcnt(18)
	v_fmac_f64_e32 v[54:55], v[78:79], v[58:59]
	s_waitcnt vmcnt(16) lgkmcnt(3)
	v_fmac_f64_e32 v[54:55], v[80:81], v[60:61]
	s_waitcnt vmcnt(14)
	v_fmac_f64_e32 v[54:55], v[82:83], v[62:63]
	s_waitcnt vmcnt(12) lgkmcnt(2)
	v_fmac_f64_e32 v[54:55], v[84:85], v[64:65]
	;; [unrolled: 4-line block ×3, first 2 shown]
	s_waitcnt vmcnt(3)
	v_fmac_f64_e32 v[54:55], v[94:95], v[70:71]
	s_waitcnt lgkmcnt(0)
	v_fmac_f64_e32 v[54:55], v[92:93], v[72:73]
	s_waitcnt vmcnt(2)
	v_fmac_f64_e32 v[54:55], v[90:91], v[74:75]
	s_waitcnt vmcnt(0)
	v_add_f64 v[54:55], v[96:97], -v[54:55]
	buffer_store_dword v54, off, s[0:3], 0 offset:120
	buffer_store_dword v55, off, s[0:3], 0 offset:124
	s_and_saveexec_b64 s[4:5], vcc
	s_cbranch_execz .LBB89_135
; %bb.134:
	buffer_load_dword v54, off, s[0:3], 0 offset:112
	buffer_load_dword v55, off, s[0:3], 0 offset:116
	v_mov_b32_e32 v56, 0
	buffer_store_dword v56, off, s[0:3], 0 offset:112
	buffer_store_dword v56, off, s[0:3], 0 offset:116
	s_waitcnt vmcnt(2)
	ds_write_b64 v1, v[54:55]
.LBB89_135:
	s_or_b64 exec, exec, s[4:5]
	s_waitcnt lgkmcnt(0)
	; wave barrier
	s_waitcnt lgkmcnt(0)
	buffer_load_dword v76, off, s[0:3], 0 offset:120
	buffer_load_dword v77, off, s[0:3], 0 offset:124
	;; [unrolled: 1-line block ×24, first 2 shown]
	v_mov_b32_e32 v54, 0
	ds_read2_b64 v[56:59], v54 offset0:41 offset1:42
	ds_read2_b64 v[60:63], v54 offset0:43 offset1:44
	;; [unrolled: 1-line block ×5, first 2 shown]
	ds_read_b64 v[100:101], v54 offset:408
	v_cmp_lt_u32_e32 vcc, 13, v0
	s_waitcnt vmcnt(22) lgkmcnt(5)
	v_fma_f64 v[56:57], v[76:77], v[56:57], 0
	s_waitcnt vmcnt(20)
	v_fmac_f64_e32 v[56:57], v[78:79], v[58:59]
	s_waitcnt vmcnt(18) lgkmcnt(4)
	v_fmac_f64_e32 v[56:57], v[80:81], v[60:61]
	s_waitcnt vmcnt(16)
	v_fmac_f64_e32 v[56:57], v[82:83], v[62:63]
	s_waitcnt vmcnt(14) lgkmcnt(3)
	v_fmac_f64_e32 v[56:57], v[84:85], v[64:65]
	;; [unrolled: 4-line block ×3, first 2 shown]
	s_waitcnt vmcnt(4)
	v_fmac_f64_e32 v[56:57], v[96:97], v[70:71]
	s_waitcnt lgkmcnt(1)
	v_fmac_f64_e32 v[56:57], v[94:95], v[72:73]
	s_waitcnt vmcnt(3)
	v_fmac_f64_e32 v[56:57], v[92:93], v[74:75]
	s_waitcnt vmcnt(2) lgkmcnt(0)
	v_fmac_f64_e32 v[56:57], v[90:91], v[100:101]
	s_waitcnt vmcnt(0)
	v_add_f64 v[56:57], v[98:99], -v[56:57]
	buffer_store_dword v57, off, s[0:3], 0 offset:116
	buffer_store_dword v56, off, s[0:3], 0 offset:112
	s_and_saveexec_b64 s[4:5], vcc
	s_cbranch_execz .LBB89_137
; %bb.136:
	buffer_load_dword v56, off, s[0:3], 0 offset:104
	buffer_load_dword v57, off, s[0:3], 0 offset:108
	s_waitcnt vmcnt(0)
	ds_write_b64 v1, v[56:57]
	buffer_store_dword v54, off, s[0:3], 0 offset:104
	buffer_store_dword v54, off, s[0:3], 0 offset:108
.LBB89_137:
	s_or_b64 exec, exec, s[4:5]
	s_waitcnt lgkmcnt(0)
	; wave barrier
	s_waitcnt lgkmcnt(0)
	buffer_load_dword v80, off, s[0:3], 0 offset:112
	buffer_load_dword v81, off, s[0:3], 0 offset:116
	;; [unrolled: 1-line block ×26, first 2 shown]
	ds_read_b128 v[56:59], v54 offset:320
	ds_read_b128 v[60:63], v54 offset:336
	;; [unrolled: 1-line block ×6, first 2 shown]
	v_cmp_lt_u32_e32 vcc, 12, v0
	s_waitcnt vmcnt(24) lgkmcnt(5)
	v_fma_f64 v[54:55], v[80:81], v[56:57], 0
	s_waitcnt vmcnt(22)
	v_fmac_f64_e32 v[54:55], v[82:83], v[58:59]
	s_waitcnt vmcnt(20) lgkmcnt(4)
	v_fmac_f64_e32 v[54:55], v[84:85], v[60:61]
	s_waitcnt vmcnt(18)
	v_fmac_f64_e32 v[54:55], v[86:87], v[62:63]
	s_waitcnt vmcnt(16) lgkmcnt(3)
	v_fmac_f64_e32 v[54:55], v[88:89], v[64:65]
	;; [unrolled: 4-line block ×3, first 2 shown]
	s_waitcnt vmcnt(5)
	v_fmac_f64_e32 v[54:55], v[100:101], v[70:71]
	s_waitcnt lgkmcnt(1)
	v_fmac_f64_e32 v[54:55], v[98:99], v[72:73]
	v_fmac_f64_e32 v[54:55], v[96:97], v[74:75]
	s_waitcnt vmcnt(4) lgkmcnt(0)
	v_fmac_f64_e32 v[54:55], v[94:95], v[76:77]
	s_waitcnt vmcnt(2)
	v_fmac_f64_e32 v[54:55], v[102:103], v[78:79]
	s_waitcnt vmcnt(0)
	v_add_f64 v[54:55], v[104:105], -v[54:55]
	buffer_store_dword v55, off, s[0:3], 0 offset:108
	buffer_store_dword v54, off, s[0:3], 0 offset:104
	s_and_saveexec_b64 s[4:5], vcc
	s_cbranch_execz .LBB89_139
; %bb.138:
	buffer_load_dword v54, off, s[0:3], 0 offset:96
	buffer_load_dword v55, off, s[0:3], 0 offset:100
	v_mov_b32_e32 v56, 0
	buffer_store_dword v56, off, s[0:3], 0 offset:96
	buffer_store_dword v56, off, s[0:3], 0 offset:100
	s_waitcnt vmcnt(2)
	ds_write_b64 v1, v[54:55]
.LBB89_139:
	s_or_b64 exec, exec, s[4:5]
	s_waitcnt lgkmcnt(0)
	; wave barrier
	s_waitcnt lgkmcnt(0)
	buffer_load_dword v80, off, s[0:3], 0 offset:104
	buffer_load_dword v81, off, s[0:3], 0 offset:108
	;; [unrolled: 1-line block ×28, first 2 shown]
	v_mov_b32_e32 v54, 0
	ds_read2_b64 v[56:59], v54 offset0:39 offset1:40
	ds_read2_b64 v[60:63], v54 offset0:41 offset1:42
	;; [unrolled: 1-line block ×6, first 2 shown]
	ds_read_b64 v[108:109], v54 offset:408
	v_cmp_lt_u32_e32 vcc, 11, v0
	s_waitcnt vmcnt(26) lgkmcnt(6)
	v_fma_f64 v[56:57], v[80:81], v[56:57], 0
	s_waitcnt vmcnt(24)
	v_fmac_f64_e32 v[56:57], v[82:83], v[58:59]
	s_waitcnt vmcnt(22) lgkmcnt(5)
	v_fmac_f64_e32 v[56:57], v[84:85], v[60:61]
	s_waitcnt vmcnt(20)
	v_fmac_f64_e32 v[56:57], v[86:87], v[62:63]
	s_waitcnt vmcnt(18) lgkmcnt(4)
	v_fmac_f64_e32 v[56:57], v[88:89], v[64:65]
	;; [unrolled: 4-line block ×3, first 2 shown]
	s_waitcnt vmcnt(6)
	v_fmac_f64_e32 v[56:57], v[100:101], v[70:71]
	s_waitcnt lgkmcnt(2)
	v_fmac_f64_e32 v[56:57], v[98:99], v[72:73]
	v_fmac_f64_e32 v[56:57], v[96:97], v[74:75]
	s_waitcnt lgkmcnt(1)
	v_fmac_f64_e32 v[56:57], v[94:95], v[76:77]
	s_waitcnt vmcnt(2)
	v_fmac_f64_e32 v[56:57], v[104:105], v[78:79]
	s_waitcnt lgkmcnt(0)
	v_fmac_f64_e32 v[56:57], v[102:103], v[108:109]
	s_waitcnt vmcnt(0)
	v_add_f64 v[56:57], v[106:107], -v[56:57]
	buffer_store_dword v57, off, s[0:3], 0 offset:100
	buffer_store_dword v56, off, s[0:3], 0 offset:96
	s_and_saveexec_b64 s[4:5], vcc
	s_cbranch_execz .LBB89_141
; %bb.140:
	buffer_load_dword v56, off, s[0:3], 0 offset:88
	buffer_load_dword v57, off, s[0:3], 0 offset:92
	s_waitcnt vmcnt(0)
	ds_write_b64 v1, v[56:57]
	buffer_store_dword v54, off, s[0:3], 0 offset:88
	buffer_store_dword v54, off, s[0:3], 0 offset:92
.LBB89_141:
	s_or_b64 exec, exec, s[4:5]
	s_waitcnt lgkmcnt(0)
	; wave barrier
	s_waitcnt lgkmcnt(0)
	buffer_load_dword v84, off, s[0:3], 0 offset:96
	buffer_load_dword v85, off, s[0:3], 0 offset:100
	;; [unrolled: 1-line block ×30, first 2 shown]
	ds_read_b128 v[56:59], v54 offset:304
	ds_read_b128 v[60:63], v54 offset:320
	;; [unrolled: 1-line block ×7, first 2 shown]
	v_cmp_lt_u32_e32 vcc, 10, v0
	s_waitcnt vmcnt(28) lgkmcnt(6)
	v_fma_f64 v[54:55], v[84:85], v[56:57], 0
	s_waitcnt vmcnt(26)
	v_fmac_f64_e32 v[54:55], v[86:87], v[58:59]
	s_waitcnt vmcnt(24) lgkmcnt(5)
	v_fmac_f64_e32 v[54:55], v[88:89], v[60:61]
	s_waitcnt vmcnt(22)
	v_fmac_f64_e32 v[54:55], v[90:91], v[62:63]
	s_waitcnt vmcnt(20) lgkmcnt(4)
	v_fmac_f64_e32 v[54:55], v[92:93], v[64:65]
	;; [unrolled: 4-line block ×3, first 2 shown]
	s_waitcnt vmcnt(8)
	v_fmac_f64_e32 v[54:55], v[104:105], v[70:71]
	s_waitcnt lgkmcnt(2)
	v_fmac_f64_e32 v[54:55], v[102:103], v[72:73]
	v_fmac_f64_e32 v[54:55], v[100:101], v[74:75]
	s_waitcnt lgkmcnt(1)
	v_fmac_f64_e32 v[54:55], v[98:99], v[76:77]
	s_waitcnt vmcnt(3)
	v_fmac_f64_e32 v[54:55], v[110:111], v[78:79]
	s_waitcnt lgkmcnt(0)
	v_fmac_f64_e32 v[54:55], v[108:109], v[80:81]
	s_waitcnt vmcnt(2)
	v_fmac_f64_e32 v[54:55], v[106:107], v[82:83]
	s_waitcnt vmcnt(0)
	v_add_f64 v[54:55], v[112:113], -v[54:55]
	buffer_store_dword v55, off, s[0:3], 0 offset:92
	buffer_store_dword v54, off, s[0:3], 0 offset:88
	s_and_saveexec_b64 s[4:5], vcc
	s_cbranch_execz .LBB89_143
; %bb.142:
	buffer_load_dword v54, off, s[0:3], 0 offset:80
	buffer_load_dword v55, off, s[0:3], 0 offset:84
	v_mov_b32_e32 v56, 0
	buffer_store_dword v56, off, s[0:3], 0 offset:80
	buffer_store_dword v56, off, s[0:3], 0 offset:84
	s_waitcnt vmcnt(2)
	ds_write_b64 v1, v[54:55]
.LBB89_143:
	s_or_b64 exec, exec, s[4:5]
	s_waitcnt lgkmcnt(0)
	; wave barrier
	s_waitcnt lgkmcnt(0)
	buffer_load_dword v84, off, s[0:3], 0 offset:88
	buffer_load_dword v85, off, s[0:3], 0 offset:92
	;; [unrolled: 1-line block ×32, first 2 shown]
	v_mov_b32_e32 v54, 0
	ds_read2_b64 v[56:59], v54 offset0:37 offset1:38
	ds_read2_b64 v[60:63], v54 offset0:39 offset1:40
	;; [unrolled: 1-line block ×7, first 2 shown]
	ds_read_b64 v[116:117], v54 offset:408
	v_cmp_lt_u32_e32 vcc, 9, v0
	s_waitcnt vmcnt(30) lgkmcnt(7)
	v_fma_f64 v[56:57], v[84:85], v[56:57], 0
	s_waitcnt vmcnt(28)
	v_fmac_f64_e32 v[56:57], v[86:87], v[58:59]
	s_waitcnt vmcnt(26) lgkmcnt(6)
	v_fmac_f64_e32 v[56:57], v[88:89], v[60:61]
	s_waitcnt vmcnt(24)
	v_fmac_f64_e32 v[56:57], v[90:91], v[62:63]
	s_waitcnt vmcnt(22) lgkmcnt(5)
	v_fmac_f64_e32 v[56:57], v[92:93], v[64:65]
	;; [unrolled: 4-line block ×3, first 2 shown]
	s_waitcnt vmcnt(10)
	v_fmac_f64_e32 v[56:57], v[104:105], v[70:71]
	s_waitcnt lgkmcnt(3)
	v_fmac_f64_e32 v[56:57], v[102:103], v[72:73]
	v_fmac_f64_e32 v[56:57], v[100:101], v[74:75]
	s_waitcnt lgkmcnt(2)
	v_fmac_f64_e32 v[56:57], v[98:99], v[76:77]
	s_waitcnt vmcnt(4)
	v_fmac_f64_e32 v[56:57], v[112:113], v[78:79]
	s_waitcnt lgkmcnt(1)
	v_fmac_f64_e32 v[56:57], v[110:111], v[80:81]
	s_waitcnt vmcnt(3)
	v_fmac_f64_e32 v[56:57], v[108:109], v[82:83]
	s_waitcnt vmcnt(2) lgkmcnt(0)
	v_fmac_f64_e32 v[56:57], v[106:107], v[116:117]
	s_waitcnt vmcnt(0)
	v_add_f64 v[56:57], v[114:115], -v[56:57]
	buffer_store_dword v57, off, s[0:3], 0 offset:84
	buffer_store_dword v56, off, s[0:3], 0 offset:80
	s_and_saveexec_b64 s[4:5], vcc
	s_cbranch_execz .LBB89_145
; %bb.144:
	buffer_load_dword v56, off, s[0:3], 0 offset:72
	buffer_load_dword v57, off, s[0:3], 0 offset:76
	s_waitcnt vmcnt(0)
	ds_write_b64 v1, v[56:57]
	buffer_store_dword v54, off, s[0:3], 0 offset:72
	buffer_store_dword v54, off, s[0:3], 0 offset:76
.LBB89_145:
	s_or_b64 exec, exec, s[4:5]
	s_waitcnt lgkmcnt(0)
	; wave barrier
	s_waitcnt lgkmcnt(0)
	buffer_load_dword v88, off, s[0:3], 0 offset:80
	buffer_load_dword v89, off, s[0:3], 0 offset:84
	;; [unrolled: 1-line block ×34, first 2 shown]
	ds_read_b128 v[56:59], v54 offset:288
	ds_read_b128 v[60:63], v54 offset:304
	;; [unrolled: 1-line block ×8, first 2 shown]
	v_cmp_lt_u32_e32 vcc, 8, v0
	s_waitcnt vmcnt(32) lgkmcnt(7)
	v_fma_f64 v[54:55], v[88:89], v[56:57], 0
	s_waitcnt vmcnt(30)
	v_fmac_f64_e32 v[54:55], v[90:91], v[58:59]
	s_waitcnt vmcnt(28) lgkmcnt(6)
	v_fmac_f64_e32 v[54:55], v[92:93], v[60:61]
	s_waitcnt vmcnt(26)
	v_fmac_f64_e32 v[54:55], v[94:95], v[62:63]
	s_waitcnt vmcnt(24) lgkmcnt(5)
	v_fmac_f64_e32 v[54:55], v[96:97], v[64:65]
	s_waitcnt vmcnt(22)
	v_fmac_f64_e32 v[54:55], v[98:99], v[66:67]
	s_waitcnt vmcnt(20) lgkmcnt(4)
	v_fmac_f64_e32 v[54:55], v[100:101], v[68:69]
	s_waitcnt vmcnt(12)
	v_fmac_f64_e32 v[54:55], v[108:109], v[70:71]
	s_waitcnt lgkmcnt(3)
	v_fmac_f64_e32 v[54:55], v[106:107], v[72:73]
	v_fmac_f64_e32 v[54:55], v[104:105], v[74:75]
	s_waitcnt lgkmcnt(2)
	v_fmac_f64_e32 v[54:55], v[102:103], v[76:77]
	s_waitcnt vmcnt(5)
	v_fmac_f64_e32 v[54:55], v[116:117], v[78:79]
	s_waitcnt lgkmcnt(1)
	v_fmac_f64_e32 v[54:55], v[114:115], v[80:81]
	v_fmac_f64_e32 v[54:55], v[112:113], v[82:83]
	s_waitcnt vmcnt(4) lgkmcnt(0)
	v_fmac_f64_e32 v[54:55], v[110:111], v[84:85]
	s_waitcnt vmcnt(2)
	v_fmac_f64_e32 v[54:55], v[118:119], v[86:87]
	s_waitcnt vmcnt(0)
	v_add_f64 v[54:55], v[120:121], -v[54:55]
	buffer_store_dword v55, off, s[0:3], 0 offset:76
	buffer_store_dword v54, off, s[0:3], 0 offset:72
	s_and_saveexec_b64 s[4:5], vcc
	s_cbranch_execz .LBB89_147
; %bb.146:
	buffer_load_dword v54, off, s[0:3], 0 offset:64
	buffer_load_dword v55, off, s[0:3], 0 offset:68
	v_mov_b32_e32 v56, 0
	buffer_store_dword v56, off, s[0:3], 0 offset:64
	buffer_store_dword v56, off, s[0:3], 0 offset:68
	s_waitcnt vmcnt(2)
	ds_write_b64 v1, v[54:55]
.LBB89_147:
	s_or_b64 exec, exec, s[4:5]
	s_waitcnt lgkmcnt(0)
	; wave barrier
	s_waitcnt lgkmcnt(0)
	buffer_load_dword v88, off, s[0:3], 0 offset:72
	buffer_load_dword v89, off, s[0:3], 0 offset:76
	;; [unrolled: 1-line block ×36, first 2 shown]
	v_mov_b32_e32 v58, 0
	ds_read2_b64 v[54:57], v58 offset0:35 offset1:36
	ds_read2_b64 v[60:63], v58 offset0:37 offset1:38
	;; [unrolled: 1-line block ×8, first 2 shown]
	ds_read_b64 v[124:125], v58 offset:408
	v_cmp_lt_u32_e32 vcc, 7, v0
	s_waitcnt vmcnt(34) lgkmcnt(8)
	v_fma_f64 v[54:55], v[88:89], v[54:55], 0
	s_waitcnt vmcnt(32)
	v_fmac_f64_e32 v[54:55], v[90:91], v[56:57]
	s_waitcnt vmcnt(30) lgkmcnt(7)
	v_fmac_f64_e32 v[54:55], v[92:93], v[60:61]
	s_waitcnt vmcnt(28)
	v_fmac_f64_e32 v[54:55], v[94:95], v[62:63]
	s_waitcnt vmcnt(26) lgkmcnt(6)
	v_fmac_f64_e32 v[54:55], v[96:97], v[64:65]
	;; [unrolled: 4-line block ×3, first 2 shown]
	s_waitcnt vmcnt(14)
	v_fmac_f64_e32 v[54:55], v[108:109], v[70:71]
	s_waitcnt lgkmcnt(4)
	v_fmac_f64_e32 v[54:55], v[106:107], v[72:73]
	v_fmac_f64_e32 v[54:55], v[104:105], v[74:75]
	s_waitcnt lgkmcnt(3)
	v_fmac_f64_e32 v[54:55], v[102:103], v[76:77]
	s_waitcnt vmcnt(6)
	v_fmac_f64_e32 v[54:55], v[116:117], v[78:79]
	s_waitcnt lgkmcnt(2)
	v_fmac_f64_e32 v[54:55], v[114:115], v[80:81]
	v_fmac_f64_e32 v[54:55], v[112:113], v[82:83]
	s_waitcnt lgkmcnt(1)
	v_fmac_f64_e32 v[54:55], v[110:111], v[84:85]
	s_waitcnt vmcnt(2)
	v_fmac_f64_e32 v[54:55], v[120:121], v[86:87]
	s_waitcnt lgkmcnt(0)
	v_fmac_f64_e32 v[54:55], v[118:119], v[124:125]
	s_waitcnt vmcnt(0)
	v_add_f64 v[54:55], v[122:123], -v[54:55]
	buffer_store_dword v55, off, s[0:3], 0 offset:68
	buffer_store_dword v54, off, s[0:3], 0 offset:64
	s_and_saveexec_b64 s[4:5], vcc
	s_cbranch_execz .LBB89_149
; %bb.148:
	buffer_load_dword v54, off, s[0:3], 0 offset:56
	buffer_load_dword v55, off, s[0:3], 0 offset:60
	s_waitcnt vmcnt(0)
	ds_write_b64 v1, v[54:55]
	buffer_store_dword v58, off, s[0:3], 0 offset:56
	buffer_store_dword v58, off, s[0:3], 0 offset:60
.LBB89_149:
	s_or_b64 exec, exec, s[4:5]
	s_waitcnt lgkmcnt(0)
	; wave barrier
	s_waitcnt lgkmcnt(0)
	buffer_load_dword v54, off, s[0:3], 0 offset:56
	buffer_load_dword v55, off, s[0:3], 0 offset:60
	;; [unrolled: 1-line block ×16, first 2 shown]
	ds_read_b128 v[60:63], v58 offset:272
	ds_read_b128 v[64:67], v58 offset:288
	;; [unrolled: 1-line block ×4, first 2 shown]
	v_cmp_lt_u32_e32 vcc, 6, v0
	s_waitcnt vmcnt(12) lgkmcnt(3)
	v_fma_f64 v[56:57], v[56:57], v[60:61], 0
	buffer_load_dword v61, off, s[0:3], 0 offset:124
	buffer_load_dword v60, off, s[0:3], 0 offset:120
	s_waitcnt vmcnt(12)
	v_fmac_f64_e32 v[56:57], v[76:77], v[62:63]
	s_waitcnt vmcnt(10) lgkmcnt(2)
	v_fmac_f64_e32 v[56:57], v[78:79], v[64:65]
	buffer_load_dword v65, off, s[0:3], 0 offset:132
	buffer_load_dword v64, off, s[0:3], 0 offset:128
	s_waitcnt vmcnt(10)
	v_fmac_f64_e32 v[56:57], v[80:81], v[66:67]
	s_waitcnt vmcnt(8) lgkmcnt(1)
	v_fmac_f64_e32 v[56:57], v[82:83], v[68:69]
	s_waitcnt vmcnt(6)
	v_fmac_f64_e32 v[56:57], v[84:85], v[70:71]
	s_waitcnt vmcnt(4) lgkmcnt(0)
	v_fmac_f64_e32 v[56:57], v[86:87], v[72:73]
	s_waitcnt vmcnt(2)
	v_fmac_f64_e32 v[56:57], v[60:61], v[74:75]
	ds_read_b128 v[60:63], v58 offset:336
	s_waitcnt vmcnt(0) lgkmcnt(0)
	v_fmac_f64_e32 v[56:57], v[64:65], v[60:61]
	buffer_load_dword v61, off, s[0:3], 0 offset:140
	buffer_load_dword v60, off, s[0:3], 0 offset:136
	buffer_load_dword v65, off, s[0:3], 0 offset:148
	buffer_load_dword v64, off, s[0:3], 0 offset:144
	s_waitcnt vmcnt(2)
	v_fmac_f64_e32 v[56:57], v[60:61], v[62:63]
	ds_read_b128 v[60:63], v58 offset:352
	s_waitcnt vmcnt(0) lgkmcnt(0)
	v_fmac_f64_e32 v[56:57], v[64:65], v[60:61]
	buffer_load_dword v61, off, s[0:3], 0 offset:156
	buffer_load_dword v60, off, s[0:3], 0 offset:152
	buffer_load_dword v65, off, s[0:3], 0 offset:164
	buffer_load_dword v64, off, s[0:3], 0 offset:160
	;; [unrolled: 9-line block ×3, first 2 shown]
	s_waitcnt vmcnt(2)
	v_fmac_f64_e32 v[56:57], v[60:61], v[62:63]
	ds_read_b128 v[60:63], v58 offset:384
	s_waitcnt vmcnt(0) lgkmcnt(0)
	v_fmac_f64_e32 v[56:57], v[64:65], v[60:61]
	buffer_load_dword v61, off, s[0:3], 0 offset:188
	buffer_load_dword v60, off, s[0:3], 0 offset:184
	s_waitcnt vmcnt(0)
	v_fmac_f64_e32 v[56:57], v[60:61], v[62:63]
	buffer_load_dword v63, off, s[0:3], 0 offset:196
	buffer_load_dword v62, off, s[0:3], 0 offset:192
	ds_read_b128 v[58:61], v58 offset:400
	s_waitcnt vmcnt(0) lgkmcnt(0)
	v_fmac_f64_e32 v[56:57], v[62:63], v[58:59]
	buffer_load_dword v59, off, s[0:3], 0 offset:204
	buffer_load_dword v58, off, s[0:3], 0 offset:200
	s_waitcnt vmcnt(0)
	v_fmac_f64_e32 v[56:57], v[58:59], v[60:61]
	v_add_f64 v[54:55], v[54:55], -v[56:57]
	buffer_store_dword v55, off, s[0:3], 0 offset:60
	buffer_store_dword v54, off, s[0:3], 0 offset:56
	s_and_saveexec_b64 s[4:5], vcc
	s_cbranch_execz .LBB89_151
; %bb.150:
	buffer_load_dword v54, off, s[0:3], 0 offset:48
	buffer_load_dword v55, off, s[0:3], 0 offset:52
	v_mov_b32_e32 v56, 0
	buffer_store_dword v56, off, s[0:3], 0 offset:48
	buffer_store_dword v56, off, s[0:3], 0 offset:52
	s_waitcnt vmcnt(2)
	ds_write_b64 v1, v[54:55]
.LBB89_151:
	s_or_b64 exec, exec, s[4:5]
	s_waitcnt lgkmcnt(0)
	; wave barrier
	s_waitcnt lgkmcnt(0)
	buffer_load_dword v54, off, s[0:3], 0 offset:48
	buffer_load_dword v55, off, s[0:3], 0 offset:52
	buffer_load_dword v56, off, s[0:3], 0 offset:56
	buffer_load_dword v57, off, s[0:3], 0 offset:60
	buffer_load_dword v64, off, s[0:3], 0 offset:64
	buffer_load_dword v65, off, s[0:3], 0 offset:68
	buffer_load_dword v66, off, s[0:3], 0 offset:72
	buffer_load_dword v67, off, s[0:3], 0 offset:76
	buffer_load_dword v68, off, s[0:3], 0 offset:80
	buffer_load_dword v69, off, s[0:3], 0 offset:84
	buffer_load_dword v70, off, s[0:3], 0 offset:88
	buffer_load_dword v71, off, s[0:3], 0 offset:92
	buffer_load_dword v72, off, s[0:3], 0 offset:96
	buffer_load_dword v73, off, s[0:3], 0 offset:100
	buffer_load_dword v74, off, s[0:3], 0 offset:104
	buffer_load_dword v75, off, s[0:3], 0 offset:108
	v_mov_b32_e32 v58, 0
	ds_read2_b64 v[60:63], v58 offset0:33 offset1:34
	v_cmp_lt_u32_e32 vcc, 5, v0
	s_waitcnt vmcnt(12) lgkmcnt(0)
	v_fma_f64 v[56:57], v[56:57], v[60:61], 0
	s_waitcnt vmcnt(10)
	v_fmac_f64_e32 v[56:57], v[64:65], v[62:63]
	ds_read2_b64 v[60:63], v58 offset0:35 offset1:36
	s_waitcnt vmcnt(8) lgkmcnt(0)
	v_fmac_f64_e32 v[56:57], v[66:67], v[60:61]
	s_waitcnt vmcnt(6)
	v_fmac_f64_e32 v[56:57], v[68:69], v[62:63]
	ds_read2_b64 v[60:63], v58 offset0:37 offset1:38
	s_waitcnt vmcnt(4) lgkmcnt(0)
	v_fmac_f64_e32 v[56:57], v[70:71], v[60:61]
	;; [unrolled: 5-line block ×3, first 2 shown]
	buffer_load_dword v61, off, s[0:3], 0 offset:116
	buffer_load_dword v60, off, s[0:3], 0 offset:112
	buffer_load_dword v65, off, s[0:3], 0 offset:124
	buffer_load_dword v64, off, s[0:3], 0 offset:120
	s_waitcnt vmcnt(2)
	v_fmac_f64_e32 v[56:57], v[60:61], v[62:63]
	ds_read2_b64 v[60:63], v58 offset0:41 offset1:42
	s_waitcnt vmcnt(0) lgkmcnt(0)
	v_fmac_f64_e32 v[56:57], v[64:65], v[60:61]
	buffer_load_dword v61, off, s[0:3], 0 offset:132
	buffer_load_dword v60, off, s[0:3], 0 offset:128
	buffer_load_dword v65, off, s[0:3], 0 offset:140
	buffer_load_dword v64, off, s[0:3], 0 offset:136
	s_waitcnt vmcnt(2)
	v_fmac_f64_e32 v[56:57], v[60:61], v[62:63]
	ds_read2_b64 v[60:63], v58 offset0:43 offset1:44
	s_waitcnt vmcnt(0) lgkmcnt(0)
	v_fmac_f64_e32 v[56:57], v[64:65], v[60:61]
	;; [unrolled: 9-line block ×5, first 2 shown]
	buffer_load_dword v61, off, s[0:3], 0 offset:196
	buffer_load_dword v60, off, s[0:3], 0 offset:192
	s_waitcnt vmcnt(0)
	v_fmac_f64_e32 v[56:57], v[60:61], v[62:63]
	buffer_load_dword v61, off, s[0:3], 0 offset:204
	buffer_load_dword v60, off, s[0:3], 0 offset:200
	ds_read_b64 v[62:63], v58 offset:408
	s_waitcnt vmcnt(0) lgkmcnt(0)
	v_fmac_f64_e32 v[56:57], v[60:61], v[62:63]
	v_add_f64 v[54:55], v[54:55], -v[56:57]
	buffer_store_dword v55, off, s[0:3], 0 offset:52
	buffer_store_dword v54, off, s[0:3], 0 offset:48
	s_and_saveexec_b64 s[4:5], vcc
	s_cbranch_execz .LBB89_153
; %bb.152:
	buffer_load_dword v54, off, s[0:3], 0 offset:40
	buffer_load_dword v55, off, s[0:3], 0 offset:44
	s_waitcnt vmcnt(0)
	ds_write_b64 v1, v[54:55]
	buffer_store_dword v58, off, s[0:3], 0 offset:40
	buffer_store_dword v58, off, s[0:3], 0 offset:44
.LBB89_153:
	s_or_b64 exec, exec, s[4:5]
	s_waitcnt lgkmcnt(0)
	; wave barrier
	s_waitcnt lgkmcnt(0)
	buffer_load_dword v54, off, s[0:3], 0 offset:40
	buffer_load_dword v55, off, s[0:3], 0 offset:44
	;; [unrolled: 1-line block ×16, first 2 shown]
	ds_read_b128 v[60:63], v58 offset:256
	ds_read_b128 v[64:67], v58 offset:272
	;; [unrolled: 1-line block ×4, first 2 shown]
	v_cmp_lt_u32_e32 vcc, 4, v0
	s_waitcnt vmcnt(12) lgkmcnt(3)
	v_fma_f64 v[56:57], v[56:57], v[60:61], 0
	buffer_load_dword v61, off, s[0:3], 0 offset:108
	buffer_load_dword v60, off, s[0:3], 0 offset:104
	s_waitcnt vmcnt(12)
	v_fmac_f64_e32 v[56:57], v[76:77], v[62:63]
	s_waitcnt vmcnt(10) lgkmcnt(2)
	v_fmac_f64_e32 v[56:57], v[78:79], v[64:65]
	buffer_load_dword v65, off, s[0:3], 0 offset:116
	buffer_load_dword v64, off, s[0:3], 0 offset:112
	s_waitcnt vmcnt(10)
	v_fmac_f64_e32 v[56:57], v[80:81], v[66:67]
	s_waitcnt vmcnt(8) lgkmcnt(1)
	v_fmac_f64_e32 v[56:57], v[82:83], v[68:69]
	s_waitcnt vmcnt(6)
	v_fmac_f64_e32 v[56:57], v[84:85], v[70:71]
	s_waitcnt vmcnt(4) lgkmcnt(0)
	v_fmac_f64_e32 v[56:57], v[86:87], v[72:73]
	s_waitcnt vmcnt(2)
	v_fmac_f64_e32 v[56:57], v[60:61], v[74:75]
	ds_read_b128 v[60:63], v58 offset:320
	s_waitcnt vmcnt(0) lgkmcnt(0)
	v_fmac_f64_e32 v[56:57], v[64:65], v[60:61]
	buffer_load_dword v61, off, s[0:3], 0 offset:124
	buffer_load_dword v60, off, s[0:3], 0 offset:120
	buffer_load_dword v65, off, s[0:3], 0 offset:132
	buffer_load_dword v64, off, s[0:3], 0 offset:128
	s_waitcnt vmcnt(2)
	v_fmac_f64_e32 v[56:57], v[60:61], v[62:63]
	ds_read_b128 v[60:63], v58 offset:336
	s_waitcnt vmcnt(0) lgkmcnt(0)
	v_fmac_f64_e32 v[56:57], v[64:65], v[60:61]
	buffer_load_dword v61, off, s[0:3], 0 offset:140
	buffer_load_dword v60, off, s[0:3], 0 offset:136
	buffer_load_dword v65, off, s[0:3], 0 offset:148
	buffer_load_dword v64, off, s[0:3], 0 offset:144
	;; [unrolled: 9-line block ×4, first 2 shown]
	s_waitcnt vmcnt(2)
	v_fmac_f64_e32 v[56:57], v[60:61], v[62:63]
	ds_read_b128 v[60:63], v58 offset:384
	s_waitcnt vmcnt(0) lgkmcnt(0)
	v_fmac_f64_e32 v[56:57], v[64:65], v[60:61]
	buffer_load_dword v61, off, s[0:3], 0 offset:188
	buffer_load_dword v60, off, s[0:3], 0 offset:184
	s_waitcnt vmcnt(0)
	v_fmac_f64_e32 v[56:57], v[60:61], v[62:63]
	buffer_load_dword v63, off, s[0:3], 0 offset:196
	buffer_load_dword v62, off, s[0:3], 0 offset:192
	ds_read_b128 v[58:61], v58 offset:400
	s_waitcnt vmcnt(0) lgkmcnt(0)
	v_fmac_f64_e32 v[56:57], v[62:63], v[58:59]
	buffer_load_dword v59, off, s[0:3], 0 offset:204
	buffer_load_dword v58, off, s[0:3], 0 offset:200
	s_waitcnt vmcnt(0)
	v_fmac_f64_e32 v[56:57], v[58:59], v[60:61]
	v_add_f64 v[54:55], v[54:55], -v[56:57]
	buffer_store_dword v55, off, s[0:3], 0 offset:44
	buffer_store_dword v54, off, s[0:3], 0 offset:40
	s_and_saveexec_b64 s[4:5], vcc
	s_cbranch_execz .LBB89_155
; %bb.154:
	buffer_load_dword v54, off, s[0:3], 0 offset:32
	buffer_load_dword v55, off, s[0:3], 0 offset:36
	v_mov_b32_e32 v56, 0
	buffer_store_dword v56, off, s[0:3], 0 offset:32
	buffer_store_dword v56, off, s[0:3], 0 offset:36
	s_waitcnt vmcnt(2)
	ds_write_b64 v1, v[54:55]
.LBB89_155:
	s_or_b64 exec, exec, s[4:5]
	s_waitcnt lgkmcnt(0)
	; wave barrier
	s_waitcnt lgkmcnt(0)
	buffer_load_dword v54, off, s[0:3], 0 offset:32
	buffer_load_dword v55, off, s[0:3], 0 offset:36
	;; [unrolled: 1-line block ×16, first 2 shown]
	v_mov_b32_e32 v58, 0
	ds_read2_b64 v[60:63], v58 offset0:31 offset1:32
	v_cmp_lt_u32_e32 vcc, 3, v0
	s_waitcnt vmcnt(12) lgkmcnt(0)
	v_fma_f64 v[56:57], v[56:57], v[60:61], 0
	s_waitcnt vmcnt(10)
	v_fmac_f64_e32 v[56:57], v[64:65], v[62:63]
	ds_read2_b64 v[60:63], v58 offset0:33 offset1:34
	s_waitcnt vmcnt(8) lgkmcnt(0)
	v_fmac_f64_e32 v[56:57], v[66:67], v[60:61]
	s_waitcnt vmcnt(6)
	v_fmac_f64_e32 v[56:57], v[68:69], v[62:63]
	ds_read2_b64 v[60:63], v58 offset0:35 offset1:36
	s_waitcnt vmcnt(4) lgkmcnt(0)
	v_fmac_f64_e32 v[56:57], v[70:71], v[60:61]
	;; [unrolled: 5-line block ×3, first 2 shown]
	buffer_load_dword v61, off, s[0:3], 0 offset:100
	buffer_load_dword v60, off, s[0:3], 0 offset:96
	buffer_load_dword v65, off, s[0:3], 0 offset:108
	buffer_load_dword v64, off, s[0:3], 0 offset:104
	s_waitcnt vmcnt(2)
	v_fmac_f64_e32 v[56:57], v[60:61], v[62:63]
	ds_read2_b64 v[60:63], v58 offset0:39 offset1:40
	s_waitcnt vmcnt(0) lgkmcnt(0)
	v_fmac_f64_e32 v[56:57], v[64:65], v[60:61]
	buffer_load_dword v61, off, s[0:3], 0 offset:116
	buffer_load_dword v60, off, s[0:3], 0 offset:112
	buffer_load_dword v65, off, s[0:3], 0 offset:124
	buffer_load_dword v64, off, s[0:3], 0 offset:120
	s_waitcnt vmcnt(2)
	v_fmac_f64_e32 v[56:57], v[60:61], v[62:63]
	ds_read2_b64 v[60:63], v58 offset0:41 offset1:42
	s_waitcnt vmcnt(0) lgkmcnt(0)
	v_fmac_f64_e32 v[56:57], v[64:65], v[60:61]
	;; [unrolled: 9-line block ×6, first 2 shown]
	buffer_load_dword v61, off, s[0:3], 0 offset:196
	buffer_load_dword v60, off, s[0:3], 0 offset:192
	s_waitcnt vmcnt(0)
	v_fmac_f64_e32 v[56:57], v[60:61], v[62:63]
	buffer_load_dword v61, off, s[0:3], 0 offset:204
	buffer_load_dword v60, off, s[0:3], 0 offset:200
	ds_read_b64 v[62:63], v58 offset:408
	s_waitcnt vmcnt(0) lgkmcnt(0)
	v_fmac_f64_e32 v[56:57], v[60:61], v[62:63]
	v_add_f64 v[54:55], v[54:55], -v[56:57]
	buffer_store_dword v55, off, s[0:3], 0 offset:36
	buffer_store_dword v54, off, s[0:3], 0 offset:32
	s_and_saveexec_b64 s[4:5], vcc
	s_cbranch_execz .LBB89_157
; %bb.156:
	buffer_load_dword v54, off, s[0:3], 0 offset:24
	buffer_load_dword v55, off, s[0:3], 0 offset:28
	s_waitcnt vmcnt(0)
	ds_write_b64 v1, v[54:55]
	buffer_store_dword v58, off, s[0:3], 0 offset:24
	buffer_store_dword v58, off, s[0:3], 0 offset:28
.LBB89_157:
	s_or_b64 exec, exec, s[4:5]
	s_waitcnt lgkmcnt(0)
	; wave barrier
	s_waitcnt lgkmcnt(0)
	buffer_load_dword v54, off, s[0:3], 0 offset:24
	buffer_load_dword v55, off, s[0:3], 0 offset:28
	;; [unrolled: 1-line block ×16, first 2 shown]
	ds_read_b128 v[60:63], v58 offset:240
	ds_read_b128 v[64:67], v58 offset:256
	;; [unrolled: 1-line block ×4, first 2 shown]
	v_cmp_lt_u32_e32 vcc, 2, v0
	s_waitcnt vmcnt(12) lgkmcnt(3)
	v_fma_f64 v[56:57], v[56:57], v[60:61], 0
	buffer_load_dword v61, off, s[0:3], 0 offset:92
	buffer_load_dword v60, off, s[0:3], 0 offset:88
	s_waitcnt vmcnt(12)
	v_fmac_f64_e32 v[56:57], v[76:77], v[62:63]
	s_waitcnt vmcnt(10) lgkmcnt(2)
	v_fmac_f64_e32 v[56:57], v[78:79], v[64:65]
	buffer_load_dword v65, off, s[0:3], 0 offset:100
	buffer_load_dword v64, off, s[0:3], 0 offset:96
	s_waitcnt vmcnt(10)
	v_fmac_f64_e32 v[56:57], v[80:81], v[66:67]
	s_waitcnt vmcnt(8) lgkmcnt(1)
	v_fmac_f64_e32 v[56:57], v[82:83], v[68:69]
	s_waitcnt vmcnt(6)
	v_fmac_f64_e32 v[56:57], v[84:85], v[70:71]
	s_waitcnt vmcnt(4) lgkmcnt(0)
	v_fmac_f64_e32 v[56:57], v[86:87], v[72:73]
	s_waitcnt vmcnt(2)
	v_fmac_f64_e32 v[56:57], v[60:61], v[74:75]
	ds_read_b128 v[60:63], v58 offset:304
	s_waitcnt vmcnt(0) lgkmcnt(0)
	v_fmac_f64_e32 v[56:57], v[64:65], v[60:61]
	buffer_load_dword v61, off, s[0:3], 0 offset:108
	buffer_load_dword v60, off, s[0:3], 0 offset:104
	buffer_load_dword v65, off, s[0:3], 0 offset:116
	buffer_load_dword v64, off, s[0:3], 0 offset:112
	s_waitcnt vmcnt(2)
	v_fmac_f64_e32 v[56:57], v[60:61], v[62:63]
	ds_read_b128 v[60:63], v58 offset:320
	s_waitcnt vmcnt(0) lgkmcnt(0)
	v_fmac_f64_e32 v[56:57], v[64:65], v[60:61]
	buffer_load_dword v61, off, s[0:3], 0 offset:124
	buffer_load_dword v60, off, s[0:3], 0 offset:120
	buffer_load_dword v65, off, s[0:3], 0 offset:132
	buffer_load_dword v64, off, s[0:3], 0 offset:128
	;; [unrolled: 9-line block ×5, first 2 shown]
	s_waitcnt vmcnt(2)
	v_fmac_f64_e32 v[56:57], v[60:61], v[62:63]
	ds_read_b128 v[60:63], v58 offset:384
	s_waitcnt vmcnt(0) lgkmcnt(0)
	v_fmac_f64_e32 v[56:57], v[64:65], v[60:61]
	buffer_load_dword v61, off, s[0:3], 0 offset:188
	buffer_load_dword v60, off, s[0:3], 0 offset:184
	s_waitcnt vmcnt(0)
	v_fmac_f64_e32 v[56:57], v[60:61], v[62:63]
	buffer_load_dword v63, off, s[0:3], 0 offset:196
	buffer_load_dword v62, off, s[0:3], 0 offset:192
	ds_read_b128 v[58:61], v58 offset:400
	s_waitcnt vmcnt(0) lgkmcnt(0)
	v_fmac_f64_e32 v[56:57], v[62:63], v[58:59]
	buffer_load_dword v59, off, s[0:3], 0 offset:204
	buffer_load_dword v58, off, s[0:3], 0 offset:200
	s_waitcnt vmcnt(0)
	v_fmac_f64_e32 v[56:57], v[58:59], v[60:61]
	v_add_f64 v[54:55], v[54:55], -v[56:57]
	buffer_store_dword v55, off, s[0:3], 0 offset:28
	buffer_store_dword v54, off, s[0:3], 0 offset:24
	s_and_saveexec_b64 s[4:5], vcc
	s_cbranch_execz .LBB89_159
; %bb.158:
	buffer_load_dword v54, off, s[0:3], 0 offset:16
	buffer_load_dword v55, off, s[0:3], 0 offset:20
	v_mov_b32_e32 v56, 0
	buffer_store_dword v56, off, s[0:3], 0 offset:16
	buffer_store_dword v56, off, s[0:3], 0 offset:20
	s_waitcnt vmcnt(2)
	ds_write_b64 v1, v[54:55]
.LBB89_159:
	s_or_b64 exec, exec, s[4:5]
	s_waitcnt lgkmcnt(0)
	; wave barrier
	s_waitcnt lgkmcnt(0)
	buffer_load_dword v54, off, s[0:3], 0 offset:16
	buffer_load_dword v55, off, s[0:3], 0 offset:20
	;; [unrolled: 1-line block ×16, first 2 shown]
	v_mov_b32_e32 v58, 0
	ds_read2_b64 v[60:63], v58 offset0:29 offset1:30
	v_cmp_lt_u32_e32 vcc, 1, v0
	s_waitcnt vmcnt(12) lgkmcnt(0)
	v_fma_f64 v[56:57], v[56:57], v[60:61], 0
	s_waitcnt vmcnt(10)
	v_fmac_f64_e32 v[56:57], v[64:65], v[62:63]
	ds_read2_b64 v[60:63], v58 offset0:31 offset1:32
	s_waitcnt vmcnt(8) lgkmcnt(0)
	v_fmac_f64_e32 v[56:57], v[66:67], v[60:61]
	s_waitcnt vmcnt(6)
	v_fmac_f64_e32 v[56:57], v[68:69], v[62:63]
	ds_read2_b64 v[60:63], v58 offset0:33 offset1:34
	s_waitcnt vmcnt(4) lgkmcnt(0)
	v_fmac_f64_e32 v[56:57], v[70:71], v[60:61]
	s_waitcnt vmcnt(2)
	v_fmac_f64_e32 v[56:57], v[72:73], v[62:63]
	ds_read2_b64 v[60:63], v58 offset0:35 offset1:36
	s_waitcnt vmcnt(0) lgkmcnt(0)
	v_fmac_f64_e32 v[56:57], v[74:75], v[60:61]
	buffer_load_dword v61, off, s[0:3], 0 offset:84
	buffer_load_dword v60, off, s[0:3], 0 offset:80
	buffer_load_dword v65, off, s[0:3], 0 offset:92
	buffer_load_dword v64, off, s[0:3], 0 offset:88
	s_waitcnt vmcnt(2)
	v_fmac_f64_e32 v[56:57], v[60:61], v[62:63]
	ds_read2_b64 v[60:63], v58 offset0:37 offset1:38
	s_waitcnt vmcnt(0) lgkmcnt(0)
	v_fmac_f64_e32 v[56:57], v[64:65], v[60:61]
	buffer_load_dword v61, off, s[0:3], 0 offset:100
	buffer_load_dword v60, off, s[0:3], 0 offset:96
	buffer_load_dword v65, off, s[0:3], 0 offset:108
	buffer_load_dword v64, off, s[0:3], 0 offset:104
	s_waitcnt vmcnt(2)
	v_fmac_f64_e32 v[56:57], v[60:61], v[62:63]
	ds_read2_b64 v[60:63], v58 offset0:39 offset1:40
	s_waitcnt vmcnt(0) lgkmcnt(0)
	v_fmac_f64_e32 v[56:57], v[64:65], v[60:61]
	;; [unrolled: 9-line block ×7, first 2 shown]
	buffer_load_dword v61, off, s[0:3], 0 offset:196
	buffer_load_dword v60, off, s[0:3], 0 offset:192
	s_waitcnt vmcnt(0)
	v_fmac_f64_e32 v[56:57], v[60:61], v[62:63]
	buffer_load_dword v61, off, s[0:3], 0 offset:204
	buffer_load_dword v60, off, s[0:3], 0 offset:200
	ds_read_b64 v[62:63], v58 offset:408
	s_waitcnt vmcnt(0) lgkmcnt(0)
	v_fmac_f64_e32 v[56:57], v[60:61], v[62:63]
	v_add_f64 v[54:55], v[54:55], -v[56:57]
	buffer_store_dword v55, off, s[0:3], 0 offset:20
	buffer_store_dword v54, off, s[0:3], 0 offset:16
	s_and_saveexec_b64 s[4:5], vcc
	s_cbranch_execz .LBB89_161
; %bb.160:
	buffer_load_dword v54, off, s[0:3], 0 offset:8
	buffer_load_dword v55, off, s[0:3], 0 offset:12
	s_waitcnt vmcnt(0)
	ds_write_b64 v1, v[54:55]
	buffer_store_dword v58, off, s[0:3], 0 offset:8
	buffer_store_dword v58, off, s[0:3], 0 offset:12
.LBB89_161:
	s_or_b64 exec, exec, s[4:5]
	s_waitcnt lgkmcnt(0)
	; wave barrier
	s_waitcnt lgkmcnt(0)
	buffer_load_dword v54, off, s[0:3], 0 offset:8
	buffer_load_dword v55, off, s[0:3], 0 offset:12
	buffer_load_dword v56, off, s[0:3], 0 offset:16
	buffer_load_dword v57, off, s[0:3], 0 offset:20
	buffer_load_dword v76, off, s[0:3], 0 offset:24
	buffer_load_dword v77, off, s[0:3], 0 offset:28
	buffer_load_dword v78, off, s[0:3], 0 offset:32
	buffer_load_dword v79, off, s[0:3], 0 offset:36
	buffer_load_dword v80, off, s[0:3], 0 offset:40
	buffer_load_dword v81, off, s[0:3], 0 offset:44
	buffer_load_dword v82, off, s[0:3], 0 offset:48
	buffer_load_dword v83, off, s[0:3], 0 offset:52
	buffer_load_dword v84, off, s[0:3], 0 offset:56
	buffer_load_dword v85, off, s[0:3], 0 offset:60
	buffer_load_dword v86, off, s[0:3], 0 offset:64
	buffer_load_dword v87, off, s[0:3], 0 offset:68
	ds_read_b128 v[60:63], v58 offset:224
	ds_read_b128 v[64:67], v58 offset:240
	;; [unrolled: 1-line block ×4, first 2 shown]
	v_cmp_ne_u32_e32 vcc, 0, v0
	s_waitcnt vmcnt(12) lgkmcnt(3)
	v_fma_f64 v[56:57], v[56:57], v[60:61], 0
	buffer_load_dword v61, off, s[0:3], 0 offset:76
	buffer_load_dword v60, off, s[0:3], 0 offset:72
	s_waitcnt vmcnt(12)
	v_fmac_f64_e32 v[56:57], v[76:77], v[62:63]
	s_waitcnt vmcnt(10) lgkmcnt(2)
	v_fmac_f64_e32 v[56:57], v[78:79], v[64:65]
	buffer_load_dword v65, off, s[0:3], 0 offset:84
	buffer_load_dword v64, off, s[0:3], 0 offset:80
	s_waitcnt vmcnt(10)
	v_fmac_f64_e32 v[56:57], v[80:81], v[66:67]
	s_waitcnt vmcnt(8) lgkmcnt(1)
	v_fmac_f64_e32 v[56:57], v[82:83], v[68:69]
	s_waitcnt vmcnt(6)
	v_fmac_f64_e32 v[56:57], v[84:85], v[70:71]
	s_waitcnt vmcnt(4) lgkmcnt(0)
	v_fmac_f64_e32 v[56:57], v[86:87], v[72:73]
	s_waitcnt vmcnt(2)
	v_fmac_f64_e32 v[56:57], v[60:61], v[74:75]
	ds_read_b128 v[60:63], v58 offset:288
	s_waitcnt vmcnt(0) lgkmcnt(0)
	v_fmac_f64_e32 v[56:57], v[64:65], v[60:61]
	buffer_load_dword v61, off, s[0:3], 0 offset:92
	buffer_load_dword v60, off, s[0:3], 0 offset:88
	buffer_load_dword v65, off, s[0:3], 0 offset:100
	buffer_load_dword v64, off, s[0:3], 0 offset:96
	s_waitcnt vmcnt(2)
	v_fmac_f64_e32 v[56:57], v[60:61], v[62:63]
	ds_read_b128 v[60:63], v58 offset:304
	s_waitcnt vmcnt(0) lgkmcnt(0)
	v_fmac_f64_e32 v[56:57], v[64:65], v[60:61]
	buffer_load_dword v61, off, s[0:3], 0 offset:108
	buffer_load_dword v60, off, s[0:3], 0 offset:104
	buffer_load_dword v65, off, s[0:3], 0 offset:116
	buffer_load_dword v64, off, s[0:3], 0 offset:112
	;; [unrolled: 9-line block ×6, first 2 shown]
	s_waitcnt vmcnt(2)
	v_fmac_f64_e32 v[56:57], v[60:61], v[62:63]
	ds_read_b128 v[60:63], v58 offset:384
	s_waitcnt vmcnt(0) lgkmcnt(0)
	v_fmac_f64_e32 v[56:57], v[64:65], v[60:61]
	buffer_load_dword v61, off, s[0:3], 0 offset:188
	buffer_load_dword v60, off, s[0:3], 0 offset:184
	s_waitcnt vmcnt(0)
	v_fmac_f64_e32 v[56:57], v[60:61], v[62:63]
	buffer_load_dword v63, off, s[0:3], 0 offset:196
	buffer_load_dword v62, off, s[0:3], 0 offset:192
	ds_read_b128 v[58:61], v58 offset:400
	s_waitcnt vmcnt(0) lgkmcnt(0)
	v_fmac_f64_e32 v[56:57], v[62:63], v[58:59]
	buffer_load_dword v59, off, s[0:3], 0 offset:204
	buffer_load_dword v58, off, s[0:3], 0 offset:200
	s_waitcnt vmcnt(0)
	v_fmac_f64_e32 v[56:57], v[58:59], v[60:61]
	v_add_f64 v[54:55], v[54:55], -v[56:57]
	buffer_store_dword v55, off, s[0:3], 0 offset:12
	buffer_store_dword v54, off, s[0:3], 0 offset:8
	s_and_saveexec_b64 s[4:5], vcc
	s_cbranch_execz .LBB89_163
; %bb.162:
	buffer_load_dword v54, off, s[0:3], 0
	buffer_load_dword v55, off, s[0:3], 0 offset:4
	v_mov_b32_e32 v0, 0
	buffer_store_dword v0, off, s[0:3], 0
	buffer_store_dword v0, off, s[0:3], 0 offset:4
	s_waitcnt vmcnt(2)
	ds_write_b64 v1, v[54:55]
.LBB89_163:
	s_or_b64 exec, exec, s[4:5]
	s_waitcnt lgkmcnt(0)
	; wave barrier
	s_waitcnt lgkmcnt(0)
	buffer_load_dword v0, off, s[0:3], 0
	buffer_load_dword v1, off, s[0:3], 0 offset:4
	buffer_load_dword v58, off, s[0:3], 0 offset:8
	;; [unrolled: 1-line block ×15, first 2 shown]
	v_mov_b32_e32 v72, 0
	ds_read2_b64 v[54:57], v72 offset0:27 offset1:28
	s_and_b64 vcc, exec, s[16:17]
	s_waitcnt vmcnt(12) lgkmcnt(0)
	v_fma_f64 v[54:55], v[58:59], v[54:55], 0
	s_waitcnt vmcnt(10)
	v_fmac_f64_e32 v[54:55], v[60:61], v[56:57]
	ds_read2_b64 v[56:59], v72 offset0:29 offset1:30
	s_waitcnt vmcnt(8) lgkmcnt(0)
	v_fmac_f64_e32 v[54:55], v[62:63], v[56:57]
	s_waitcnt vmcnt(6)
	v_fmac_f64_e32 v[54:55], v[64:65], v[58:59]
	ds_read2_b64 v[56:59], v72 offset0:31 offset1:32
	s_waitcnt vmcnt(4) lgkmcnt(0)
	v_fmac_f64_e32 v[54:55], v[66:67], v[56:57]
	s_waitcnt vmcnt(2)
	v_fmac_f64_e32 v[54:55], v[68:69], v[58:59]
	ds_read2_b64 v[56:59], v72 offset0:33 offset1:34
	s_waitcnt vmcnt(0) lgkmcnt(0)
	v_fmac_f64_e32 v[54:55], v[70:71], v[56:57]
	buffer_load_dword v57, off, s[0:3], 0 offset:68
	buffer_load_dword v56, off, s[0:3], 0 offset:64
	buffer_load_dword v61, off, s[0:3], 0 offset:76
	buffer_load_dword v60, off, s[0:3], 0 offset:72
	s_waitcnt vmcnt(2)
	v_fmac_f64_e32 v[54:55], v[56:57], v[58:59]
	ds_read2_b64 v[56:59], v72 offset0:35 offset1:36
	s_waitcnt vmcnt(0) lgkmcnt(0)
	v_fmac_f64_e32 v[54:55], v[60:61], v[56:57]
	buffer_load_dword v57, off, s[0:3], 0 offset:84
	buffer_load_dword v56, off, s[0:3], 0 offset:80
	buffer_load_dword v61, off, s[0:3], 0 offset:92
	buffer_load_dword v60, off, s[0:3], 0 offset:88
	s_waitcnt vmcnt(2)
	v_fmac_f64_e32 v[54:55], v[56:57], v[58:59]
	ds_read2_b64 v[56:59], v72 offset0:37 offset1:38
	s_waitcnt vmcnt(0) lgkmcnt(0)
	v_fmac_f64_e32 v[54:55], v[60:61], v[56:57]
	;; [unrolled: 9-line block ×8, first 2 shown]
	buffer_load_dword v57, off, s[0:3], 0 offset:196
	buffer_load_dword v56, off, s[0:3], 0 offset:192
	s_waitcnt vmcnt(0)
	v_fmac_f64_e32 v[54:55], v[56:57], v[58:59]
	buffer_load_dword v59, off, s[0:3], 0 offset:204
	buffer_load_dword v58, off, s[0:3], 0 offset:200
	ds_read_b64 v[60:61], v72 offset:408
	s_waitcnt vmcnt(0) lgkmcnt(0)
	v_fmac_f64_e32 v[54:55], v[58:59], v[60:61]
	v_add_f64 v[0:1], v[0:1], -v[54:55]
	buffer_store_dword v1, off, s[0:3], 0 offset:4
	buffer_store_dword v0, off, s[0:3], 0
	s_cbranch_vccz .LBB89_215
; %bb.164:
	v_pk_mov_b32 v[0:1], s[10:11], s[10:11] op_sel:[0,1]
	flat_load_dword v0, v[0:1] offset:96
	s_waitcnt vmcnt(0) lgkmcnt(0)
	v_add_u32_e32 v0, -1, v0
	v_cmp_ne_u32_e32 vcc, 24, v0
	s_and_saveexec_b64 s[4:5], vcc
	s_cbranch_execz .LBB89_166
; %bb.165:
	v_mov_b32_e32 v1, 0
	v_lshl_add_u32 v0, v0, 3, v1
	buffer_load_dword v1, v0, s[0:3], 0 offen offset:4
	buffer_load_dword v54, v0, s[0:3], 0 offen
	s_waitcnt vmcnt(1)
	buffer_store_dword v1, off, s[0:3], 0 offset:196
	s_waitcnt vmcnt(1)
	buffer_store_dword v54, off, s[0:3], 0 offset:192
	buffer_store_dword v57, v0, s[0:3], 0 offen offset:4
	buffer_store_dword v56, v0, s[0:3], 0 offen
.LBB89_166:
	s_or_b64 exec, exec, s[4:5]
	v_pk_mov_b32 v[0:1], s[10:11], s[10:11] op_sel:[0,1]
	flat_load_dword v0, v[0:1] offset:92
	s_waitcnt vmcnt(0) lgkmcnt(0)
	v_add_u32_e32 v0, -1, v0
	v_cmp_ne_u32_e32 vcc, 23, v0
	s_and_saveexec_b64 s[4:5], vcc
	s_cbranch_execz .LBB89_168
; %bb.167:
	v_mov_b32_e32 v1, 0
	v_lshl_add_u32 v0, v0, 3, v1
	buffer_load_dword v1, v0, s[0:3], 0 offen
	buffer_load_dword v54, v0, s[0:3], 0 offen offset:4
	buffer_load_dword v55, off, s[0:3], 0 offset:184
	buffer_load_dword v56, off, s[0:3], 0 offset:188
	s_waitcnt vmcnt(3)
	buffer_store_dword v1, off, s[0:3], 0 offset:184
	s_waitcnt vmcnt(3)
	buffer_store_dword v54, off, s[0:3], 0 offset:188
	s_waitcnt vmcnt(3)
	buffer_store_dword v55, v0, s[0:3], 0 offen
	s_waitcnt vmcnt(3)
	buffer_store_dword v56, v0, s[0:3], 0 offen offset:4
.LBB89_168:
	s_or_b64 exec, exec, s[4:5]
	v_pk_mov_b32 v[0:1], s[10:11], s[10:11] op_sel:[0,1]
	flat_load_dword v0, v[0:1] offset:88
	s_waitcnt vmcnt(0) lgkmcnt(0)
	v_add_u32_e32 v0, -1, v0
	v_cmp_ne_u32_e32 vcc, 22, v0
	s_and_saveexec_b64 s[4:5], vcc
	s_cbranch_execz .LBB89_170
; %bb.169:
	v_mov_b32_e32 v1, 0
	v_lshl_add_u32 v0, v0, 3, v1
	buffer_load_dword v1, v0, s[0:3], 0 offen
	buffer_load_dword v54, v0, s[0:3], 0 offen offset:4
	buffer_load_dword v55, off, s[0:3], 0 offset:180
	buffer_load_dword v56, off, s[0:3], 0 offset:176
	s_waitcnt vmcnt(3)
	buffer_store_dword v1, off, s[0:3], 0 offset:176
	s_waitcnt vmcnt(3)
	buffer_store_dword v54, off, s[0:3], 0 offset:180
	s_waitcnt vmcnt(3)
	buffer_store_dword v55, v0, s[0:3], 0 offen offset:4
	s_waitcnt vmcnt(3)
	buffer_store_dword v56, v0, s[0:3], 0 offen
.LBB89_170:
	s_or_b64 exec, exec, s[4:5]
	v_pk_mov_b32 v[0:1], s[10:11], s[10:11] op_sel:[0,1]
	flat_load_dword v0, v[0:1] offset:84
	s_waitcnt vmcnt(0) lgkmcnt(0)
	v_add_u32_e32 v0, -1, v0
	v_cmp_ne_u32_e32 vcc, 21, v0
	s_and_saveexec_b64 s[4:5], vcc
	s_cbranch_execz .LBB89_172
; %bb.171:
	v_mov_b32_e32 v1, 0
	v_lshl_add_u32 v0, v0, 3, v1
	buffer_load_dword v1, v0, s[0:3], 0 offen
	buffer_load_dword v54, v0, s[0:3], 0 offen offset:4
	buffer_load_dword v55, off, s[0:3], 0 offset:168
	buffer_load_dword v56, off, s[0:3], 0 offset:172
	s_waitcnt vmcnt(3)
	buffer_store_dword v1, off, s[0:3], 0 offset:168
	s_waitcnt vmcnt(3)
	buffer_store_dword v54, off, s[0:3], 0 offset:172
	s_waitcnt vmcnt(3)
	buffer_store_dword v55, v0, s[0:3], 0 offen
	s_waitcnt vmcnt(3)
	buffer_store_dword v56, v0, s[0:3], 0 offen offset:4
.LBB89_172:
	s_or_b64 exec, exec, s[4:5]
	v_pk_mov_b32 v[0:1], s[10:11], s[10:11] op_sel:[0,1]
	flat_load_dword v0, v[0:1] offset:80
	s_waitcnt vmcnt(0) lgkmcnt(0)
	v_add_u32_e32 v0, -1, v0
	v_cmp_ne_u32_e32 vcc, 20, v0
	s_and_saveexec_b64 s[4:5], vcc
	s_cbranch_execz .LBB89_174
; %bb.173:
	v_mov_b32_e32 v1, 0
	v_lshl_add_u32 v0, v0, 3, v1
	buffer_load_dword v1, v0, s[0:3], 0 offen
	buffer_load_dword v54, v0, s[0:3], 0 offen offset:4
	buffer_load_dword v55, off, s[0:3], 0 offset:164
	buffer_load_dword v56, off, s[0:3], 0 offset:160
	s_waitcnt vmcnt(3)
	buffer_store_dword v1, off, s[0:3], 0 offset:160
	s_waitcnt vmcnt(3)
	buffer_store_dword v54, off, s[0:3], 0 offset:164
	s_waitcnt vmcnt(3)
	buffer_store_dword v55, v0, s[0:3], 0 offen offset:4
	s_waitcnt vmcnt(3)
	buffer_store_dword v56, v0, s[0:3], 0 offen
.LBB89_174:
	s_or_b64 exec, exec, s[4:5]
	v_pk_mov_b32 v[0:1], s[10:11], s[10:11] op_sel:[0,1]
	flat_load_dword v0, v[0:1] offset:76
	s_waitcnt vmcnt(0) lgkmcnt(0)
	v_add_u32_e32 v0, -1, v0
	v_cmp_ne_u32_e32 vcc, 19, v0
	s_and_saveexec_b64 s[4:5], vcc
	s_cbranch_execz .LBB89_176
; %bb.175:
	v_mov_b32_e32 v1, 0
	v_lshl_add_u32 v0, v0, 3, v1
	buffer_load_dword v1, v0, s[0:3], 0 offen
	buffer_load_dword v54, v0, s[0:3], 0 offen offset:4
	buffer_load_dword v55, off, s[0:3], 0 offset:152
	buffer_load_dword v56, off, s[0:3], 0 offset:156
	s_waitcnt vmcnt(3)
	buffer_store_dword v1, off, s[0:3], 0 offset:152
	s_waitcnt vmcnt(3)
	buffer_store_dword v54, off, s[0:3], 0 offset:156
	s_waitcnt vmcnt(3)
	buffer_store_dword v55, v0, s[0:3], 0 offen
	s_waitcnt vmcnt(3)
	buffer_store_dword v56, v0, s[0:3], 0 offen offset:4
.LBB89_176:
	s_or_b64 exec, exec, s[4:5]
	v_pk_mov_b32 v[0:1], s[10:11], s[10:11] op_sel:[0,1]
	flat_load_dword v0, v[0:1] offset:72
	s_waitcnt vmcnt(0) lgkmcnt(0)
	v_add_u32_e32 v0, -1, v0
	v_cmp_ne_u32_e32 vcc, 18, v0
	s_and_saveexec_b64 s[4:5], vcc
	s_cbranch_execz .LBB89_178
; %bb.177:
	v_mov_b32_e32 v1, 0
	v_lshl_add_u32 v0, v0, 3, v1
	buffer_load_dword v1, v0, s[0:3], 0 offen
	buffer_load_dword v54, v0, s[0:3], 0 offen offset:4
	buffer_load_dword v55, off, s[0:3], 0 offset:148
	buffer_load_dword v56, off, s[0:3], 0 offset:144
	s_waitcnt vmcnt(3)
	buffer_store_dword v1, off, s[0:3], 0 offset:144
	s_waitcnt vmcnt(3)
	buffer_store_dword v54, off, s[0:3], 0 offset:148
	s_waitcnt vmcnt(3)
	buffer_store_dword v55, v0, s[0:3], 0 offen offset:4
	s_waitcnt vmcnt(3)
	buffer_store_dword v56, v0, s[0:3], 0 offen
.LBB89_178:
	s_or_b64 exec, exec, s[4:5]
	v_pk_mov_b32 v[0:1], s[10:11], s[10:11] op_sel:[0,1]
	flat_load_dword v0, v[0:1] offset:68
	s_waitcnt vmcnt(0) lgkmcnt(0)
	v_add_u32_e32 v0, -1, v0
	v_cmp_ne_u32_e32 vcc, 17, v0
	s_and_saveexec_b64 s[4:5], vcc
	s_cbranch_execz .LBB89_180
; %bb.179:
	v_mov_b32_e32 v1, 0
	v_lshl_add_u32 v0, v0, 3, v1
	buffer_load_dword v1, v0, s[0:3], 0 offen
	buffer_load_dword v54, v0, s[0:3], 0 offen offset:4
	buffer_load_dword v55, off, s[0:3], 0 offset:136
	buffer_load_dword v56, off, s[0:3], 0 offset:140
	s_waitcnt vmcnt(3)
	buffer_store_dword v1, off, s[0:3], 0 offset:136
	s_waitcnt vmcnt(3)
	buffer_store_dword v54, off, s[0:3], 0 offset:140
	s_waitcnt vmcnt(3)
	buffer_store_dword v55, v0, s[0:3], 0 offen
	s_waitcnt vmcnt(3)
	buffer_store_dword v56, v0, s[0:3], 0 offen offset:4
.LBB89_180:
	s_or_b64 exec, exec, s[4:5]
	v_pk_mov_b32 v[0:1], s[10:11], s[10:11] op_sel:[0,1]
	flat_load_dword v0, v[0:1] offset:64
	s_waitcnt vmcnt(0) lgkmcnt(0)
	v_add_u32_e32 v0, -1, v0
	v_cmp_ne_u32_e32 vcc, 16, v0
	s_and_saveexec_b64 s[4:5], vcc
	s_cbranch_execz .LBB89_182
; %bb.181:
	v_mov_b32_e32 v1, 0
	v_lshl_add_u32 v0, v0, 3, v1
	buffer_load_dword v1, v0, s[0:3], 0 offen
	buffer_load_dword v54, v0, s[0:3], 0 offen offset:4
	buffer_load_dword v55, off, s[0:3], 0 offset:132
	buffer_load_dword v56, off, s[0:3], 0 offset:128
	s_waitcnt vmcnt(3)
	buffer_store_dword v1, off, s[0:3], 0 offset:128
	s_waitcnt vmcnt(3)
	buffer_store_dword v54, off, s[0:3], 0 offset:132
	s_waitcnt vmcnt(3)
	buffer_store_dword v55, v0, s[0:3], 0 offen offset:4
	s_waitcnt vmcnt(3)
	buffer_store_dword v56, v0, s[0:3], 0 offen
.LBB89_182:
	s_or_b64 exec, exec, s[4:5]
	v_pk_mov_b32 v[0:1], s[10:11], s[10:11] op_sel:[0,1]
	flat_load_dword v0, v[0:1] offset:60
	s_waitcnt vmcnt(0) lgkmcnt(0)
	v_add_u32_e32 v0, -1, v0
	v_cmp_ne_u32_e32 vcc, 15, v0
	s_and_saveexec_b64 s[4:5], vcc
	s_cbranch_execz .LBB89_184
; %bb.183:
	v_mov_b32_e32 v1, 0
	v_lshl_add_u32 v0, v0, 3, v1
	buffer_load_dword v1, v0, s[0:3], 0 offen
	buffer_load_dword v54, v0, s[0:3], 0 offen offset:4
	buffer_load_dword v55, off, s[0:3], 0 offset:120
	buffer_load_dword v56, off, s[0:3], 0 offset:124
	s_waitcnt vmcnt(3)
	buffer_store_dword v1, off, s[0:3], 0 offset:120
	s_waitcnt vmcnt(3)
	buffer_store_dword v54, off, s[0:3], 0 offset:124
	s_waitcnt vmcnt(3)
	buffer_store_dword v55, v0, s[0:3], 0 offen
	s_waitcnt vmcnt(3)
	buffer_store_dword v56, v0, s[0:3], 0 offen offset:4
.LBB89_184:
	s_or_b64 exec, exec, s[4:5]
	v_pk_mov_b32 v[0:1], s[10:11], s[10:11] op_sel:[0,1]
	flat_load_dword v0, v[0:1] offset:56
	s_waitcnt vmcnt(0) lgkmcnt(0)
	v_add_u32_e32 v0, -1, v0
	v_cmp_ne_u32_e32 vcc, 14, v0
	s_and_saveexec_b64 s[4:5], vcc
	s_cbranch_execz .LBB89_186
; %bb.185:
	v_mov_b32_e32 v1, 0
	v_lshl_add_u32 v0, v0, 3, v1
	buffer_load_dword v1, v0, s[0:3], 0 offen
	buffer_load_dword v54, v0, s[0:3], 0 offen offset:4
	buffer_load_dword v55, off, s[0:3], 0 offset:116
	buffer_load_dword v56, off, s[0:3], 0 offset:112
	s_waitcnt vmcnt(3)
	buffer_store_dword v1, off, s[0:3], 0 offset:112
	s_waitcnt vmcnt(3)
	buffer_store_dword v54, off, s[0:3], 0 offset:116
	s_waitcnt vmcnt(3)
	buffer_store_dword v55, v0, s[0:3], 0 offen offset:4
	s_waitcnt vmcnt(3)
	buffer_store_dword v56, v0, s[0:3], 0 offen
.LBB89_186:
	s_or_b64 exec, exec, s[4:5]
	v_pk_mov_b32 v[0:1], s[10:11], s[10:11] op_sel:[0,1]
	flat_load_dword v0, v[0:1] offset:52
	s_waitcnt vmcnt(0) lgkmcnt(0)
	v_add_u32_e32 v0, -1, v0
	v_cmp_ne_u32_e32 vcc, 13, v0
	s_and_saveexec_b64 s[4:5], vcc
	s_cbranch_execz .LBB89_188
; %bb.187:
	v_mov_b32_e32 v1, 0
	v_lshl_add_u32 v0, v0, 3, v1
	buffer_load_dword v1, v0, s[0:3], 0 offen
	buffer_load_dword v54, v0, s[0:3], 0 offen offset:4
	buffer_load_dword v55, off, s[0:3], 0 offset:104
	buffer_load_dword v56, off, s[0:3], 0 offset:108
	s_waitcnt vmcnt(3)
	buffer_store_dword v1, off, s[0:3], 0 offset:104
	s_waitcnt vmcnt(3)
	buffer_store_dword v54, off, s[0:3], 0 offset:108
	s_waitcnt vmcnt(3)
	buffer_store_dword v55, v0, s[0:3], 0 offen
	s_waitcnt vmcnt(3)
	buffer_store_dword v56, v0, s[0:3], 0 offen offset:4
.LBB89_188:
	s_or_b64 exec, exec, s[4:5]
	v_pk_mov_b32 v[0:1], s[10:11], s[10:11] op_sel:[0,1]
	flat_load_dword v0, v[0:1] offset:48
	s_waitcnt vmcnt(0) lgkmcnt(0)
	v_add_u32_e32 v0, -1, v0
	v_cmp_ne_u32_e32 vcc, 12, v0
	s_and_saveexec_b64 s[4:5], vcc
	s_cbranch_execz .LBB89_190
; %bb.189:
	v_mov_b32_e32 v1, 0
	v_lshl_add_u32 v0, v0, 3, v1
	buffer_load_dword v1, v0, s[0:3], 0 offen
	buffer_load_dword v54, v0, s[0:3], 0 offen offset:4
	buffer_load_dword v55, off, s[0:3], 0 offset:100
	buffer_load_dword v56, off, s[0:3], 0 offset:96
	s_waitcnt vmcnt(3)
	buffer_store_dword v1, off, s[0:3], 0 offset:96
	s_waitcnt vmcnt(3)
	buffer_store_dword v54, off, s[0:3], 0 offset:100
	s_waitcnt vmcnt(3)
	buffer_store_dword v55, v0, s[0:3], 0 offen offset:4
	s_waitcnt vmcnt(3)
	buffer_store_dword v56, v0, s[0:3], 0 offen
.LBB89_190:
	s_or_b64 exec, exec, s[4:5]
	v_pk_mov_b32 v[0:1], s[10:11], s[10:11] op_sel:[0,1]
	flat_load_dword v0, v[0:1] offset:44
	s_waitcnt vmcnt(0) lgkmcnt(0)
	v_add_u32_e32 v0, -1, v0
	v_cmp_ne_u32_e32 vcc, 11, v0
	s_and_saveexec_b64 s[4:5], vcc
	s_cbranch_execz .LBB89_192
; %bb.191:
	v_mov_b32_e32 v1, 0
	v_lshl_add_u32 v0, v0, 3, v1
	buffer_load_dword v1, v0, s[0:3], 0 offen
	buffer_load_dword v54, v0, s[0:3], 0 offen offset:4
	buffer_load_dword v55, off, s[0:3], 0 offset:88
	buffer_load_dword v56, off, s[0:3], 0 offset:92
	s_waitcnt vmcnt(3)
	buffer_store_dword v1, off, s[0:3], 0 offset:88
	s_waitcnt vmcnt(3)
	buffer_store_dword v54, off, s[0:3], 0 offset:92
	s_waitcnt vmcnt(3)
	buffer_store_dword v55, v0, s[0:3], 0 offen
	s_waitcnt vmcnt(3)
	buffer_store_dword v56, v0, s[0:3], 0 offen offset:4
.LBB89_192:
	s_or_b64 exec, exec, s[4:5]
	v_pk_mov_b32 v[0:1], s[10:11], s[10:11] op_sel:[0,1]
	flat_load_dword v0, v[0:1] offset:40
	s_waitcnt vmcnt(0) lgkmcnt(0)
	v_add_u32_e32 v0, -1, v0
	v_cmp_ne_u32_e32 vcc, 10, v0
	s_and_saveexec_b64 s[4:5], vcc
	s_cbranch_execz .LBB89_194
; %bb.193:
	v_mov_b32_e32 v1, 0
	v_lshl_add_u32 v0, v0, 3, v1
	buffer_load_dword v1, v0, s[0:3], 0 offen
	buffer_load_dword v54, v0, s[0:3], 0 offen offset:4
	buffer_load_dword v55, off, s[0:3], 0 offset:84
	buffer_load_dword v56, off, s[0:3], 0 offset:80
	s_waitcnt vmcnt(3)
	buffer_store_dword v1, off, s[0:3], 0 offset:80
	s_waitcnt vmcnt(3)
	buffer_store_dword v54, off, s[0:3], 0 offset:84
	s_waitcnt vmcnt(3)
	buffer_store_dword v55, v0, s[0:3], 0 offen offset:4
	s_waitcnt vmcnt(3)
	buffer_store_dword v56, v0, s[0:3], 0 offen
.LBB89_194:
	s_or_b64 exec, exec, s[4:5]
	v_pk_mov_b32 v[0:1], s[10:11], s[10:11] op_sel:[0,1]
	flat_load_dword v0, v[0:1] offset:36
	s_waitcnt vmcnt(0) lgkmcnt(0)
	v_add_u32_e32 v0, -1, v0
	v_cmp_ne_u32_e32 vcc, 9, v0
	s_and_saveexec_b64 s[4:5], vcc
	s_cbranch_execz .LBB89_196
; %bb.195:
	v_mov_b32_e32 v1, 0
	v_lshl_add_u32 v0, v0, 3, v1
	buffer_load_dword v1, v0, s[0:3], 0 offen
	buffer_load_dword v54, v0, s[0:3], 0 offen offset:4
	buffer_load_dword v55, off, s[0:3], 0 offset:72
	buffer_load_dword v56, off, s[0:3], 0 offset:76
	s_waitcnt vmcnt(3)
	buffer_store_dword v1, off, s[0:3], 0 offset:72
	s_waitcnt vmcnt(3)
	buffer_store_dword v54, off, s[0:3], 0 offset:76
	s_waitcnt vmcnt(3)
	buffer_store_dword v55, v0, s[0:3], 0 offen
	s_waitcnt vmcnt(3)
	buffer_store_dword v56, v0, s[0:3], 0 offen offset:4
.LBB89_196:
	s_or_b64 exec, exec, s[4:5]
	v_pk_mov_b32 v[0:1], s[10:11], s[10:11] op_sel:[0,1]
	flat_load_dword v0, v[0:1] offset:32
	s_waitcnt vmcnt(0) lgkmcnt(0)
	v_add_u32_e32 v0, -1, v0
	v_cmp_ne_u32_e32 vcc, 8, v0
	s_and_saveexec_b64 s[4:5], vcc
	s_cbranch_execz .LBB89_198
; %bb.197:
	v_mov_b32_e32 v1, 0
	v_lshl_add_u32 v0, v0, 3, v1
	buffer_load_dword v1, v0, s[0:3], 0 offen
	buffer_load_dword v54, v0, s[0:3], 0 offen offset:4
	buffer_load_dword v55, off, s[0:3], 0 offset:68
	buffer_load_dword v56, off, s[0:3], 0 offset:64
	s_waitcnt vmcnt(3)
	buffer_store_dword v1, off, s[0:3], 0 offset:64
	s_waitcnt vmcnt(3)
	buffer_store_dword v54, off, s[0:3], 0 offset:68
	s_waitcnt vmcnt(3)
	buffer_store_dword v55, v0, s[0:3], 0 offen offset:4
	s_waitcnt vmcnt(3)
	buffer_store_dword v56, v0, s[0:3], 0 offen
.LBB89_198:
	s_or_b64 exec, exec, s[4:5]
	v_pk_mov_b32 v[0:1], s[10:11], s[10:11] op_sel:[0,1]
	flat_load_dword v0, v[0:1] offset:28
	s_waitcnt vmcnt(0) lgkmcnt(0)
	v_add_u32_e32 v0, -1, v0
	v_cmp_ne_u32_e32 vcc, 7, v0
	s_and_saveexec_b64 s[4:5], vcc
	s_cbranch_execz .LBB89_200
; %bb.199:
	v_mov_b32_e32 v1, 0
	v_lshl_add_u32 v0, v0, 3, v1
	buffer_load_dword v1, v0, s[0:3], 0 offen
	buffer_load_dword v54, v0, s[0:3], 0 offen offset:4
	buffer_load_dword v55, off, s[0:3], 0 offset:56
	buffer_load_dword v56, off, s[0:3], 0 offset:60
	s_waitcnt vmcnt(3)
	buffer_store_dword v1, off, s[0:3], 0 offset:56
	s_waitcnt vmcnt(3)
	buffer_store_dword v54, off, s[0:3], 0 offset:60
	s_waitcnt vmcnt(3)
	buffer_store_dword v55, v0, s[0:3], 0 offen
	s_waitcnt vmcnt(3)
	buffer_store_dword v56, v0, s[0:3], 0 offen offset:4
.LBB89_200:
	s_or_b64 exec, exec, s[4:5]
	v_pk_mov_b32 v[0:1], s[10:11], s[10:11] op_sel:[0,1]
	flat_load_dword v0, v[0:1] offset:24
	s_waitcnt vmcnt(0) lgkmcnt(0)
	v_add_u32_e32 v0, -1, v0
	v_cmp_ne_u32_e32 vcc, 6, v0
	s_and_saveexec_b64 s[4:5], vcc
	s_cbranch_execz .LBB89_202
; %bb.201:
	v_mov_b32_e32 v1, 0
	v_lshl_add_u32 v0, v0, 3, v1
	buffer_load_dword v1, v0, s[0:3], 0 offen
	buffer_load_dword v54, v0, s[0:3], 0 offen offset:4
	buffer_load_dword v55, off, s[0:3], 0 offset:52
	buffer_load_dword v56, off, s[0:3], 0 offset:48
	s_waitcnt vmcnt(3)
	buffer_store_dword v1, off, s[0:3], 0 offset:48
	s_waitcnt vmcnt(3)
	buffer_store_dword v54, off, s[0:3], 0 offset:52
	s_waitcnt vmcnt(3)
	buffer_store_dword v55, v0, s[0:3], 0 offen offset:4
	s_waitcnt vmcnt(3)
	buffer_store_dword v56, v0, s[0:3], 0 offen
.LBB89_202:
	s_or_b64 exec, exec, s[4:5]
	v_pk_mov_b32 v[0:1], s[10:11], s[10:11] op_sel:[0,1]
	flat_load_dword v0, v[0:1] offset:20
	s_waitcnt vmcnt(0) lgkmcnt(0)
	v_add_u32_e32 v0, -1, v0
	v_cmp_ne_u32_e32 vcc, 5, v0
	s_and_saveexec_b64 s[4:5], vcc
	s_cbranch_execz .LBB89_204
; %bb.203:
	v_mov_b32_e32 v1, 0
	v_lshl_add_u32 v0, v0, 3, v1
	buffer_load_dword v1, v0, s[0:3], 0 offen
	buffer_load_dword v54, v0, s[0:3], 0 offen offset:4
	buffer_load_dword v55, off, s[0:3], 0 offset:40
	buffer_load_dword v56, off, s[0:3], 0 offset:44
	s_waitcnt vmcnt(3)
	buffer_store_dword v1, off, s[0:3], 0 offset:40
	s_waitcnt vmcnt(3)
	buffer_store_dword v54, off, s[0:3], 0 offset:44
	s_waitcnt vmcnt(3)
	buffer_store_dword v55, v0, s[0:3], 0 offen
	s_waitcnt vmcnt(3)
	buffer_store_dword v56, v0, s[0:3], 0 offen offset:4
.LBB89_204:
	s_or_b64 exec, exec, s[4:5]
	v_pk_mov_b32 v[0:1], s[10:11], s[10:11] op_sel:[0,1]
	flat_load_dword v0, v[0:1] offset:16
	s_waitcnt vmcnt(0) lgkmcnt(0)
	v_add_u32_e32 v0, -1, v0
	v_cmp_ne_u32_e32 vcc, 4, v0
	s_and_saveexec_b64 s[4:5], vcc
	s_cbranch_execz .LBB89_206
; %bb.205:
	v_mov_b32_e32 v1, 0
	v_lshl_add_u32 v0, v0, 3, v1
	buffer_load_dword v1, v0, s[0:3], 0 offen
	buffer_load_dword v54, v0, s[0:3], 0 offen offset:4
	buffer_load_dword v55, off, s[0:3], 0 offset:36
	buffer_load_dword v56, off, s[0:3], 0 offset:32
	s_waitcnt vmcnt(3)
	buffer_store_dword v1, off, s[0:3], 0 offset:32
	s_waitcnt vmcnt(3)
	buffer_store_dword v54, off, s[0:3], 0 offset:36
	s_waitcnt vmcnt(3)
	buffer_store_dword v55, v0, s[0:3], 0 offen offset:4
	s_waitcnt vmcnt(3)
	buffer_store_dword v56, v0, s[0:3], 0 offen
.LBB89_206:
	s_or_b64 exec, exec, s[4:5]
	v_pk_mov_b32 v[0:1], s[10:11], s[10:11] op_sel:[0,1]
	flat_load_dword v0, v[0:1] offset:12
	s_waitcnt vmcnt(0) lgkmcnt(0)
	v_add_u32_e32 v0, -1, v0
	v_cmp_ne_u32_e32 vcc, 3, v0
	s_and_saveexec_b64 s[4:5], vcc
	s_cbranch_execz .LBB89_208
; %bb.207:
	v_mov_b32_e32 v1, 0
	v_lshl_add_u32 v0, v0, 3, v1
	buffer_load_dword v1, v0, s[0:3], 0 offen
	buffer_load_dword v54, v0, s[0:3], 0 offen offset:4
	buffer_load_dword v55, off, s[0:3], 0 offset:24
	buffer_load_dword v56, off, s[0:3], 0 offset:28
	s_waitcnt vmcnt(3)
	buffer_store_dword v1, off, s[0:3], 0 offset:24
	s_waitcnt vmcnt(3)
	buffer_store_dword v54, off, s[0:3], 0 offset:28
	s_waitcnt vmcnt(3)
	buffer_store_dword v55, v0, s[0:3], 0 offen
	s_waitcnt vmcnt(3)
	buffer_store_dword v56, v0, s[0:3], 0 offen offset:4
.LBB89_208:
	s_or_b64 exec, exec, s[4:5]
	v_pk_mov_b32 v[0:1], s[10:11], s[10:11] op_sel:[0,1]
	flat_load_dword v0, v[0:1] offset:8
	s_waitcnt vmcnt(0) lgkmcnt(0)
	v_add_u32_e32 v0, -1, v0
	v_cmp_ne_u32_e32 vcc, 2, v0
	s_and_saveexec_b64 s[4:5], vcc
	s_cbranch_execz .LBB89_210
; %bb.209:
	v_mov_b32_e32 v1, 0
	v_lshl_add_u32 v0, v0, 3, v1
	buffer_load_dword v1, v0, s[0:3], 0 offen
	buffer_load_dword v54, v0, s[0:3], 0 offen offset:4
	buffer_load_dword v55, off, s[0:3], 0 offset:20
	buffer_load_dword v56, off, s[0:3], 0 offset:16
	s_waitcnt vmcnt(3)
	buffer_store_dword v1, off, s[0:3], 0 offset:16
	s_waitcnt vmcnt(3)
	buffer_store_dword v54, off, s[0:3], 0 offset:20
	s_waitcnt vmcnt(3)
	buffer_store_dword v55, v0, s[0:3], 0 offen offset:4
	s_waitcnt vmcnt(3)
	buffer_store_dword v56, v0, s[0:3], 0 offen
.LBB89_210:
	s_or_b64 exec, exec, s[4:5]
	v_pk_mov_b32 v[0:1], s[10:11], s[10:11] op_sel:[0,1]
	flat_load_dword v0, v[0:1] offset:4
	s_waitcnt vmcnt(0) lgkmcnt(0)
	v_add_u32_e32 v0, -1, v0
	v_cmp_ne_u32_e32 vcc, 1, v0
	s_and_saveexec_b64 s[4:5], vcc
	s_cbranch_execz .LBB89_212
; %bb.211:
	v_mov_b32_e32 v1, 0
	v_lshl_add_u32 v0, v0, 3, v1
	buffer_load_dword v1, v0, s[0:3], 0 offen
	buffer_load_dword v54, v0, s[0:3], 0 offen offset:4
	buffer_load_dword v55, off, s[0:3], 0 offset:8
	buffer_load_dword v56, off, s[0:3], 0 offset:12
	s_waitcnt vmcnt(3)
	buffer_store_dword v1, off, s[0:3], 0 offset:8
	s_waitcnt vmcnt(3)
	buffer_store_dword v54, off, s[0:3], 0 offset:12
	s_waitcnt vmcnt(3)
	buffer_store_dword v55, v0, s[0:3], 0 offen
	s_waitcnt vmcnt(3)
	buffer_store_dword v56, v0, s[0:3], 0 offen offset:4
.LBB89_212:
	s_or_b64 exec, exec, s[4:5]
	v_pk_mov_b32 v[0:1], s[10:11], s[10:11] op_sel:[0,1]
	flat_load_dword v54, v[0:1]
	s_nop 0
	buffer_load_dword v0, off, s[0:3], 0
	buffer_load_dword v1, off, s[0:3], 0 offset:4
	s_waitcnt vmcnt(0) lgkmcnt(0)
	v_add_u32_e32 v54, -1, v54
	v_cmp_ne_u32_e32 vcc, 0, v54
	s_and_saveexec_b64 s[4:5], vcc
	s_cbranch_execz .LBB89_214
; %bb.213:
	v_mov_b32_e32 v55, 0
	v_lshl_add_u32 v54, v54, 3, v55
	buffer_load_dword v55, v54, s[0:3], 0 offen offset:4
	buffer_load_dword v56, v54, s[0:3], 0 offen
	s_waitcnt vmcnt(1)
	buffer_store_dword v55, off, s[0:3], 0 offset:4
	s_waitcnt vmcnt(1)
	buffer_store_dword v56, off, s[0:3], 0
	buffer_store_dword v1, v54, s[0:3], 0 offen offset:4
	buffer_store_dword v0, v54, s[0:3], 0 offen
	buffer_load_dword v0, off, s[0:3], 0
	s_nop 0
	buffer_load_dword v1, off, s[0:3], 0 offset:4
.LBB89_214:
	s_or_b64 exec, exec, s[4:5]
.LBB89_215:
	buffer_load_dword v54, off, s[0:3], 0 offset:8
	buffer_load_dword v55, off, s[0:3], 0 offset:12
	;; [unrolled: 1-line block ×50, first 2 shown]
	s_waitcnt vmcnt(50)
	global_store_dwordx2 v[2:3], v[0:1], off
	s_waitcnt vmcnt(49)
	global_store_dwordx2 v[46:47], v[54:55], off
	;; [unrolled: 2-line block ×26, first 2 shown]
	s_endpgm
	.section	.rodata,"a",@progbits
	.p2align	6, 0x0
	.amdhsa_kernel _ZN9rocsolver6v33100L18getri_kernel_smallILi26EdPKPdEEvT1_iilPiilS6_bb
		.amdhsa_group_segment_fixed_size 424
		.amdhsa_private_segment_fixed_size 224
		.amdhsa_kernarg_size 60
		.amdhsa_user_sgpr_count 8
		.amdhsa_user_sgpr_private_segment_buffer 1
		.amdhsa_user_sgpr_dispatch_ptr 0
		.amdhsa_user_sgpr_queue_ptr 0
		.amdhsa_user_sgpr_kernarg_segment_ptr 1
		.amdhsa_user_sgpr_dispatch_id 0
		.amdhsa_user_sgpr_flat_scratch_init 1
		.amdhsa_user_sgpr_kernarg_preload_length 0
		.amdhsa_user_sgpr_kernarg_preload_offset 0
		.amdhsa_user_sgpr_private_segment_size 0
		.amdhsa_uses_dynamic_stack 0
		.amdhsa_system_sgpr_private_segment_wavefront_offset 1
		.amdhsa_system_sgpr_workgroup_id_x 1
		.amdhsa_system_sgpr_workgroup_id_y 0
		.amdhsa_system_sgpr_workgroup_id_z 0
		.amdhsa_system_sgpr_workgroup_info 0
		.amdhsa_system_vgpr_workitem_id 0
		.amdhsa_next_free_vgpr 126
		.amdhsa_next_free_sgpr 22
		.amdhsa_accum_offset 128
		.amdhsa_reserve_vcc 1
		.amdhsa_reserve_flat_scratch 1
		.amdhsa_float_round_mode_32 0
		.amdhsa_float_round_mode_16_64 0
		.amdhsa_float_denorm_mode_32 3
		.amdhsa_float_denorm_mode_16_64 3
		.amdhsa_dx10_clamp 1
		.amdhsa_ieee_mode 1
		.amdhsa_fp16_overflow 0
		.amdhsa_tg_split 0
		.amdhsa_exception_fp_ieee_invalid_op 0
		.amdhsa_exception_fp_denorm_src 0
		.amdhsa_exception_fp_ieee_div_zero 0
		.amdhsa_exception_fp_ieee_overflow 0
		.amdhsa_exception_fp_ieee_underflow 0
		.amdhsa_exception_fp_ieee_inexact 0
		.amdhsa_exception_int_div_zero 0
	.end_amdhsa_kernel
	.section	.text._ZN9rocsolver6v33100L18getri_kernel_smallILi26EdPKPdEEvT1_iilPiilS6_bb,"axG",@progbits,_ZN9rocsolver6v33100L18getri_kernel_smallILi26EdPKPdEEvT1_iilPiilS6_bb,comdat
.Lfunc_end89:
	.size	_ZN9rocsolver6v33100L18getri_kernel_smallILi26EdPKPdEEvT1_iilPiilS6_bb, .Lfunc_end89-_ZN9rocsolver6v33100L18getri_kernel_smallILi26EdPKPdEEvT1_iilPiilS6_bb
                                        ; -- End function
	.section	.AMDGPU.csdata,"",@progbits
; Kernel info:
; codeLenInByte = 22848
; NumSgprs: 28
; NumVgprs: 126
; NumAgprs: 0
; TotalNumVgprs: 126
; ScratchSize: 224
; MemoryBound: 0
; FloatMode: 240
; IeeeMode: 1
; LDSByteSize: 424 bytes/workgroup (compile time only)
; SGPRBlocks: 3
; VGPRBlocks: 15
; NumSGPRsForWavesPerEU: 28
; NumVGPRsForWavesPerEU: 126
; AccumOffset: 128
; Occupancy: 4
; WaveLimiterHint : 1
; COMPUTE_PGM_RSRC2:SCRATCH_EN: 1
; COMPUTE_PGM_RSRC2:USER_SGPR: 8
; COMPUTE_PGM_RSRC2:TRAP_HANDLER: 0
; COMPUTE_PGM_RSRC2:TGID_X_EN: 1
; COMPUTE_PGM_RSRC2:TGID_Y_EN: 0
; COMPUTE_PGM_RSRC2:TGID_Z_EN: 0
; COMPUTE_PGM_RSRC2:TIDIG_COMP_CNT: 0
; COMPUTE_PGM_RSRC3_GFX90A:ACCUM_OFFSET: 31
; COMPUTE_PGM_RSRC3_GFX90A:TG_SPLIT: 0
	.section	.text._ZN9rocsolver6v33100L18getri_kernel_smallILi27EdPKPdEEvT1_iilPiilS6_bb,"axG",@progbits,_ZN9rocsolver6v33100L18getri_kernel_smallILi27EdPKPdEEvT1_iilPiilS6_bb,comdat
	.globl	_ZN9rocsolver6v33100L18getri_kernel_smallILi27EdPKPdEEvT1_iilPiilS6_bb ; -- Begin function _ZN9rocsolver6v33100L18getri_kernel_smallILi27EdPKPdEEvT1_iilPiilS6_bb
	.p2align	8
	.type	_ZN9rocsolver6v33100L18getri_kernel_smallILi27EdPKPdEEvT1_iilPiilS6_bb,@function
_ZN9rocsolver6v33100L18getri_kernel_smallILi27EdPKPdEEvT1_iilPiilS6_bb: ; @_ZN9rocsolver6v33100L18getri_kernel_smallILi27EdPKPdEEvT1_iilPiilS6_bb
; %bb.0:
	s_add_u32 flat_scratch_lo, s6, s9
	s_addc_u32 flat_scratch_hi, s7, 0
	s_add_u32 s0, s0, s9
	s_addc_u32 s1, s1, 0
	v_cmp_gt_u32_e32 vcc, 27, v0
	s_and_saveexec_b64 s[6:7], vcc
	s_cbranch_execz .LBB90_116
; %bb.1:
	s_load_dword s18, s[4:5], 0x38
	s_load_dwordx2 s[6:7], s[4:5], 0x0
	s_load_dwordx4 s[12:15], s[4:5], 0x28
	s_waitcnt lgkmcnt(0)
	s_bitcmp1_b32 s18, 8
	s_cselect_b64 s[16:17], -1, 0
	s_ashr_i32 s9, s8, 31
	s_lshl_b64 s[10:11], s[8:9], 3
	s_add_u32 s6, s6, s10
	s_addc_u32 s7, s7, s11
	s_load_dwordx2 s[6:7], s[6:7], 0x0
	s_bfe_u32 s10, s18, 0x10008
	s_cmp_eq_u32 s10, 0
                                        ; implicit-def: $sgpr10_sgpr11
	s_cbranch_scc1 .LBB90_3
; %bb.2:
	s_load_dword s10, s[4:5], 0x20
	s_load_dwordx2 s[20:21], s[4:5], 0x18
	s_mul_i32 s11, s8, s13
	s_mul_hi_u32 s13, s8, s12
	s_add_i32 s13, s13, s11
	s_mul_i32 s19, s9, s12
	s_add_i32 s13, s13, s19
	s_mul_i32 s12, s8, s12
	s_waitcnt lgkmcnt(0)
	s_ashr_i32 s11, s10, 31
	s_lshl_b64 s[12:13], s[12:13], 2
	s_add_u32 s12, s20, s12
	s_addc_u32 s13, s21, s13
	s_lshl_b64 s[10:11], s[10:11], 2
	s_add_u32 s10, s12, s10
	s_addc_u32 s11, s13, s11
.LBB90_3:
	s_load_dwordx2 s[12:13], s[4:5], 0x8
	v_lshlrev_b32_e32 v1, 3, v0
	s_waitcnt lgkmcnt(0)
	s_ashr_i32 s5, s12, 31
	s_mov_b32 s4, s12
	s_lshl_b64 s[4:5], s[4:5], 3
	s_add_u32 s4, s6, s4
	s_addc_u32 s5, s7, s5
	s_add_i32 s12, s13, s13
	v_add_u32_e32 v4, s12, v0
	v_mov_b32_e32 v3, s5
	v_add_co_u32_e32 v2, vcc, s4, v1
	v_ashrrev_i32_e32 v5, 31, v4
	v_addc_co_u32_e32 v3, vcc, 0, v3, vcc
	v_add_u32_e32 v6, s13, v4
	v_lshlrev_b64 v[4:5], 3, v[4:5]
	v_mov_b32_e32 v9, s5
	v_ashrrev_i32_e32 v7, 31, v6
	v_add_co_u32_e32 v4, vcc, s4, v4
	v_add_u32_e32 v8, s13, v6
	v_addc_co_u32_e32 v5, vcc, v9, v5, vcc
	v_lshlrev_b64 v[6:7], 3, v[6:7]
	v_mov_b32_e32 v11, s5
	v_ashrrev_i32_e32 v9, 31, v8
	v_add_co_u32_e32 v6, vcc, s4, v6
	v_add_u32_e32 v10, s13, v8
	v_addc_co_u32_e32 v7, vcc, v11, v7, vcc
	;; [unrolled: 6-line block ×5, first 2 shown]
	v_lshlrev_b64 v[14:15], 3, v[14:15]
	v_add_co_u32_e32 v14, vcc, s4, v14
	v_addc_co_u32_e32 v15, vcc, v17, v15, vcc
	v_ashrrev_i32_e32 v17, 31, v16
	v_add_u32_e32 v18, s13, v16
	v_lshlrev_b64 v[16:17], 3, v[16:17]
	v_mov_b32_e32 v19, s5
	v_add_co_u32_e32 v16, vcc, s4, v16
	v_addc_co_u32_e32 v17, vcc, v19, v17, vcc
	v_ashrrev_i32_e32 v19, 31, v18
	v_add_u32_e32 v20, s13, v18
	v_lshlrev_b64 v[18:19], 3, v[18:19]
	v_mov_b32_e32 v21, s5
	;; [unrolled: 6-line block ×12, first 2 shown]
	v_add_co_u32_e32 v38, vcc, s4, v38
	v_addc_co_u32_e32 v39, vcc, v41, v39, vcc
	v_ashrrev_i32_e32 v41, 31, v40
	v_add_u32_e32 v42, s13, v40
	v_lshlrev_b64 v[40:41], 3, v[40:41]
	v_add_u32_e32 v44, s13, v42
	v_mov_b32_e32 v43, s5
	v_add_co_u32_e32 v40, vcc, s4, v40
	v_add_u32_e32 v46, s13, v44
	v_addc_co_u32_e32 v41, vcc, v43, v41, vcc
	v_ashrrev_i32_e32 v43, 31, v42
	v_add_u32_e32 v50, s13, v46
	v_lshlrev_b64 v[42:43], 3, v[42:43]
	v_add_u32_e32 v52, s13, v50
	v_mov_b32_e32 v45, s5
	v_add_co_u32_e32 v42, vcc, s4, v42
	v_add_u32_e32 v48, s13, v52
	v_addc_co_u32_e32 v43, vcc, v45, v43, vcc
	v_ashrrev_i32_e32 v45, 31, v44
	v_ashrrev_i32_e32 v49, 31, v48
	v_lshlrev_b64 v[44:45], 3, v[44:45]
	s_mov_b32 s20, s13
	s_ashr_i32 s21, s13, 31
	v_lshlrev_b64 v[54:55], 3, v[48:49]
	v_mov_b32_e32 v48, s5
	v_add_co_u32_e32 v44, vcc, s4, v44
	s_lshl_b64 s[6:7], s[20:21], 3
	v_addc_co_u32_e32 v45, vcc, v48, v45, vcc
	v_mov_b32_e32 v47, s7
	v_add_co_u32_e32 v48, vcc, s6, v2
	v_addc_co_u32_e32 v49, vcc, v3, v47, vcc
	v_ashrrev_i32_e32 v47, 31, v46
	v_lshlrev_b64 v[46:47], 3, v[46:47]
	v_mov_b32_e32 v51, s5
	v_add_co_u32_e32 v46, vcc, s4, v46
	v_addc_co_u32_e32 v47, vcc, v51, v47, vcc
	v_ashrrev_i32_e32 v51, 31, v50
	v_lshlrev_b64 v[50:51], 3, v[50:51]
	;; [unrolled: 5-line block ×3, first 2 shown]
	v_mov_b32_e32 v100, s5
	v_add_co_u32_e32 v52, vcc, s4, v52
	global_load_dwordx2 v[56:57], v1, s[4:5]
	global_load_dwordx2 v[60:61], v[4:5], off
	global_load_dwordx2 v[62:63], v[6:7], off
	;; [unrolled: 1-line block ×21, first 2 shown]
	v_addc_co_u32_e32 v53, vcc, v100, v53, vcc
	global_load_dwordx2 v[100:101], v[44:45], off
	global_load_dwordx2 v[102:103], v[46:47], off
	;; [unrolled: 1-line block ×4, first 2 shown]
	v_mov_b32_e32 v108, s5
	v_add_co_u32_e32 v54, vcc, s4, v54
	v_addc_co_u32_e32 v55, vcc, v108, v55, vcc
	global_load_dwordx2 v[108:109], v[54:55], off
	s_bitcmp0_b32 s18, 0
	s_mov_b64 s[6:7], -1
	s_waitcnt vmcnt(26)
	buffer_store_dword v57, off, s[0:3], 0 offset:4
	buffer_store_dword v56, off, s[0:3], 0
	s_waitcnt vmcnt(25)
	buffer_store_dword v59, off, s[0:3], 0 offset:12
	buffer_store_dword v58, off, s[0:3], 0 offset:8
	;; [unrolled: 1-line block ×6, first 2 shown]
	s_waitcnt vmcnt(30)
	buffer_store_dword v65, off, s[0:3], 0 offset:36
	buffer_store_dword v64, off, s[0:3], 0 offset:32
	s_waitcnt vmcnt(31)
	buffer_store_dword v67, off, s[0:3], 0 offset:44
	buffer_store_dword v66, off, s[0:3], 0 offset:40
	;; [unrolled: 3-line block ×23, first 2 shown]
	s_cbranch_scc1 .LBB90_114
; %bb.4:
	v_cmp_eq_u32_e64 s[4:5], 0, v0
	s_and_saveexec_b64 s[6:7], s[4:5]
	s_cbranch_execz .LBB90_6
; %bb.5:
	v_mov_b32_e32 v56, 0
	ds_write_b32 v56, v56 offset:216
.LBB90_6:
	s_or_b64 exec, exec, s[6:7]
	v_mov_b32_e32 v56, 0
	v_lshl_add_u32 v56, v0, 3, v56
	s_waitcnt lgkmcnt(0)
	; wave barrier
	s_waitcnt lgkmcnt(0)
	buffer_load_dword v58, v56, s[0:3], 0 offen
	buffer_load_dword v59, v56, s[0:3], 0 offen offset:4
	s_waitcnt vmcnt(0)
	v_cmp_eq_f64_e32 vcc, 0, v[58:59]
	s_and_saveexec_b64 s[12:13], vcc
	s_cbranch_execz .LBB90_10
; %bb.7:
	v_mov_b32_e32 v57, 0
	ds_read_b32 v59, v57 offset:216
	v_add_u32_e32 v58, 1, v0
	s_waitcnt lgkmcnt(0)
	v_readfirstlane_b32 s6, v59
	s_cmp_eq_u32 s6, 0
	s_cselect_b64 s[18:19], -1, 0
	v_cmp_gt_i32_e32 vcc, s6, v58
	s_or_b64 s[18:19], s[18:19], vcc
	s_and_b64 exec, exec, s[18:19]
	s_cbranch_execz .LBB90_10
; %bb.8:
	s_mov_b64 s[18:19], 0
	v_mov_b32_e32 v59, s6
.LBB90_9:                               ; =>This Inner Loop Header: Depth=1
	ds_cmpst_rtn_b32 v59, v57, v59, v58 offset:216
	s_waitcnt lgkmcnt(0)
	v_cmp_ne_u32_e32 vcc, 0, v59
	v_cmp_le_i32_e64 s[6:7], v59, v58
	s_and_b64 s[6:7], vcc, s[6:7]
	s_and_b64 s[6:7], exec, s[6:7]
	s_or_b64 s[18:19], s[6:7], s[18:19]
	s_andn2_b64 exec, exec, s[18:19]
	s_cbranch_execnz .LBB90_9
.LBB90_10:
	s_or_b64 exec, exec, s[12:13]
	v_mov_b32_e32 v58, 0
	s_waitcnt lgkmcnt(0)
	; wave barrier
	ds_read_b32 v57, v58 offset:216
	s_and_saveexec_b64 s[6:7], s[4:5]
	s_cbranch_execz .LBB90_12
; %bb.11:
	s_lshl_b64 s[12:13], s[8:9], 2
	s_add_u32 s12, s14, s12
	s_addc_u32 s13, s15, s13
	s_waitcnt lgkmcnt(0)
	global_store_dword v58, v57, s[12:13]
.LBB90_12:
	s_or_b64 exec, exec, s[6:7]
	s_waitcnt lgkmcnt(0)
	v_cmp_ne_u32_e32 vcc, 0, v57
	s_mov_b64 s[6:7], 0
	s_cbranch_vccnz .LBB90_114
; %bb.13:
	buffer_load_dword v58, v56, s[0:3], 0 offen
	buffer_load_dword v59, v56, s[0:3], 0 offen offset:4
	s_waitcnt vmcnt(0)
	v_div_scale_f64 v[60:61], s[6:7], v[58:59], v[58:59], 1.0
	v_rcp_f64_e32 v[62:63], v[60:61]
	v_div_scale_f64 v[64:65], vcc, 1.0, v[58:59], 1.0
	v_fma_f64 v[66:67], -v[60:61], v[62:63], 1.0
	v_fmac_f64_e32 v[62:63], v[62:63], v[66:67]
	v_fma_f64 v[66:67], -v[60:61], v[62:63], 1.0
	v_fmac_f64_e32 v[62:63], v[62:63], v[66:67]
	v_mul_f64 v[66:67], v[64:65], v[62:63]
	v_fma_f64 v[60:61], -v[60:61], v[66:67], v[64:65]
	v_div_fmas_f64 v[60:61], v[60:61], v[62:63], v[66:67]
	v_div_fixup_f64 v[60:61], v[60:61], v[58:59], 1.0
	buffer_store_dword v61, v56, s[0:3], 0 offen offset:4
	buffer_store_dword v60, v56, s[0:3], 0 offen
	buffer_load_dword v63, off, s[0:3], 0 offset:12
	buffer_load_dword v62, off, s[0:3], 0 offset:8
	v_add_u32_e32 v58, 0xe0, v1
	v_xor_b32_e32 v61, 0x80000000, v61
	s_waitcnt vmcnt(0)
	ds_write2_b64 v1, v[60:61], v[62:63] offset1:28
	s_waitcnt lgkmcnt(0)
	; wave barrier
	s_waitcnt lgkmcnt(0)
	s_and_saveexec_b64 s[6:7], s[4:5]
	s_cbranch_execz .LBB90_15
; %bb.14:
	buffer_load_dword v60, v56, s[0:3], 0 offen
	buffer_load_dword v61, v56, s[0:3], 0 offen offset:4
	v_mov_b32_e32 v57, 0
	ds_read_b64 v[62:63], v58
	ds_read_b64 v[64:65], v57 offset:8
	s_waitcnt vmcnt(0) lgkmcnt(1)
	v_fma_f64 v[60:61], v[60:61], v[62:63], 0
	s_waitcnt lgkmcnt(0)
	v_mul_f64 v[60:61], v[60:61], v[64:65]
	buffer_store_dword v60, off, s[0:3], 0 offset:8
	buffer_store_dword v61, off, s[0:3], 0 offset:12
.LBB90_15:
	s_or_b64 exec, exec, s[6:7]
	s_waitcnt lgkmcnt(0)
	; wave barrier
	buffer_load_dword v60, off, s[0:3], 0 offset:16
	buffer_load_dword v61, off, s[0:3], 0 offset:20
	v_cmp_gt_u32_e32 vcc, 2, v0
	s_waitcnt vmcnt(0)
	ds_write_b64 v58, v[60:61]
	s_waitcnt lgkmcnt(0)
	; wave barrier
	s_waitcnt lgkmcnt(0)
	s_and_saveexec_b64 s[6:7], vcc
	s_cbranch_execz .LBB90_17
; %bb.16:
	buffer_load_dword v57, v56, s[0:3], 0 offen offset:4
	buffer_load_dword v64, off, s[0:3], 0 offset:8
	s_nop 0
	buffer_load_dword v56, v56, s[0:3], 0 offen
	s_nop 0
	buffer_load_dword v65, off, s[0:3], 0 offset:12
	ds_read_b64 v[66:67], v58
	v_mov_b32_e32 v59, 0
	ds_read2_b64 v[60:63], v59 offset0:2 offset1:29
	s_waitcnt vmcnt(1) lgkmcnt(1)
	v_fma_f64 v[56:57], v[56:57], v[66:67], 0
	s_waitcnt vmcnt(0) lgkmcnt(0)
	v_fma_f64 v[62:63], v[64:65], v[62:63], v[56:57]
	v_cndmask_b32_e64 v57, v57, v63, s[4:5]
	v_cndmask_b32_e64 v56, v56, v62, s[4:5]
	v_mul_f64 v[56:57], v[56:57], v[60:61]
	buffer_store_dword v57, off, s[0:3], 0 offset:20
	buffer_store_dword v56, off, s[0:3], 0 offset:16
.LBB90_17:
	s_or_b64 exec, exec, s[6:7]
	s_waitcnt lgkmcnt(0)
	; wave barrier
	buffer_load_dword v56, off, s[0:3], 0 offset:24
	buffer_load_dword v57, off, s[0:3], 0 offset:28
	v_cmp_gt_u32_e32 vcc, 3, v0
	v_add_u32_e32 v59, -1, v0
	s_waitcnt vmcnt(0)
	ds_write_b64 v58, v[56:57]
	s_waitcnt lgkmcnt(0)
	; wave barrier
	s_waitcnt lgkmcnt(0)
	s_and_saveexec_b64 s[4:5], vcc
	s_cbranch_execz .LBB90_21
; %bb.18:
	v_add_u32_e32 v60, -1, v0
	v_add_u32_e32 v61, 0xe0, v1
	v_add_u32_e32 v62, 0, v1
	s_mov_b64 s[6:7], 0
	v_pk_mov_b32 v[56:57], 0, 0
.LBB90_19:                              ; =>This Inner Loop Header: Depth=1
	buffer_load_dword v64, v62, s[0:3], 0 offen
	buffer_load_dword v65, v62, s[0:3], 0 offen offset:4
	ds_read_b64 v[66:67], v61
	v_add_u32_e32 v60, 1, v60
	v_cmp_lt_u32_e32 vcc, 1, v60
	v_add_u32_e32 v61, 8, v61
	v_add_u32_e32 v62, 8, v62
	s_or_b64 s[6:7], vcc, s[6:7]
	s_waitcnt vmcnt(0) lgkmcnt(0)
	v_fmac_f64_e32 v[56:57], v[64:65], v[66:67]
	s_andn2_b64 exec, exec, s[6:7]
	s_cbranch_execnz .LBB90_19
; %bb.20:
	s_or_b64 exec, exec, s[6:7]
	v_mov_b32_e32 v60, 0
	ds_read_b64 v[60:61], v60 offset:24
	s_waitcnt lgkmcnt(0)
	v_mul_f64 v[56:57], v[56:57], v[60:61]
	buffer_store_dword v57, off, s[0:3], 0 offset:28
	buffer_store_dword v56, off, s[0:3], 0 offset:24
.LBB90_21:
	s_or_b64 exec, exec, s[4:5]
	s_waitcnt lgkmcnt(0)
	; wave barrier
	buffer_load_dword v56, off, s[0:3], 0 offset:32
	buffer_load_dword v57, off, s[0:3], 0 offset:36
	v_cmp_gt_u32_e32 vcc, 4, v0
	s_waitcnt vmcnt(0)
	ds_write_b64 v58, v[56:57]
	s_waitcnt lgkmcnt(0)
	; wave barrier
	s_waitcnt lgkmcnt(0)
	s_and_saveexec_b64 s[4:5], vcc
	s_cbranch_execz .LBB90_25
; %bb.22:
	v_add_u32_e32 v60, -1, v0
	v_add_u32_e32 v61, 0xe0, v1
	v_add_u32_e32 v62, 0, v1
	s_mov_b64 s[6:7], 0
	v_pk_mov_b32 v[56:57], 0, 0
.LBB90_23:                              ; =>This Inner Loop Header: Depth=1
	buffer_load_dword v64, v62, s[0:3], 0 offen
	buffer_load_dword v65, v62, s[0:3], 0 offen offset:4
	ds_read_b64 v[66:67], v61
	v_add_u32_e32 v60, 1, v60
	v_cmp_lt_u32_e32 vcc, 2, v60
	v_add_u32_e32 v61, 8, v61
	v_add_u32_e32 v62, 8, v62
	s_or_b64 s[6:7], vcc, s[6:7]
	s_waitcnt vmcnt(0) lgkmcnt(0)
	v_fmac_f64_e32 v[56:57], v[64:65], v[66:67]
	s_andn2_b64 exec, exec, s[6:7]
	s_cbranch_execnz .LBB90_23
; %bb.24:
	s_or_b64 exec, exec, s[6:7]
	v_mov_b32_e32 v60, 0
	ds_read_b64 v[60:61], v60 offset:32
	s_waitcnt lgkmcnt(0)
	v_mul_f64 v[56:57], v[56:57], v[60:61]
	buffer_store_dword v57, off, s[0:3], 0 offset:36
	buffer_store_dword v56, off, s[0:3], 0 offset:32
.LBB90_25:
	s_or_b64 exec, exec, s[4:5]
	s_waitcnt lgkmcnt(0)
	; wave barrier
	buffer_load_dword v56, off, s[0:3], 0 offset:40
	buffer_load_dword v57, off, s[0:3], 0 offset:44
	v_cmp_gt_u32_e32 vcc, 5, v0
	;; [unrolled: 41-line block ×21, first 2 shown]
	s_waitcnt vmcnt(0)
	ds_write_b64 v58, v[56:57]
	s_waitcnt lgkmcnt(0)
	; wave barrier
	s_waitcnt lgkmcnt(0)
	s_and_saveexec_b64 s[4:5], vcc
	s_cbranch_execz .LBB90_105
; %bb.102:
	v_add_u32_e32 v60, -1, v0
	v_add_u32_e32 v61, 0xe0, v1
	v_add_u32_e32 v62, 0, v1
	s_mov_b64 s[6:7], 0
	v_pk_mov_b32 v[56:57], 0, 0
.LBB90_103:                             ; =>This Inner Loop Header: Depth=1
	buffer_load_dword v64, v62, s[0:3], 0 offen
	buffer_load_dword v65, v62, s[0:3], 0 offen offset:4
	ds_read_b64 v[66:67], v61
	v_add_u32_e32 v60, 1, v60
	v_cmp_lt_u32_e32 vcc, 22, v60
	v_add_u32_e32 v61, 8, v61
	v_add_u32_e32 v62, 8, v62
	s_or_b64 s[6:7], vcc, s[6:7]
	s_waitcnt vmcnt(0) lgkmcnt(0)
	v_fmac_f64_e32 v[56:57], v[64:65], v[66:67]
	s_andn2_b64 exec, exec, s[6:7]
	s_cbranch_execnz .LBB90_103
; %bb.104:
	s_or_b64 exec, exec, s[6:7]
	v_mov_b32_e32 v60, 0
	ds_read_b64 v[60:61], v60 offset:192
	s_waitcnt lgkmcnt(0)
	v_mul_f64 v[56:57], v[56:57], v[60:61]
	buffer_store_dword v57, off, s[0:3], 0 offset:196
	buffer_store_dword v56, off, s[0:3], 0 offset:192
.LBB90_105:
	s_or_b64 exec, exec, s[4:5]
	s_waitcnt lgkmcnt(0)
	; wave barrier
	buffer_load_dword v56, off, s[0:3], 0 offset:200
	buffer_load_dword v57, off, s[0:3], 0 offset:204
	v_cmp_gt_u32_e32 vcc, 25, v0
	s_waitcnt vmcnt(0)
	ds_write_b64 v58, v[56:57]
	s_waitcnt lgkmcnt(0)
	; wave barrier
	s_waitcnt lgkmcnt(0)
	s_and_saveexec_b64 s[4:5], vcc
	s_cbranch_execz .LBB90_109
; %bb.106:
	v_add_u32_e32 v60, -1, v0
	v_add_u32_e32 v61, 0xe0, v1
	v_add_u32_e32 v62, 0, v1
	s_mov_b64 s[6:7], 0
	v_pk_mov_b32 v[56:57], 0, 0
.LBB90_107:                             ; =>This Inner Loop Header: Depth=1
	buffer_load_dword v64, v62, s[0:3], 0 offen
	buffer_load_dword v65, v62, s[0:3], 0 offen offset:4
	ds_read_b64 v[66:67], v61
	v_add_u32_e32 v60, 1, v60
	v_cmp_lt_u32_e32 vcc, 23, v60
	v_add_u32_e32 v61, 8, v61
	v_add_u32_e32 v62, 8, v62
	s_or_b64 s[6:7], vcc, s[6:7]
	s_waitcnt vmcnt(0) lgkmcnt(0)
	v_fmac_f64_e32 v[56:57], v[64:65], v[66:67]
	s_andn2_b64 exec, exec, s[6:7]
	s_cbranch_execnz .LBB90_107
; %bb.108:
	s_or_b64 exec, exec, s[6:7]
	v_mov_b32_e32 v60, 0
	ds_read_b64 v[60:61], v60 offset:200
	s_waitcnt lgkmcnt(0)
	v_mul_f64 v[56:57], v[56:57], v[60:61]
	buffer_store_dword v57, off, s[0:3], 0 offset:204
	buffer_store_dword v56, off, s[0:3], 0 offset:200
.LBB90_109:
	s_or_b64 exec, exec, s[4:5]
	s_waitcnt lgkmcnt(0)
	; wave barrier
	buffer_load_dword v56, off, s[0:3], 0 offset:208
	buffer_load_dword v57, off, s[0:3], 0 offset:212
	v_cmp_ne_u32_e32 vcc, 26, v0
	s_waitcnt vmcnt(0)
	ds_write_b64 v58, v[56:57]
	s_waitcnt lgkmcnt(0)
	; wave barrier
	s_waitcnt lgkmcnt(0)
	s_and_saveexec_b64 s[4:5], vcc
	s_cbranch_execz .LBB90_113
; %bb.110:
	v_add_u32_e32 v58, 0xe0, v1
	v_add_u32_e32 v1, 0, v1
	s_mov_b64 s[6:7], 0
	v_pk_mov_b32 v[56:57], 0, 0
.LBB90_111:                             ; =>This Inner Loop Header: Depth=1
	buffer_load_dword v60, v1, s[0:3], 0 offen
	buffer_load_dword v61, v1, s[0:3], 0 offen offset:4
	ds_read_b64 v[62:63], v58
	v_add_u32_e32 v59, 1, v59
	v_cmp_lt_u32_e32 vcc, 24, v59
	v_add_u32_e32 v58, 8, v58
	v_add_u32_e32 v1, 8, v1
	s_or_b64 s[6:7], vcc, s[6:7]
	s_waitcnt vmcnt(0) lgkmcnt(0)
	v_fmac_f64_e32 v[56:57], v[60:61], v[62:63]
	s_andn2_b64 exec, exec, s[6:7]
	s_cbranch_execnz .LBB90_111
; %bb.112:
	s_or_b64 exec, exec, s[6:7]
	v_mov_b32_e32 v1, 0
	ds_read_b64 v[58:59], v1 offset:208
	s_waitcnt lgkmcnt(0)
	v_mul_f64 v[56:57], v[56:57], v[58:59]
	buffer_store_dword v57, off, s[0:3], 0 offset:212
	buffer_store_dword v56, off, s[0:3], 0 offset:208
.LBB90_113:
	s_or_b64 exec, exec, s[4:5]
	s_mov_b64 s[6:7], -1
	s_waitcnt lgkmcnt(0)
	; wave barrier
.LBB90_114:
	s_and_b64 vcc, exec, s[6:7]
	s_cbranch_vccz .LBB90_116
; %bb.115:
	s_lshl_b64 s[4:5], s[8:9], 2
	s_add_u32 s4, s14, s4
	s_addc_u32 s5, s15, s5
	v_mov_b32_e32 v1, 0
	global_load_dword v1, v1, s[4:5]
	s_waitcnt vmcnt(0)
	v_cmp_ne_u32_e32 vcc, 0, v1
	s_cbranch_vccz .LBB90_117
.LBB90_116:
	s_endpgm
.LBB90_117:
	v_mov_b32_e32 v1, 0xe0
	v_lshl_add_u32 v1, v0, 3, v1
	v_cmp_eq_u32_e32 vcc, 26, v0
	s_and_saveexec_b64 s[4:5], vcc
	s_cbranch_execz .LBB90_119
; %bb.118:
	buffer_load_dword v56, off, s[0:3], 0 offset:200
	buffer_load_dword v57, off, s[0:3], 0 offset:204
	v_mov_b32_e32 v58, 0
	buffer_store_dword v58, off, s[0:3], 0 offset:200
	buffer_store_dword v58, off, s[0:3], 0 offset:204
	s_waitcnt vmcnt(2)
	ds_write_b64 v1, v[56:57]
.LBB90_119:
	s_or_b64 exec, exec, s[4:5]
	s_waitcnt lgkmcnt(0)
	; wave barrier
	s_waitcnt lgkmcnt(0)
	buffer_load_dword v58, off, s[0:3], 0 offset:208
	buffer_load_dword v59, off, s[0:3], 0 offset:212
	;; [unrolled: 1-line block ×4, first 2 shown]
	v_mov_b32_e32 v56, 0
	ds_read_b64 v[62:63], v56 offset:432
	v_cmp_lt_u32_e32 vcc, 24, v0
	s_waitcnt vmcnt(2) lgkmcnt(0)
	v_fma_f64 v[58:59], v[58:59], v[62:63], 0
	s_waitcnt vmcnt(0)
	v_add_f64 v[58:59], v[60:61], -v[58:59]
	buffer_store_dword v58, off, s[0:3], 0 offset:200
	buffer_store_dword v59, off, s[0:3], 0 offset:204
	s_and_saveexec_b64 s[4:5], vcc
	s_cbranch_execz .LBB90_121
; %bb.120:
	buffer_load_dword v58, off, s[0:3], 0 offset:192
	buffer_load_dword v59, off, s[0:3], 0 offset:196
	s_waitcnt vmcnt(0)
	ds_write_b64 v1, v[58:59]
	buffer_store_dword v56, off, s[0:3], 0 offset:192
	buffer_store_dword v56, off, s[0:3], 0 offset:196
.LBB90_121:
	s_or_b64 exec, exec, s[4:5]
	s_waitcnt lgkmcnt(0)
	; wave barrier
	s_waitcnt lgkmcnt(0)
	buffer_load_dword v60, off, s[0:3], 0 offset:200
	buffer_load_dword v61, off, s[0:3], 0 offset:204
	;; [unrolled: 1-line block ×6, first 2 shown]
	ds_read2_b64 v[56:59], v56 offset0:53 offset1:54
	v_cmp_lt_u32_e32 vcc, 23, v0
	s_waitcnt vmcnt(4) lgkmcnt(0)
	v_fma_f64 v[56:57], v[60:61], v[56:57], 0
	s_waitcnt vmcnt(2)
	v_fmac_f64_e32 v[56:57], v[62:63], v[58:59]
	s_waitcnt vmcnt(0)
	v_add_f64 v[56:57], v[64:65], -v[56:57]
	buffer_store_dword v56, off, s[0:3], 0 offset:192
	buffer_store_dword v57, off, s[0:3], 0 offset:196
	s_and_saveexec_b64 s[4:5], vcc
	s_cbranch_execz .LBB90_123
; %bb.122:
	buffer_load_dword v56, off, s[0:3], 0 offset:184
	buffer_load_dword v57, off, s[0:3], 0 offset:188
	v_mov_b32_e32 v58, 0
	buffer_store_dword v58, off, s[0:3], 0 offset:184
	buffer_store_dword v58, off, s[0:3], 0 offset:188
	s_waitcnt vmcnt(2)
	ds_write_b64 v1, v[56:57]
.LBB90_123:
	s_or_b64 exec, exec, s[4:5]
	s_waitcnt lgkmcnt(0)
	; wave barrier
	s_waitcnt lgkmcnt(0)
	buffer_load_dword v62, off, s[0:3], 0 offset:192
	buffer_load_dword v63, off, s[0:3], 0 offset:196
	;; [unrolled: 1-line block ×8, first 2 shown]
	v_mov_b32_e32 v56, 0
	ds_read_b128 v[58:61], v56 offset:416
	ds_read_b64 v[70:71], v56 offset:432
	v_cmp_lt_u32_e32 vcc, 22, v0
	s_waitcnt vmcnt(6) lgkmcnt(1)
	v_fma_f64 v[58:59], v[62:63], v[58:59], 0
	s_waitcnt vmcnt(4)
	v_fmac_f64_e32 v[58:59], v[64:65], v[60:61]
	s_waitcnt vmcnt(2) lgkmcnt(0)
	v_fmac_f64_e32 v[58:59], v[66:67], v[70:71]
	s_waitcnt vmcnt(0)
	v_add_f64 v[58:59], v[68:69], -v[58:59]
	buffer_store_dword v58, off, s[0:3], 0 offset:184
	buffer_store_dword v59, off, s[0:3], 0 offset:188
	s_and_saveexec_b64 s[4:5], vcc
	s_cbranch_execz .LBB90_125
; %bb.124:
	buffer_load_dword v58, off, s[0:3], 0 offset:176
	buffer_load_dword v59, off, s[0:3], 0 offset:180
	s_waitcnt vmcnt(0)
	ds_write_b64 v1, v[58:59]
	buffer_store_dword v56, off, s[0:3], 0 offset:176
	buffer_store_dword v56, off, s[0:3], 0 offset:180
.LBB90_125:
	s_or_b64 exec, exec, s[4:5]
	s_waitcnt lgkmcnt(0)
	; wave barrier
	s_waitcnt lgkmcnt(0)
	buffer_load_dword v66, off, s[0:3], 0 offset:184
	buffer_load_dword v67, off, s[0:3], 0 offset:188
	;; [unrolled: 1-line block ×10, first 2 shown]
	ds_read2_b64 v[58:61], v56 offset0:51 offset1:52
	ds_read2_b64 v[62:65], v56 offset0:53 offset1:54
	v_cmp_lt_u32_e32 vcc, 21, v0
	s_waitcnt vmcnt(8) lgkmcnt(1)
	v_fma_f64 v[56:57], v[66:67], v[58:59], 0
	s_waitcnt vmcnt(6)
	v_fmac_f64_e32 v[56:57], v[68:69], v[60:61]
	s_waitcnt vmcnt(4) lgkmcnt(0)
	v_fmac_f64_e32 v[56:57], v[70:71], v[62:63]
	s_waitcnt vmcnt(2)
	v_fmac_f64_e32 v[56:57], v[72:73], v[64:65]
	s_waitcnt vmcnt(0)
	v_add_f64 v[56:57], v[74:75], -v[56:57]
	buffer_store_dword v56, off, s[0:3], 0 offset:176
	buffer_store_dword v57, off, s[0:3], 0 offset:180
	s_and_saveexec_b64 s[4:5], vcc
	s_cbranch_execz .LBB90_127
; %bb.126:
	buffer_load_dword v56, off, s[0:3], 0 offset:168
	buffer_load_dword v57, off, s[0:3], 0 offset:172
	v_mov_b32_e32 v58, 0
	buffer_store_dword v58, off, s[0:3], 0 offset:168
	buffer_store_dword v58, off, s[0:3], 0 offset:172
	s_waitcnt vmcnt(2)
	ds_write_b64 v1, v[56:57]
.LBB90_127:
	s_or_b64 exec, exec, s[4:5]
	s_waitcnt lgkmcnt(0)
	; wave barrier
	s_waitcnt lgkmcnt(0)
	buffer_load_dword v66, off, s[0:3], 0 offset:176
	buffer_load_dword v67, off, s[0:3], 0 offset:180
	;; [unrolled: 1-line block ×12, first 2 shown]
	v_mov_b32_e32 v56, 0
	ds_read_b128 v[58:61], v56 offset:400
	ds_read_b128 v[62:65], v56 offset:416
	ds_read_b64 v[78:79], v56 offset:432
	v_cmp_lt_u32_e32 vcc, 20, v0
	s_waitcnt vmcnt(10) lgkmcnt(2)
	v_fma_f64 v[58:59], v[66:67], v[58:59], 0
	s_waitcnt vmcnt(8)
	v_fmac_f64_e32 v[58:59], v[68:69], v[60:61]
	s_waitcnt vmcnt(6) lgkmcnt(1)
	v_fmac_f64_e32 v[58:59], v[70:71], v[62:63]
	s_waitcnt vmcnt(4)
	v_fmac_f64_e32 v[58:59], v[72:73], v[64:65]
	s_waitcnt vmcnt(2) lgkmcnt(0)
	v_fmac_f64_e32 v[58:59], v[74:75], v[78:79]
	s_waitcnt vmcnt(0)
	v_add_f64 v[58:59], v[76:77], -v[58:59]
	buffer_store_dword v58, off, s[0:3], 0 offset:168
	buffer_store_dword v59, off, s[0:3], 0 offset:172
	s_and_saveexec_b64 s[4:5], vcc
	s_cbranch_execz .LBB90_129
; %bb.128:
	buffer_load_dword v58, off, s[0:3], 0 offset:160
	buffer_load_dword v59, off, s[0:3], 0 offset:164
	s_waitcnt vmcnt(0)
	ds_write_b64 v1, v[58:59]
	buffer_store_dword v56, off, s[0:3], 0 offset:160
	buffer_store_dword v56, off, s[0:3], 0 offset:164
.LBB90_129:
	s_or_b64 exec, exec, s[4:5]
	s_waitcnt lgkmcnt(0)
	; wave barrier
	s_waitcnt lgkmcnt(0)
	buffer_load_dword v70, off, s[0:3], 0 offset:168
	buffer_load_dword v71, off, s[0:3], 0 offset:172
	;; [unrolled: 1-line block ×14, first 2 shown]
	ds_read2_b64 v[58:61], v56 offset0:49 offset1:50
	ds_read2_b64 v[62:65], v56 offset0:51 offset1:52
	;; [unrolled: 1-line block ×3, first 2 shown]
	v_cmp_lt_u32_e32 vcc, 19, v0
	s_waitcnt vmcnt(12) lgkmcnt(2)
	v_fma_f64 v[56:57], v[70:71], v[58:59], 0
	s_waitcnt vmcnt(10)
	v_fmac_f64_e32 v[56:57], v[72:73], v[60:61]
	s_waitcnt vmcnt(8) lgkmcnt(1)
	v_fmac_f64_e32 v[56:57], v[74:75], v[62:63]
	s_waitcnt vmcnt(6)
	v_fmac_f64_e32 v[56:57], v[76:77], v[64:65]
	s_waitcnt vmcnt(4) lgkmcnt(0)
	v_fmac_f64_e32 v[56:57], v[78:79], v[66:67]
	s_waitcnt vmcnt(2)
	v_fmac_f64_e32 v[56:57], v[80:81], v[68:69]
	s_waitcnt vmcnt(0)
	v_add_f64 v[56:57], v[82:83], -v[56:57]
	buffer_store_dword v56, off, s[0:3], 0 offset:160
	buffer_store_dword v57, off, s[0:3], 0 offset:164
	s_and_saveexec_b64 s[4:5], vcc
	s_cbranch_execz .LBB90_131
; %bb.130:
	buffer_load_dword v56, off, s[0:3], 0 offset:152
	buffer_load_dword v57, off, s[0:3], 0 offset:156
	v_mov_b32_e32 v58, 0
	buffer_store_dword v58, off, s[0:3], 0 offset:152
	buffer_store_dword v58, off, s[0:3], 0 offset:156
	s_waitcnt vmcnt(2)
	ds_write_b64 v1, v[56:57]
.LBB90_131:
	s_or_b64 exec, exec, s[4:5]
	s_waitcnt lgkmcnt(0)
	; wave barrier
	s_waitcnt lgkmcnt(0)
	buffer_load_dword v70, off, s[0:3], 0 offset:160
	buffer_load_dword v71, off, s[0:3], 0 offset:164
	buffer_load_dword v72, off, s[0:3], 0 offset:168
	buffer_load_dword v73, off, s[0:3], 0 offset:172
	buffer_load_dword v74, off, s[0:3], 0 offset:176
	buffer_load_dword v75, off, s[0:3], 0 offset:180
	buffer_load_dword v76, off, s[0:3], 0 offset:184
	buffer_load_dword v77, off, s[0:3], 0 offset:188
	buffer_load_dword v78, off, s[0:3], 0 offset:192
	buffer_load_dword v79, off, s[0:3], 0 offset:196
	buffer_load_dword v80, off, s[0:3], 0 offset:200
	buffer_load_dword v81, off, s[0:3], 0 offset:204
	buffer_load_dword v82, off, s[0:3], 0 offset:208
	buffer_load_dword v83, off, s[0:3], 0 offset:212
	buffer_load_dword v84, off, s[0:3], 0 offset:152
	buffer_load_dword v85, off, s[0:3], 0 offset:156
	v_mov_b32_e32 v56, 0
	ds_read_b128 v[58:61], v56 offset:384
	ds_read_b128 v[62:65], v56 offset:400
	;; [unrolled: 1-line block ×3, first 2 shown]
	ds_read_b64 v[86:87], v56 offset:432
	v_cmp_lt_u32_e32 vcc, 18, v0
	s_waitcnt vmcnt(14) lgkmcnt(3)
	v_fma_f64 v[58:59], v[70:71], v[58:59], 0
	s_waitcnt vmcnt(12)
	v_fmac_f64_e32 v[58:59], v[72:73], v[60:61]
	s_waitcnt vmcnt(10) lgkmcnt(2)
	v_fmac_f64_e32 v[58:59], v[74:75], v[62:63]
	s_waitcnt vmcnt(8)
	v_fmac_f64_e32 v[58:59], v[76:77], v[64:65]
	s_waitcnt vmcnt(6) lgkmcnt(1)
	v_fmac_f64_e32 v[58:59], v[78:79], v[66:67]
	;; [unrolled: 4-line block ×3, first 2 shown]
	s_waitcnt vmcnt(0)
	v_add_f64 v[58:59], v[84:85], -v[58:59]
	buffer_store_dword v58, off, s[0:3], 0 offset:152
	buffer_store_dword v59, off, s[0:3], 0 offset:156
	s_and_saveexec_b64 s[4:5], vcc
	s_cbranch_execz .LBB90_133
; %bb.132:
	buffer_load_dword v58, off, s[0:3], 0 offset:144
	buffer_load_dword v59, off, s[0:3], 0 offset:148
	s_waitcnt vmcnt(0)
	ds_write_b64 v1, v[58:59]
	buffer_store_dword v56, off, s[0:3], 0 offset:144
	buffer_store_dword v56, off, s[0:3], 0 offset:148
.LBB90_133:
	s_or_b64 exec, exec, s[4:5]
	s_waitcnt lgkmcnt(0)
	; wave barrier
	s_waitcnt lgkmcnt(0)
	buffer_load_dword v74, off, s[0:3], 0 offset:152
	buffer_load_dword v75, off, s[0:3], 0 offset:156
	;; [unrolled: 1-line block ×18, first 2 shown]
	ds_read2_b64 v[58:61], v56 offset0:47 offset1:48
	ds_read2_b64 v[62:65], v56 offset0:49 offset1:50
	;; [unrolled: 1-line block ×4, first 2 shown]
	v_cmp_lt_u32_e32 vcc, 17, v0
	s_waitcnt vmcnt(16) lgkmcnt(3)
	v_fma_f64 v[56:57], v[74:75], v[58:59], 0
	s_waitcnt vmcnt(14)
	v_fmac_f64_e32 v[56:57], v[76:77], v[60:61]
	s_waitcnt vmcnt(12) lgkmcnt(2)
	v_fmac_f64_e32 v[56:57], v[78:79], v[62:63]
	s_waitcnt vmcnt(10)
	v_fmac_f64_e32 v[56:57], v[80:81], v[64:65]
	s_waitcnt vmcnt(8) lgkmcnt(1)
	v_fmac_f64_e32 v[56:57], v[82:83], v[66:67]
	;; [unrolled: 4-line block ×3, first 2 shown]
	s_waitcnt vmcnt(2)
	v_fmac_f64_e32 v[56:57], v[88:89], v[72:73]
	s_waitcnt vmcnt(0)
	v_add_f64 v[56:57], v[90:91], -v[56:57]
	buffer_store_dword v56, off, s[0:3], 0 offset:144
	buffer_store_dword v57, off, s[0:3], 0 offset:148
	s_and_saveexec_b64 s[4:5], vcc
	s_cbranch_execz .LBB90_135
; %bb.134:
	buffer_load_dword v56, off, s[0:3], 0 offset:136
	buffer_load_dword v57, off, s[0:3], 0 offset:140
	v_mov_b32_e32 v58, 0
	buffer_store_dword v58, off, s[0:3], 0 offset:136
	buffer_store_dword v58, off, s[0:3], 0 offset:140
	s_waitcnt vmcnt(2)
	ds_write_b64 v1, v[56:57]
.LBB90_135:
	s_or_b64 exec, exec, s[4:5]
	s_waitcnt lgkmcnt(0)
	; wave barrier
	s_waitcnt lgkmcnt(0)
	buffer_load_dword v74, off, s[0:3], 0 offset:144
	buffer_load_dword v75, off, s[0:3], 0 offset:148
	;; [unrolled: 1-line block ×20, first 2 shown]
	v_mov_b32_e32 v56, 0
	ds_read_b128 v[58:61], v56 offset:368
	ds_read_b128 v[62:65], v56 offset:384
	ds_read_b128 v[66:69], v56 offset:400
	ds_read_b128 v[70:73], v56 offset:416
	ds_read_b64 v[94:95], v56 offset:432
	v_cmp_lt_u32_e32 vcc, 16, v0
	s_waitcnt vmcnt(18) lgkmcnt(4)
	v_fma_f64 v[58:59], v[74:75], v[58:59], 0
	s_waitcnt vmcnt(16)
	v_fmac_f64_e32 v[58:59], v[76:77], v[60:61]
	s_waitcnt vmcnt(14) lgkmcnt(3)
	v_fmac_f64_e32 v[58:59], v[78:79], v[62:63]
	s_waitcnt vmcnt(12)
	v_fmac_f64_e32 v[58:59], v[80:81], v[64:65]
	s_waitcnt vmcnt(10) lgkmcnt(2)
	v_fmac_f64_e32 v[58:59], v[82:83], v[66:67]
	;; [unrolled: 4-line block ×3, first 2 shown]
	s_waitcnt vmcnt(2)
	v_fmac_f64_e32 v[58:59], v[90:91], v[72:73]
	s_waitcnt lgkmcnt(0)
	v_fmac_f64_e32 v[58:59], v[88:89], v[94:95]
	s_waitcnt vmcnt(0)
	v_add_f64 v[58:59], v[92:93], -v[58:59]
	buffer_store_dword v58, off, s[0:3], 0 offset:136
	buffer_store_dword v59, off, s[0:3], 0 offset:140
	s_and_saveexec_b64 s[4:5], vcc
	s_cbranch_execz .LBB90_137
; %bb.136:
	buffer_load_dword v58, off, s[0:3], 0 offset:128
	buffer_load_dword v59, off, s[0:3], 0 offset:132
	s_waitcnt vmcnt(0)
	ds_write_b64 v1, v[58:59]
	buffer_store_dword v56, off, s[0:3], 0 offset:128
	buffer_store_dword v56, off, s[0:3], 0 offset:132
.LBB90_137:
	s_or_b64 exec, exec, s[4:5]
	s_waitcnt lgkmcnt(0)
	; wave barrier
	s_waitcnt lgkmcnt(0)
	buffer_load_dword v78, off, s[0:3], 0 offset:136
	buffer_load_dword v79, off, s[0:3], 0 offset:140
	buffer_load_dword v80, off, s[0:3], 0 offset:144
	buffer_load_dword v81, off, s[0:3], 0 offset:148
	buffer_load_dword v82, off, s[0:3], 0 offset:152
	buffer_load_dword v83, off, s[0:3], 0 offset:156
	buffer_load_dword v84, off, s[0:3], 0 offset:160
	buffer_load_dword v85, off, s[0:3], 0 offset:164
	buffer_load_dword v86, off, s[0:3], 0 offset:168
	buffer_load_dword v87, off, s[0:3], 0 offset:172
	buffer_load_dword v88, off, s[0:3], 0 offset:176
	buffer_load_dword v89, off, s[0:3], 0 offset:180
	buffer_load_dword v90, off, s[0:3], 0 offset:184
	buffer_load_dword v91, off, s[0:3], 0 offset:188
	buffer_load_dword v92, off, s[0:3], 0 offset:208
	buffer_load_dword v95, off, s[0:3], 0 offset:204
	buffer_load_dword v94, off, s[0:3], 0 offset:200
	buffer_load_dword v97, off, s[0:3], 0 offset:196
	buffer_load_dword v96, off, s[0:3], 0 offset:192
	buffer_load_dword v93, off, s[0:3], 0 offset:212
	buffer_load_dword v98, off, s[0:3], 0 offset:128
	buffer_load_dword v99, off, s[0:3], 0 offset:132
	ds_read2_b64 v[58:61], v56 offset0:45 offset1:46
	ds_read2_b64 v[62:65], v56 offset0:47 offset1:48
	;; [unrolled: 1-line block ×5, first 2 shown]
	v_cmp_lt_u32_e32 vcc, 15, v0
	s_waitcnt vmcnt(20) lgkmcnt(4)
	v_fma_f64 v[56:57], v[78:79], v[58:59], 0
	s_waitcnt vmcnt(18)
	v_fmac_f64_e32 v[56:57], v[80:81], v[60:61]
	s_waitcnt vmcnt(16) lgkmcnt(3)
	v_fmac_f64_e32 v[56:57], v[82:83], v[62:63]
	s_waitcnt vmcnt(14)
	v_fmac_f64_e32 v[56:57], v[84:85], v[64:65]
	s_waitcnt vmcnt(12) lgkmcnt(2)
	v_fmac_f64_e32 v[56:57], v[86:87], v[66:67]
	;; [unrolled: 4-line block ×3, first 2 shown]
	s_waitcnt vmcnt(3)
	v_fmac_f64_e32 v[56:57], v[96:97], v[72:73]
	s_waitcnt lgkmcnt(0)
	v_fmac_f64_e32 v[56:57], v[94:95], v[74:75]
	s_waitcnt vmcnt(2)
	v_fmac_f64_e32 v[56:57], v[92:93], v[76:77]
	s_waitcnt vmcnt(0)
	v_add_f64 v[56:57], v[98:99], -v[56:57]
	buffer_store_dword v56, off, s[0:3], 0 offset:128
	buffer_store_dword v57, off, s[0:3], 0 offset:132
	s_and_saveexec_b64 s[4:5], vcc
	s_cbranch_execz .LBB90_139
; %bb.138:
	buffer_load_dword v56, off, s[0:3], 0 offset:120
	buffer_load_dword v57, off, s[0:3], 0 offset:124
	v_mov_b32_e32 v58, 0
	buffer_store_dword v58, off, s[0:3], 0 offset:120
	buffer_store_dword v58, off, s[0:3], 0 offset:124
	s_waitcnt vmcnt(2)
	ds_write_b64 v1, v[56:57]
.LBB90_139:
	s_or_b64 exec, exec, s[4:5]
	s_waitcnt lgkmcnt(0)
	; wave barrier
	s_waitcnt lgkmcnt(0)
	buffer_load_dword v78, off, s[0:3], 0 offset:128
	buffer_load_dword v79, off, s[0:3], 0 offset:132
	;; [unrolled: 1-line block ×24, first 2 shown]
	v_mov_b32_e32 v56, 0
	ds_read_b128 v[58:61], v56 offset:352
	ds_read_b128 v[62:65], v56 offset:368
	;; [unrolled: 1-line block ×5, first 2 shown]
	ds_read_b64 v[102:103], v56 offset:432
	v_cmp_lt_u32_e32 vcc, 14, v0
	s_waitcnt vmcnt(22) lgkmcnt(5)
	v_fma_f64 v[58:59], v[78:79], v[58:59], 0
	s_waitcnt vmcnt(20)
	v_fmac_f64_e32 v[58:59], v[80:81], v[60:61]
	s_waitcnt vmcnt(18) lgkmcnt(4)
	v_fmac_f64_e32 v[58:59], v[82:83], v[62:63]
	s_waitcnt vmcnt(16)
	v_fmac_f64_e32 v[58:59], v[84:85], v[64:65]
	s_waitcnt vmcnt(14) lgkmcnt(3)
	v_fmac_f64_e32 v[58:59], v[86:87], v[66:67]
	;; [unrolled: 4-line block ×3, first 2 shown]
	s_waitcnt vmcnt(4)
	v_fmac_f64_e32 v[58:59], v[98:99], v[72:73]
	s_waitcnt lgkmcnt(1)
	v_fmac_f64_e32 v[58:59], v[96:97], v[74:75]
	s_waitcnt vmcnt(3)
	v_fmac_f64_e32 v[58:59], v[94:95], v[76:77]
	s_waitcnt vmcnt(2) lgkmcnt(0)
	v_fmac_f64_e32 v[58:59], v[92:93], v[102:103]
	s_waitcnt vmcnt(0)
	v_add_f64 v[58:59], v[100:101], -v[58:59]
	buffer_store_dword v59, off, s[0:3], 0 offset:124
	buffer_store_dword v58, off, s[0:3], 0 offset:120
	s_and_saveexec_b64 s[4:5], vcc
	s_cbranch_execz .LBB90_141
; %bb.140:
	buffer_load_dword v58, off, s[0:3], 0 offset:112
	buffer_load_dword v59, off, s[0:3], 0 offset:116
	s_waitcnt vmcnt(0)
	ds_write_b64 v1, v[58:59]
	buffer_store_dword v56, off, s[0:3], 0 offset:112
	buffer_store_dword v56, off, s[0:3], 0 offset:116
.LBB90_141:
	s_or_b64 exec, exec, s[4:5]
	s_waitcnt lgkmcnt(0)
	; wave barrier
	s_waitcnt lgkmcnt(0)
	buffer_load_dword v82, off, s[0:3], 0 offset:120
	buffer_load_dword v83, off, s[0:3], 0 offset:124
	;; [unrolled: 1-line block ×26, first 2 shown]
	ds_read2_b64 v[58:61], v56 offset0:43 offset1:44
	ds_read2_b64 v[62:65], v56 offset0:45 offset1:46
	;; [unrolled: 1-line block ×6, first 2 shown]
	v_cmp_lt_u32_e32 vcc, 13, v0
	s_waitcnt vmcnt(24) lgkmcnt(5)
	v_fma_f64 v[56:57], v[82:83], v[58:59], 0
	s_waitcnt vmcnt(22)
	v_fmac_f64_e32 v[56:57], v[84:85], v[60:61]
	s_waitcnt vmcnt(20) lgkmcnt(4)
	v_fmac_f64_e32 v[56:57], v[86:87], v[62:63]
	s_waitcnt vmcnt(18)
	v_fmac_f64_e32 v[56:57], v[88:89], v[64:65]
	s_waitcnt vmcnt(16) lgkmcnt(3)
	v_fmac_f64_e32 v[56:57], v[90:91], v[66:67]
	;; [unrolled: 4-line block ×3, first 2 shown]
	s_waitcnt vmcnt(5)
	v_fmac_f64_e32 v[56:57], v[102:103], v[72:73]
	s_waitcnt lgkmcnt(1)
	v_fmac_f64_e32 v[56:57], v[100:101], v[74:75]
	v_fmac_f64_e32 v[56:57], v[98:99], v[76:77]
	s_waitcnt vmcnt(4) lgkmcnt(0)
	v_fmac_f64_e32 v[56:57], v[96:97], v[78:79]
	s_waitcnt vmcnt(2)
	v_fmac_f64_e32 v[56:57], v[104:105], v[80:81]
	s_waitcnt vmcnt(0)
	v_add_f64 v[56:57], v[106:107], -v[56:57]
	buffer_store_dword v57, off, s[0:3], 0 offset:116
	buffer_store_dword v56, off, s[0:3], 0 offset:112
	s_and_saveexec_b64 s[4:5], vcc
	s_cbranch_execz .LBB90_143
; %bb.142:
	buffer_load_dword v56, off, s[0:3], 0 offset:104
	buffer_load_dword v57, off, s[0:3], 0 offset:108
	v_mov_b32_e32 v58, 0
	buffer_store_dword v58, off, s[0:3], 0 offset:104
	buffer_store_dword v58, off, s[0:3], 0 offset:108
	s_waitcnt vmcnt(2)
	ds_write_b64 v1, v[56:57]
.LBB90_143:
	s_or_b64 exec, exec, s[4:5]
	s_waitcnt lgkmcnt(0)
	; wave barrier
	s_waitcnt lgkmcnt(0)
	buffer_load_dword v82, off, s[0:3], 0 offset:112
	buffer_load_dword v83, off, s[0:3], 0 offset:116
	buffer_load_dword v84, off, s[0:3], 0 offset:120
	buffer_load_dword v85, off, s[0:3], 0 offset:124
	buffer_load_dword v86, off, s[0:3], 0 offset:128
	buffer_load_dword v87, off, s[0:3], 0 offset:132
	buffer_load_dword v88, off, s[0:3], 0 offset:136
	buffer_load_dword v89, off, s[0:3], 0 offset:140
	buffer_load_dword v90, off, s[0:3], 0 offset:144
	buffer_load_dword v91, off, s[0:3], 0 offset:148
	buffer_load_dword v92, off, s[0:3], 0 offset:152
	buffer_load_dword v93, off, s[0:3], 0 offset:156
	buffer_load_dword v94, off, s[0:3], 0 offset:160
	buffer_load_dword v95, off, s[0:3], 0 offset:164
	buffer_load_dword v97, off, s[0:3], 0 offset:196
	buffer_load_dword v96, off, s[0:3], 0 offset:192
	buffer_load_dword v99, off, s[0:3], 0 offset:188
	buffer_load_dword v98, off, s[0:3], 0 offset:184
	buffer_load_dword v101, off, s[0:3], 0 offset:180
	buffer_load_dword v100, off, s[0:3], 0 offset:176
	buffer_load_dword v103, off, s[0:3], 0 offset:172
	buffer_load_dword v102, off, s[0:3], 0 offset:168
	buffer_load_dword v105, off, s[0:3], 0 offset:212
	buffer_load_dword v104, off, s[0:3], 0 offset:208
	buffer_load_dword v107, off, s[0:3], 0 offset:204
	buffer_load_dword v106, off, s[0:3], 0 offset:200
	buffer_load_dword v108, off, s[0:3], 0 offset:104
	buffer_load_dword v109, off, s[0:3], 0 offset:108
	v_mov_b32_e32 v56, 0
	ds_read_b128 v[58:61], v56 offset:336
	ds_read_b128 v[62:65], v56 offset:352
	;; [unrolled: 1-line block ×6, first 2 shown]
	ds_read_b64 v[110:111], v56 offset:432
	v_cmp_lt_u32_e32 vcc, 12, v0
	s_waitcnt vmcnt(26) lgkmcnt(6)
	v_fma_f64 v[58:59], v[82:83], v[58:59], 0
	s_waitcnt vmcnt(24)
	v_fmac_f64_e32 v[58:59], v[84:85], v[60:61]
	s_waitcnt vmcnt(22) lgkmcnt(5)
	v_fmac_f64_e32 v[58:59], v[86:87], v[62:63]
	s_waitcnt vmcnt(20)
	v_fmac_f64_e32 v[58:59], v[88:89], v[64:65]
	s_waitcnt vmcnt(18) lgkmcnt(4)
	v_fmac_f64_e32 v[58:59], v[90:91], v[66:67]
	;; [unrolled: 4-line block ×3, first 2 shown]
	s_waitcnt vmcnt(6)
	v_fmac_f64_e32 v[58:59], v[102:103], v[72:73]
	s_waitcnt lgkmcnt(2)
	v_fmac_f64_e32 v[58:59], v[100:101], v[74:75]
	v_fmac_f64_e32 v[58:59], v[98:99], v[76:77]
	s_waitcnt lgkmcnt(1)
	v_fmac_f64_e32 v[58:59], v[96:97], v[78:79]
	s_waitcnt vmcnt(2)
	v_fmac_f64_e32 v[58:59], v[106:107], v[80:81]
	s_waitcnt lgkmcnt(0)
	v_fmac_f64_e32 v[58:59], v[104:105], v[110:111]
	s_waitcnt vmcnt(0)
	v_add_f64 v[58:59], v[108:109], -v[58:59]
	buffer_store_dword v59, off, s[0:3], 0 offset:108
	buffer_store_dword v58, off, s[0:3], 0 offset:104
	s_and_saveexec_b64 s[4:5], vcc
	s_cbranch_execz .LBB90_145
; %bb.144:
	buffer_load_dword v58, off, s[0:3], 0 offset:96
	buffer_load_dword v59, off, s[0:3], 0 offset:100
	s_waitcnt vmcnt(0)
	ds_write_b64 v1, v[58:59]
	buffer_store_dword v56, off, s[0:3], 0 offset:96
	buffer_store_dword v56, off, s[0:3], 0 offset:100
.LBB90_145:
	s_or_b64 exec, exec, s[4:5]
	s_waitcnt lgkmcnt(0)
	; wave barrier
	s_waitcnt lgkmcnt(0)
	buffer_load_dword v86, off, s[0:3], 0 offset:104
	buffer_load_dword v87, off, s[0:3], 0 offset:108
	;; [unrolled: 1-line block ×30, first 2 shown]
	ds_read2_b64 v[58:61], v56 offset0:41 offset1:42
	ds_read2_b64 v[62:65], v56 offset0:43 offset1:44
	;; [unrolled: 1-line block ×7, first 2 shown]
	v_cmp_lt_u32_e32 vcc, 11, v0
	s_waitcnt vmcnt(28) lgkmcnt(6)
	v_fma_f64 v[56:57], v[86:87], v[58:59], 0
	s_waitcnt vmcnt(26)
	v_fmac_f64_e32 v[56:57], v[88:89], v[60:61]
	s_waitcnt vmcnt(24) lgkmcnt(5)
	v_fmac_f64_e32 v[56:57], v[90:91], v[62:63]
	s_waitcnt vmcnt(22)
	v_fmac_f64_e32 v[56:57], v[92:93], v[64:65]
	s_waitcnt vmcnt(20) lgkmcnt(4)
	v_fmac_f64_e32 v[56:57], v[94:95], v[66:67]
	;; [unrolled: 4-line block ×3, first 2 shown]
	s_waitcnt vmcnt(8)
	v_fmac_f64_e32 v[56:57], v[106:107], v[72:73]
	s_waitcnt lgkmcnt(2)
	v_fmac_f64_e32 v[56:57], v[104:105], v[74:75]
	v_fmac_f64_e32 v[56:57], v[102:103], v[76:77]
	s_waitcnt lgkmcnt(1)
	v_fmac_f64_e32 v[56:57], v[100:101], v[78:79]
	s_waitcnt vmcnt(3)
	v_fmac_f64_e32 v[56:57], v[112:113], v[80:81]
	s_waitcnt lgkmcnt(0)
	v_fmac_f64_e32 v[56:57], v[110:111], v[82:83]
	s_waitcnt vmcnt(2)
	v_fmac_f64_e32 v[56:57], v[108:109], v[84:85]
	s_waitcnt vmcnt(0)
	v_add_f64 v[56:57], v[114:115], -v[56:57]
	buffer_store_dword v57, off, s[0:3], 0 offset:100
	buffer_store_dword v56, off, s[0:3], 0 offset:96
	s_and_saveexec_b64 s[4:5], vcc
	s_cbranch_execz .LBB90_147
; %bb.146:
	buffer_load_dword v56, off, s[0:3], 0 offset:88
	buffer_load_dword v57, off, s[0:3], 0 offset:92
	v_mov_b32_e32 v58, 0
	buffer_store_dword v58, off, s[0:3], 0 offset:88
	buffer_store_dword v58, off, s[0:3], 0 offset:92
	s_waitcnt vmcnt(2)
	ds_write_b64 v1, v[56:57]
.LBB90_147:
	s_or_b64 exec, exec, s[4:5]
	s_waitcnt lgkmcnt(0)
	; wave barrier
	s_waitcnt lgkmcnt(0)
	buffer_load_dword v86, off, s[0:3], 0 offset:96
	buffer_load_dword v87, off, s[0:3], 0 offset:100
	;; [unrolled: 1-line block ×32, first 2 shown]
	v_mov_b32_e32 v56, 0
	ds_read_b128 v[58:61], v56 offset:320
	ds_read_b128 v[62:65], v56 offset:336
	;; [unrolled: 1-line block ×7, first 2 shown]
	ds_read_b64 v[118:119], v56 offset:432
	v_cmp_lt_u32_e32 vcc, 10, v0
	s_waitcnt vmcnt(30) lgkmcnt(7)
	v_fma_f64 v[58:59], v[86:87], v[58:59], 0
	s_waitcnt vmcnt(28)
	v_fmac_f64_e32 v[58:59], v[88:89], v[60:61]
	s_waitcnt vmcnt(26) lgkmcnt(6)
	v_fmac_f64_e32 v[58:59], v[90:91], v[62:63]
	s_waitcnt vmcnt(24)
	v_fmac_f64_e32 v[58:59], v[92:93], v[64:65]
	s_waitcnt vmcnt(22) lgkmcnt(5)
	v_fmac_f64_e32 v[58:59], v[94:95], v[66:67]
	;; [unrolled: 4-line block ×3, first 2 shown]
	s_waitcnt vmcnt(10)
	v_fmac_f64_e32 v[58:59], v[106:107], v[72:73]
	s_waitcnt lgkmcnt(3)
	v_fmac_f64_e32 v[58:59], v[104:105], v[74:75]
	v_fmac_f64_e32 v[58:59], v[102:103], v[76:77]
	s_waitcnt lgkmcnt(2)
	v_fmac_f64_e32 v[58:59], v[100:101], v[78:79]
	s_waitcnt vmcnt(4)
	v_fmac_f64_e32 v[58:59], v[114:115], v[80:81]
	s_waitcnt lgkmcnt(1)
	v_fmac_f64_e32 v[58:59], v[112:113], v[82:83]
	s_waitcnt vmcnt(3)
	v_fmac_f64_e32 v[58:59], v[110:111], v[84:85]
	s_waitcnt vmcnt(2) lgkmcnt(0)
	v_fmac_f64_e32 v[58:59], v[108:109], v[118:119]
	s_waitcnt vmcnt(0)
	v_add_f64 v[58:59], v[116:117], -v[58:59]
	buffer_store_dword v59, off, s[0:3], 0 offset:92
	buffer_store_dword v58, off, s[0:3], 0 offset:88
	s_and_saveexec_b64 s[4:5], vcc
	s_cbranch_execz .LBB90_149
; %bb.148:
	buffer_load_dword v58, off, s[0:3], 0 offset:80
	buffer_load_dword v59, off, s[0:3], 0 offset:84
	s_waitcnt vmcnt(0)
	ds_write_b64 v1, v[58:59]
	buffer_store_dword v56, off, s[0:3], 0 offset:80
	buffer_store_dword v56, off, s[0:3], 0 offset:84
.LBB90_149:
	s_or_b64 exec, exec, s[4:5]
	s_waitcnt lgkmcnt(0)
	; wave barrier
	s_waitcnt lgkmcnt(0)
	buffer_load_dword v90, off, s[0:3], 0 offset:88
	buffer_load_dword v91, off, s[0:3], 0 offset:92
	;; [unrolled: 1-line block ×34, first 2 shown]
	ds_read2_b64 v[58:61], v56 offset0:39 offset1:40
	ds_read2_b64 v[62:65], v56 offset0:41 offset1:42
	;; [unrolled: 1-line block ×8, first 2 shown]
	v_cmp_lt_u32_e32 vcc, 9, v0
	s_waitcnt vmcnt(32) lgkmcnt(7)
	v_fma_f64 v[56:57], v[90:91], v[58:59], 0
	s_waitcnt vmcnt(30)
	v_fmac_f64_e32 v[56:57], v[92:93], v[60:61]
	s_waitcnt vmcnt(28) lgkmcnt(6)
	v_fmac_f64_e32 v[56:57], v[94:95], v[62:63]
	s_waitcnt vmcnt(26)
	v_fmac_f64_e32 v[56:57], v[96:97], v[64:65]
	s_waitcnt vmcnt(24) lgkmcnt(5)
	v_fmac_f64_e32 v[56:57], v[98:99], v[66:67]
	;; [unrolled: 4-line block ×3, first 2 shown]
	s_waitcnt vmcnt(12)
	v_fmac_f64_e32 v[56:57], v[110:111], v[72:73]
	s_waitcnt lgkmcnt(3)
	v_fmac_f64_e32 v[56:57], v[108:109], v[74:75]
	v_fmac_f64_e32 v[56:57], v[106:107], v[76:77]
	s_waitcnt lgkmcnt(2)
	v_fmac_f64_e32 v[56:57], v[104:105], v[78:79]
	s_waitcnt vmcnt(5)
	v_fmac_f64_e32 v[56:57], v[118:119], v[80:81]
	s_waitcnt lgkmcnt(1)
	v_fmac_f64_e32 v[56:57], v[116:117], v[82:83]
	v_fmac_f64_e32 v[56:57], v[114:115], v[84:85]
	s_waitcnt vmcnt(4) lgkmcnt(0)
	v_fmac_f64_e32 v[56:57], v[112:113], v[86:87]
	s_waitcnt vmcnt(2)
	v_fmac_f64_e32 v[56:57], v[120:121], v[88:89]
	s_waitcnt vmcnt(0)
	v_add_f64 v[56:57], v[122:123], -v[56:57]
	buffer_store_dword v57, off, s[0:3], 0 offset:84
	buffer_store_dword v56, off, s[0:3], 0 offset:80
	s_and_saveexec_b64 s[4:5], vcc
	s_cbranch_execz .LBB90_151
; %bb.150:
	buffer_load_dword v56, off, s[0:3], 0 offset:72
	buffer_load_dword v57, off, s[0:3], 0 offset:76
	v_mov_b32_e32 v58, 0
	buffer_store_dword v58, off, s[0:3], 0 offset:72
	buffer_store_dword v58, off, s[0:3], 0 offset:76
	s_waitcnt vmcnt(2)
	ds_write_b64 v1, v[56:57]
.LBB90_151:
	s_or_b64 exec, exec, s[4:5]
	s_waitcnt lgkmcnt(0)
	; wave barrier
	s_waitcnt lgkmcnt(0)
	buffer_load_dword v56, off, s[0:3], 0 offset:72
	buffer_load_dword v57, off, s[0:3], 0 offset:76
	;; [unrolled: 1-line block ×16, first 2 shown]
	v_mov_b32_e32 v60, 0
	ds_read_b128 v[62:65], v60 offset:304
	ds_read_b128 v[66:69], v60 offset:320
	;; [unrolled: 1-line block ×4, first 2 shown]
	v_cmp_lt_u32_e32 vcc, 8, v0
	s_waitcnt vmcnt(12) lgkmcnt(3)
	v_fma_f64 v[58:59], v[58:59], v[62:63], 0
	buffer_load_dword v63, off, s[0:3], 0 offset:140
	buffer_load_dword v62, off, s[0:3], 0 offset:136
	s_waitcnt vmcnt(12)
	v_fmac_f64_e32 v[58:59], v[78:79], v[64:65]
	s_waitcnt vmcnt(10) lgkmcnt(2)
	v_fmac_f64_e32 v[58:59], v[80:81], v[66:67]
	buffer_load_dword v67, off, s[0:3], 0 offset:148
	buffer_load_dword v66, off, s[0:3], 0 offset:144
	s_waitcnt vmcnt(10)
	v_fmac_f64_e32 v[58:59], v[82:83], v[68:69]
	s_waitcnt vmcnt(8) lgkmcnt(1)
	v_fmac_f64_e32 v[58:59], v[84:85], v[70:71]
	s_waitcnt vmcnt(6)
	v_fmac_f64_e32 v[58:59], v[86:87], v[72:73]
	s_waitcnt vmcnt(4) lgkmcnt(0)
	v_fmac_f64_e32 v[58:59], v[88:89], v[74:75]
	s_waitcnt vmcnt(2)
	v_fmac_f64_e32 v[58:59], v[62:63], v[76:77]
	ds_read_b128 v[62:65], v60 offset:368
	s_waitcnt vmcnt(0) lgkmcnt(0)
	v_fmac_f64_e32 v[58:59], v[66:67], v[62:63]
	buffer_load_dword v63, off, s[0:3], 0 offset:156
	buffer_load_dword v62, off, s[0:3], 0 offset:152
	buffer_load_dword v67, off, s[0:3], 0 offset:164
	buffer_load_dword v66, off, s[0:3], 0 offset:160
	s_waitcnt vmcnt(2)
	v_fmac_f64_e32 v[58:59], v[62:63], v[64:65]
	ds_read_b128 v[62:65], v60 offset:384
	s_waitcnt vmcnt(0) lgkmcnt(0)
	v_fmac_f64_e32 v[58:59], v[66:67], v[62:63]
	buffer_load_dword v63, off, s[0:3], 0 offset:172
	buffer_load_dword v62, off, s[0:3], 0 offset:168
	buffer_load_dword v67, off, s[0:3], 0 offset:180
	buffer_load_dword v66, off, s[0:3], 0 offset:176
	;; [unrolled: 9-line block ×3, first 2 shown]
	s_waitcnt vmcnt(2)
	v_fmac_f64_e32 v[58:59], v[62:63], v[64:65]
	ds_read_b128 v[62:65], v60 offset:416
	s_waitcnt vmcnt(0) lgkmcnt(0)
	v_fmac_f64_e32 v[58:59], v[66:67], v[62:63]
	buffer_load_dword v63, off, s[0:3], 0 offset:204
	buffer_load_dword v62, off, s[0:3], 0 offset:200
	s_waitcnt vmcnt(0)
	v_fmac_f64_e32 v[58:59], v[62:63], v[64:65]
	buffer_load_dword v63, off, s[0:3], 0 offset:212
	buffer_load_dword v62, off, s[0:3], 0 offset:208
	ds_read_b64 v[64:65], v60 offset:432
	s_waitcnt vmcnt(0) lgkmcnt(0)
	v_fmac_f64_e32 v[58:59], v[62:63], v[64:65]
	v_add_f64 v[56:57], v[56:57], -v[58:59]
	buffer_store_dword v57, off, s[0:3], 0 offset:76
	buffer_store_dword v56, off, s[0:3], 0 offset:72
	s_and_saveexec_b64 s[4:5], vcc
	s_cbranch_execz .LBB90_153
; %bb.152:
	buffer_load_dword v56, off, s[0:3], 0 offset:64
	buffer_load_dword v57, off, s[0:3], 0 offset:68
	s_waitcnt vmcnt(0)
	ds_write_b64 v1, v[56:57]
	buffer_store_dword v60, off, s[0:3], 0 offset:64
	buffer_store_dword v60, off, s[0:3], 0 offset:68
.LBB90_153:
	s_or_b64 exec, exec, s[4:5]
	s_waitcnt lgkmcnt(0)
	; wave barrier
	s_waitcnt lgkmcnt(0)
	buffer_load_dword v56, off, s[0:3], 0 offset:64
	buffer_load_dword v57, off, s[0:3], 0 offset:68
	;; [unrolled: 1-line block ×16, first 2 shown]
	ds_read2_b64 v[62:65], v60 offset0:37 offset1:38
	v_cmp_lt_u32_e32 vcc, 7, v0
	s_waitcnt vmcnt(12) lgkmcnt(0)
	v_fma_f64 v[58:59], v[58:59], v[62:63], 0
	s_waitcnt vmcnt(10)
	v_fmac_f64_e32 v[58:59], v[66:67], v[64:65]
	ds_read2_b64 v[62:65], v60 offset0:39 offset1:40
	s_waitcnt vmcnt(8) lgkmcnt(0)
	v_fmac_f64_e32 v[58:59], v[68:69], v[62:63]
	s_waitcnt vmcnt(6)
	v_fmac_f64_e32 v[58:59], v[70:71], v[64:65]
	ds_read2_b64 v[62:65], v60 offset0:41 offset1:42
	s_waitcnt vmcnt(4) lgkmcnt(0)
	v_fmac_f64_e32 v[58:59], v[72:73], v[62:63]
	;; [unrolled: 5-line block ×3, first 2 shown]
	buffer_load_dword v63, off, s[0:3], 0 offset:132
	buffer_load_dword v62, off, s[0:3], 0 offset:128
	buffer_load_dword v67, off, s[0:3], 0 offset:140
	buffer_load_dword v66, off, s[0:3], 0 offset:136
	s_waitcnt vmcnt(2)
	v_fmac_f64_e32 v[58:59], v[62:63], v[64:65]
	ds_read2_b64 v[62:65], v60 offset0:45 offset1:46
	s_waitcnt vmcnt(0) lgkmcnt(0)
	v_fmac_f64_e32 v[58:59], v[66:67], v[62:63]
	buffer_load_dword v63, off, s[0:3], 0 offset:148
	buffer_load_dword v62, off, s[0:3], 0 offset:144
	buffer_load_dword v67, off, s[0:3], 0 offset:156
	buffer_load_dword v66, off, s[0:3], 0 offset:152
	s_waitcnt vmcnt(2)
	v_fmac_f64_e32 v[58:59], v[62:63], v[64:65]
	ds_read2_b64 v[62:65], v60 offset0:47 offset1:48
	s_waitcnt vmcnt(0) lgkmcnt(0)
	v_fmac_f64_e32 v[58:59], v[66:67], v[62:63]
	;; [unrolled: 9-line block ×4, first 2 shown]
	buffer_load_dword v63, off, s[0:3], 0 offset:196
	buffer_load_dword v62, off, s[0:3], 0 offset:192
	s_waitcnt vmcnt(0)
	v_fmac_f64_e32 v[58:59], v[62:63], v[64:65]
	buffer_load_dword v65, off, s[0:3], 0 offset:204
	buffer_load_dword v64, off, s[0:3], 0 offset:200
	ds_read2_b64 v[60:63], v60 offset0:53 offset1:54
	s_waitcnt vmcnt(0) lgkmcnt(0)
	v_fmac_f64_e32 v[58:59], v[64:65], v[60:61]
	buffer_load_dword v61, off, s[0:3], 0 offset:212
	buffer_load_dword v60, off, s[0:3], 0 offset:208
	s_waitcnt vmcnt(0)
	v_fmac_f64_e32 v[58:59], v[60:61], v[62:63]
	v_add_f64 v[56:57], v[56:57], -v[58:59]
	buffer_store_dword v57, off, s[0:3], 0 offset:68
	buffer_store_dword v56, off, s[0:3], 0 offset:64
	s_and_saveexec_b64 s[4:5], vcc
	s_cbranch_execz .LBB90_155
; %bb.154:
	buffer_load_dword v56, off, s[0:3], 0 offset:56
	buffer_load_dword v57, off, s[0:3], 0 offset:60
	v_mov_b32_e32 v58, 0
	buffer_store_dword v58, off, s[0:3], 0 offset:56
	buffer_store_dword v58, off, s[0:3], 0 offset:60
	s_waitcnt vmcnt(2)
	ds_write_b64 v1, v[56:57]
.LBB90_155:
	s_or_b64 exec, exec, s[4:5]
	s_waitcnt lgkmcnt(0)
	; wave barrier
	s_waitcnt lgkmcnt(0)
	buffer_load_dword v56, off, s[0:3], 0 offset:56
	buffer_load_dword v57, off, s[0:3], 0 offset:60
	;; [unrolled: 1-line block ×16, first 2 shown]
	v_mov_b32_e32 v60, 0
	ds_read_b128 v[62:65], v60 offset:288
	ds_read_b128 v[66:69], v60 offset:304
	;; [unrolled: 1-line block ×4, first 2 shown]
	v_cmp_lt_u32_e32 vcc, 6, v0
	s_waitcnt vmcnt(12) lgkmcnt(3)
	v_fma_f64 v[58:59], v[58:59], v[62:63], 0
	buffer_load_dword v63, off, s[0:3], 0 offset:124
	buffer_load_dword v62, off, s[0:3], 0 offset:120
	s_waitcnt vmcnt(12)
	v_fmac_f64_e32 v[58:59], v[78:79], v[64:65]
	s_waitcnt vmcnt(10) lgkmcnt(2)
	v_fmac_f64_e32 v[58:59], v[80:81], v[66:67]
	buffer_load_dword v67, off, s[0:3], 0 offset:132
	buffer_load_dword v66, off, s[0:3], 0 offset:128
	s_waitcnt vmcnt(10)
	v_fmac_f64_e32 v[58:59], v[82:83], v[68:69]
	s_waitcnt vmcnt(8) lgkmcnt(1)
	v_fmac_f64_e32 v[58:59], v[84:85], v[70:71]
	s_waitcnt vmcnt(6)
	v_fmac_f64_e32 v[58:59], v[86:87], v[72:73]
	s_waitcnt vmcnt(4) lgkmcnt(0)
	v_fmac_f64_e32 v[58:59], v[88:89], v[74:75]
	s_waitcnt vmcnt(2)
	v_fmac_f64_e32 v[58:59], v[62:63], v[76:77]
	ds_read_b128 v[62:65], v60 offset:352
	s_waitcnt vmcnt(0) lgkmcnt(0)
	v_fmac_f64_e32 v[58:59], v[66:67], v[62:63]
	buffer_load_dword v63, off, s[0:3], 0 offset:140
	buffer_load_dword v62, off, s[0:3], 0 offset:136
	buffer_load_dword v67, off, s[0:3], 0 offset:148
	buffer_load_dword v66, off, s[0:3], 0 offset:144
	s_waitcnt vmcnt(2)
	v_fmac_f64_e32 v[58:59], v[62:63], v[64:65]
	ds_read_b128 v[62:65], v60 offset:368
	s_waitcnt vmcnt(0) lgkmcnt(0)
	v_fmac_f64_e32 v[58:59], v[66:67], v[62:63]
	buffer_load_dword v63, off, s[0:3], 0 offset:156
	buffer_load_dword v62, off, s[0:3], 0 offset:152
	buffer_load_dword v67, off, s[0:3], 0 offset:164
	buffer_load_dword v66, off, s[0:3], 0 offset:160
	;; [unrolled: 9-line block ×4, first 2 shown]
	s_waitcnt vmcnt(2)
	v_fmac_f64_e32 v[58:59], v[62:63], v[64:65]
	ds_read_b128 v[62:65], v60 offset:416
	s_waitcnt vmcnt(0) lgkmcnt(0)
	v_fmac_f64_e32 v[58:59], v[66:67], v[62:63]
	buffer_load_dword v63, off, s[0:3], 0 offset:204
	buffer_load_dword v62, off, s[0:3], 0 offset:200
	s_waitcnt vmcnt(0)
	v_fmac_f64_e32 v[58:59], v[62:63], v[64:65]
	buffer_load_dword v63, off, s[0:3], 0 offset:212
	buffer_load_dword v62, off, s[0:3], 0 offset:208
	ds_read_b64 v[64:65], v60 offset:432
	s_waitcnt vmcnt(0) lgkmcnt(0)
	v_fmac_f64_e32 v[58:59], v[62:63], v[64:65]
	v_add_f64 v[56:57], v[56:57], -v[58:59]
	buffer_store_dword v57, off, s[0:3], 0 offset:60
	buffer_store_dword v56, off, s[0:3], 0 offset:56
	s_and_saveexec_b64 s[4:5], vcc
	s_cbranch_execz .LBB90_157
; %bb.156:
	buffer_load_dword v56, off, s[0:3], 0 offset:48
	buffer_load_dword v57, off, s[0:3], 0 offset:52
	s_waitcnt vmcnt(0)
	ds_write_b64 v1, v[56:57]
	buffer_store_dword v60, off, s[0:3], 0 offset:48
	buffer_store_dword v60, off, s[0:3], 0 offset:52
.LBB90_157:
	s_or_b64 exec, exec, s[4:5]
	s_waitcnt lgkmcnt(0)
	; wave barrier
	s_waitcnt lgkmcnt(0)
	buffer_load_dword v56, off, s[0:3], 0 offset:48
	buffer_load_dword v57, off, s[0:3], 0 offset:52
	;; [unrolled: 1-line block ×16, first 2 shown]
	ds_read2_b64 v[62:65], v60 offset0:35 offset1:36
	v_cmp_lt_u32_e32 vcc, 5, v0
	s_waitcnt vmcnt(12) lgkmcnt(0)
	v_fma_f64 v[58:59], v[58:59], v[62:63], 0
	s_waitcnt vmcnt(10)
	v_fmac_f64_e32 v[58:59], v[66:67], v[64:65]
	ds_read2_b64 v[62:65], v60 offset0:37 offset1:38
	s_waitcnt vmcnt(8) lgkmcnt(0)
	v_fmac_f64_e32 v[58:59], v[68:69], v[62:63]
	s_waitcnt vmcnt(6)
	v_fmac_f64_e32 v[58:59], v[70:71], v[64:65]
	ds_read2_b64 v[62:65], v60 offset0:39 offset1:40
	s_waitcnt vmcnt(4) lgkmcnt(0)
	v_fmac_f64_e32 v[58:59], v[72:73], v[62:63]
	;; [unrolled: 5-line block ×3, first 2 shown]
	buffer_load_dword v63, off, s[0:3], 0 offset:116
	buffer_load_dword v62, off, s[0:3], 0 offset:112
	buffer_load_dword v67, off, s[0:3], 0 offset:124
	buffer_load_dword v66, off, s[0:3], 0 offset:120
	s_waitcnt vmcnt(2)
	v_fmac_f64_e32 v[58:59], v[62:63], v[64:65]
	ds_read2_b64 v[62:65], v60 offset0:43 offset1:44
	s_waitcnt vmcnt(0) lgkmcnt(0)
	v_fmac_f64_e32 v[58:59], v[66:67], v[62:63]
	buffer_load_dword v63, off, s[0:3], 0 offset:132
	buffer_load_dword v62, off, s[0:3], 0 offset:128
	buffer_load_dword v67, off, s[0:3], 0 offset:140
	buffer_load_dword v66, off, s[0:3], 0 offset:136
	s_waitcnt vmcnt(2)
	v_fmac_f64_e32 v[58:59], v[62:63], v[64:65]
	ds_read2_b64 v[62:65], v60 offset0:45 offset1:46
	s_waitcnt vmcnt(0) lgkmcnt(0)
	v_fmac_f64_e32 v[58:59], v[66:67], v[62:63]
	;; [unrolled: 9-line block ×5, first 2 shown]
	buffer_load_dword v63, off, s[0:3], 0 offset:196
	buffer_load_dword v62, off, s[0:3], 0 offset:192
	s_waitcnt vmcnt(0)
	v_fmac_f64_e32 v[58:59], v[62:63], v[64:65]
	buffer_load_dword v65, off, s[0:3], 0 offset:204
	buffer_load_dword v64, off, s[0:3], 0 offset:200
	ds_read2_b64 v[60:63], v60 offset0:53 offset1:54
	s_waitcnt vmcnt(0) lgkmcnt(0)
	v_fmac_f64_e32 v[58:59], v[64:65], v[60:61]
	buffer_load_dword v61, off, s[0:3], 0 offset:212
	buffer_load_dword v60, off, s[0:3], 0 offset:208
	s_waitcnt vmcnt(0)
	v_fmac_f64_e32 v[58:59], v[60:61], v[62:63]
	v_add_f64 v[56:57], v[56:57], -v[58:59]
	buffer_store_dword v57, off, s[0:3], 0 offset:52
	buffer_store_dword v56, off, s[0:3], 0 offset:48
	s_and_saveexec_b64 s[4:5], vcc
	s_cbranch_execz .LBB90_159
; %bb.158:
	buffer_load_dword v56, off, s[0:3], 0 offset:40
	buffer_load_dword v57, off, s[0:3], 0 offset:44
	v_mov_b32_e32 v58, 0
	buffer_store_dword v58, off, s[0:3], 0 offset:40
	buffer_store_dword v58, off, s[0:3], 0 offset:44
	s_waitcnt vmcnt(2)
	ds_write_b64 v1, v[56:57]
.LBB90_159:
	s_or_b64 exec, exec, s[4:5]
	s_waitcnt lgkmcnt(0)
	; wave barrier
	s_waitcnt lgkmcnt(0)
	buffer_load_dword v56, off, s[0:3], 0 offset:40
	buffer_load_dword v57, off, s[0:3], 0 offset:44
	;; [unrolled: 1-line block ×16, first 2 shown]
	v_mov_b32_e32 v60, 0
	ds_read_b128 v[62:65], v60 offset:272
	ds_read_b128 v[66:69], v60 offset:288
	;; [unrolled: 1-line block ×4, first 2 shown]
	v_cmp_lt_u32_e32 vcc, 4, v0
	s_waitcnt vmcnt(12) lgkmcnt(3)
	v_fma_f64 v[58:59], v[58:59], v[62:63], 0
	buffer_load_dword v63, off, s[0:3], 0 offset:108
	buffer_load_dword v62, off, s[0:3], 0 offset:104
	s_waitcnt vmcnt(12)
	v_fmac_f64_e32 v[58:59], v[78:79], v[64:65]
	s_waitcnt vmcnt(10) lgkmcnt(2)
	v_fmac_f64_e32 v[58:59], v[80:81], v[66:67]
	buffer_load_dword v67, off, s[0:3], 0 offset:116
	buffer_load_dword v66, off, s[0:3], 0 offset:112
	s_waitcnt vmcnt(10)
	v_fmac_f64_e32 v[58:59], v[82:83], v[68:69]
	s_waitcnt vmcnt(8) lgkmcnt(1)
	v_fmac_f64_e32 v[58:59], v[84:85], v[70:71]
	s_waitcnt vmcnt(6)
	v_fmac_f64_e32 v[58:59], v[86:87], v[72:73]
	s_waitcnt vmcnt(4) lgkmcnt(0)
	v_fmac_f64_e32 v[58:59], v[88:89], v[74:75]
	s_waitcnt vmcnt(2)
	v_fmac_f64_e32 v[58:59], v[62:63], v[76:77]
	ds_read_b128 v[62:65], v60 offset:336
	s_waitcnt vmcnt(0) lgkmcnt(0)
	v_fmac_f64_e32 v[58:59], v[66:67], v[62:63]
	buffer_load_dword v63, off, s[0:3], 0 offset:124
	buffer_load_dword v62, off, s[0:3], 0 offset:120
	buffer_load_dword v67, off, s[0:3], 0 offset:132
	buffer_load_dword v66, off, s[0:3], 0 offset:128
	s_waitcnt vmcnt(2)
	v_fmac_f64_e32 v[58:59], v[62:63], v[64:65]
	ds_read_b128 v[62:65], v60 offset:352
	s_waitcnt vmcnt(0) lgkmcnt(0)
	v_fmac_f64_e32 v[58:59], v[66:67], v[62:63]
	buffer_load_dword v63, off, s[0:3], 0 offset:140
	buffer_load_dword v62, off, s[0:3], 0 offset:136
	buffer_load_dword v67, off, s[0:3], 0 offset:148
	buffer_load_dword v66, off, s[0:3], 0 offset:144
	;; [unrolled: 9-line block ×5, first 2 shown]
	s_waitcnt vmcnt(2)
	v_fmac_f64_e32 v[58:59], v[62:63], v[64:65]
	ds_read_b128 v[62:65], v60 offset:416
	s_waitcnt vmcnt(0) lgkmcnt(0)
	v_fmac_f64_e32 v[58:59], v[66:67], v[62:63]
	buffer_load_dword v63, off, s[0:3], 0 offset:204
	buffer_load_dword v62, off, s[0:3], 0 offset:200
	s_waitcnt vmcnt(0)
	v_fmac_f64_e32 v[58:59], v[62:63], v[64:65]
	buffer_load_dword v63, off, s[0:3], 0 offset:212
	buffer_load_dword v62, off, s[0:3], 0 offset:208
	ds_read_b64 v[64:65], v60 offset:432
	s_waitcnt vmcnt(0) lgkmcnt(0)
	v_fmac_f64_e32 v[58:59], v[62:63], v[64:65]
	v_add_f64 v[56:57], v[56:57], -v[58:59]
	buffer_store_dword v57, off, s[0:3], 0 offset:44
	buffer_store_dword v56, off, s[0:3], 0 offset:40
	s_and_saveexec_b64 s[4:5], vcc
	s_cbranch_execz .LBB90_161
; %bb.160:
	buffer_load_dword v56, off, s[0:3], 0 offset:32
	buffer_load_dword v57, off, s[0:3], 0 offset:36
	s_waitcnt vmcnt(0)
	ds_write_b64 v1, v[56:57]
	buffer_store_dword v60, off, s[0:3], 0 offset:32
	buffer_store_dword v60, off, s[0:3], 0 offset:36
.LBB90_161:
	s_or_b64 exec, exec, s[4:5]
	s_waitcnt lgkmcnt(0)
	; wave barrier
	s_waitcnt lgkmcnt(0)
	buffer_load_dword v56, off, s[0:3], 0 offset:32
	buffer_load_dword v57, off, s[0:3], 0 offset:36
	;; [unrolled: 1-line block ×16, first 2 shown]
	ds_read2_b64 v[62:65], v60 offset0:33 offset1:34
	v_cmp_lt_u32_e32 vcc, 3, v0
	s_waitcnt vmcnt(12) lgkmcnt(0)
	v_fma_f64 v[58:59], v[58:59], v[62:63], 0
	s_waitcnt vmcnt(10)
	v_fmac_f64_e32 v[58:59], v[66:67], v[64:65]
	ds_read2_b64 v[62:65], v60 offset0:35 offset1:36
	s_waitcnt vmcnt(8) lgkmcnt(0)
	v_fmac_f64_e32 v[58:59], v[68:69], v[62:63]
	s_waitcnt vmcnt(6)
	v_fmac_f64_e32 v[58:59], v[70:71], v[64:65]
	ds_read2_b64 v[62:65], v60 offset0:37 offset1:38
	s_waitcnt vmcnt(4) lgkmcnt(0)
	v_fmac_f64_e32 v[58:59], v[72:73], v[62:63]
	;; [unrolled: 5-line block ×3, first 2 shown]
	buffer_load_dword v63, off, s[0:3], 0 offset:100
	buffer_load_dword v62, off, s[0:3], 0 offset:96
	buffer_load_dword v67, off, s[0:3], 0 offset:108
	buffer_load_dword v66, off, s[0:3], 0 offset:104
	s_waitcnt vmcnt(2)
	v_fmac_f64_e32 v[58:59], v[62:63], v[64:65]
	ds_read2_b64 v[62:65], v60 offset0:41 offset1:42
	s_waitcnt vmcnt(0) lgkmcnt(0)
	v_fmac_f64_e32 v[58:59], v[66:67], v[62:63]
	buffer_load_dword v63, off, s[0:3], 0 offset:116
	buffer_load_dword v62, off, s[0:3], 0 offset:112
	buffer_load_dword v67, off, s[0:3], 0 offset:124
	buffer_load_dword v66, off, s[0:3], 0 offset:120
	s_waitcnt vmcnt(2)
	v_fmac_f64_e32 v[58:59], v[62:63], v[64:65]
	ds_read2_b64 v[62:65], v60 offset0:43 offset1:44
	s_waitcnt vmcnt(0) lgkmcnt(0)
	v_fmac_f64_e32 v[58:59], v[66:67], v[62:63]
	;; [unrolled: 9-line block ×6, first 2 shown]
	buffer_load_dword v63, off, s[0:3], 0 offset:196
	buffer_load_dword v62, off, s[0:3], 0 offset:192
	s_waitcnt vmcnt(0)
	v_fmac_f64_e32 v[58:59], v[62:63], v[64:65]
	buffer_load_dword v65, off, s[0:3], 0 offset:204
	buffer_load_dword v64, off, s[0:3], 0 offset:200
	ds_read2_b64 v[60:63], v60 offset0:53 offset1:54
	s_waitcnt vmcnt(0) lgkmcnt(0)
	v_fmac_f64_e32 v[58:59], v[64:65], v[60:61]
	buffer_load_dword v61, off, s[0:3], 0 offset:212
	buffer_load_dword v60, off, s[0:3], 0 offset:208
	s_waitcnt vmcnt(0)
	v_fmac_f64_e32 v[58:59], v[60:61], v[62:63]
	v_add_f64 v[56:57], v[56:57], -v[58:59]
	buffer_store_dword v57, off, s[0:3], 0 offset:36
	buffer_store_dword v56, off, s[0:3], 0 offset:32
	s_and_saveexec_b64 s[4:5], vcc
	s_cbranch_execz .LBB90_163
; %bb.162:
	buffer_load_dword v56, off, s[0:3], 0 offset:24
	buffer_load_dword v57, off, s[0:3], 0 offset:28
	v_mov_b32_e32 v58, 0
	buffer_store_dword v58, off, s[0:3], 0 offset:24
	buffer_store_dword v58, off, s[0:3], 0 offset:28
	s_waitcnt vmcnt(2)
	ds_write_b64 v1, v[56:57]
.LBB90_163:
	s_or_b64 exec, exec, s[4:5]
	s_waitcnt lgkmcnt(0)
	; wave barrier
	s_waitcnt lgkmcnt(0)
	buffer_load_dword v56, off, s[0:3], 0 offset:24
	buffer_load_dword v57, off, s[0:3], 0 offset:28
	;; [unrolled: 1-line block ×16, first 2 shown]
	v_mov_b32_e32 v60, 0
	ds_read_b128 v[62:65], v60 offset:256
	ds_read_b128 v[66:69], v60 offset:272
	;; [unrolled: 1-line block ×4, first 2 shown]
	v_cmp_lt_u32_e32 vcc, 2, v0
	s_waitcnt vmcnt(12) lgkmcnt(3)
	v_fma_f64 v[58:59], v[58:59], v[62:63], 0
	buffer_load_dword v63, off, s[0:3], 0 offset:92
	buffer_load_dword v62, off, s[0:3], 0 offset:88
	s_waitcnt vmcnt(12)
	v_fmac_f64_e32 v[58:59], v[78:79], v[64:65]
	s_waitcnt vmcnt(10) lgkmcnt(2)
	v_fmac_f64_e32 v[58:59], v[80:81], v[66:67]
	buffer_load_dword v67, off, s[0:3], 0 offset:100
	buffer_load_dword v66, off, s[0:3], 0 offset:96
	s_waitcnt vmcnt(10)
	v_fmac_f64_e32 v[58:59], v[82:83], v[68:69]
	s_waitcnt vmcnt(8) lgkmcnt(1)
	v_fmac_f64_e32 v[58:59], v[84:85], v[70:71]
	s_waitcnt vmcnt(6)
	v_fmac_f64_e32 v[58:59], v[86:87], v[72:73]
	s_waitcnt vmcnt(4) lgkmcnt(0)
	v_fmac_f64_e32 v[58:59], v[88:89], v[74:75]
	s_waitcnt vmcnt(2)
	v_fmac_f64_e32 v[58:59], v[62:63], v[76:77]
	ds_read_b128 v[62:65], v60 offset:320
	s_waitcnt vmcnt(0) lgkmcnt(0)
	v_fmac_f64_e32 v[58:59], v[66:67], v[62:63]
	buffer_load_dword v63, off, s[0:3], 0 offset:108
	buffer_load_dword v62, off, s[0:3], 0 offset:104
	buffer_load_dword v67, off, s[0:3], 0 offset:116
	buffer_load_dword v66, off, s[0:3], 0 offset:112
	s_waitcnt vmcnt(2)
	v_fmac_f64_e32 v[58:59], v[62:63], v[64:65]
	ds_read_b128 v[62:65], v60 offset:336
	s_waitcnt vmcnt(0) lgkmcnt(0)
	v_fmac_f64_e32 v[58:59], v[66:67], v[62:63]
	buffer_load_dword v63, off, s[0:3], 0 offset:124
	buffer_load_dword v62, off, s[0:3], 0 offset:120
	buffer_load_dword v67, off, s[0:3], 0 offset:132
	buffer_load_dword v66, off, s[0:3], 0 offset:128
	;; [unrolled: 9-line block ×6, first 2 shown]
	s_waitcnt vmcnt(2)
	v_fmac_f64_e32 v[58:59], v[62:63], v[64:65]
	ds_read_b128 v[62:65], v60 offset:416
	s_waitcnt vmcnt(0) lgkmcnt(0)
	v_fmac_f64_e32 v[58:59], v[66:67], v[62:63]
	buffer_load_dword v63, off, s[0:3], 0 offset:204
	buffer_load_dword v62, off, s[0:3], 0 offset:200
	s_waitcnt vmcnt(0)
	v_fmac_f64_e32 v[58:59], v[62:63], v[64:65]
	buffer_load_dword v63, off, s[0:3], 0 offset:212
	buffer_load_dword v62, off, s[0:3], 0 offset:208
	ds_read_b64 v[64:65], v60 offset:432
	s_waitcnt vmcnt(0) lgkmcnt(0)
	v_fmac_f64_e32 v[58:59], v[62:63], v[64:65]
	v_add_f64 v[56:57], v[56:57], -v[58:59]
	buffer_store_dword v57, off, s[0:3], 0 offset:28
	buffer_store_dword v56, off, s[0:3], 0 offset:24
	s_and_saveexec_b64 s[4:5], vcc
	s_cbranch_execz .LBB90_165
; %bb.164:
	buffer_load_dword v56, off, s[0:3], 0 offset:16
	buffer_load_dword v57, off, s[0:3], 0 offset:20
	s_waitcnt vmcnt(0)
	ds_write_b64 v1, v[56:57]
	buffer_store_dword v60, off, s[0:3], 0 offset:16
	buffer_store_dword v60, off, s[0:3], 0 offset:20
.LBB90_165:
	s_or_b64 exec, exec, s[4:5]
	s_waitcnt lgkmcnt(0)
	; wave barrier
	s_waitcnt lgkmcnt(0)
	buffer_load_dword v56, off, s[0:3], 0 offset:16
	buffer_load_dword v57, off, s[0:3], 0 offset:20
	;; [unrolled: 1-line block ×16, first 2 shown]
	ds_read2_b64 v[62:65], v60 offset0:31 offset1:32
	v_cmp_lt_u32_e32 vcc, 1, v0
	s_waitcnt vmcnt(12) lgkmcnt(0)
	v_fma_f64 v[58:59], v[58:59], v[62:63], 0
	s_waitcnt vmcnt(10)
	v_fmac_f64_e32 v[58:59], v[66:67], v[64:65]
	ds_read2_b64 v[62:65], v60 offset0:33 offset1:34
	s_waitcnt vmcnt(8) lgkmcnt(0)
	v_fmac_f64_e32 v[58:59], v[68:69], v[62:63]
	s_waitcnt vmcnt(6)
	v_fmac_f64_e32 v[58:59], v[70:71], v[64:65]
	ds_read2_b64 v[62:65], v60 offset0:35 offset1:36
	s_waitcnt vmcnt(4) lgkmcnt(0)
	v_fmac_f64_e32 v[58:59], v[72:73], v[62:63]
	;; [unrolled: 5-line block ×3, first 2 shown]
	buffer_load_dword v63, off, s[0:3], 0 offset:84
	buffer_load_dword v62, off, s[0:3], 0 offset:80
	buffer_load_dword v67, off, s[0:3], 0 offset:92
	buffer_load_dword v66, off, s[0:3], 0 offset:88
	s_waitcnt vmcnt(2)
	v_fmac_f64_e32 v[58:59], v[62:63], v[64:65]
	ds_read2_b64 v[62:65], v60 offset0:39 offset1:40
	s_waitcnt vmcnt(0) lgkmcnt(0)
	v_fmac_f64_e32 v[58:59], v[66:67], v[62:63]
	buffer_load_dword v63, off, s[0:3], 0 offset:100
	buffer_load_dword v62, off, s[0:3], 0 offset:96
	buffer_load_dword v67, off, s[0:3], 0 offset:108
	buffer_load_dword v66, off, s[0:3], 0 offset:104
	s_waitcnt vmcnt(2)
	v_fmac_f64_e32 v[58:59], v[62:63], v[64:65]
	ds_read2_b64 v[62:65], v60 offset0:41 offset1:42
	s_waitcnt vmcnt(0) lgkmcnt(0)
	v_fmac_f64_e32 v[58:59], v[66:67], v[62:63]
	;; [unrolled: 9-line block ×7, first 2 shown]
	buffer_load_dword v63, off, s[0:3], 0 offset:196
	buffer_load_dword v62, off, s[0:3], 0 offset:192
	s_waitcnt vmcnt(0)
	v_fmac_f64_e32 v[58:59], v[62:63], v[64:65]
	buffer_load_dword v65, off, s[0:3], 0 offset:204
	buffer_load_dword v64, off, s[0:3], 0 offset:200
	ds_read2_b64 v[60:63], v60 offset0:53 offset1:54
	s_waitcnt vmcnt(0) lgkmcnt(0)
	v_fmac_f64_e32 v[58:59], v[64:65], v[60:61]
	buffer_load_dword v61, off, s[0:3], 0 offset:212
	buffer_load_dword v60, off, s[0:3], 0 offset:208
	s_waitcnt vmcnt(0)
	v_fmac_f64_e32 v[58:59], v[60:61], v[62:63]
	v_add_f64 v[56:57], v[56:57], -v[58:59]
	buffer_store_dword v57, off, s[0:3], 0 offset:20
	buffer_store_dword v56, off, s[0:3], 0 offset:16
	s_and_saveexec_b64 s[4:5], vcc
	s_cbranch_execz .LBB90_167
; %bb.166:
	buffer_load_dword v56, off, s[0:3], 0 offset:8
	buffer_load_dword v57, off, s[0:3], 0 offset:12
	v_mov_b32_e32 v58, 0
	buffer_store_dword v58, off, s[0:3], 0 offset:8
	buffer_store_dword v58, off, s[0:3], 0 offset:12
	s_waitcnt vmcnt(2)
	ds_write_b64 v1, v[56:57]
.LBB90_167:
	s_or_b64 exec, exec, s[4:5]
	s_waitcnt lgkmcnt(0)
	; wave barrier
	s_waitcnt lgkmcnt(0)
	buffer_load_dword v56, off, s[0:3], 0 offset:8
	buffer_load_dword v57, off, s[0:3], 0 offset:12
	;; [unrolled: 1-line block ×16, first 2 shown]
	v_mov_b32_e32 v60, 0
	ds_read_b128 v[62:65], v60 offset:240
	ds_read_b128 v[66:69], v60 offset:256
	ds_read_b128 v[70:73], v60 offset:272
	ds_read_b128 v[74:77], v60 offset:288
	v_cmp_ne_u32_e32 vcc, 0, v0
	s_waitcnt vmcnt(12) lgkmcnt(3)
	v_fma_f64 v[58:59], v[58:59], v[62:63], 0
	buffer_load_dword v63, off, s[0:3], 0 offset:76
	buffer_load_dword v62, off, s[0:3], 0 offset:72
	s_waitcnt vmcnt(12)
	v_fmac_f64_e32 v[58:59], v[78:79], v[64:65]
	s_waitcnt vmcnt(10) lgkmcnt(2)
	v_fmac_f64_e32 v[58:59], v[80:81], v[66:67]
	buffer_load_dword v67, off, s[0:3], 0 offset:84
	buffer_load_dword v66, off, s[0:3], 0 offset:80
	s_waitcnt vmcnt(10)
	v_fmac_f64_e32 v[58:59], v[82:83], v[68:69]
	s_waitcnt vmcnt(8) lgkmcnt(1)
	v_fmac_f64_e32 v[58:59], v[84:85], v[70:71]
	s_waitcnt vmcnt(6)
	v_fmac_f64_e32 v[58:59], v[86:87], v[72:73]
	s_waitcnt vmcnt(4) lgkmcnt(0)
	v_fmac_f64_e32 v[58:59], v[88:89], v[74:75]
	s_waitcnt vmcnt(2)
	v_fmac_f64_e32 v[58:59], v[62:63], v[76:77]
	ds_read_b128 v[62:65], v60 offset:304
	s_waitcnt vmcnt(0) lgkmcnt(0)
	v_fmac_f64_e32 v[58:59], v[66:67], v[62:63]
	buffer_load_dword v63, off, s[0:3], 0 offset:92
	buffer_load_dword v62, off, s[0:3], 0 offset:88
	buffer_load_dword v67, off, s[0:3], 0 offset:100
	buffer_load_dword v66, off, s[0:3], 0 offset:96
	s_waitcnt vmcnt(2)
	v_fmac_f64_e32 v[58:59], v[62:63], v[64:65]
	ds_read_b128 v[62:65], v60 offset:320
	s_waitcnt vmcnt(0) lgkmcnt(0)
	v_fmac_f64_e32 v[58:59], v[66:67], v[62:63]
	buffer_load_dword v63, off, s[0:3], 0 offset:108
	buffer_load_dword v62, off, s[0:3], 0 offset:104
	buffer_load_dword v67, off, s[0:3], 0 offset:116
	buffer_load_dword v66, off, s[0:3], 0 offset:112
	;; [unrolled: 9-line block ×7, first 2 shown]
	s_waitcnt vmcnt(2)
	v_fmac_f64_e32 v[58:59], v[62:63], v[64:65]
	ds_read_b128 v[62:65], v60 offset:416
	s_waitcnt vmcnt(0) lgkmcnt(0)
	v_fmac_f64_e32 v[58:59], v[66:67], v[62:63]
	buffer_load_dword v63, off, s[0:3], 0 offset:204
	buffer_load_dword v62, off, s[0:3], 0 offset:200
	s_waitcnt vmcnt(0)
	v_fmac_f64_e32 v[58:59], v[62:63], v[64:65]
	buffer_load_dword v63, off, s[0:3], 0 offset:212
	buffer_load_dword v62, off, s[0:3], 0 offset:208
	ds_read_b64 v[64:65], v60 offset:432
	s_waitcnt vmcnt(0) lgkmcnt(0)
	v_fmac_f64_e32 v[58:59], v[62:63], v[64:65]
	v_add_f64 v[56:57], v[56:57], -v[58:59]
	buffer_store_dword v57, off, s[0:3], 0 offset:12
	buffer_store_dword v56, off, s[0:3], 0 offset:8
	s_and_saveexec_b64 s[4:5], vcc
	s_cbranch_execz .LBB90_169
; %bb.168:
	buffer_load_dword v56, off, s[0:3], 0
	buffer_load_dword v57, off, s[0:3], 0 offset:4
	s_waitcnt vmcnt(0)
	ds_write_b64 v1, v[56:57]
	buffer_store_dword v60, off, s[0:3], 0
	buffer_store_dword v60, off, s[0:3], 0 offset:4
.LBB90_169:
	s_or_b64 exec, exec, s[4:5]
	s_waitcnt lgkmcnt(0)
	; wave barrier
	s_waitcnt lgkmcnt(0)
	buffer_load_dword v0, off, s[0:3], 0
	buffer_load_dword v1, off, s[0:3], 0 offset:4
	buffer_load_dword v62, off, s[0:3], 0 offset:8
	buffer_load_dword v63, off, s[0:3], 0 offset:12
	buffer_load_dword v64, off, s[0:3], 0 offset:16
	buffer_load_dword v65, off, s[0:3], 0 offset:20
	buffer_load_dword v66, off, s[0:3], 0 offset:24
	buffer_load_dword v67, off, s[0:3], 0 offset:28
	buffer_load_dword v68, off, s[0:3], 0 offset:32
	buffer_load_dword v69, off, s[0:3], 0 offset:36
	buffer_load_dword v70, off, s[0:3], 0 offset:40
	buffer_load_dword v71, off, s[0:3], 0 offset:44
	buffer_load_dword v72, off, s[0:3], 0 offset:48
	buffer_load_dword v73, off, s[0:3], 0 offset:52
	buffer_load_dword v74, off, s[0:3], 0 offset:56
	buffer_load_dword v75, off, s[0:3], 0 offset:60
	ds_read2_b64 v[56:59], v60 offset0:29 offset1:30
	s_and_b64 vcc, exec, s[16:17]
	s_waitcnt vmcnt(12) lgkmcnt(0)
	v_fma_f64 v[56:57], v[62:63], v[56:57], 0
	s_waitcnt vmcnt(10)
	v_fmac_f64_e32 v[56:57], v[64:65], v[58:59]
	ds_read2_b64 v[62:65], v60 offset0:31 offset1:32
	s_waitcnt vmcnt(8) lgkmcnt(0)
	v_fmac_f64_e32 v[56:57], v[66:67], v[62:63]
	s_waitcnt vmcnt(6)
	v_fmac_f64_e32 v[56:57], v[68:69], v[64:65]
	ds_read2_b64 v[62:65], v60 offset0:33 offset1:34
	s_waitcnt vmcnt(4) lgkmcnt(0)
	v_fmac_f64_e32 v[56:57], v[70:71], v[62:63]
	s_waitcnt vmcnt(2)
	v_fmac_f64_e32 v[56:57], v[72:73], v[64:65]
	ds_read2_b64 v[62:65], v60 offset0:35 offset1:36
	buffer_load_dword v59, off, s[0:3], 0 offset:68
	buffer_load_dword v58, off, s[0:3], 0 offset:64
	s_waitcnt vmcnt(2) lgkmcnt(0)
	v_fmac_f64_e32 v[56:57], v[74:75], v[62:63]
	s_waitcnt vmcnt(0)
	v_fmac_f64_e32 v[56:57], v[58:59], v[64:65]
	buffer_load_dword v59, off, s[0:3], 0 offset:76
	buffer_load_dword v58, off, s[0:3], 0 offset:72
	ds_read2_b64 v[62:65], v60 offset0:37 offset1:38
	s_waitcnt vmcnt(0) lgkmcnt(0)
	v_fmac_f64_e32 v[56:57], v[58:59], v[62:63]
	buffer_load_dword v59, off, s[0:3], 0 offset:84
	buffer_load_dword v58, off, s[0:3], 0 offset:80
	s_waitcnt vmcnt(0)
	v_fmac_f64_e32 v[56:57], v[58:59], v[64:65]
	buffer_load_dword v59, off, s[0:3], 0 offset:92
	buffer_load_dword v58, off, s[0:3], 0 offset:88
	ds_read2_b64 v[62:65], v60 offset0:39 offset1:40
	s_waitcnt vmcnt(0) lgkmcnt(0)
	v_fmac_f64_e32 v[56:57], v[58:59], v[62:63]
	buffer_load_dword v59, off, s[0:3], 0 offset:100
	buffer_load_dword v58, off, s[0:3], 0 offset:96
	;; [unrolled: 9-line block ×9, first 2 shown]
	s_waitcnt vmcnt(0)
	v_fmac_f64_e32 v[56:57], v[60:61], v[62:63]
	v_add_f64 v[0:1], v[0:1], -v[56:57]
	buffer_store_dword v1, off, s[0:3], 0 offset:4
	buffer_store_dword v0, off, s[0:3], 0
	s_cbranch_vccz .LBB90_223
; %bb.170:
	v_pk_mov_b32 v[0:1], s[10:11], s[10:11] op_sel:[0,1]
	flat_load_dword v0, v[0:1] offset:100
	s_waitcnt vmcnt(0) lgkmcnt(0)
	v_add_u32_e32 v0, -1, v0
	v_cmp_ne_u32_e32 vcc, 25, v0
	s_and_saveexec_b64 s[4:5], vcc
	s_cbranch_execz .LBB90_172
; %bb.171:
	v_mov_b32_e32 v1, 0
	v_lshl_add_u32 v0, v0, 3, v1
	buffer_load_dword v1, v0, s[0:3], 0 offen
	buffer_load_dword v56, v0, s[0:3], 0 offen offset:4
	s_waitcnt vmcnt(1)
	buffer_store_dword v1, off, s[0:3], 0 offset:200
	s_waitcnt vmcnt(1)
	buffer_store_dword v56, off, s[0:3], 0 offset:204
	buffer_store_dword v58, v0, s[0:3], 0 offen
	buffer_store_dword v59, v0, s[0:3], 0 offen offset:4
.LBB90_172:
	s_or_b64 exec, exec, s[4:5]
	v_pk_mov_b32 v[0:1], s[10:11], s[10:11] op_sel:[0,1]
	flat_load_dword v0, v[0:1] offset:96
	s_waitcnt vmcnt(0) lgkmcnt(0)
	v_add_u32_e32 v0, -1, v0
	v_cmp_ne_u32_e32 vcc, 24, v0
	s_and_saveexec_b64 s[4:5], vcc
	s_cbranch_execz .LBB90_174
; %bb.173:
	v_mov_b32_e32 v1, 0
	v_lshl_add_u32 v0, v0, 3, v1
	buffer_load_dword v1, v0, s[0:3], 0 offen
	buffer_load_dword v56, v0, s[0:3], 0 offen offset:4
	buffer_load_dword v57, off, s[0:3], 0 offset:196
	buffer_load_dword v58, off, s[0:3], 0 offset:192
	s_waitcnt vmcnt(3)
	buffer_store_dword v1, off, s[0:3], 0 offset:192
	s_waitcnt vmcnt(3)
	buffer_store_dword v56, off, s[0:3], 0 offset:196
	s_waitcnt vmcnt(3)
	buffer_store_dword v57, v0, s[0:3], 0 offen offset:4
	s_waitcnt vmcnt(3)
	buffer_store_dword v58, v0, s[0:3], 0 offen
.LBB90_174:
	s_or_b64 exec, exec, s[4:5]
	v_pk_mov_b32 v[0:1], s[10:11], s[10:11] op_sel:[0,1]
	flat_load_dword v0, v[0:1] offset:92
	s_waitcnt vmcnt(0) lgkmcnt(0)
	v_add_u32_e32 v0, -1, v0
	v_cmp_ne_u32_e32 vcc, 23, v0
	s_and_saveexec_b64 s[4:5], vcc
	s_cbranch_execz .LBB90_176
; %bb.175:
	v_mov_b32_e32 v1, 0
	v_lshl_add_u32 v0, v0, 3, v1
	buffer_load_dword v1, v0, s[0:3], 0 offen
	buffer_load_dword v56, v0, s[0:3], 0 offen offset:4
	buffer_load_dword v57, off, s[0:3], 0 offset:184
	buffer_load_dword v58, off, s[0:3], 0 offset:188
	s_waitcnt vmcnt(3)
	buffer_store_dword v1, off, s[0:3], 0 offset:184
	s_waitcnt vmcnt(3)
	buffer_store_dword v56, off, s[0:3], 0 offset:188
	s_waitcnt vmcnt(3)
	buffer_store_dword v57, v0, s[0:3], 0 offen
	s_waitcnt vmcnt(3)
	buffer_store_dword v58, v0, s[0:3], 0 offen offset:4
.LBB90_176:
	s_or_b64 exec, exec, s[4:5]
	v_pk_mov_b32 v[0:1], s[10:11], s[10:11] op_sel:[0,1]
	flat_load_dword v0, v[0:1] offset:88
	s_waitcnt vmcnt(0) lgkmcnt(0)
	v_add_u32_e32 v0, -1, v0
	v_cmp_ne_u32_e32 vcc, 22, v0
	s_and_saveexec_b64 s[4:5], vcc
	s_cbranch_execz .LBB90_178
; %bb.177:
	v_mov_b32_e32 v1, 0
	v_lshl_add_u32 v0, v0, 3, v1
	buffer_load_dword v1, v0, s[0:3], 0 offen
	buffer_load_dword v56, v0, s[0:3], 0 offen offset:4
	buffer_load_dword v57, off, s[0:3], 0 offset:180
	buffer_load_dword v58, off, s[0:3], 0 offset:176
	s_waitcnt vmcnt(3)
	buffer_store_dword v1, off, s[0:3], 0 offset:176
	s_waitcnt vmcnt(3)
	buffer_store_dword v56, off, s[0:3], 0 offset:180
	s_waitcnt vmcnt(3)
	buffer_store_dword v57, v0, s[0:3], 0 offen offset:4
	s_waitcnt vmcnt(3)
	buffer_store_dword v58, v0, s[0:3], 0 offen
.LBB90_178:
	s_or_b64 exec, exec, s[4:5]
	v_pk_mov_b32 v[0:1], s[10:11], s[10:11] op_sel:[0,1]
	flat_load_dword v0, v[0:1] offset:84
	s_waitcnt vmcnt(0) lgkmcnt(0)
	v_add_u32_e32 v0, -1, v0
	v_cmp_ne_u32_e32 vcc, 21, v0
	s_and_saveexec_b64 s[4:5], vcc
	s_cbranch_execz .LBB90_180
; %bb.179:
	v_mov_b32_e32 v1, 0
	v_lshl_add_u32 v0, v0, 3, v1
	buffer_load_dword v1, v0, s[0:3], 0 offen
	buffer_load_dword v56, v0, s[0:3], 0 offen offset:4
	buffer_load_dword v57, off, s[0:3], 0 offset:168
	buffer_load_dword v58, off, s[0:3], 0 offset:172
	s_waitcnt vmcnt(3)
	buffer_store_dword v1, off, s[0:3], 0 offset:168
	s_waitcnt vmcnt(3)
	buffer_store_dword v56, off, s[0:3], 0 offset:172
	s_waitcnt vmcnt(3)
	buffer_store_dword v57, v0, s[0:3], 0 offen
	s_waitcnt vmcnt(3)
	buffer_store_dword v58, v0, s[0:3], 0 offen offset:4
.LBB90_180:
	;; [unrolled: 48-line block ×12, first 2 shown]
	s_or_b64 exec, exec, s[4:5]
	v_pk_mov_b32 v[0:1], s[10:11], s[10:11] op_sel:[0,1]
	flat_load_dword v56, v[0:1]
	s_nop 0
	buffer_load_dword v0, off, s[0:3], 0
	buffer_load_dword v1, off, s[0:3], 0 offset:4
	s_waitcnt vmcnt(0) lgkmcnt(0)
	v_add_u32_e32 v56, -1, v56
	v_cmp_ne_u32_e32 vcc, 0, v56
	s_and_saveexec_b64 s[4:5], vcc
	s_cbranch_execz .LBB90_222
; %bb.221:
	v_mov_b32_e32 v57, 0
	v_lshl_add_u32 v56, v56, 3, v57
	buffer_load_dword v57, v56, s[0:3], 0 offen offset:4
	buffer_load_dword v58, v56, s[0:3], 0 offen
	s_waitcnt vmcnt(1)
	buffer_store_dword v57, off, s[0:3], 0 offset:4
	s_waitcnt vmcnt(1)
	buffer_store_dword v58, off, s[0:3], 0
	buffer_store_dword v1, v56, s[0:3], 0 offen offset:4
	buffer_store_dword v0, v56, s[0:3], 0 offen
	buffer_load_dword v0, off, s[0:3], 0
	s_nop 0
	buffer_load_dword v1, off, s[0:3], 0 offset:4
.LBB90_222:
	s_or_b64 exec, exec, s[4:5]
.LBB90_223:
	buffer_load_dword v56, off, s[0:3], 0 offset:8
	buffer_load_dword v57, off, s[0:3], 0 offset:12
	;; [unrolled: 1-line block ×52, first 2 shown]
	s_waitcnt vmcnt(52)
	global_store_dwordx2 v[2:3], v[0:1], off
	s_waitcnt vmcnt(51)
	global_store_dwordx2 v[48:49], v[56:57], off
	;; [unrolled: 2-line block ×27, first 2 shown]
	s_endpgm
	.section	.rodata,"a",@progbits
	.p2align	6, 0x0
	.amdhsa_kernel _ZN9rocsolver6v33100L18getri_kernel_smallILi27EdPKPdEEvT1_iilPiilS6_bb
		.amdhsa_group_segment_fixed_size 440
		.amdhsa_private_segment_fixed_size 224
		.amdhsa_kernarg_size 60
		.amdhsa_user_sgpr_count 8
		.amdhsa_user_sgpr_private_segment_buffer 1
		.amdhsa_user_sgpr_dispatch_ptr 0
		.amdhsa_user_sgpr_queue_ptr 0
		.amdhsa_user_sgpr_kernarg_segment_ptr 1
		.amdhsa_user_sgpr_dispatch_id 0
		.amdhsa_user_sgpr_flat_scratch_init 1
		.amdhsa_user_sgpr_kernarg_preload_length 0
		.amdhsa_user_sgpr_kernarg_preload_offset 0
		.amdhsa_user_sgpr_private_segment_size 0
		.amdhsa_uses_dynamic_stack 0
		.amdhsa_system_sgpr_private_segment_wavefront_offset 1
		.amdhsa_system_sgpr_workgroup_id_x 1
		.amdhsa_system_sgpr_workgroup_id_y 0
		.amdhsa_system_sgpr_workgroup_id_z 0
		.amdhsa_system_sgpr_workgroup_info 0
		.amdhsa_system_vgpr_workitem_id 0
		.amdhsa_next_free_vgpr 124
		.amdhsa_next_free_sgpr 22
		.amdhsa_accum_offset 124
		.amdhsa_reserve_vcc 1
		.amdhsa_reserve_flat_scratch 1
		.amdhsa_float_round_mode_32 0
		.amdhsa_float_round_mode_16_64 0
		.amdhsa_float_denorm_mode_32 3
		.amdhsa_float_denorm_mode_16_64 3
		.amdhsa_dx10_clamp 1
		.amdhsa_ieee_mode 1
		.amdhsa_fp16_overflow 0
		.amdhsa_tg_split 0
		.amdhsa_exception_fp_ieee_invalid_op 0
		.amdhsa_exception_fp_denorm_src 0
		.amdhsa_exception_fp_ieee_div_zero 0
		.amdhsa_exception_fp_ieee_overflow 0
		.amdhsa_exception_fp_ieee_underflow 0
		.amdhsa_exception_fp_ieee_inexact 0
		.amdhsa_exception_int_div_zero 0
	.end_amdhsa_kernel
	.section	.text._ZN9rocsolver6v33100L18getri_kernel_smallILi27EdPKPdEEvT1_iilPiilS6_bb,"axG",@progbits,_ZN9rocsolver6v33100L18getri_kernel_smallILi27EdPKPdEEvT1_iilPiilS6_bb,comdat
.Lfunc_end90:
	.size	_ZN9rocsolver6v33100L18getri_kernel_smallILi27EdPKPdEEvT1_iilPiilS6_bb, .Lfunc_end90-_ZN9rocsolver6v33100L18getri_kernel_smallILi27EdPKPdEEvT1_iilPiilS6_bb
                                        ; -- End function
	.section	.AMDGPU.csdata,"",@progbits
; Kernel info:
; codeLenInByte = 24092
; NumSgprs: 28
; NumVgprs: 124
; NumAgprs: 0
; TotalNumVgprs: 124
; ScratchSize: 224
; MemoryBound: 0
; FloatMode: 240
; IeeeMode: 1
; LDSByteSize: 440 bytes/workgroup (compile time only)
; SGPRBlocks: 3
; VGPRBlocks: 15
; NumSGPRsForWavesPerEU: 28
; NumVGPRsForWavesPerEU: 124
; AccumOffset: 124
; Occupancy: 4
; WaveLimiterHint : 1
; COMPUTE_PGM_RSRC2:SCRATCH_EN: 1
; COMPUTE_PGM_RSRC2:USER_SGPR: 8
; COMPUTE_PGM_RSRC2:TRAP_HANDLER: 0
; COMPUTE_PGM_RSRC2:TGID_X_EN: 1
; COMPUTE_PGM_RSRC2:TGID_Y_EN: 0
; COMPUTE_PGM_RSRC2:TGID_Z_EN: 0
; COMPUTE_PGM_RSRC2:TIDIG_COMP_CNT: 0
; COMPUTE_PGM_RSRC3_GFX90A:ACCUM_OFFSET: 30
; COMPUTE_PGM_RSRC3_GFX90A:TG_SPLIT: 0
	.section	.text._ZN9rocsolver6v33100L18getri_kernel_smallILi28EdPKPdEEvT1_iilPiilS6_bb,"axG",@progbits,_ZN9rocsolver6v33100L18getri_kernel_smallILi28EdPKPdEEvT1_iilPiilS6_bb,comdat
	.globl	_ZN9rocsolver6v33100L18getri_kernel_smallILi28EdPKPdEEvT1_iilPiilS6_bb ; -- Begin function _ZN9rocsolver6v33100L18getri_kernel_smallILi28EdPKPdEEvT1_iilPiilS6_bb
	.p2align	8
	.type	_ZN9rocsolver6v33100L18getri_kernel_smallILi28EdPKPdEEvT1_iilPiilS6_bb,@function
_ZN9rocsolver6v33100L18getri_kernel_smallILi28EdPKPdEEvT1_iilPiilS6_bb: ; @_ZN9rocsolver6v33100L18getri_kernel_smallILi28EdPKPdEEvT1_iilPiilS6_bb
; %bb.0:
	s_add_u32 flat_scratch_lo, s6, s9
	s_addc_u32 flat_scratch_hi, s7, 0
	s_add_u32 s0, s0, s9
	s_addc_u32 s1, s1, 0
	v_cmp_gt_u32_e32 vcc, 28, v0
	s_and_saveexec_b64 s[6:7], vcc
	s_cbranch_execz .LBB91_120
; %bb.1:
	s_load_dword s20, s[4:5], 0x38
	s_load_dwordx2 s[6:7], s[4:5], 0x0
	s_load_dwordx4 s[12:15], s[4:5], 0x28
	s_waitcnt lgkmcnt(0)
	s_bitcmp1_b32 s20, 8
	s_cselect_b64 s[16:17], -1, 0
	s_ashr_i32 s9, s8, 31
	s_lshl_b64 s[10:11], s[8:9], 3
	s_add_u32 s6, s6, s10
	s_addc_u32 s7, s7, s11
	s_load_dwordx2 s[18:19], s[6:7], 0x0
	s_bfe_u32 s6, s20, 0x10008
	s_cmp_eq_u32 s6, 0
                                        ; implicit-def: $sgpr10_sgpr11
	s_cbranch_scc1 .LBB91_3
; %bb.2:
	s_load_dword s6, s[4:5], 0x20
	s_load_dwordx2 s[10:11], s[4:5], 0x18
	s_mul_i32 s7, s8, s13
	s_mul_hi_u32 s13, s8, s12
	s_add_i32 s13, s13, s7
	s_mul_i32 s21, s9, s12
	s_add_i32 s13, s13, s21
	s_mul_i32 s12, s8, s12
	s_waitcnt lgkmcnt(0)
	s_ashr_i32 s7, s6, 31
	s_lshl_b64 s[12:13], s[12:13], 2
	s_add_u32 s10, s10, s12
	s_addc_u32 s11, s11, s13
	s_lshl_b64 s[6:7], s[6:7], 2
	s_add_u32 s10, s10, s6
	s_addc_u32 s11, s11, s7
.LBB91_3:
	s_load_dwordx2 s[6:7], s[4:5], 0x8
	v_lshlrev_b32_e32 v1, 3, v0
	s_waitcnt lgkmcnt(0)
	s_ashr_i32 s5, s6, 31
	s_mov_b32 s4, s6
	s_lshl_b64 s[4:5], s[4:5], 3
	s_add_u32 s4, s18, s4
	s_addc_u32 s5, s19, s5
	s_add_i32 s6, s7, s7
	v_add_u32_e32 v4, s6, v0
	v_ashrrev_i32_e32 v5, 31, v4
	v_lshlrev_b64 v[2:3], 3, v[4:5]
	v_add_u32_e32 v6, s7, v4
	v_mov_b32_e32 v5, s5
	v_add_co_u32_e32 v2, vcc, s4, v2
	v_ashrrev_i32_e32 v7, 31, v6
	v_addc_co_u32_e32 v3, vcc, v5, v3, vcc
	v_lshlrev_b64 v[4:5], 3, v[6:7]
	v_add_u32_e32 v8, s7, v6
	v_mov_b32_e32 v7, s5
	v_add_co_u32_e32 v4, vcc, s4, v4
	v_ashrrev_i32_e32 v9, 31, v8
	v_addc_co_u32_e32 v5, vcc, v7, v5, vcc
	v_lshlrev_b64 v[6:7], 3, v[8:9]
	v_add_u32_e32 v10, s7, v8
	v_mov_b32_e32 v9, s5
	v_add_co_u32_e32 v6, vcc, s4, v6
	v_ashrrev_i32_e32 v11, 31, v10
	v_addc_co_u32_e32 v7, vcc, v9, v7, vcc
	v_lshlrev_b64 v[8:9], 3, v[10:11]
	v_add_u32_e32 v12, s7, v10
	v_mov_b32_e32 v11, s5
	v_add_co_u32_e32 v8, vcc, s4, v8
	v_ashrrev_i32_e32 v13, 31, v12
	v_addc_co_u32_e32 v9, vcc, v11, v9, vcc
	v_lshlrev_b64 v[10:11], 3, v[12:13]
	v_add_u32_e32 v14, s7, v12
	v_mov_b32_e32 v13, s5
	v_add_co_u32_e32 v10, vcc, s4, v10
	v_ashrrev_i32_e32 v15, 31, v14
	v_addc_co_u32_e32 v11, vcc, v13, v11, vcc
	v_lshlrev_b64 v[12:13], 3, v[14:15]
	v_add_u32_e32 v16, s7, v14
	v_mov_b32_e32 v15, s5
	v_add_co_u32_e32 v12, vcc, s4, v12
	v_ashrrev_i32_e32 v17, 31, v16
	v_addc_co_u32_e32 v13, vcc, v15, v13, vcc
	v_lshlrev_b64 v[14:15], 3, v[16:17]
	v_add_u32_e32 v18, s7, v16
	v_mov_b32_e32 v17, s5
	v_add_co_u32_e32 v14, vcc, s4, v14
	v_ashrrev_i32_e32 v19, 31, v18
	v_addc_co_u32_e32 v15, vcc, v17, v15, vcc
	v_lshlrev_b64 v[16:17], 3, v[18:19]
	v_add_u32_e32 v20, s7, v18
	v_mov_b32_e32 v19, s5
	v_add_co_u32_e32 v16, vcc, s4, v16
	v_ashrrev_i32_e32 v21, 31, v20
	v_addc_co_u32_e32 v17, vcc, v19, v17, vcc
	v_lshlrev_b64 v[18:19], 3, v[20:21]
	v_add_u32_e32 v22, s7, v20
	v_mov_b32_e32 v21, s5
	v_add_co_u32_e32 v18, vcc, s4, v18
	v_ashrrev_i32_e32 v23, 31, v22
	v_addc_co_u32_e32 v19, vcc, v21, v19, vcc
	v_lshlrev_b64 v[20:21], 3, v[22:23]
	v_add_u32_e32 v24, s7, v22
	v_mov_b32_e32 v23, s5
	v_add_co_u32_e32 v20, vcc, s4, v20
	v_ashrrev_i32_e32 v25, 31, v24
	v_addc_co_u32_e32 v21, vcc, v23, v21, vcc
	v_lshlrev_b64 v[22:23], 3, v[24:25]
	v_add_u32_e32 v26, s7, v24
	v_mov_b32_e32 v25, s5
	v_add_co_u32_e32 v22, vcc, s4, v22
	v_ashrrev_i32_e32 v27, 31, v26
	v_addc_co_u32_e32 v23, vcc, v25, v23, vcc
	v_lshlrev_b64 v[24:25], 3, v[26:27]
	v_add_u32_e32 v28, s7, v26
	v_mov_b32_e32 v27, s5
	v_add_co_u32_e32 v24, vcc, s4, v24
	v_ashrrev_i32_e32 v29, 31, v28
	v_addc_co_u32_e32 v25, vcc, v27, v25, vcc
	v_lshlrev_b64 v[26:27], 3, v[28:29]
	v_add_u32_e32 v30, s7, v28
	v_mov_b32_e32 v29, s5
	v_add_co_u32_e32 v26, vcc, s4, v26
	v_ashrrev_i32_e32 v31, 31, v30
	v_addc_co_u32_e32 v27, vcc, v29, v27, vcc
	v_lshlrev_b64 v[28:29], 3, v[30:31]
	v_add_u32_e32 v32, s7, v30
	v_mov_b32_e32 v31, s5
	v_add_co_u32_e32 v28, vcc, s4, v28
	v_ashrrev_i32_e32 v33, 31, v32
	v_addc_co_u32_e32 v29, vcc, v31, v29, vcc
	v_lshlrev_b64 v[30:31], 3, v[32:33]
	v_add_u32_e32 v34, s7, v32
	v_mov_b32_e32 v33, s5
	v_add_co_u32_e32 v30, vcc, s4, v30
	v_ashrrev_i32_e32 v35, 31, v34
	v_addc_co_u32_e32 v31, vcc, v33, v31, vcc
	v_lshlrev_b64 v[32:33], 3, v[34:35]
	v_add_u32_e32 v36, s7, v34
	v_mov_b32_e32 v35, s5
	v_add_co_u32_e32 v32, vcc, s4, v32
	v_ashrrev_i32_e32 v37, 31, v36
	v_addc_co_u32_e32 v33, vcc, v35, v33, vcc
	v_lshlrev_b64 v[34:35], 3, v[36:37]
	v_add_u32_e32 v38, s7, v36
	v_mov_b32_e32 v37, s5
	v_add_co_u32_e32 v34, vcc, s4, v34
	v_ashrrev_i32_e32 v39, 31, v38
	v_addc_co_u32_e32 v35, vcc, v37, v35, vcc
	v_lshlrev_b64 v[36:37], 3, v[38:39]
	v_add_u32_e32 v40, s7, v38
	v_mov_b32_e32 v39, s5
	v_add_co_u32_e32 v36, vcc, s4, v36
	v_ashrrev_i32_e32 v41, 31, v40
	v_addc_co_u32_e32 v37, vcc, v39, v37, vcc
	v_lshlrev_b64 v[38:39], 3, v[40:41]
	v_add_u32_e32 v42, s7, v40
	v_mov_b32_e32 v41, s5
	v_add_co_u32_e32 v38, vcc, s4, v38
	v_ashrrev_i32_e32 v43, 31, v42
	v_addc_co_u32_e32 v39, vcc, v41, v39, vcc
	v_lshlrev_b64 v[40:41], 3, v[42:43]
	v_add_u32_e32 v44, s7, v42
	v_mov_b32_e32 v43, s5
	v_add_co_u32_e32 v40, vcc, s4, v40
	v_ashrrev_i32_e32 v45, 31, v44
	v_addc_co_u32_e32 v41, vcc, v43, v41, vcc
	v_lshlrev_b64 v[42:43], 3, v[44:45]
	v_add_u32_e32 v46, s7, v44
	v_mov_b32_e32 v45, s5
	v_add_co_u32_e32 v42, vcc, s4, v42
	v_ashrrev_i32_e32 v47, 31, v46
	v_addc_co_u32_e32 v43, vcc, v45, v43, vcc
	v_lshlrev_b64 v[44:45], 3, v[46:47]
	v_mov_b32_e32 v47, s5
	v_add_co_u32_e32 v44, vcc, s4, v44
	v_addc_co_u32_e32 v45, vcc, v47, v45, vcc
	v_mov_b32_e32 v49, s5
	v_add_co_u32_e32 v48, vcc, s4, v1
	s_ashr_i32 s13, s7, 31
	s_mov_b32 s12, s7
	v_add_u32_e32 v52, s7, v46
	v_addc_co_u32_e32 v49, vcc, 0, v49, vcc
	s_lshl_b64 s[12:13], s[12:13], 3
	v_ashrrev_i32_e32 v53, 31, v52
	v_mov_b32_e32 v51, s13
	v_add_co_u32_e32 v50, vcc, s12, v48
	v_lshlrev_b64 v[46:47], 3, v[52:53]
	v_addc_co_u32_e32 v51, vcc, v49, v51, vcc
	v_add_u32_e32 v54, s7, v52
	v_mov_b32_e32 v53, s5
	v_add_co_u32_e32 v46, vcc, s4, v46
	v_ashrrev_i32_e32 v55, 31, v54
	v_addc_co_u32_e32 v47, vcc, v53, v47, vcc
	v_lshlrev_b64 v[52:53], 3, v[54:55]
	v_add_u32_e32 v56, s7, v54
	v_mov_b32_e32 v55, s5
	v_add_co_u32_e32 v52, vcc, s4, v52
	v_ashrrev_i32_e32 v57, 31, v56
	v_addc_co_u32_e32 v53, vcc, v55, v53, vcc
	v_lshlrev_b64 v[54:55], 3, v[56:57]
	v_mov_b32_e32 v57, s5
	v_add_co_u32_e32 v54, vcc, s4, v54
	global_load_dwordx2 v[58:59], v1, s[4:5]
	global_load_dwordx2 v[60:61], v[50:51], off
	global_load_dwordx2 v[62:63], v[2:3], off
	;; [unrolled: 1-line block ×18, first 2 shown]
	v_addc_co_u32_e32 v55, vcc, v57, v55, vcc
	global_load_dwordx2 v[96:97], v[36:37], off
	global_load_dwordx2 v[98:99], v[38:39], off
	;; [unrolled: 1-line block ×8, first 2 shown]
	v_add_u32_e32 v56, s7, v56
	v_ashrrev_i32_e32 v57, 31, v56
	v_lshlrev_b64 v[56:57], 3, v[56:57]
	v_mov_b32_e32 v112, s5
	v_add_co_u32_e32 v56, vcc, s4, v56
	v_addc_co_u32_e32 v57, vcc, v112, v57, vcc
	global_load_dwordx2 v[112:113], v[56:57], off
	s_bitcmp0_b32 s20, 0
	s_mov_b64 s[6:7], -1
	s_waitcnt vmcnt(27)
	buffer_store_dword v59, off, s[0:3], 0 offset:4
	buffer_store_dword v58, off, s[0:3], 0
	s_waitcnt vmcnt(28)
	buffer_store_dword v61, off, s[0:3], 0 offset:12
	buffer_store_dword v60, off, s[0:3], 0 offset:8
	s_waitcnt vmcnt(29)
	buffer_store_dword v63, off, s[0:3], 0 offset:20
	buffer_store_dword v62, off, s[0:3], 0 offset:16
	s_waitcnt vmcnt(30)
	buffer_store_dword v65, off, s[0:3], 0 offset:28
	buffer_store_dword v64, off, s[0:3], 0 offset:24
	s_waitcnt vmcnt(31)
	buffer_store_dword v67, off, s[0:3], 0 offset:36
	buffer_store_dword v66, off, s[0:3], 0 offset:32
	s_waitcnt vmcnt(32)
	buffer_store_dword v69, off, s[0:3], 0 offset:44
	buffer_store_dword v68, off, s[0:3], 0 offset:40
	s_waitcnt vmcnt(33)
	buffer_store_dword v71, off, s[0:3], 0 offset:52
	buffer_store_dword v70, off, s[0:3], 0 offset:48
	s_waitcnt vmcnt(34)
	buffer_store_dword v73, off, s[0:3], 0 offset:60
	buffer_store_dword v72, off, s[0:3], 0 offset:56
	s_waitcnt vmcnt(35)
	buffer_store_dword v75, off, s[0:3], 0 offset:68
	buffer_store_dword v74, off, s[0:3], 0 offset:64
	s_waitcnt vmcnt(36)
	buffer_store_dword v76, off, s[0:3], 0 offset:72
	buffer_store_dword v77, off, s[0:3], 0 offset:76
	s_waitcnt vmcnt(37)
	buffer_store_dword v78, off, s[0:3], 0 offset:80
	buffer_store_dword v79, off, s[0:3], 0 offset:84
	s_waitcnt vmcnt(38)
	buffer_store_dword v80, off, s[0:3], 0 offset:88
	buffer_store_dword v81, off, s[0:3], 0 offset:92
	s_waitcnt vmcnt(39)
	buffer_store_dword v82, off, s[0:3], 0 offset:96
	buffer_store_dword v83, off, s[0:3], 0 offset:100
	s_waitcnt vmcnt(40)
	buffer_store_dword v84, off, s[0:3], 0 offset:104
	buffer_store_dword v85, off, s[0:3], 0 offset:108
	s_waitcnt vmcnt(41)
	buffer_store_dword v87, off, s[0:3], 0 offset:116
	buffer_store_dword v86, off, s[0:3], 0 offset:112
	s_waitcnt vmcnt(42)
	buffer_store_dword v88, off, s[0:3], 0 offset:120
	buffer_store_dword v89, off, s[0:3], 0 offset:124
	s_waitcnt vmcnt(43)
	buffer_store_dword v90, off, s[0:3], 0 offset:128
	buffer_store_dword v91, off, s[0:3], 0 offset:132
	s_waitcnt vmcnt(44)
	buffer_store_dword v92, off, s[0:3], 0 offset:136
	buffer_store_dword v93, off, s[0:3], 0 offset:140
	s_waitcnt vmcnt(45)
	buffer_store_dword v94, off, s[0:3], 0 offset:144
	buffer_store_dword v95, off, s[0:3], 0 offset:148
	s_waitcnt vmcnt(46)
	buffer_store_dword v97, off, s[0:3], 0 offset:156
	buffer_store_dword v96, off, s[0:3], 0 offset:152
	s_waitcnt vmcnt(47)
	buffer_store_dword v99, off, s[0:3], 0 offset:164
	buffer_store_dword v98, off, s[0:3], 0 offset:160
	s_waitcnt vmcnt(48)
	buffer_store_dword v100, off, s[0:3], 0 offset:168
	buffer_store_dword v101, off, s[0:3], 0 offset:172
	s_waitcnt vmcnt(49)
	buffer_store_dword v102, off, s[0:3], 0 offset:176
	buffer_store_dword v103, off, s[0:3], 0 offset:180
	s_waitcnt vmcnt(50)
	buffer_store_dword v104, off, s[0:3], 0 offset:184
	buffer_store_dword v105, off, s[0:3], 0 offset:188
	s_waitcnt vmcnt(51)
	buffer_store_dword v106, off, s[0:3], 0 offset:192
	buffer_store_dword v107, off, s[0:3], 0 offset:196
	s_waitcnt vmcnt(52)
	buffer_store_dword v109, off, s[0:3], 0 offset:204
	buffer_store_dword v108, off, s[0:3], 0 offset:200
	s_waitcnt vmcnt(53)
	buffer_store_dword v111, off, s[0:3], 0 offset:212
	buffer_store_dword v110, off, s[0:3], 0 offset:208
	s_waitcnt vmcnt(54)
	buffer_store_dword v112, off, s[0:3], 0 offset:216
	buffer_store_dword v113, off, s[0:3], 0 offset:220
	s_cbranch_scc1 .LBB91_118
; %bb.4:
	v_cmp_eq_u32_e64 s[4:5], 0, v0
	s_and_saveexec_b64 s[6:7], s[4:5]
	s_cbranch_execz .LBB91_6
; %bb.5:
	v_mov_b32_e32 v58, 0
	ds_write_b32 v58, v58 offset:448
.LBB91_6:
	s_or_b64 exec, exec, s[6:7]
	v_mov_b32_e32 v58, 0
	v_lshl_add_u32 v58, v0, 3, v58
	s_waitcnt lgkmcnt(0)
	; wave barrier
	s_waitcnt lgkmcnt(0)
	buffer_load_dword v60, v58, s[0:3], 0 offen
	buffer_load_dword v61, v58, s[0:3], 0 offen offset:4
	s_waitcnt vmcnt(0)
	v_cmp_eq_f64_e32 vcc, 0, v[60:61]
	s_and_saveexec_b64 s[12:13], vcc
	s_cbranch_execz .LBB91_10
; %bb.7:
	v_mov_b32_e32 v59, 0
	ds_read_b32 v61, v59 offset:448
	v_add_u32_e32 v60, 1, v0
	s_waitcnt lgkmcnt(0)
	v_readfirstlane_b32 s6, v61
	s_cmp_eq_u32 s6, 0
	s_cselect_b64 s[18:19], -1, 0
	v_cmp_gt_i32_e32 vcc, s6, v60
	s_or_b64 s[18:19], s[18:19], vcc
	s_and_b64 exec, exec, s[18:19]
	s_cbranch_execz .LBB91_10
; %bb.8:
	s_mov_b64 s[18:19], 0
	v_mov_b32_e32 v61, s6
.LBB91_9:                               ; =>This Inner Loop Header: Depth=1
	ds_cmpst_rtn_b32 v61, v59, v61, v60 offset:448
	s_waitcnt lgkmcnt(0)
	v_cmp_ne_u32_e32 vcc, 0, v61
	v_cmp_le_i32_e64 s[6:7], v61, v60
	s_and_b64 s[6:7], vcc, s[6:7]
	s_and_b64 s[6:7], exec, s[6:7]
	s_or_b64 s[18:19], s[6:7], s[18:19]
	s_andn2_b64 exec, exec, s[18:19]
	s_cbranch_execnz .LBB91_9
.LBB91_10:
	s_or_b64 exec, exec, s[12:13]
	v_mov_b32_e32 v60, 0
	s_waitcnt lgkmcnt(0)
	; wave barrier
	ds_read_b32 v59, v60 offset:448
	s_and_saveexec_b64 s[6:7], s[4:5]
	s_cbranch_execz .LBB91_12
; %bb.11:
	s_lshl_b64 s[12:13], s[8:9], 2
	s_add_u32 s12, s14, s12
	s_addc_u32 s13, s15, s13
	s_waitcnt lgkmcnt(0)
	global_store_dword v60, v59, s[12:13]
.LBB91_12:
	s_or_b64 exec, exec, s[6:7]
	s_waitcnt lgkmcnt(0)
	v_cmp_ne_u32_e32 vcc, 0, v59
	s_mov_b64 s[6:7], 0
	s_cbranch_vccnz .LBB91_118
; %bb.13:
	buffer_load_dword v60, v58, s[0:3], 0 offen
	buffer_load_dword v61, v58, s[0:3], 0 offen offset:4
	s_waitcnt vmcnt(0)
	v_div_scale_f64 v[62:63], s[6:7], v[60:61], v[60:61], 1.0
	v_rcp_f64_e32 v[64:65], v[62:63]
	v_div_scale_f64 v[66:67], vcc, 1.0, v[60:61], 1.0
	v_fma_f64 v[68:69], -v[62:63], v[64:65], 1.0
	v_fmac_f64_e32 v[64:65], v[64:65], v[68:69]
	v_fma_f64 v[68:69], -v[62:63], v[64:65], 1.0
	v_fmac_f64_e32 v[64:65], v[64:65], v[68:69]
	v_mul_f64 v[68:69], v[66:67], v[64:65]
	v_fma_f64 v[62:63], -v[62:63], v[68:69], v[66:67]
	v_div_fmas_f64 v[62:63], v[62:63], v[64:65], v[68:69]
	v_div_fixup_f64 v[62:63], v[62:63], v[60:61], 1.0
	buffer_store_dword v63, v58, s[0:3], 0 offen offset:4
	buffer_store_dword v62, v58, s[0:3], 0 offen
	buffer_load_dword v65, off, s[0:3], 0 offset:12
	buffer_load_dword v64, off, s[0:3], 0 offset:8
	v_add_u32_e32 v60, 0xe0, v1
	v_xor_b32_e32 v63, 0x80000000, v63
	s_waitcnt vmcnt(0)
	ds_write2_b64 v1, v[62:63], v[64:65] offset1:28
	s_waitcnt lgkmcnt(0)
	; wave barrier
	s_waitcnt lgkmcnt(0)
	s_and_saveexec_b64 s[6:7], s[4:5]
	s_cbranch_execz .LBB91_15
; %bb.14:
	buffer_load_dword v62, v58, s[0:3], 0 offen
	buffer_load_dword v63, v58, s[0:3], 0 offen offset:4
	v_mov_b32_e32 v59, 0
	ds_read_b64 v[64:65], v60
	ds_read_b64 v[66:67], v59 offset:8
	s_waitcnt vmcnt(0) lgkmcnt(1)
	v_fma_f64 v[62:63], v[62:63], v[64:65], 0
	s_waitcnt lgkmcnt(0)
	v_mul_f64 v[62:63], v[62:63], v[66:67]
	buffer_store_dword v62, off, s[0:3], 0 offset:8
	buffer_store_dword v63, off, s[0:3], 0 offset:12
.LBB91_15:
	s_or_b64 exec, exec, s[6:7]
	s_waitcnt lgkmcnt(0)
	; wave barrier
	buffer_load_dword v62, off, s[0:3], 0 offset:16
	buffer_load_dword v63, off, s[0:3], 0 offset:20
	v_cmp_gt_u32_e32 vcc, 2, v0
	s_waitcnt vmcnt(0)
	ds_write_b64 v60, v[62:63]
	s_waitcnt lgkmcnt(0)
	; wave barrier
	s_waitcnt lgkmcnt(0)
	s_and_saveexec_b64 s[6:7], vcc
	s_cbranch_execz .LBB91_17
; %bb.16:
	buffer_load_dword v59, v58, s[0:3], 0 offen offset:4
	buffer_load_dword v66, off, s[0:3], 0 offset:8
	s_nop 0
	buffer_load_dword v58, v58, s[0:3], 0 offen
	s_nop 0
	buffer_load_dword v67, off, s[0:3], 0 offset:12
	ds_read_b64 v[68:69], v60
	v_mov_b32_e32 v61, 0
	ds_read2_b64 v[62:65], v61 offset0:2 offset1:29
	s_waitcnt vmcnt(1) lgkmcnt(1)
	v_fma_f64 v[58:59], v[58:59], v[68:69], 0
	s_waitcnt vmcnt(0) lgkmcnt(0)
	v_fma_f64 v[64:65], v[66:67], v[64:65], v[58:59]
	v_cndmask_b32_e64 v59, v59, v65, s[4:5]
	v_cndmask_b32_e64 v58, v58, v64, s[4:5]
	v_mul_f64 v[58:59], v[58:59], v[62:63]
	buffer_store_dword v59, off, s[0:3], 0 offset:20
	buffer_store_dword v58, off, s[0:3], 0 offset:16
.LBB91_17:
	s_or_b64 exec, exec, s[6:7]
	s_waitcnt lgkmcnt(0)
	; wave barrier
	buffer_load_dword v58, off, s[0:3], 0 offset:24
	buffer_load_dword v59, off, s[0:3], 0 offset:28
	v_cmp_gt_u32_e32 vcc, 3, v0
	v_add_u32_e32 v61, -1, v0
	s_waitcnt vmcnt(0)
	ds_write_b64 v60, v[58:59]
	s_waitcnt lgkmcnt(0)
	; wave barrier
	s_waitcnt lgkmcnt(0)
	s_and_saveexec_b64 s[4:5], vcc
	s_cbranch_execz .LBB91_21
; %bb.18:
	v_add_u32_e32 v62, -1, v0
	v_add_u32_e32 v63, 0xe0, v1
	v_add_u32_e32 v64, 0, v1
	s_mov_b64 s[6:7], 0
	v_pk_mov_b32 v[58:59], 0, 0
.LBB91_19:                              ; =>This Inner Loop Header: Depth=1
	buffer_load_dword v66, v64, s[0:3], 0 offen
	buffer_load_dword v67, v64, s[0:3], 0 offen offset:4
	ds_read_b64 v[68:69], v63
	v_add_u32_e32 v62, 1, v62
	v_cmp_lt_u32_e32 vcc, 1, v62
	v_add_u32_e32 v63, 8, v63
	v_add_u32_e32 v64, 8, v64
	s_or_b64 s[6:7], vcc, s[6:7]
	s_waitcnt vmcnt(0) lgkmcnt(0)
	v_fmac_f64_e32 v[58:59], v[66:67], v[68:69]
	s_andn2_b64 exec, exec, s[6:7]
	s_cbranch_execnz .LBB91_19
; %bb.20:
	s_or_b64 exec, exec, s[6:7]
	v_mov_b32_e32 v62, 0
	ds_read_b64 v[62:63], v62 offset:24
	s_waitcnt lgkmcnt(0)
	v_mul_f64 v[58:59], v[58:59], v[62:63]
	buffer_store_dword v59, off, s[0:3], 0 offset:28
	buffer_store_dword v58, off, s[0:3], 0 offset:24
.LBB91_21:
	s_or_b64 exec, exec, s[4:5]
	s_waitcnt lgkmcnt(0)
	; wave barrier
	buffer_load_dword v58, off, s[0:3], 0 offset:32
	buffer_load_dword v59, off, s[0:3], 0 offset:36
	v_cmp_gt_u32_e32 vcc, 4, v0
	s_waitcnt vmcnt(0)
	ds_write_b64 v60, v[58:59]
	s_waitcnt lgkmcnt(0)
	; wave barrier
	s_waitcnt lgkmcnt(0)
	s_and_saveexec_b64 s[4:5], vcc
	s_cbranch_execz .LBB91_25
; %bb.22:
	v_add_u32_e32 v62, -1, v0
	v_add_u32_e32 v63, 0xe0, v1
	v_add_u32_e32 v64, 0, v1
	s_mov_b64 s[6:7], 0
	v_pk_mov_b32 v[58:59], 0, 0
.LBB91_23:                              ; =>This Inner Loop Header: Depth=1
	buffer_load_dword v66, v64, s[0:3], 0 offen
	buffer_load_dword v67, v64, s[0:3], 0 offen offset:4
	ds_read_b64 v[68:69], v63
	v_add_u32_e32 v62, 1, v62
	v_cmp_lt_u32_e32 vcc, 2, v62
	v_add_u32_e32 v63, 8, v63
	v_add_u32_e32 v64, 8, v64
	s_or_b64 s[6:7], vcc, s[6:7]
	s_waitcnt vmcnt(0) lgkmcnt(0)
	v_fmac_f64_e32 v[58:59], v[66:67], v[68:69]
	s_andn2_b64 exec, exec, s[6:7]
	s_cbranch_execnz .LBB91_23
; %bb.24:
	s_or_b64 exec, exec, s[6:7]
	v_mov_b32_e32 v62, 0
	ds_read_b64 v[62:63], v62 offset:32
	s_waitcnt lgkmcnt(0)
	v_mul_f64 v[58:59], v[58:59], v[62:63]
	buffer_store_dword v59, off, s[0:3], 0 offset:36
	buffer_store_dword v58, off, s[0:3], 0 offset:32
.LBB91_25:
	s_or_b64 exec, exec, s[4:5]
	s_waitcnt lgkmcnt(0)
	; wave barrier
	buffer_load_dword v58, off, s[0:3], 0 offset:40
	buffer_load_dword v59, off, s[0:3], 0 offset:44
	v_cmp_gt_u32_e32 vcc, 5, v0
	;; [unrolled: 41-line block ×21, first 2 shown]
	s_waitcnt vmcnt(0)
	ds_write_b64 v60, v[58:59]
	s_waitcnt lgkmcnt(0)
	; wave barrier
	s_waitcnt lgkmcnt(0)
	s_and_saveexec_b64 s[4:5], vcc
	s_cbranch_execz .LBB91_105
; %bb.102:
	v_add_u32_e32 v62, -1, v0
	v_add_u32_e32 v63, 0xe0, v1
	v_add_u32_e32 v64, 0, v1
	s_mov_b64 s[6:7], 0
	v_pk_mov_b32 v[58:59], 0, 0
.LBB91_103:                             ; =>This Inner Loop Header: Depth=1
	buffer_load_dword v66, v64, s[0:3], 0 offen
	buffer_load_dword v67, v64, s[0:3], 0 offen offset:4
	ds_read_b64 v[68:69], v63
	v_add_u32_e32 v62, 1, v62
	v_cmp_lt_u32_e32 vcc, 22, v62
	v_add_u32_e32 v63, 8, v63
	v_add_u32_e32 v64, 8, v64
	s_or_b64 s[6:7], vcc, s[6:7]
	s_waitcnt vmcnt(0) lgkmcnt(0)
	v_fmac_f64_e32 v[58:59], v[66:67], v[68:69]
	s_andn2_b64 exec, exec, s[6:7]
	s_cbranch_execnz .LBB91_103
; %bb.104:
	s_or_b64 exec, exec, s[6:7]
	v_mov_b32_e32 v62, 0
	ds_read_b64 v[62:63], v62 offset:192
	s_waitcnt lgkmcnt(0)
	v_mul_f64 v[58:59], v[58:59], v[62:63]
	buffer_store_dword v59, off, s[0:3], 0 offset:196
	buffer_store_dword v58, off, s[0:3], 0 offset:192
.LBB91_105:
	s_or_b64 exec, exec, s[4:5]
	s_waitcnt lgkmcnt(0)
	; wave barrier
	buffer_load_dword v58, off, s[0:3], 0 offset:200
	buffer_load_dword v59, off, s[0:3], 0 offset:204
	v_cmp_gt_u32_e32 vcc, 25, v0
	s_waitcnt vmcnt(0)
	ds_write_b64 v60, v[58:59]
	s_waitcnt lgkmcnt(0)
	; wave barrier
	s_waitcnt lgkmcnt(0)
	s_and_saveexec_b64 s[4:5], vcc
	s_cbranch_execz .LBB91_109
; %bb.106:
	v_add_u32_e32 v62, -1, v0
	v_add_u32_e32 v63, 0xe0, v1
	v_add_u32_e32 v64, 0, v1
	s_mov_b64 s[6:7], 0
	v_pk_mov_b32 v[58:59], 0, 0
.LBB91_107:                             ; =>This Inner Loop Header: Depth=1
	buffer_load_dword v66, v64, s[0:3], 0 offen
	buffer_load_dword v67, v64, s[0:3], 0 offen offset:4
	ds_read_b64 v[68:69], v63
	v_add_u32_e32 v62, 1, v62
	v_cmp_lt_u32_e32 vcc, 23, v62
	v_add_u32_e32 v63, 8, v63
	v_add_u32_e32 v64, 8, v64
	s_or_b64 s[6:7], vcc, s[6:7]
	s_waitcnt vmcnt(0) lgkmcnt(0)
	v_fmac_f64_e32 v[58:59], v[66:67], v[68:69]
	s_andn2_b64 exec, exec, s[6:7]
	s_cbranch_execnz .LBB91_107
; %bb.108:
	s_or_b64 exec, exec, s[6:7]
	v_mov_b32_e32 v62, 0
	ds_read_b64 v[62:63], v62 offset:200
	s_waitcnt lgkmcnt(0)
	v_mul_f64 v[58:59], v[58:59], v[62:63]
	buffer_store_dword v59, off, s[0:3], 0 offset:204
	buffer_store_dword v58, off, s[0:3], 0 offset:200
.LBB91_109:
	s_or_b64 exec, exec, s[4:5]
	s_waitcnt lgkmcnt(0)
	; wave barrier
	buffer_load_dword v58, off, s[0:3], 0 offset:208
	buffer_load_dword v59, off, s[0:3], 0 offset:212
	v_cmp_gt_u32_e32 vcc, 26, v0
	s_waitcnt vmcnt(0)
	ds_write_b64 v60, v[58:59]
	s_waitcnt lgkmcnt(0)
	; wave barrier
	s_waitcnt lgkmcnt(0)
	s_and_saveexec_b64 s[4:5], vcc
	s_cbranch_execz .LBB91_113
; %bb.110:
	v_add_u32_e32 v62, -1, v0
	v_add_u32_e32 v63, 0xe0, v1
	v_add_u32_e32 v64, 0, v1
	s_mov_b64 s[6:7], 0
	v_pk_mov_b32 v[58:59], 0, 0
.LBB91_111:                             ; =>This Inner Loop Header: Depth=1
	buffer_load_dword v66, v64, s[0:3], 0 offen
	buffer_load_dword v67, v64, s[0:3], 0 offen offset:4
	ds_read_b64 v[68:69], v63
	v_add_u32_e32 v62, 1, v62
	v_cmp_lt_u32_e32 vcc, 24, v62
	v_add_u32_e32 v63, 8, v63
	v_add_u32_e32 v64, 8, v64
	s_or_b64 s[6:7], vcc, s[6:7]
	s_waitcnt vmcnt(0) lgkmcnt(0)
	v_fmac_f64_e32 v[58:59], v[66:67], v[68:69]
	s_andn2_b64 exec, exec, s[6:7]
	s_cbranch_execnz .LBB91_111
; %bb.112:
	s_or_b64 exec, exec, s[6:7]
	v_mov_b32_e32 v62, 0
	ds_read_b64 v[62:63], v62 offset:208
	s_waitcnt lgkmcnt(0)
	v_mul_f64 v[58:59], v[58:59], v[62:63]
	buffer_store_dword v59, off, s[0:3], 0 offset:212
	buffer_store_dword v58, off, s[0:3], 0 offset:208
.LBB91_113:
	s_or_b64 exec, exec, s[4:5]
	s_waitcnt lgkmcnt(0)
	; wave barrier
	buffer_load_dword v58, off, s[0:3], 0 offset:216
	buffer_load_dword v59, off, s[0:3], 0 offset:220
	v_cmp_ne_u32_e32 vcc, 27, v0
	s_waitcnt vmcnt(0)
	ds_write_b64 v60, v[58:59]
	s_waitcnt lgkmcnt(0)
	; wave barrier
	s_waitcnt lgkmcnt(0)
	s_and_saveexec_b64 s[4:5], vcc
	s_cbranch_execz .LBB91_117
; %bb.114:
	v_add_u32_e32 v60, 0xe0, v1
	v_add_u32_e32 v1, 0, v1
	s_mov_b64 s[6:7], 0
	v_pk_mov_b32 v[58:59], 0, 0
.LBB91_115:                             ; =>This Inner Loop Header: Depth=1
	buffer_load_dword v62, v1, s[0:3], 0 offen
	buffer_load_dword v63, v1, s[0:3], 0 offen offset:4
	ds_read_b64 v[64:65], v60
	v_add_u32_e32 v61, 1, v61
	v_cmp_lt_u32_e32 vcc, 25, v61
	v_add_u32_e32 v60, 8, v60
	v_add_u32_e32 v1, 8, v1
	s_or_b64 s[6:7], vcc, s[6:7]
	s_waitcnt vmcnt(0) lgkmcnt(0)
	v_fmac_f64_e32 v[58:59], v[62:63], v[64:65]
	s_andn2_b64 exec, exec, s[6:7]
	s_cbranch_execnz .LBB91_115
; %bb.116:
	s_or_b64 exec, exec, s[6:7]
	v_mov_b32_e32 v1, 0
	ds_read_b64 v[60:61], v1 offset:216
	s_waitcnt lgkmcnt(0)
	v_mul_f64 v[58:59], v[58:59], v[60:61]
	buffer_store_dword v59, off, s[0:3], 0 offset:220
	buffer_store_dword v58, off, s[0:3], 0 offset:216
.LBB91_117:
	s_or_b64 exec, exec, s[4:5]
	s_mov_b64 s[6:7], -1
	s_waitcnt lgkmcnt(0)
	; wave barrier
.LBB91_118:
	s_and_b64 vcc, exec, s[6:7]
	s_cbranch_vccz .LBB91_120
; %bb.119:
	s_lshl_b64 s[4:5], s[8:9], 2
	s_add_u32 s4, s14, s4
	s_addc_u32 s5, s15, s5
	v_mov_b32_e32 v1, 0
	global_load_dword v1, v1, s[4:5]
	s_waitcnt vmcnt(0)
	v_cmp_ne_u32_e32 vcc, 0, v1
	s_cbranch_vccz .LBB91_121
.LBB91_120:
	s_endpgm
.LBB91_121:
	v_mov_b32_e32 v1, 0xe0
	v_lshl_add_u32 v1, v0, 3, v1
	v_cmp_eq_u32_e32 vcc, 27, v0
	s_and_saveexec_b64 s[4:5], vcc
	s_cbranch_execz .LBB91_123
; %bb.122:
	buffer_load_dword v58, off, s[0:3], 0 offset:208
	buffer_load_dword v59, off, s[0:3], 0 offset:212
	v_mov_b32_e32 v60, 0
	buffer_store_dword v60, off, s[0:3], 0 offset:208
	buffer_store_dword v60, off, s[0:3], 0 offset:212
	s_waitcnt vmcnt(2)
	ds_write_b64 v1, v[58:59]
.LBB91_123:
	s_or_b64 exec, exec, s[4:5]
	s_waitcnt lgkmcnt(0)
	; wave barrier
	s_waitcnt lgkmcnt(0)
	buffer_load_dword v60, off, s[0:3], 0 offset:216
	buffer_load_dword v61, off, s[0:3], 0 offset:220
	;; [unrolled: 1-line block ×4, first 2 shown]
	v_mov_b32_e32 v58, 0
	ds_read_b64 v[64:65], v58 offset:440
	v_cmp_lt_u32_e32 vcc, 25, v0
	s_waitcnt vmcnt(2) lgkmcnt(0)
	v_fma_f64 v[60:61], v[60:61], v[64:65], 0
	s_waitcnt vmcnt(0)
	v_add_f64 v[60:61], v[62:63], -v[60:61]
	buffer_store_dword v60, off, s[0:3], 0 offset:208
	buffer_store_dword v61, off, s[0:3], 0 offset:212
	s_and_saveexec_b64 s[4:5], vcc
	s_cbranch_execz .LBB91_125
; %bb.124:
	buffer_load_dword v60, off, s[0:3], 0 offset:200
	buffer_load_dword v61, off, s[0:3], 0 offset:204
	s_waitcnt vmcnt(0)
	ds_write_b64 v1, v[60:61]
	buffer_store_dword v58, off, s[0:3], 0 offset:200
	buffer_store_dword v58, off, s[0:3], 0 offset:204
.LBB91_125:
	s_or_b64 exec, exec, s[4:5]
	s_waitcnt lgkmcnt(0)
	; wave barrier
	s_waitcnt lgkmcnt(0)
	buffer_load_dword v62, off, s[0:3], 0 offset:208
	buffer_load_dword v63, off, s[0:3], 0 offset:212
	;; [unrolled: 1-line block ×6, first 2 shown]
	ds_read_b128 v[58:61], v58 offset:432
	v_cmp_lt_u32_e32 vcc, 24, v0
	s_waitcnt vmcnt(4) lgkmcnt(0)
	v_fma_f64 v[58:59], v[62:63], v[58:59], 0
	s_waitcnt vmcnt(2)
	v_fmac_f64_e32 v[58:59], v[64:65], v[60:61]
	s_waitcnt vmcnt(0)
	v_add_f64 v[58:59], v[66:67], -v[58:59]
	buffer_store_dword v58, off, s[0:3], 0 offset:200
	buffer_store_dword v59, off, s[0:3], 0 offset:204
	s_and_saveexec_b64 s[4:5], vcc
	s_cbranch_execz .LBB91_127
; %bb.126:
	buffer_load_dword v58, off, s[0:3], 0 offset:192
	buffer_load_dword v59, off, s[0:3], 0 offset:196
	v_mov_b32_e32 v60, 0
	buffer_store_dword v60, off, s[0:3], 0 offset:192
	buffer_store_dword v60, off, s[0:3], 0 offset:196
	s_waitcnt vmcnt(2)
	ds_write_b64 v1, v[58:59]
.LBB91_127:
	s_or_b64 exec, exec, s[4:5]
	s_waitcnt lgkmcnt(0)
	; wave barrier
	s_waitcnt lgkmcnt(0)
	buffer_load_dword v64, off, s[0:3], 0 offset:200
	buffer_load_dword v65, off, s[0:3], 0 offset:204
	;; [unrolled: 1-line block ×8, first 2 shown]
	v_mov_b32_e32 v58, 0
	ds_read2_b64 v[60:63], v58 offset0:53 offset1:54
	ds_read_b64 v[72:73], v58 offset:440
	v_cmp_lt_u32_e32 vcc, 23, v0
	s_waitcnt vmcnt(6) lgkmcnt(1)
	v_fma_f64 v[60:61], v[64:65], v[60:61], 0
	s_waitcnt vmcnt(4)
	v_fmac_f64_e32 v[60:61], v[66:67], v[62:63]
	s_waitcnt vmcnt(2) lgkmcnt(0)
	v_fmac_f64_e32 v[60:61], v[68:69], v[72:73]
	s_waitcnt vmcnt(0)
	v_add_f64 v[60:61], v[70:71], -v[60:61]
	buffer_store_dword v60, off, s[0:3], 0 offset:192
	buffer_store_dword v61, off, s[0:3], 0 offset:196
	s_and_saveexec_b64 s[4:5], vcc
	s_cbranch_execz .LBB91_129
; %bb.128:
	buffer_load_dword v60, off, s[0:3], 0 offset:184
	buffer_load_dword v61, off, s[0:3], 0 offset:188
	s_waitcnt vmcnt(0)
	ds_write_b64 v1, v[60:61]
	buffer_store_dword v58, off, s[0:3], 0 offset:184
	buffer_store_dword v58, off, s[0:3], 0 offset:188
.LBB91_129:
	s_or_b64 exec, exec, s[4:5]
	s_waitcnt lgkmcnt(0)
	; wave barrier
	s_waitcnt lgkmcnt(0)
	buffer_load_dword v68, off, s[0:3], 0 offset:192
	buffer_load_dword v69, off, s[0:3], 0 offset:196
	;; [unrolled: 1-line block ×10, first 2 shown]
	ds_read_b128 v[60:63], v58 offset:416
	ds_read_b128 v[64:67], v58 offset:432
	v_cmp_lt_u32_e32 vcc, 22, v0
	s_waitcnt vmcnt(8) lgkmcnt(1)
	v_fma_f64 v[58:59], v[68:69], v[60:61], 0
	s_waitcnt vmcnt(6)
	v_fmac_f64_e32 v[58:59], v[70:71], v[62:63]
	s_waitcnt vmcnt(4) lgkmcnt(0)
	v_fmac_f64_e32 v[58:59], v[72:73], v[64:65]
	s_waitcnt vmcnt(2)
	v_fmac_f64_e32 v[58:59], v[74:75], v[66:67]
	s_waitcnt vmcnt(0)
	v_add_f64 v[58:59], v[76:77], -v[58:59]
	buffer_store_dword v58, off, s[0:3], 0 offset:184
	buffer_store_dword v59, off, s[0:3], 0 offset:188
	s_and_saveexec_b64 s[4:5], vcc
	s_cbranch_execz .LBB91_131
; %bb.130:
	buffer_load_dword v58, off, s[0:3], 0 offset:176
	buffer_load_dword v59, off, s[0:3], 0 offset:180
	v_mov_b32_e32 v60, 0
	buffer_store_dword v60, off, s[0:3], 0 offset:176
	buffer_store_dword v60, off, s[0:3], 0 offset:180
	s_waitcnt vmcnt(2)
	ds_write_b64 v1, v[58:59]
.LBB91_131:
	s_or_b64 exec, exec, s[4:5]
	s_waitcnt lgkmcnt(0)
	; wave barrier
	s_waitcnt lgkmcnt(0)
	buffer_load_dword v68, off, s[0:3], 0 offset:184
	buffer_load_dword v69, off, s[0:3], 0 offset:188
	;; [unrolled: 1-line block ×12, first 2 shown]
	v_mov_b32_e32 v58, 0
	ds_read2_b64 v[60:63], v58 offset0:51 offset1:52
	ds_read2_b64 v[64:67], v58 offset0:53 offset1:54
	ds_read_b64 v[80:81], v58 offset:440
	v_cmp_lt_u32_e32 vcc, 21, v0
	s_waitcnt vmcnt(10) lgkmcnt(2)
	v_fma_f64 v[60:61], v[68:69], v[60:61], 0
	s_waitcnt vmcnt(8)
	v_fmac_f64_e32 v[60:61], v[70:71], v[62:63]
	s_waitcnt vmcnt(6) lgkmcnt(1)
	v_fmac_f64_e32 v[60:61], v[72:73], v[64:65]
	s_waitcnt vmcnt(4)
	v_fmac_f64_e32 v[60:61], v[74:75], v[66:67]
	s_waitcnt vmcnt(2) lgkmcnt(0)
	v_fmac_f64_e32 v[60:61], v[76:77], v[80:81]
	s_waitcnt vmcnt(0)
	v_add_f64 v[60:61], v[78:79], -v[60:61]
	buffer_store_dword v60, off, s[0:3], 0 offset:176
	buffer_store_dword v61, off, s[0:3], 0 offset:180
	s_and_saveexec_b64 s[4:5], vcc
	s_cbranch_execz .LBB91_133
; %bb.132:
	buffer_load_dword v60, off, s[0:3], 0 offset:168
	buffer_load_dword v61, off, s[0:3], 0 offset:172
	s_waitcnt vmcnt(0)
	ds_write_b64 v1, v[60:61]
	buffer_store_dword v58, off, s[0:3], 0 offset:168
	buffer_store_dword v58, off, s[0:3], 0 offset:172
.LBB91_133:
	s_or_b64 exec, exec, s[4:5]
	s_waitcnt lgkmcnt(0)
	; wave barrier
	s_waitcnt lgkmcnt(0)
	buffer_load_dword v72, off, s[0:3], 0 offset:176
	buffer_load_dword v73, off, s[0:3], 0 offset:180
	;; [unrolled: 1-line block ×14, first 2 shown]
	ds_read_b128 v[60:63], v58 offset:400
	ds_read_b128 v[64:67], v58 offset:416
	;; [unrolled: 1-line block ×3, first 2 shown]
	v_cmp_lt_u32_e32 vcc, 20, v0
	s_waitcnt vmcnt(12) lgkmcnt(2)
	v_fma_f64 v[58:59], v[72:73], v[60:61], 0
	s_waitcnt vmcnt(10)
	v_fmac_f64_e32 v[58:59], v[74:75], v[62:63]
	s_waitcnt vmcnt(8) lgkmcnt(1)
	v_fmac_f64_e32 v[58:59], v[76:77], v[64:65]
	s_waitcnt vmcnt(6)
	v_fmac_f64_e32 v[58:59], v[78:79], v[66:67]
	s_waitcnt vmcnt(4) lgkmcnt(0)
	v_fmac_f64_e32 v[58:59], v[80:81], v[68:69]
	s_waitcnt vmcnt(2)
	v_fmac_f64_e32 v[58:59], v[82:83], v[70:71]
	s_waitcnt vmcnt(0)
	v_add_f64 v[58:59], v[84:85], -v[58:59]
	buffer_store_dword v58, off, s[0:3], 0 offset:168
	buffer_store_dword v59, off, s[0:3], 0 offset:172
	s_and_saveexec_b64 s[4:5], vcc
	s_cbranch_execz .LBB91_135
; %bb.134:
	buffer_load_dword v58, off, s[0:3], 0 offset:160
	buffer_load_dword v59, off, s[0:3], 0 offset:164
	v_mov_b32_e32 v60, 0
	buffer_store_dword v60, off, s[0:3], 0 offset:160
	buffer_store_dword v60, off, s[0:3], 0 offset:164
	s_waitcnt vmcnt(2)
	ds_write_b64 v1, v[58:59]
.LBB91_135:
	s_or_b64 exec, exec, s[4:5]
	s_waitcnt lgkmcnt(0)
	; wave barrier
	s_waitcnt lgkmcnt(0)
	buffer_load_dword v72, off, s[0:3], 0 offset:168
	buffer_load_dword v73, off, s[0:3], 0 offset:172
	;; [unrolled: 1-line block ×16, first 2 shown]
	v_mov_b32_e32 v58, 0
	ds_read2_b64 v[60:63], v58 offset0:49 offset1:50
	ds_read2_b64 v[64:67], v58 offset0:51 offset1:52
	ds_read2_b64 v[68:71], v58 offset0:53 offset1:54
	ds_read_b64 v[88:89], v58 offset:440
	v_cmp_lt_u32_e32 vcc, 19, v0
	s_waitcnt vmcnt(14) lgkmcnt(3)
	v_fma_f64 v[60:61], v[72:73], v[60:61], 0
	s_waitcnt vmcnt(12)
	v_fmac_f64_e32 v[60:61], v[74:75], v[62:63]
	s_waitcnt vmcnt(10) lgkmcnt(2)
	v_fmac_f64_e32 v[60:61], v[76:77], v[64:65]
	s_waitcnt vmcnt(8)
	v_fmac_f64_e32 v[60:61], v[78:79], v[66:67]
	s_waitcnt vmcnt(6) lgkmcnt(1)
	v_fmac_f64_e32 v[60:61], v[80:81], v[68:69]
	;; [unrolled: 4-line block ×3, first 2 shown]
	s_waitcnt vmcnt(0)
	v_add_f64 v[60:61], v[86:87], -v[60:61]
	buffer_store_dword v60, off, s[0:3], 0 offset:160
	buffer_store_dword v61, off, s[0:3], 0 offset:164
	s_and_saveexec_b64 s[4:5], vcc
	s_cbranch_execz .LBB91_137
; %bb.136:
	buffer_load_dword v60, off, s[0:3], 0 offset:152
	buffer_load_dword v61, off, s[0:3], 0 offset:156
	s_waitcnt vmcnt(0)
	ds_write_b64 v1, v[60:61]
	buffer_store_dword v58, off, s[0:3], 0 offset:152
	buffer_store_dword v58, off, s[0:3], 0 offset:156
.LBB91_137:
	s_or_b64 exec, exec, s[4:5]
	s_waitcnt lgkmcnt(0)
	; wave barrier
	s_waitcnt lgkmcnt(0)
	buffer_load_dword v76, off, s[0:3], 0 offset:160
	buffer_load_dword v77, off, s[0:3], 0 offset:164
	;; [unrolled: 1-line block ×18, first 2 shown]
	ds_read_b128 v[60:63], v58 offset:384
	ds_read_b128 v[64:67], v58 offset:400
	;; [unrolled: 1-line block ×4, first 2 shown]
	v_cmp_lt_u32_e32 vcc, 18, v0
	s_waitcnt vmcnt(16) lgkmcnt(3)
	v_fma_f64 v[58:59], v[76:77], v[60:61], 0
	s_waitcnt vmcnt(14)
	v_fmac_f64_e32 v[58:59], v[78:79], v[62:63]
	s_waitcnt vmcnt(12) lgkmcnt(2)
	v_fmac_f64_e32 v[58:59], v[80:81], v[64:65]
	s_waitcnt vmcnt(10)
	v_fmac_f64_e32 v[58:59], v[82:83], v[66:67]
	s_waitcnt vmcnt(8) lgkmcnt(1)
	v_fmac_f64_e32 v[58:59], v[84:85], v[68:69]
	;; [unrolled: 4-line block ×3, first 2 shown]
	s_waitcnt vmcnt(2)
	v_fmac_f64_e32 v[58:59], v[90:91], v[74:75]
	s_waitcnt vmcnt(0)
	v_add_f64 v[58:59], v[92:93], -v[58:59]
	buffer_store_dword v58, off, s[0:3], 0 offset:152
	buffer_store_dword v59, off, s[0:3], 0 offset:156
	s_and_saveexec_b64 s[4:5], vcc
	s_cbranch_execz .LBB91_139
; %bb.138:
	buffer_load_dword v58, off, s[0:3], 0 offset:144
	buffer_load_dword v59, off, s[0:3], 0 offset:148
	v_mov_b32_e32 v60, 0
	buffer_store_dword v60, off, s[0:3], 0 offset:144
	buffer_store_dword v60, off, s[0:3], 0 offset:148
	s_waitcnt vmcnt(2)
	ds_write_b64 v1, v[58:59]
.LBB91_139:
	s_or_b64 exec, exec, s[4:5]
	s_waitcnt lgkmcnt(0)
	; wave barrier
	s_waitcnt lgkmcnt(0)
	buffer_load_dword v76, off, s[0:3], 0 offset:152
	buffer_load_dword v77, off, s[0:3], 0 offset:156
	;; [unrolled: 1-line block ×20, first 2 shown]
	v_mov_b32_e32 v58, 0
	ds_read2_b64 v[60:63], v58 offset0:47 offset1:48
	ds_read2_b64 v[64:67], v58 offset0:49 offset1:50
	;; [unrolled: 1-line block ×4, first 2 shown]
	ds_read_b64 v[96:97], v58 offset:440
	v_cmp_lt_u32_e32 vcc, 17, v0
	s_waitcnt vmcnt(18) lgkmcnt(4)
	v_fma_f64 v[60:61], v[76:77], v[60:61], 0
	s_waitcnt vmcnt(16)
	v_fmac_f64_e32 v[60:61], v[78:79], v[62:63]
	s_waitcnt vmcnt(14) lgkmcnt(3)
	v_fmac_f64_e32 v[60:61], v[80:81], v[64:65]
	s_waitcnt vmcnt(12)
	v_fmac_f64_e32 v[60:61], v[82:83], v[66:67]
	s_waitcnt vmcnt(10) lgkmcnt(2)
	v_fmac_f64_e32 v[60:61], v[84:85], v[68:69]
	;; [unrolled: 4-line block ×3, first 2 shown]
	s_waitcnt vmcnt(2)
	v_fmac_f64_e32 v[60:61], v[92:93], v[74:75]
	s_waitcnt lgkmcnt(0)
	v_fmac_f64_e32 v[60:61], v[90:91], v[96:97]
	s_waitcnt vmcnt(0)
	v_add_f64 v[60:61], v[94:95], -v[60:61]
	buffer_store_dword v60, off, s[0:3], 0 offset:144
	buffer_store_dword v61, off, s[0:3], 0 offset:148
	s_and_saveexec_b64 s[4:5], vcc
	s_cbranch_execz .LBB91_141
; %bb.140:
	buffer_load_dword v60, off, s[0:3], 0 offset:136
	buffer_load_dword v61, off, s[0:3], 0 offset:140
	s_waitcnt vmcnt(0)
	ds_write_b64 v1, v[60:61]
	buffer_store_dword v58, off, s[0:3], 0 offset:136
	buffer_store_dword v58, off, s[0:3], 0 offset:140
.LBB91_141:
	s_or_b64 exec, exec, s[4:5]
	s_waitcnt lgkmcnt(0)
	; wave barrier
	s_waitcnt lgkmcnt(0)
	buffer_load_dword v80, off, s[0:3], 0 offset:144
	buffer_load_dword v81, off, s[0:3], 0 offset:148
	;; [unrolled: 1-line block ×22, first 2 shown]
	ds_read_b128 v[60:63], v58 offset:368
	ds_read_b128 v[64:67], v58 offset:384
	;; [unrolled: 1-line block ×5, first 2 shown]
	v_cmp_lt_u32_e32 vcc, 16, v0
	s_waitcnt vmcnt(20) lgkmcnt(4)
	v_fma_f64 v[58:59], v[80:81], v[60:61], 0
	s_waitcnt vmcnt(18)
	v_fmac_f64_e32 v[58:59], v[82:83], v[62:63]
	s_waitcnt vmcnt(16) lgkmcnt(3)
	v_fmac_f64_e32 v[58:59], v[84:85], v[64:65]
	s_waitcnt vmcnt(14)
	v_fmac_f64_e32 v[58:59], v[86:87], v[66:67]
	s_waitcnt vmcnt(12) lgkmcnt(2)
	v_fmac_f64_e32 v[58:59], v[88:89], v[68:69]
	;; [unrolled: 4-line block ×3, first 2 shown]
	s_waitcnt vmcnt(3)
	v_fmac_f64_e32 v[58:59], v[98:99], v[74:75]
	s_waitcnt lgkmcnt(0)
	v_fmac_f64_e32 v[58:59], v[96:97], v[76:77]
	s_waitcnt vmcnt(2)
	v_fmac_f64_e32 v[58:59], v[94:95], v[78:79]
	s_waitcnt vmcnt(0)
	v_add_f64 v[58:59], v[100:101], -v[58:59]
	buffer_store_dword v58, off, s[0:3], 0 offset:136
	buffer_store_dword v59, off, s[0:3], 0 offset:140
	s_and_saveexec_b64 s[4:5], vcc
	s_cbranch_execz .LBB91_143
; %bb.142:
	buffer_load_dword v58, off, s[0:3], 0 offset:128
	buffer_load_dword v59, off, s[0:3], 0 offset:132
	v_mov_b32_e32 v60, 0
	buffer_store_dword v60, off, s[0:3], 0 offset:128
	buffer_store_dword v60, off, s[0:3], 0 offset:132
	s_waitcnt vmcnt(2)
	ds_write_b64 v1, v[58:59]
.LBB91_143:
	s_or_b64 exec, exec, s[4:5]
	s_waitcnt lgkmcnt(0)
	; wave barrier
	s_waitcnt lgkmcnt(0)
	buffer_load_dword v80, off, s[0:3], 0 offset:136
	buffer_load_dword v81, off, s[0:3], 0 offset:140
	;; [unrolled: 1-line block ×24, first 2 shown]
	v_mov_b32_e32 v58, 0
	ds_read2_b64 v[60:63], v58 offset0:45 offset1:46
	ds_read2_b64 v[64:67], v58 offset0:47 offset1:48
	;; [unrolled: 1-line block ×5, first 2 shown]
	ds_read_b64 v[104:105], v58 offset:440
	v_cmp_lt_u32_e32 vcc, 15, v0
	s_waitcnt vmcnt(22) lgkmcnt(5)
	v_fma_f64 v[60:61], v[80:81], v[60:61], 0
	s_waitcnt vmcnt(20)
	v_fmac_f64_e32 v[60:61], v[82:83], v[62:63]
	s_waitcnt vmcnt(18) lgkmcnt(4)
	v_fmac_f64_e32 v[60:61], v[84:85], v[64:65]
	s_waitcnt vmcnt(16)
	v_fmac_f64_e32 v[60:61], v[86:87], v[66:67]
	s_waitcnt vmcnt(14) lgkmcnt(3)
	v_fmac_f64_e32 v[60:61], v[88:89], v[68:69]
	;; [unrolled: 4-line block ×3, first 2 shown]
	s_waitcnt vmcnt(4)
	v_fmac_f64_e32 v[60:61], v[100:101], v[74:75]
	s_waitcnt lgkmcnt(1)
	v_fmac_f64_e32 v[60:61], v[98:99], v[76:77]
	s_waitcnt vmcnt(3)
	v_fmac_f64_e32 v[60:61], v[96:97], v[78:79]
	s_waitcnt vmcnt(2) lgkmcnt(0)
	v_fmac_f64_e32 v[60:61], v[94:95], v[104:105]
	s_waitcnt vmcnt(0)
	v_add_f64 v[60:61], v[102:103], -v[60:61]
	buffer_store_dword v61, off, s[0:3], 0 offset:132
	buffer_store_dword v60, off, s[0:3], 0 offset:128
	s_and_saveexec_b64 s[4:5], vcc
	s_cbranch_execz .LBB91_145
; %bb.144:
	buffer_load_dword v60, off, s[0:3], 0 offset:120
	buffer_load_dword v61, off, s[0:3], 0 offset:124
	s_waitcnt vmcnt(0)
	ds_write_b64 v1, v[60:61]
	buffer_store_dword v58, off, s[0:3], 0 offset:120
	buffer_store_dword v58, off, s[0:3], 0 offset:124
.LBB91_145:
	s_or_b64 exec, exec, s[4:5]
	s_waitcnt lgkmcnt(0)
	; wave barrier
	s_waitcnt lgkmcnt(0)
	buffer_load_dword v84, off, s[0:3], 0 offset:128
	buffer_load_dword v85, off, s[0:3], 0 offset:132
	;; [unrolled: 1-line block ×26, first 2 shown]
	ds_read_b128 v[60:63], v58 offset:352
	ds_read_b128 v[64:67], v58 offset:368
	;; [unrolled: 1-line block ×6, first 2 shown]
	v_cmp_lt_u32_e32 vcc, 14, v0
	s_waitcnt vmcnt(24) lgkmcnt(5)
	v_fma_f64 v[58:59], v[84:85], v[60:61], 0
	s_waitcnt vmcnt(22)
	v_fmac_f64_e32 v[58:59], v[86:87], v[62:63]
	s_waitcnt vmcnt(20) lgkmcnt(4)
	v_fmac_f64_e32 v[58:59], v[88:89], v[64:65]
	s_waitcnt vmcnt(18)
	v_fmac_f64_e32 v[58:59], v[90:91], v[66:67]
	s_waitcnt vmcnt(16) lgkmcnt(3)
	v_fmac_f64_e32 v[58:59], v[92:93], v[68:69]
	;; [unrolled: 4-line block ×3, first 2 shown]
	s_waitcnt vmcnt(5)
	v_fmac_f64_e32 v[58:59], v[104:105], v[74:75]
	s_waitcnt lgkmcnt(1)
	v_fmac_f64_e32 v[58:59], v[102:103], v[76:77]
	v_fmac_f64_e32 v[58:59], v[100:101], v[78:79]
	s_waitcnt vmcnt(4) lgkmcnt(0)
	v_fmac_f64_e32 v[58:59], v[98:99], v[80:81]
	s_waitcnt vmcnt(2)
	v_fmac_f64_e32 v[58:59], v[106:107], v[82:83]
	s_waitcnt vmcnt(0)
	v_add_f64 v[58:59], v[108:109], -v[58:59]
	buffer_store_dword v59, off, s[0:3], 0 offset:124
	buffer_store_dword v58, off, s[0:3], 0 offset:120
	s_and_saveexec_b64 s[4:5], vcc
	s_cbranch_execz .LBB91_147
; %bb.146:
	buffer_load_dword v58, off, s[0:3], 0 offset:112
	buffer_load_dword v59, off, s[0:3], 0 offset:116
	v_mov_b32_e32 v60, 0
	buffer_store_dword v60, off, s[0:3], 0 offset:112
	buffer_store_dword v60, off, s[0:3], 0 offset:116
	s_waitcnt vmcnt(2)
	ds_write_b64 v1, v[58:59]
.LBB91_147:
	s_or_b64 exec, exec, s[4:5]
	s_waitcnt lgkmcnt(0)
	; wave barrier
	s_waitcnt lgkmcnt(0)
	buffer_load_dword v84, off, s[0:3], 0 offset:120
	buffer_load_dword v85, off, s[0:3], 0 offset:124
	;; [unrolled: 1-line block ×28, first 2 shown]
	v_mov_b32_e32 v58, 0
	ds_read2_b64 v[60:63], v58 offset0:43 offset1:44
	ds_read2_b64 v[64:67], v58 offset0:45 offset1:46
	;; [unrolled: 1-line block ×6, first 2 shown]
	ds_read_b64 v[112:113], v58 offset:440
	v_cmp_lt_u32_e32 vcc, 13, v0
	s_waitcnt vmcnt(26) lgkmcnt(6)
	v_fma_f64 v[60:61], v[84:85], v[60:61], 0
	s_waitcnt vmcnt(24)
	v_fmac_f64_e32 v[60:61], v[86:87], v[62:63]
	s_waitcnt vmcnt(22) lgkmcnt(5)
	v_fmac_f64_e32 v[60:61], v[88:89], v[64:65]
	s_waitcnt vmcnt(20)
	v_fmac_f64_e32 v[60:61], v[90:91], v[66:67]
	s_waitcnt vmcnt(18) lgkmcnt(4)
	v_fmac_f64_e32 v[60:61], v[92:93], v[68:69]
	s_waitcnt vmcnt(16)
	v_fmac_f64_e32 v[60:61], v[94:95], v[70:71]
	s_waitcnt vmcnt(14) lgkmcnt(3)
	v_fmac_f64_e32 v[60:61], v[96:97], v[72:73]
	s_waitcnt vmcnt(6)
	v_fmac_f64_e32 v[60:61], v[104:105], v[74:75]
	s_waitcnt lgkmcnt(2)
	v_fmac_f64_e32 v[60:61], v[102:103], v[76:77]
	v_fmac_f64_e32 v[60:61], v[100:101], v[78:79]
	s_waitcnt lgkmcnt(1)
	v_fmac_f64_e32 v[60:61], v[98:99], v[80:81]
	s_waitcnt vmcnt(2)
	v_fmac_f64_e32 v[60:61], v[108:109], v[82:83]
	s_waitcnt lgkmcnt(0)
	v_fmac_f64_e32 v[60:61], v[106:107], v[112:113]
	s_waitcnt vmcnt(0)
	v_add_f64 v[60:61], v[110:111], -v[60:61]
	buffer_store_dword v61, off, s[0:3], 0 offset:116
	buffer_store_dword v60, off, s[0:3], 0 offset:112
	s_and_saveexec_b64 s[4:5], vcc
	s_cbranch_execz .LBB91_149
; %bb.148:
	buffer_load_dword v60, off, s[0:3], 0 offset:104
	buffer_load_dword v61, off, s[0:3], 0 offset:108
	s_waitcnt vmcnt(0)
	ds_write_b64 v1, v[60:61]
	buffer_store_dword v58, off, s[0:3], 0 offset:104
	buffer_store_dword v58, off, s[0:3], 0 offset:108
.LBB91_149:
	s_or_b64 exec, exec, s[4:5]
	s_waitcnt lgkmcnt(0)
	; wave barrier
	s_waitcnt lgkmcnt(0)
	buffer_load_dword v88, off, s[0:3], 0 offset:112
	buffer_load_dword v89, off, s[0:3], 0 offset:116
	;; [unrolled: 1-line block ×30, first 2 shown]
	ds_read_b128 v[60:63], v58 offset:336
	ds_read_b128 v[64:67], v58 offset:352
	;; [unrolled: 1-line block ×7, first 2 shown]
	v_cmp_lt_u32_e32 vcc, 12, v0
	s_waitcnt vmcnt(28) lgkmcnt(6)
	v_fma_f64 v[58:59], v[88:89], v[60:61], 0
	s_waitcnt vmcnt(26)
	v_fmac_f64_e32 v[58:59], v[90:91], v[62:63]
	s_waitcnt vmcnt(24) lgkmcnt(5)
	v_fmac_f64_e32 v[58:59], v[92:93], v[64:65]
	s_waitcnt vmcnt(22)
	v_fmac_f64_e32 v[58:59], v[94:95], v[66:67]
	s_waitcnt vmcnt(20) lgkmcnt(4)
	v_fmac_f64_e32 v[58:59], v[96:97], v[68:69]
	s_waitcnt vmcnt(18)
	v_fmac_f64_e32 v[58:59], v[98:99], v[70:71]
	s_waitcnt vmcnt(16) lgkmcnt(3)
	v_fmac_f64_e32 v[58:59], v[100:101], v[72:73]
	s_waitcnt vmcnt(8)
	v_fmac_f64_e32 v[58:59], v[108:109], v[74:75]
	s_waitcnt lgkmcnt(2)
	v_fmac_f64_e32 v[58:59], v[106:107], v[76:77]
	v_fmac_f64_e32 v[58:59], v[104:105], v[78:79]
	s_waitcnt lgkmcnt(1)
	v_fmac_f64_e32 v[58:59], v[102:103], v[80:81]
	s_waitcnt vmcnt(3)
	v_fmac_f64_e32 v[58:59], v[114:115], v[82:83]
	s_waitcnt lgkmcnt(0)
	v_fmac_f64_e32 v[58:59], v[112:113], v[84:85]
	s_waitcnt vmcnt(2)
	v_fmac_f64_e32 v[58:59], v[110:111], v[86:87]
	s_waitcnt vmcnt(0)
	v_add_f64 v[58:59], v[116:117], -v[58:59]
	buffer_store_dword v59, off, s[0:3], 0 offset:108
	buffer_store_dword v58, off, s[0:3], 0 offset:104
	s_and_saveexec_b64 s[4:5], vcc
	s_cbranch_execz .LBB91_151
; %bb.150:
	buffer_load_dword v58, off, s[0:3], 0 offset:96
	buffer_load_dword v59, off, s[0:3], 0 offset:100
	v_mov_b32_e32 v60, 0
	buffer_store_dword v60, off, s[0:3], 0 offset:96
	buffer_store_dword v60, off, s[0:3], 0 offset:100
	s_waitcnt vmcnt(2)
	ds_write_b64 v1, v[58:59]
.LBB91_151:
	s_or_b64 exec, exec, s[4:5]
	s_waitcnt lgkmcnt(0)
	; wave barrier
	s_waitcnt lgkmcnt(0)
	buffer_load_dword v88, off, s[0:3], 0 offset:104
	buffer_load_dword v89, off, s[0:3], 0 offset:108
	;; [unrolled: 1-line block ×32, first 2 shown]
	v_mov_b32_e32 v58, 0
	ds_read2_b64 v[60:63], v58 offset0:41 offset1:42
	ds_read2_b64 v[64:67], v58 offset0:43 offset1:44
	ds_read2_b64 v[68:71], v58 offset0:45 offset1:46
	ds_read2_b64 v[72:75], v58 offset0:47 offset1:48
	ds_read2_b64 v[76:79], v58 offset0:49 offset1:50
	ds_read2_b64 v[80:83], v58 offset0:51 offset1:52
	ds_read2_b64 v[84:87], v58 offset0:53 offset1:54
	ds_read_b64 v[120:121], v58 offset:440
	v_cmp_lt_u32_e32 vcc, 11, v0
	s_waitcnt vmcnt(30) lgkmcnt(7)
	v_fma_f64 v[60:61], v[88:89], v[60:61], 0
	s_waitcnt vmcnt(28)
	v_fmac_f64_e32 v[60:61], v[90:91], v[62:63]
	s_waitcnt vmcnt(26) lgkmcnt(6)
	v_fmac_f64_e32 v[60:61], v[92:93], v[64:65]
	s_waitcnt vmcnt(24)
	v_fmac_f64_e32 v[60:61], v[94:95], v[66:67]
	s_waitcnt vmcnt(22) lgkmcnt(5)
	v_fmac_f64_e32 v[60:61], v[96:97], v[68:69]
	;; [unrolled: 4-line block ×3, first 2 shown]
	s_waitcnt vmcnt(10)
	v_fmac_f64_e32 v[60:61], v[108:109], v[74:75]
	s_waitcnt lgkmcnt(3)
	v_fmac_f64_e32 v[60:61], v[106:107], v[76:77]
	v_fmac_f64_e32 v[60:61], v[104:105], v[78:79]
	s_waitcnt lgkmcnt(2)
	v_fmac_f64_e32 v[60:61], v[102:103], v[80:81]
	s_waitcnt vmcnt(4)
	v_fmac_f64_e32 v[60:61], v[116:117], v[82:83]
	s_waitcnt lgkmcnt(1)
	v_fmac_f64_e32 v[60:61], v[114:115], v[84:85]
	s_waitcnt vmcnt(3)
	v_fmac_f64_e32 v[60:61], v[112:113], v[86:87]
	s_waitcnt vmcnt(2) lgkmcnt(0)
	v_fmac_f64_e32 v[60:61], v[110:111], v[120:121]
	s_waitcnt vmcnt(0)
	v_add_f64 v[60:61], v[118:119], -v[60:61]
	buffer_store_dword v61, off, s[0:3], 0 offset:100
	buffer_store_dword v60, off, s[0:3], 0 offset:96
	s_and_saveexec_b64 s[4:5], vcc
	s_cbranch_execz .LBB91_153
; %bb.152:
	buffer_load_dword v60, off, s[0:3], 0 offset:88
	buffer_load_dword v61, off, s[0:3], 0 offset:92
	s_waitcnt vmcnt(0)
	ds_write_b64 v1, v[60:61]
	buffer_store_dword v58, off, s[0:3], 0 offset:88
	buffer_store_dword v58, off, s[0:3], 0 offset:92
.LBB91_153:
	s_or_b64 exec, exec, s[4:5]
	s_waitcnt lgkmcnt(0)
	; wave barrier
	s_waitcnt lgkmcnt(0)
	buffer_load_dword v92, off, s[0:3], 0 offset:96
	buffer_load_dword v93, off, s[0:3], 0 offset:100
	;; [unrolled: 1-line block ×34, first 2 shown]
	ds_read_b128 v[60:63], v58 offset:320
	ds_read_b128 v[64:67], v58 offset:336
	;; [unrolled: 1-line block ×8, first 2 shown]
	v_cmp_lt_u32_e32 vcc, 10, v0
	s_waitcnt vmcnt(32) lgkmcnt(7)
	v_fma_f64 v[58:59], v[92:93], v[60:61], 0
	s_waitcnt vmcnt(30)
	v_fmac_f64_e32 v[58:59], v[94:95], v[62:63]
	s_waitcnt vmcnt(28) lgkmcnt(6)
	v_fmac_f64_e32 v[58:59], v[96:97], v[64:65]
	s_waitcnt vmcnt(26)
	v_fmac_f64_e32 v[58:59], v[98:99], v[66:67]
	s_waitcnt vmcnt(24) lgkmcnt(5)
	v_fmac_f64_e32 v[58:59], v[100:101], v[68:69]
	;; [unrolled: 4-line block ×3, first 2 shown]
	s_waitcnt vmcnt(12)
	v_fmac_f64_e32 v[58:59], v[112:113], v[74:75]
	s_waitcnt lgkmcnt(3)
	v_fmac_f64_e32 v[58:59], v[110:111], v[76:77]
	v_fmac_f64_e32 v[58:59], v[108:109], v[78:79]
	s_waitcnt lgkmcnt(2)
	v_fmac_f64_e32 v[58:59], v[106:107], v[80:81]
	s_waitcnt vmcnt(5)
	v_fmac_f64_e32 v[58:59], v[120:121], v[82:83]
	s_waitcnt lgkmcnt(1)
	v_fmac_f64_e32 v[58:59], v[118:119], v[84:85]
	v_fmac_f64_e32 v[58:59], v[116:117], v[86:87]
	s_waitcnt vmcnt(4) lgkmcnt(0)
	v_fmac_f64_e32 v[58:59], v[114:115], v[88:89]
	s_waitcnt vmcnt(2)
	v_fmac_f64_e32 v[58:59], v[122:123], v[90:91]
	s_waitcnt vmcnt(0)
	v_add_f64 v[58:59], v[124:125], -v[58:59]
	buffer_store_dword v59, off, s[0:3], 0 offset:92
	buffer_store_dword v58, off, s[0:3], 0 offset:88
	s_and_saveexec_b64 s[4:5], vcc
	s_cbranch_execz .LBB91_155
; %bb.154:
	buffer_load_dword v58, off, s[0:3], 0 offset:80
	buffer_load_dword v59, off, s[0:3], 0 offset:84
	v_mov_b32_e32 v60, 0
	buffer_store_dword v60, off, s[0:3], 0 offset:80
	buffer_store_dword v60, off, s[0:3], 0 offset:84
	s_waitcnt vmcnt(2)
	ds_write_b64 v1, v[58:59]
.LBB91_155:
	s_or_b64 exec, exec, s[4:5]
	s_waitcnt lgkmcnt(0)
	; wave barrier
	s_waitcnt lgkmcnt(0)
	buffer_load_dword v58, off, s[0:3], 0 offset:80
	buffer_load_dword v59, off, s[0:3], 0 offset:84
	;; [unrolled: 1-line block ×16, first 2 shown]
	v_mov_b32_e32 v62, 0
	ds_read2_b64 v[64:67], v62 offset0:39 offset1:40
	v_cmp_lt_u32_e32 vcc, 9, v0
	s_waitcnt vmcnt(12) lgkmcnt(0)
	v_fma_f64 v[60:61], v[60:61], v[64:65], 0
	s_waitcnt vmcnt(10)
	v_fmac_f64_e32 v[60:61], v[68:69], v[66:67]
	ds_read2_b64 v[64:67], v62 offset0:41 offset1:42
	s_waitcnt vmcnt(8) lgkmcnt(0)
	v_fmac_f64_e32 v[60:61], v[70:71], v[64:65]
	s_waitcnt vmcnt(6)
	v_fmac_f64_e32 v[60:61], v[72:73], v[66:67]
	ds_read2_b64 v[64:67], v62 offset0:43 offset1:44
	s_waitcnt vmcnt(4) lgkmcnt(0)
	v_fmac_f64_e32 v[60:61], v[74:75], v[64:65]
	;; [unrolled: 5-line block ×3, first 2 shown]
	buffer_load_dword v65, off, s[0:3], 0 offset:148
	buffer_load_dword v64, off, s[0:3], 0 offset:144
	buffer_load_dword v69, off, s[0:3], 0 offset:156
	buffer_load_dword v68, off, s[0:3], 0 offset:152
	s_waitcnt vmcnt(2)
	v_fmac_f64_e32 v[60:61], v[64:65], v[66:67]
	ds_read2_b64 v[64:67], v62 offset0:47 offset1:48
	s_waitcnt vmcnt(0) lgkmcnt(0)
	v_fmac_f64_e32 v[60:61], v[68:69], v[64:65]
	buffer_load_dword v65, off, s[0:3], 0 offset:164
	buffer_load_dword v64, off, s[0:3], 0 offset:160
	buffer_load_dword v69, off, s[0:3], 0 offset:172
	buffer_load_dword v68, off, s[0:3], 0 offset:168
	s_waitcnt vmcnt(2)
	v_fmac_f64_e32 v[60:61], v[64:65], v[66:67]
	ds_read2_b64 v[64:67], v62 offset0:49 offset1:50
	s_waitcnt vmcnt(0) lgkmcnt(0)
	v_fmac_f64_e32 v[60:61], v[68:69], v[64:65]
	;; [unrolled: 9-line block ×4, first 2 shown]
	buffer_load_dword v65, off, s[0:3], 0 offset:212
	buffer_load_dword v64, off, s[0:3], 0 offset:208
	s_waitcnt vmcnt(0)
	v_fmac_f64_e32 v[60:61], v[64:65], v[66:67]
	buffer_load_dword v65, off, s[0:3], 0 offset:220
	buffer_load_dword v64, off, s[0:3], 0 offset:216
	ds_read_b64 v[66:67], v62 offset:440
	s_waitcnt vmcnt(0) lgkmcnt(0)
	v_fmac_f64_e32 v[60:61], v[64:65], v[66:67]
	v_add_f64 v[58:59], v[58:59], -v[60:61]
	buffer_store_dword v59, off, s[0:3], 0 offset:84
	buffer_store_dword v58, off, s[0:3], 0 offset:80
	s_and_saveexec_b64 s[4:5], vcc
	s_cbranch_execz .LBB91_157
; %bb.156:
	buffer_load_dword v58, off, s[0:3], 0 offset:72
	buffer_load_dword v59, off, s[0:3], 0 offset:76
	s_waitcnt vmcnt(0)
	ds_write_b64 v1, v[58:59]
	buffer_store_dword v62, off, s[0:3], 0 offset:72
	buffer_store_dword v62, off, s[0:3], 0 offset:76
.LBB91_157:
	s_or_b64 exec, exec, s[4:5]
	s_waitcnt lgkmcnt(0)
	; wave barrier
	s_waitcnt lgkmcnt(0)
	buffer_load_dword v58, off, s[0:3], 0 offset:72
	buffer_load_dword v59, off, s[0:3], 0 offset:76
	;; [unrolled: 1-line block ×16, first 2 shown]
	ds_read_b128 v[64:67], v62 offset:304
	ds_read_b128 v[68:71], v62 offset:320
	;; [unrolled: 1-line block ×4, first 2 shown]
	v_cmp_lt_u32_e32 vcc, 8, v0
	s_waitcnt vmcnt(12) lgkmcnt(3)
	v_fma_f64 v[60:61], v[60:61], v[64:65], 0
	buffer_load_dword v65, off, s[0:3], 0 offset:140
	buffer_load_dword v64, off, s[0:3], 0 offset:136
	s_waitcnt vmcnt(12)
	v_fmac_f64_e32 v[60:61], v[80:81], v[66:67]
	s_waitcnt vmcnt(10) lgkmcnt(2)
	v_fmac_f64_e32 v[60:61], v[82:83], v[68:69]
	buffer_load_dword v69, off, s[0:3], 0 offset:148
	buffer_load_dword v68, off, s[0:3], 0 offset:144
	s_waitcnt vmcnt(10)
	v_fmac_f64_e32 v[60:61], v[84:85], v[70:71]
	s_waitcnt vmcnt(8) lgkmcnt(1)
	v_fmac_f64_e32 v[60:61], v[86:87], v[72:73]
	s_waitcnt vmcnt(6)
	v_fmac_f64_e32 v[60:61], v[88:89], v[74:75]
	s_waitcnt vmcnt(4) lgkmcnt(0)
	v_fmac_f64_e32 v[60:61], v[90:91], v[76:77]
	s_waitcnt vmcnt(2)
	v_fmac_f64_e32 v[60:61], v[64:65], v[78:79]
	ds_read_b128 v[64:67], v62 offset:368
	s_waitcnt vmcnt(0) lgkmcnt(0)
	v_fmac_f64_e32 v[60:61], v[68:69], v[64:65]
	buffer_load_dword v65, off, s[0:3], 0 offset:156
	buffer_load_dword v64, off, s[0:3], 0 offset:152
	buffer_load_dword v69, off, s[0:3], 0 offset:164
	buffer_load_dword v68, off, s[0:3], 0 offset:160
	s_waitcnt vmcnt(2)
	v_fmac_f64_e32 v[60:61], v[64:65], v[66:67]
	ds_read_b128 v[64:67], v62 offset:384
	s_waitcnt vmcnt(0) lgkmcnt(0)
	v_fmac_f64_e32 v[60:61], v[68:69], v[64:65]
	buffer_load_dword v65, off, s[0:3], 0 offset:172
	buffer_load_dword v64, off, s[0:3], 0 offset:168
	buffer_load_dword v69, off, s[0:3], 0 offset:180
	buffer_load_dword v68, off, s[0:3], 0 offset:176
	s_waitcnt vmcnt(2)
	v_fmac_f64_e32 v[60:61], v[64:65], v[66:67]
	ds_read_b128 v[64:67], v62 offset:400
	s_waitcnt vmcnt(0) lgkmcnt(0)
	v_fmac_f64_e32 v[60:61], v[68:69], v[64:65]
	buffer_load_dword v65, off, s[0:3], 0 offset:188
	buffer_load_dword v64, off, s[0:3], 0 offset:184
	buffer_load_dword v69, off, s[0:3], 0 offset:196
	buffer_load_dword v68, off, s[0:3], 0 offset:192
	s_waitcnt vmcnt(2)
	v_fmac_f64_e32 v[60:61], v[64:65], v[66:67]
	ds_read_b128 v[64:67], v62 offset:416
	s_waitcnt vmcnt(0) lgkmcnt(0)
	v_fmac_f64_e32 v[60:61], v[68:69], v[64:65]
	buffer_load_dword v65, off, s[0:3], 0 offset:204
	buffer_load_dword v64, off, s[0:3], 0 offset:200
	s_waitcnt vmcnt(0)
	v_fmac_f64_e32 v[60:61], v[64:65], v[66:67]
	buffer_load_dword v67, off, s[0:3], 0 offset:212
	buffer_load_dword v66, off, s[0:3], 0 offset:208
	ds_read_b128 v[62:65], v62 offset:432
	s_waitcnt vmcnt(0) lgkmcnt(0)
	v_fmac_f64_e32 v[60:61], v[66:67], v[62:63]
	buffer_load_dword v63, off, s[0:3], 0 offset:220
	buffer_load_dword v62, off, s[0:3], 0 offset:216
	s_waitcnt vmcnt(0)
	v_fmac_f64_e32 v[60:61], v[62:63], v[64:65]
	v_add_f64 v[58:59], v[58:59], -v[60:61]
	buffer_store_dword v59, off, s[0:3], 0 offset:76
	buffer_store_dword v58, off, s[0:3], 0 offset:72
	s_and_saveexec_b64 s[4:5], vcc
	s_cbranch_execz .LBB91_159
; %bb.158:
	buffer_load_dword v58, off, s[0:3], 0 offset:64
	buffer_load_dword v59, off, s[0:3], 0 offset:68
	v_mov_b32_e32 v60, 0
	buffer_store_dword v60, off, s[0:3], 0 offset:64
	buffer_store_dword v60, off, s[0:3], 0 offset:68
	s_waitcnt vmcnt(2)
	ds_write_b64 v1, v[58:59]
.LBB91_159:
	s_or_b64 exec, exec, s[4:5]
	s_waitcnt lgkmcnt(0)
	; wave barrier
	s_waitcnt lgkmcnt(0)
	buffer_load_dword v58, off, s[0:3], 0 offset:64
	buffer_load_dword v59, off, s[0:3], 0 offset:68
	;; [unrolled: 1-line block ×16, first 2 shown]
	v_mov_b32_e32 v62, 0
	ds_read2_b64 v[64:67], v62 offset0:37 offset1:38
	v_cmp_lt_u32_e32 vcc, 7, v0
	s_waitcnt vmcnt(12) lgkmcnt(0)
	v_fma_f64 v[60:61], v[60:61], v[64:65], 0
	s_waitcnt vmcnt(10)
	v_fmac_f64_e32 v[60:61], v[68:69], v[66:67]
	ds_read2_b64 v[64:67], v62 offset0:39 offset1:40
	s_waitcnt vmcnt(8) lgkmcnt(0)
	v_fmac_f64_e32 v[60:61], v[70:71], v[64:65]
	s_waitcnt vmcnt(6)
	v_fmac_f64_e32 v[60:61], v[72:73], v[66:67]
	ds_read2_b64 v[64:67], v62 offset0:41 offset1:42
	s_waitcnt vmcnt(4) lgkmcnt(0)
	v_fmac_f64_e32 v[60:61], v[74:75], v[64:65]
	;; [unrolled: 5-line block ×3, first 2 shown]
	buffer_load_dword v65, off, s[0:3], 0 offset:132
	buffer_load_dword v64, off, s[0:3], 0 offset:128
	buffer_load_dword v69, off, s[0:3], 0 offset:140
	buffer_load_dword v68, off, s[0:3], 0 offset:136
	s_waitcnt vmcnt(2)
	v_fmac_f64_e32 v[60:61], v[64:65], v[66:67]
	ds_read2_b64 v[64:67], v62 offset0:45 offset1:46
	s_waitcnt vmcnt(0) lgkmcnt(0)
	v_fmac_f64_e32 v[60:61], v[68:69], v[64:65]
	buffer_load_dword v65, off, s[0:3], 0 offset:148
	buffer_load_dword v64, off, s[0:3], 0 offset:144
	buffer_load_dword v69, off, s[0:3], 0 offset:156
	buffer_load_dword v68, off, s[0:3], 0 offset:152
	s_waitcnt vmcnt(2)
	v_fmac_f64_e32 v[60:61], v[64:65], v[66:67]
	ds_read2_b64 v[64:67], v62 offset0:47 offset1:48
	s_waitcnt vmcnt(0) lgkmcnt(0)
	v_fmac_f64_e32 v[60:61], v[68:69], v[64:65]
	buffer_load_dword v65, off, s[0:3], 0 offset:164
	buffer_load_dword v64, off, s[0:3], 0 offset:160
	buffer_load_dword v69, off, s[0:3], 0 offset:172
	buffer_load_dword v68, off, s[0:3], 0 offset:168
	s_waitcnt vmcnt(2)
	v_fmac_f64_e32 v[60:61], v[64:65], v[66:67]
	ds_read2_b64 v[64:67], v62 offset0:49 offset1:50
	s_waitcnt vmcnt(0) lgkmcnt(0)
	v_fmac_f64_e32 v[60:61], v[68:69], v[64:65]
	buffer_load_dword v65, off, s[0:3], 0 offset:180
	buffer_load_dword v64, off, s[0:3], 0 offset:176
	buffer_load_dword v69, off, s[0:3], 0 offset:188
	buffer_load_dword v68, off, s[0:3], 0 offset:184
	s_waitcnt vmcnt(2)
	v_fmac_f64_e32 v[60:61], v[64:65], v[66:67]
	ds_read2_b64 v[64:67], v62 offset0:51 offset1:52
	s_waitcnt vmcnt(0) lgkmcnt(0)
	v_fmac_f64_e32 v[60:61], v[68:69], v[64:65]
	buffer_load_dword v65, off, s[0:3], 0 offset:196
	buffer_load_dword v64, off, s[0:3], 0 offset:192
	buffer_load_dword v69, off, s[0:3], 0 offset:204
	buffer_load_dword v68, off, s[0:3], 0 offset:200
	s_waitcnt vmcnt(2)
	v_fmac_f64_e32 v[60:61], v[64:65], v[66:67]
	ds_read2_b64 v[64:67], v62 offset0:53 offset1:54
	s_waitcnt vmcnt(0) lgkmcnt(0)
	v_fmac_f64_e32 v[60:61], v[68:69], v[64:65]
	buffer_load_dword v65, off, s[0:3], 0 offset:212
	buffer_load_dword v64, off, s[0:3], 0 offset:208
	s_waitcnt vmcnt(0)
	v_fmac_f64_e32 v[60:61], v[64:65], v[66:67]
	buffer_load_dword v65, off, s[0:3], 0 offset:220
	buffer_load_dword v64, off, s[0:3], 0 offset:216
	ds_read_b64 v[66:67], v62 offset:440
	s_waitcnt vmcnt(0) lgkmcnt(0)
	v_fmac_f64_e32 v[60:61], v[64:65], v[66:67]
	v_add_f64 v[58:59], v[58:59], -v[60:61]
	buffer_store_dword v59, off, s[0:3], 0 offset:68
	buffer_store_dword v58, off, s[0:3], 0 offset:64
	s_and_saveexec_b64 s[4:5], vcc
	s_cbranch_execz .LBB91_161
; %bb.160:
	buffer_load_dword v58, off, s[0:3], 0 offset:56
	buffer_load_dword v59, off, s[0:3], 0 offset:60
	s_waitcnt vmcnt(0)
	ds_write_b64 v1, v[58:59]
	buffer_store_dword v62, off, s[0:3], 0 offset:56
	buffer_store_dword v62, off, s[0:3], 0 offset:60
.LBB91_161:
	s_or_b64 exec, exec, s[4:5]
	s_waitcnt lgkmcnt(0)
	; wave barrier
	s_waitcnt lgkmcnt(0)
	buffer_load_dword v58, off, s[0:3], 0 offset:56
	buffer_load_dword v59, off, s[0:3], 0 offset:60
	;; [unrolled: 1-line block ×16, first 2 shown]
	ds_read_b128 v[64:67], v62 offset:288
	ds_read_b128 v[68:71], v62 offset:304
	ds_read_b128 v[72:75], v62 offset:320
	ds_read_b128 v[76:79], v62 offset:336
	v_cmp_lt_u32_e32 vcc, 6, v0
	s_waitcnt vmcnt(12) lgkmcnt(3)
	v_fma_f64 v[60:61], v[60:61], v[64:65], 0
	buffer_load_dword v65, off, s[0:3], 0 offset:124
	buffer_load_dword v64, off, s[0:3], 0 offset:120
	s_waitcnt vmcnt(12)
	v_fmac_f64_e32 v[60:61], v[80:81], v[66:67]
	s_waitcnt vmcnt(10) lgkmcnt(2)
	v_fmac_f64_e32 v[60:61], v[82:83], v[68:69]
	buffer_load_dword v69, off, s[0:3], 0 offset:132
	buffer_load_dword v68, off, s[0:3], 0 offset:128
	s_waitcnt vmcnt(10)
	v_fmac_f64_e32 v[60:61], v[84:85], v[70:71]
	s_waitcnt vmcnt(8) lgkmcnt(1)
	v_fmac_f64_e32 v[60:61], v[86:87], v[72:73]
	s_waitcnt vmcnt(6)
	v_fmac_f64_e32 v[60:61], v[88:89], v[74:75]
	s_waitcnt vmcnt(4) lgkmcnt(0)
	v_fmac_f64_e32 v[60:61], v[90:91], v[76:77]
	s_waitcnt vmcnt(2)
	v_fmac_f64_e32 v[60:61], v[64:65], v[78:79]
	ds_read_b128 v[64:67], v62 offset:352
	s_waitcnt vmcnt(0) lgkmcnt(0)
	v_fmac_f64_e32 v[60:61], v[68:69], v[64:65]
	buffer_load_dword v65, off, s[0:3], 0 offset:140
	buffer_load_dword v64, off, s[0:3], 0 offset:136
	buffer_load_dword v69, off, s[0:3], 0 offset:148
	buffer_load_dword v68, off, s[0:3], 0 offset:144
	s_waitcnt vmcnt(2)
	v_fmac_f64_e32 v[60:61], v[64:65], v[66:67]
	ds_read_b128 v[64:67], v62 offset:368
	s_waitcnt vmcnt(0) lgkmcnt(0)
	v_fmac_f64_e32 v[60:61], v[68:69], v[64:65]
	buffer_load_dword v65, off, s[0:3], 0 offset:156
	buffer_load_dword v64, off, s[0:3], 0 offset:152
	buffer_load_dword v69, off, s[0:3], 0 offset:164
	buffer_load_dword v68, off, s[0:3], 0 offset:160
	;; [unrolled: 9-line block ×4, first 2 shown]
	s_waitcnt vmcnt(2)
	v_fmac_f64_e32 v[60:61], v[64:65], v[66:67]
	ds_read_b128 v[64:67], v62 offset:416
	s_waitcnt vmcnt(0) lgkmcnt(0)
	v_fmac_f64_e32 v[60:61], v[68:69], v[64:65]
	buffer_load_dword v65, off, s[0:3], 0 offset:204
	buffer_load_dword v64, off, s[0:3], 0 offset:200
	s_waitcnt vmcnt(0)
	v_fmac_f64_e32 v[60:61], v[64:65], v[66:67]
	buffer_load_dword v67, off, s[0:3], 0 offset:212
	buffer_load_dword v66, off, s[0:3], 0 offset:208
	ds_read_b128 v[62:65], v62 offset:432
	s_waitcnt vmcnt(0) lgkmcnt(0)
	v_fmac_f64_e32 v[60:61], v[66:67], v[62:63]
	buffer_load_dword v63, off, s[0:3], 0 offset:220
	buffer_load_dword v62, off, s[0:3], 0 offset:216
	s_waitcnt vmcnt(0)
	v_fmac_f64_e32 v[60:61], v[62:63], v[64:65]
	v_add_f64 v[58:59], v[58:59], -v[60:61]
	buffer_store_dword v59, off, s[0:3], 0 offset:60
	buffer_store_dword v58, off, s[0:3], 0 offset:56
	s_and_saveexec_b64 s[4:5], vcc
	s_cbranch_execz .LBB91_163
; %bb.162:
	buffer_load_dword v58, off, s[0:3], 0 offset:48
	buffer_load_dword v59, off, s[0:3], 0 offset:52
	v_mov_b32_e32 v60, 0
	buffer_store_dword v60, off, s[0:3], 0 offset:48
	buffer_store_dword v60, off, s[0:3], 0 offset:52
	s_waitcnt vmcnt(2)
	ds_write_b64 v1, v[58:59]
.LBB91_163:
	s_or_b64 exec, exec, s[4:5]
	s_waitcnt lgkmcnt(0)
	; wave barrier
	s_waitcnt lgkmcnt(0)
	buffer_load_dword v58, off, s[0:3], 0 offset:48
	buffer_load_dword v59, off, s[0:3], 0 offset:52
	;; [unrolled: 1-line block ×16, first 2 shown]
	v_mov_b32_e32 v62, 0
	ds_read2_b64 v[64:67], v62 offset0:35 offset1:36
	v_cmp_lt_u32_e32 vcc, 5, v0
	s_waitcnt vmcnt(12) lgkmcnt(0)
	v_fma_f64 v[60:61], v[60:61], v[64:65], 0
	s_waitcnt vmcnt(10)
	v_fmac_f64_e32 v[60:61], v[68:69], v[66:67]
	ds_read2_b64 v[64:67], v62 offset0:37 offset1:38
	s_waitcnt vmcnt(8) lgkmcnt(0)
	v_fmac_f64_e32 v[60:61], v[70:71], v[64:65]
	s_waitcnt vmcnt(6)
	v_fmac_f64_e32 v[60:61], v[72:73], v[66:67]
	ds_read2_b64 v[64:67], v62 offset0:39 offset1:40
	s_waitcnt vmcnt(4) lgkmcnt(0)
	v_fmac_f64_e32 v[60:61], v[74:75], v[64:65]
	;; [unrolled: 5-line block ×3, first 2 shown]
	buffer_load_dword v65, off, s[0:3], 0 offset:116
	buffer_load_dword v64, off, s[0:3], 0 offset:112
	buffer_load_dword v69, off, s[0:3], 0 offset:124
	buffer_load_dword v68, off, s[0:3], 0 offset:120
	s_waitcnt vmcnt(2)
	v_fmac_f64_e32 v[60:61], v[64:65], v[66:67]
	ds_read2_b64 v[64:67], v62 offset0:43 offset1:44
	s_waitcnt vmcnt(0) lgkmcnt(0)
	v_fmac_f64_e32 v[60:61], v[68:69], v[64:65]
	buffer_load_dword v65, off, s[0:3], 0 offset:132
	buffer_load_dword v64, off, s[0:3], 0 offset:128
	buffer_load_dword v69, off, s[0:3], 0 offset:140
	buffer_load_dword v68, off, s[0:3], 0 offset:136
	s_waitcnt vmcnt(2)
	v_fmac_f64_e32 v[60:61], v[64:65], v[66:67]
	ds_read2_b64 v[64:67], v62 offset0:45 offset1:46
	s_waitcnt vmcnt(0) lgkmcnt(0)
	v_fmac_f64_e32 v[60:61], v[68:69], v[64:65]
	;; [unrolled: 9-line block ×6, first 2 shown]
	buffer_load_dword v65, off, s[0:3], 0 offset:212
	buffer_load_dword v64, off, s[0:3], 0 offset:208
	s_waitcnt vmcnt(0)
	v_fmac_f64_e32 v[60:61], v[64:65], v[66:67]
	buffer_load_dword v65, off, s[0:3], 0 offset:220
	buffer_load_dword v64, off, s[0:3], 0 offset:216
	ds_read_b64 v[66:67], v62 offset:440
	s_waitcnt vmcnt(0) lgkmcnt(0)
	v_fmac_f64_e32 v[60:61], v[64:65], v[66:67]
	v_add_f64 v[58:59], v[58:59], -v[60:61]
	buffer_store_dword v59, off, s[0:3], 0 offset:52
	buffer_store_dword v58, off, s[0:3], 0 offset:48
	s_and_saveexec_b64 s[4:5], vcc
	s_cbranch_execz .LBB91_165
; %bb.164:
	buffer_load_dword v58, off, s[0:3], 0 offset:40
	buffer_load_dword v59, off, s[0:3], 0 offset:44
	s_waitcnt vmcnt(0)
	ds_write_b64 v1, v[58:59]
	buffer_store_dword v62, off, s[0:3], 0 offset:40
	buffer_store_dword v62, off, s[0:3], 0 offset:44
.LBB91_165:
	s_or_b64 exec, exec, s[4:5]
	s_waitcnt lgkmcnt(0)
	; wave barrier
	s_waitcnt lgkmcnt(0)
	buffer_load_dword v58, off, s[0:3], 0 offset:40
	buffer_load_dword v59, off, s[0:3], 0 offset:44
	;; [unrolled: 1-line block ×16, first 2 shown]
	ds_read_b128 v[64:67], v62 offset:272
	ds_read_b128 v[68:71], v62 offset:288
	;; [unrolled: 1-line block ×4, first 2 shown]
	v_cmp_lt_u32_e32 vcc, 4, v0
	s_waitcnt vmcnt(12) lgkmcnt(3)
	v_fma_f64 v[60:61], v[60:61], v[64:65], 0
	buffer_load_dword v65, off, s[0:3], 0 offset:108
	buffer_load_dword v64, off, s[0:3], 0 offset:104
	s_waitcnt vmcnt(12)
	v_fmac_f64_e32 v[60:61], v[80:81], v[66:67]
	s_waitcnt vmcnt(10) lgkmcnt(2)
	v_fmac_f64_e32 v[60:61], v[82:83], v[68:69]
	buffer_load_dword v69, off, s[0:3], 0 offset:116
	buffer_load_dword v68, off, s[0:3], 0 offset:112
	s_waitcnt vmcnt(10)
	v_fmac_f64_e32 v[60:61], v[84:85], v[70:71]
	s_waitcnt vmcnt(8) lgkmcnt(1)
	v_fmac_f64_e32 v[60:61], v[86:87], v[72:73]
	s_waitcnt vmcnt(6)
	v_fmac_f64_e32 v[60:61], v[88:89], v[74:75]
	s_waitcnt vmcnt(4) lgkmcnt(0)
	v_fmac_f64_e32 v[60:61], v[90:91], v[76:77]
	s_waitcnt vmcnt(2)
	v_fmac_f64_e32 v[60:61], v[64:65], v[78:79]
	ds_read_b128 v[64:67], v62 offset:336
	s_waitcnt vmcnt(0) lgkmcnt(0)
	v_fmac_f64_e32 v[60:61], v[68:69], v[64:65]
	buffer_load_dword v65, off, s[0:3], 0 offset:124
	buffer_load_dword v64, off, s[0:3], 0 offset:120
	buffer_load_dword v69, off, s[0:3], 0 offset:132
	buffer_load_dword v68, off, s[0:3], 0 offset:128
	s_waitcnt vmcnt(2)
	v_fmac_f64_e32 v[60:61], v[64:65], v[66:67]
	ds_read_b128 v[64:67], v62 offset:352
	s_waitcnt vmcnt(0) lgkmcnt(0)
	v_fmac_f64_e32 v[60:61], v[68:69], v[64:65]
	buffer_load_dword v65, off, s[0:3], 0 offset:140
	buffer_load_dword v64, off, s[0:3], 0 offset:136
	buffer_load_dword v69, off, s[0:3], 0 offset:148
	buffer_load_dword v68, off, s[0:3], 0 offset:144
	;; [unrolled: 9-line block ×5, first 2 shown]
	s_waitcnt vmcnt(2)
	v_fmac_f64_e32 v[60:61], v[64:65], v[66:67]
	ds_read_b128 v[64:67], v62 offset:416
	s_waitcnt vmcnt(0) lgkmcnt(0)
	v_fmac_f64_e32 v[60:61], v[68:69], v[64:65]
	buffer_load_dword v65, off, s[0:3], 0 offset:204
	buffer_load_dword v64, off, s[0:3], 0 offset:200
	s_waitcnt vmcnt(0)
	v_fmac_f64_e32 v[60:61], v[64:65], v[66:67]
	buffer_load_dword v67, off, s[0:3], 0 offset:212
	buffer_load_dword v66, off, s[0:3], 0 offset:208
	ds_read_b128 v[62:65], v62 offset:432
	s_waitcnt vmcnt(0) lgkmcnt(0)
	v_fmac_f64_e32 v[60:61], v[66:67], v[62:63]
	buffer_load_dword v63, off, s[0:3], 0 offset:220
	buffer_load_dword v62, off, s[0:3], 0 offset:216
	s_waitcnt vmcnt(0)
	v_fmac_f64_e32 v[60:61], v[62:63], v[64:65]
	v_add_f64 v[58:59], v[58:59], -v[60:61]
	buffer_store_dword v59, off, s[0:3], 0 offset:44
	buffer_store_dword v58, off, s[0:3], 0 offset:40
	s_and_saveexec_b64 s[4:5], vcc
	s_cbranch_execz .LBB91_167
; %bb.166:
	buffer_load_dword v58, off, s[0:3], 0 offset:32
	buffer_load_dword v59, off, s[0:3], 0 offset:36
	v_mov_b32_e32 v60, 0
	buffer_store_dword v60, off, s[0:3], 0 offset:32
	buffer_store_dword v60, off, s[0:3], 0 offset:36
	s_waitcnt vmcnt(2)
	ds_write_b64 v1, v[58:59]
.LBB91_167:
	s_or_b64 exec, exec, s[4:5]
	s_waitcnt lgkmcnt(0)
	; wave barrier
	s_waitcnt lgkmcnt(0)
	buffer_load_dword v58, off, s[0:3], 0 offset:32
	buffer_load_dword v59, off, s[0:3], 0 offset:36
	;; [unrolled: 1-line block ×16, first 2 shown]
	v_mov_b32_e32 v62, 0
	ds_read2_b64 v[64:67], v62 offset0:33 offset1:34
	v_cmp_lt_u32_e32 vcc, 3, v0
	s_waitcnt vmcnt(12) lgkmcnt(0)
	v_fma_f64 v[60:61], v[60:61], v[64:65], 0
	s_waitcnt vmcnt(10)
	v_fmac_f64_e32 v[60:61], v[68:69], v[66:67]
	ds_read2_b64 v[64:67], v62 offset0:35 offset1:36
	s_waitcnt vmcnt(8) lgkmcnt(0)
	v_fmac_f64_e32 v[60:61], v[70:71], v[64:65]
	s_waitcnt vmcnt(6)
	v_fmac_f64_e32 v[60:61], v[72:73], v[66:67]
	ds_read2_b64 v[64:67], v62 offset0:37 offset1:38
	s_waitcnt vmcnt(4) lgkmcnt(0)
	v_fmac_f64_e32 v[60:61], v[74:75], v[64:65]
	;; [unrolled: 5-line block ×3, first 2 shown]
	buffer_load_dword v65, off, s[0:3], 0 offset:100
	buffer_load_dword v64, off, s[0:3], 0 offset:96
	buffer_load_dword v69, off, s[0:3], 0 offset:108
	buffer_load_dword v68, off, s[0:3], 0 offset:104
	s_waitcnt vmcnt(2)
	v_fmac_f64_e32 v[60:61], v[64:65], v[66:67]
	ds_read2_b64 v[64:67], v62 offset0:41 offset1:42
	s_waitcnt vmcnt(0) lgkmcnt(0)
	v_fmac_f64_e32 v[60:61], v[68:69], v[64:65]
	buffer_load_dword v65, off, s[0:3], 0 offset:116
	buffer_load_dword v64, off, s[0:3], 0 offset:112
	buffer_load_dword v69, off, s[0:3], 0 offset:124
	buffer_load_dword v68, off, s[0:3], 0 offset:120
	s_waitcnt vmcnt(2)
	v_fmac_f64_e32 v[60:61], v[64:65], v[66:67]
	ds_read2_b64 v[64:67], v62 offset0:43 offset1:44
	s_waitcnt vmcnt(0) lgkmcnt(0)
	v_fmac_f64_e32 v[60:61], v[68:69], v[64:65]
	;; [unrolled: 9-line block ×7, first 2 shown]
	buffer_load_dword v65, off, s[0:3], 0 offset:212
	buffer_load_dword v64, off, s[0:3], 0 offset:208
	s_waitcnt vmcnt(0)
	v_fmac_f64_e32 v[60:61], v[64:65], v[66:67]
	buffer_load_dword v65, off, s[0:3], 0 offset:220
	buffer_load_dword v64, off, s[0:3], 0 offset:216
	ds_read_b64 v[66:67], v62 offset:440
	s_waitcnt vmcnt(0) lgkmcnt(0)
	v_fmac_f64_e32 v[60:61], v[64:65], v[66:67]
	v_add_f64 v[58:59], v[58:59], -v[60:61]
	buffer_store_dword v59, off, s[0:3], 0 offset:36
	buffer_store_dword v58, off, s[0:3], 0 offset:32
	s_and_saveexec_b64 s[4:5], vcc
	s_cbranch_execz .LBB91_169
; %bb.168:
	buffer_load_dword v58, off, s[0:3], 0 offset:24
	buffer_load_dword v59, off, s[0:3], 0 offset:28
	s_waitcnt vmcnt(0)
	ds_write_b64 v1, v[58:59]
	buffer_store_dword v62, off, s[0:3], 0 offset:24
	buffer_store_dword v62, off, s[0:3], 0 offset:28
.LBB91_169:
	s_or_b64 exec, exec, s[4:5]
	s_waitcnt lgkmcnt(0)
	; wave barrier
	s_waitcnt lgkmcnt(0)
	buffer_load_dword v58, off, s[0:3], 0 offset:24
	buffer_load_dword v59, off, s[0:3], 0 offset:28
	;; [unrolled: 1-line block ×16, first 2 shown]
	ds_read_b128 v[64:67], v62 offset:256
	ds_read_b128 v[68:71], v62 offset:272
	;; [unrolled: 1-line block ×4, first 2 shown]
	v_cmp_lt_u32_e32 vcc, 2, v0
	s_waitcnt vmcnt(12) lgkmcnt(3)
	v_fma_f64 v[60:61], v[60:61], v[64:65], 0
	buffer_load_dword v65, off, s[0:3], 0 offset:92
	buffer_load_dword v64, off, s[0:3], 0 offset:88
	s_waitcnt vmcnt(12)
	v_fmac_f64_e32 v[60:61], v[80:81], v[66:67]
	s_waitcnt vmcnt(10) lgkmcnt(2)
	v_fmac_f64_e32 v[60:61], v[82:83], v[68:69]
	buffer_load_dword v69, off, s[0:3], 0 offset:100
	buffer_load_dword v68, off, s[0:3], 0 offset:96
	s_waitcnt vmcnt(10)
	v_fmac_f64_e32 v[60:61], v[84:85], v[70:71]
	s_waitcnt vmcnt(8) lgkmcnt(1)
	v_fmac_f64_e32 v[60:61], v[86:87], v[72:73]
	s_waitcnt vmcnt(6)
	v_fmac_f64_e32 v[60:61], v[88:89], v[74:75]
	s_waitcnt vmcnt(4) lgkmcnt(0)
	v_fmac_f64_e32 v[60:61], v[90:91], v[76:77]
	s_waitcnt vmcnt(2)
	v_fmac_f64_e32 v[60:61], v[64:65], v[78:79]
	ds_read_b128 v[64:67], v62 offset:320
	s_waitcnt vmcnt(0) lgkmcnt(0)
	v_fmac_f64_e32 v[60:61], v[68:69], v[64:65]
	buffer_load_dword v65, off, s[0:3], 0 offset:108
	buffer_load_dword v64, off, s[0:3], 0 offset:104
	buffer_load_dword v69, off, s[0:3], 0 offset:116
	buffer_load_dword v68, off, s[0:3], 0 offset:112
	s_waitcnt vmcnt(2)
	v_fmac_f64_e32 v[60:61], v[64:65], v[66:67]
	ds_read_b128 v[64:67], v62 offset:336
	s_waitcnt vmcnt(0) lgkmcnt(0)
	v_fmac_f64_e32 v[60:61], v[68:69], v[64:65]
	buffer_load_dword v65, off, s[0:3], 0 offset:124
	buffer_load_dword v64, off, s[0:3], 0 offset:120
	buffer_load_dword v69, off, s[0:3], 0 offset:132
	buffer_load_dword v68, off, s[0:3], 0 offset:128
	s_waitcnt vmcnt(2)
	v_fmac_f64_e32 v[60:61], v[64:65], v[66:67]
	ds_read_b128 v[64:67], v62 offset:352
	s_waitcnt vmcnt(0) lgkmcnt(0)
	v_fmac_f64_e32 v[60:61], v[68:69], v[64:65]
	buffer_load_dword v65, off, s[0:3], 0 offset:140
	buffer_load_dword v64, off, s[0:3], 0 offset:136
	buffer_load_dword v69, off, s[0:3], 0 offset:148
	buffer_load_dword v68, off, s[0:3], 0 offset:144
	s_waitcnt vmcnt(2)
	v_fmac_f64_e32 v[60:61], v[64:65], v[66:67]
	ds_read_b128 v[64:67], v62 offset:368
	s_waitcnt vmcnt(0) lgkmcnt(0)
	v_fmac_f64_e32 v[60:61], v[68:69], v[64:65]
	buffer_load_dword v65, off, s[0:3], 0 offset:156
	buffer_load_dword v64, off, s[0:3], 0 offset:152
	buffer_load_dword v69, off, s[0:3], 0 offset:164
	buffer_load_dword v68, off, s[0:3], 0 offset:160
	s_waitcnt vmcnt(2)
	v_fmac_f64_e32 v[60:61], v[64:65], v[66:67]
	ds_read_b128 v[64:67], v62 offset:384
	s_waitcnt vmcnt(0) lgkmcnt(0)
	v_fmac_f64_e32 v[60:61], v[68:69], v[64:65]
	buffer_load_dword v65, off, s[0:3], 0 offset:172
	buffer_load_dword v64, off, s[0:3], 0 offset:168
	buffer_load_dword v69, off, s[0:3], 0 offset:180
	buffer_load_dword v68, off, s[0:3], 0 offset:176
	s_waitcnt vmcnt(2)
	v_fmac_f64_e32 v[60:61], v[64:65], v[66:67]
	ds_read_b128 v[64:67], v62 offset:400
	s_waitcnt vmcnt(0) lgkmcnt(0)
	v_fmac_f64_e32 v[60:61], v[68:69], v[64:65]
	buffer_load_dword v65, off, s[0:3], 0 offset:188
	buffer_load_dword v64, off, s[0:3], 0 offset:184
	buffer_load_dword v69, off, s[0:3], 0 offset:196
	buffer_load_dword v68, off, s[0:3], 0 offset:192
	s_waitcnt vmcnt(2)
	v_fmac_f64_e32 v[60:61], v[64:65], v[66:67]
	ds_read_b128 v[64:67], v62 offset:416
	s_waitcnt vmcnt(0) lgkmcnt(0)
	v_fmac_f64_e32 v[60:61], v[68:69], v[64:65]
	buffer_load_dword v65, off, s[0:3], 0 offset:204
	buffer_load_dword v64, off, s[0:3], 0 offset:200
	s_waitcnt vmcnt(0)
	v_fmac_f64_e32 v[60:61], v[64:65], v[66:67]
	buffer_load_dword v67, off, s[0:3], 0 offset:212
	buffer_load_dword v66, off, s[0:3], 0 offset:208
	ds_read_b128 v[62:65], v62 offset:432
	s_waitcnt vmcnt(0) lgkmcnt(0)
	v_fmac_f64_e32 v[60:61], v[66:67], v[62:63]
	buffer_load_dword v63, off, s[0:3], 0 offset:220
	buffer_load_dword v62, off, s[0:3], 0 offset:216
	s_waitcnt vmcnt(0)
	v_fmac_f64_e32 v[60:61], v[62:63], v[64:65]
	v_add_f64 v[58:59], v[58:59], -v[60:61]
	buffer_store_dword v59, off, s[0:3], 0 offset:28
	buffer_store_dword v58, off, s[0:3], 0 offset:24
	s_and_saveexec_b64 s[4:5], vcc
	s_cbranch_execz .LBB91_171
; %bb.170:
	buffer_load_dword v58, off, s[0:3], 0 offset:16
	buffer_load_dword v59, off, s[0:3], 0 offset:20
	v_mov_b32_e32 v60, 0
	buffer_store_dword v60, off, s[0:3], 0 offset:16
	buffer_store_dword v60, off, s[0:3], 0 offset:20
	s_waitcnt vmcnt(2)
	ds_write_b64 v1, v[58:59]
.LBB91_171:
	s_or_b64 exec, exec, s[4:5]
	s_waitcnt lgkmcnt(0)
	; wave barrier
	s_waitcnt lgkmcnt(0)
	buffer_load_dword v58, off, s[0:3], 0 offset:16
	buffer_load_dword v59, off, s[0:3], 0 offset:20
	;; [unrolled: 1-line block ×16, first 2 shown]
	v_mov_b32_e32 v62, 0
	ds_read2_b64 v[64:67], v62 offset0:31 offset1:32
	v_cmp_lt_u32_e32 vcc, 1, v0
	s_waitcnt vmcnt(12) lgkmcnt(0)
	v_fma_f64 v[60:61], v[60:61], v[64:65], 0
	s_waitcnt vmcnt(10)
	v_fmac_f64_e32 v[60:61], v[68:69], v[66:67]
	ds_read2_b64 v[64:67], v62 offset0:33 offset1:34
	s_waitcnt vmcnt(8) lgkmcnt(0)
	v_fmac_f64_e32 v[60:61], v[70:71], v[64:65]
	s_waitcnt vmcnt(6)
	v_fmac_f64_e32 v[60:61], v[72:73], v[66:67]
	ds_read2_b64 v[64:67], v62 offset0:35 offset1:36
	s_waitcnt vmcnt(4) lgkmcnt(0)
	v_fmac_f64_e32 v[60:61], v[74:75], v[64:65]
	;; [unrolled: 5-line block ×3, first 2 shown]
	buffer_load_dword v65, off, s[0:3], 0 offset:84
	buffer_load_dword v64, off, s[0:3], 0 offset:80
	buffer_load_dword v69, off, s[0:3], 0 offset:92
	buffer_load_dword v68, off, s[0:3], 0 offset:88
	s_waitcnt vmcnt(2)
	v_fmac_f64_e32 v[60:61], v[64:65], v[66:67]
	ds_read2_b64 v[64:67], v62 offset0:39 offset1:40
	s_waitcnt vmcnt(0) lgkmcnt(0)
	v_fmac_f64_e32 v[60:61], v[68:69], v[64:65]
	buffer_load_dword v65, off, s[0:3], 0 offset:100
	buffer_load_dword v64, off, s[0:3], 0 offset:96
	buffer_load_dword v69, off, s[0:3], 0 offset:108
	buffer_load_dword v68, off, s[0:3], 0 offset:104
	s_waitcnt vmcnt(2)
	v_fmac_f64_e32 v[60:61], v[64:65], v[66:67]
	ds_read2_b64 v[64:67], v62 offset0:41 offset1:42
	s_waitcnt vmcnt(0) lgkmcnt(0)
	v_fmac_f64_e32 v[60:61], v[68:69], v[64:65]
	;; [unrolled: 9-line block ×8, first 2 shown]
	buffer_load_dword v65, off, s[0:3], 0 offset:212
	buffer_load_dword v64, off, s[0:3], 0 offset:208
	s_waitcnt vmcnt(0)
	v_fmac_f64_e32 v[60:61], v[64:65], v[66:67]
	buffer_load_dword v65, off, s[0:3], 0 offset:220
	buffer_load_dword v64, off, s[0:3], 0 offset:216
	ds_read_b64 v[66:67], v62 offset:440
	s_waitcnt vmcnt(0) lgkmcnt(0)
	v_fmac_f64_e32 v[60:61], v[64:65], v[66:67]
	v_add_f64 v[58:59], v[58:59], -v[60:61]
	buffer_store_dword v59, off, s[0:3], 0 offset:20
	buffer_store_dword v58, off, s[0:3], 0 offset:16
	s_and_saveexec_b64 s[4:5], vcc
	s_cbranch_execz .LBB91_173
; %bb.172:
	buffer_load_dword v58, off, s[0:3], 0 offset:8
	buffer_load_dword v59, off, s[0:3], 0 offset:12
	s_waitcnt vmcnt(0)
	ds_write_b64 v1, v[58:59]
	buffer_store_dword v62, off, s[0:3], 0 offset:8
	buffer_store_dword v62, off, s[0:3], 0 offset:12
.LBB91_173:
	s_or_b64 exec, exec, s[4:5]
	s_waitcnt lgkmcnt(0)
	; wave barrier
	s_waitcnt lgkmcnt(0)
	buffer_load_dword v58, off, s[0:3], 0 offset:8
	buffer_load_dword v59, off, s[0:3], 0 offset:12
	;; [unrolled: 1-line block ×16, first 2 shown]
	ds_read_b128 v[64:67], v62 offset:240
	ds_read_b128 v[68:71], v62 offset:256
	;; [unrolled: 1-line block ×4, first 2 shown]
	v_cmp_ne_u32_e32 vcc, 0, v0
	s_waitcnt vmcnt(12) lgkmcnt(3)
	v_fma_f64 v[60:61], v[60:61], v[64:65], 0
	buffer_load_dword v65, off, s[0:3], 0 offset:76
	buffer_load_dword v64, off, s[0:3], 0 offset:72
	s_waitcnt vmcnt(12)
	v_fmac_f64_e32 v[60:61], v[80:81], v[66:67]
	s_waitcnt vmcnt(10) lgkmcnt(2)
	v_fmac_f64_e32 v[60:61], v[82:83], v[68:69]
	buffer_load_dword v69, off, s[0:3], 0 offset:84
	buffer_load_dword v68, off, s[0:3], 0 offset:80
	s_waitcnt vmcnt(10)
	v_fmac_f64_e32 v[60:61], v[84:85], v[70:71]
	s_waitcnt vmcnt(8) lgkmcnt(1)
	v_fmac_f64_e32 v[60:61], v[86:87], v[72:73]
	s_waitcnt vmcnt(6)
	v_fmac_f64_e32 v[60:61], v[88:89], v[74:75]
	s_waitcnt vmcnt(4) lgkmcnt(0)
	v_fmac_f64_e32 v[60:61], v[90:91], v[76:77]
	s_waitcnt vmcnt(2)
	v_fmac_f64_e32 v[60:61], v[64:65], v[78:79]
	ds_read_b128 v[64:67], v62 offset:304
	s_waitcnt vmcnt(0) lgkmcnt(0)
	v_fmac_f64_e32 v[60:61], v[68:69], v[64:65]
	buffer_load_dword v65, off, s[0:3], 0 offset:92
	buffer_load_dword v64, off, s[0:3], 0 offset:88
	buffer_load_dword v69, off, s[0:3], 0 offset:100
	buffer_load_dword v68, off, s[0:3], 0 offset:96
	s_waitcnt vmcnt(2)
	v_fmac_f64_e32 v[60:61], v[64:65], v[66:67]
	ds_read_b128 v[64:67], v62 offset:320
	s_waitcnt vmcnt(0) lgkmcnt(0)
	v_fmac_f64_e32 v[60:61], v[68:69], v[64:65]
	buffer_load_dword v65, off, s[0:3], 0 offset:108
	buffer_load_dword v64, off, s[0:3], 0 offset:104
	buffer_load_dword v69, off, s[0:3], 0 offset:116
	buffer_load_dword v68, off, s[0:3], 0 offset:112
	;; [unrolled: 9-line block ×7, first 2 shown]
	s_waitcnt vmcnt(2)
	v_fmac_f64_e32 v[60:61], v[64:65], v[66:67]
	ds_read_b128 v[64:67], v62 offset:416
	s_waitcnt vmcnt(0) lgkmcnt(0)
	v_fmac_f64_e32 v[60:61], v[68:69], v[64:65]
	buffer_load_dword v65, off, s[0:3], 0 offset:204
	buffer_load_dword v64, off, s[0:3], 0 offset:200
	s_waitcnt vmcnt(0)
	v_fmac_f64_e32 v[60:61], v[64:65], v[66:67]
	buffer_load_dword v67, off, s[0:3], 0 offset:212
	buffer_load_dword v66, off, s[0:3], 0 offset:208
	ds_read_b128 v[62:65], v62 offset:432
	s_waitcnt vmcnt(0) lgkmcnt(0)
	v_fmac_f64_e32 v[60:61], v[66:67], v[62:63]
	buffer_load_dword v63, off, s[0:3], 0 offset:220
	buffer_load_dword v62, off, s[0:3], 0 offset:216
	s_waitcnt vmcnt(0)
	v_fmac_f64_e32 v[60:61], v[62:63], v[64:65]
	v_add_f64 v[58:59], v[58:59], -v[60:61]
	buffer_store_dword v59, off, s[0:3], 0 offset:12
	buffer_store_dword v58, off, s[0:3], 0 offset:8
	s_and_saveexec_b64 s[4:5], vcc
	s_cbranch_execz .LBB91_175
; %bb.174:
	buffer_load_dword v58, off, s[0:3], 0
	buffer_load_dword v59, off, s[0:3], 0 offset:4
	v_mov_b32_e32 v0, 0
	buffer_store_dword v0, off, s[0:3], 0
	buffer_store_dword v0, off, s[0:3], 0 offset:4
	s_waitcnt vmcnt(2)
	ds_write_b64 v1, v[58:59]
.LBB91_175:
	s_or_b64 exec, exec, s[4:5]
	s_waitcnt lgkmcnt(0)
	; wave barrier
	s_waitcnt lgkmcnt(0)
	buffer_load_dword v0, off, s[0:3], 0
	buffer_load_dword v1, off, s[0:3], 0 offset:4
	buffer_load_dword v62, off, s[0:3], 0 offset:8
	;; [unrolled: 1-line block ×15, first 2 shown]
	v_mov_b32_e32 v76, 0
	ds_read2_b64 v[58:61], v76 offset0:29 offset1:30
	s_and_b64 vcc, exec, s[16:17]
	s_waitcnt vmcnt(12) lgkmcnt(0)
	v_fma_f64 v[58:59], v[62:63], v[58:59], 0
	s_waitcnt vmcnt(10)
	v_fmac_f64_e32 v[58:59], v[64:65], v[60:61]
	ds_read2_b64 v[60:63], v76 offset0:31 offset1:32
	s_waitcnt vmcnt(8) lgkmcnt(0)
	v_fmac_f64_e32 v[58:59], v[66:67], v[60:61]
	s_waitcnt vmcnt(6)
	v_fmac_f64_e32 v[58:59], v[68:69], v[62:63]
	ds_read2_b64 v[60:63], v76 offset0:33 offset1:34
	s_waitcnt vmcnt(4) lgkmcnt(0)
	v_fmac_f64_e32 v[58:59], v[70:71], v[60:61]
	;; [unrolled: 5-line block ×3, first 2 shown]
	buffer_load_dword v61, off, s[0:3], 0 offset:68
	buffer_load_dword v60, off, s[0:3], 0 offset:64
	buffer_load_dword v65, off, s[0:3], 0 offset:76
	buffer_load_dword v64, off, s[0:3], 0 offset:72
	s_waitcnt vmcnt(2)
	v_fmac_f64_e32 v[58:59], v[60:61], v[62:63]
	ds_read2_b64 v[60:63], v76 offset0:37 offset1:38
	s_waitcnt vmcnt(0) lgkmcnt(0)
	v_fmac_f64_e32 v[58:59], v[64:65], v[60:61]
	buffer_load_dword v61, off, s[0:3], 0 offset:84
	buffer_load_dword v60, off, s[0:3], 0 offset:80
	buffer_load_dword v65, off, s[0:3], 0 offset:92
	buffer_load_dword v64, off, s[0:3], 0 offset:88
	s_waitcnt vmcnt(2)
	v_fmac_f64_e32 v[58:59], v[60:61], v[62:63]
	ds_read2_b64 v[60:63], v76 offset0:39 offset1:40
	s_waitcnt vmcnt(0) lgkmcnt(0)
	v_fmac_f64_e32 v[58:59], v[64:65], v[60:61]
	buffer_load_dword v61, off, s[0:3], 0 offset:100
	buffer_load_dword v60, off, s[0:3], 0 offset:96
	buffer_load_dword v65, off, s[0:3], 0 offset:108
	buffer_load_dword v64, off, s[0:3], 0 offset:104
	s_waitcnt vmcnt(2)
	v_fmac_f64_e32 v[58:59], v[60:61], v[62:63]
	ds_read2_b64 v[60:63], v76 offset0:41 offset1:42
	s_waitcnt vmcnt(0) lgkmcnt(0)
	v_fmac_f64_e32 v[58:59], v[64:65], v[60:61]
	buffer_load_dword v61, off, s[0:3], 0 offset:116
	buffer_load_dword v60, off, s[0:3], 0 offset:112
	buffer_load_dword v65, off, s[0:3], 0 offset:124
	buffer_load_dword v64, off, s[0:3], 0 offset:120
	s_waitcnt vmcnt(2)
	v_fmac_f64_e32 v[58:59], v[60:61], v[62:63]
	ds_read2_b64 v[60:63], v76 offset0:43 offset1:44
	s_waitcnt vmcnt(0) lgkmcnt(0)
	v_fmac_f64_e32 v[58:59], v[64:65], v[60:61]
	buffer_load_dword v61, off, s[0:3], 0 offset:132
	buffer_load_dword v60, off, s[0:3], 0 offset:128
	buffer_load_dword v65, off, s[0:3], 0 offset:140
	buffer_load_dword v64, off, s[0:3], 0 offset:136
	s_waitcnt vmcnt(2)
	v_fmac_f64_e32 v[58:59], v[60:61], v[62:63]
	ds_read2_b64 v[60:63], v76 offset0:45 offset1:46
	s_waitcnt vmcnt(0) lgkmcnt(0)
	v_fmac_f64_e32 v[58:59], v[64:65], v[60:61]
	buffer_load_dword v61, off, s[0:3], 0 offset:148
	buffer_load_dword v60, off, s[0:3], 0 offset:144
	buffer_load_dword v65, off, s[0:3], 0 offset:156
	buffer_load_dword v64, off, s[0:3], 0 offset:152
	s_waitcnt vmcnt(2)
	v_fmac_f64_e32 v[58:59], v[60:61], v[62:63]
	ds_read2_b64 v[60:63], v76 offset0:47 offset1:48
	s_waitcnt vmcnt(0) lgkmcnt(0)
	v_fmac_f64_e32 v[58:59], v[64:65], v[60:61]
	buffer_load_dword v61, off, s[0:3], 0 offset:164
	buffer_load_dword v60, off, s[0:3], 0 offset:160
	buffer_load_dword v65, off, s[0:3], 0 offset:172
	buffer_load_dword v64, off, s[0:3], 0 offset:168
	s_waitcnt vmcnt(2)
	v_fmac_f64_e32 v[58:59], v[60:61], v[62:63]
	ds_read2_b64 v[60:63], v76 offset0:49 offset1:50
	s_waitcnt vmcnt(0) lgkmcnt(0)
	v_fmac_f64_e32 v[58:59], v[64:65], v[60:61]
	buffer_load_dword v61, off, s[0:3], 0 offset:180
	buffer_load_dword v60, off, s[0:3], 0 offset:176
	buffer_load_dword v65, off, s[0:3], 0 offset:188
	buffer_load_dword v64, off, s[0:3], 0 offset:184
	s_waitcnt vmcnt(2)
	v_fmac_f64_e32 v[58:59], v[60:61], v[62:63]
	ds_read2_b64 v[60:63], v76 offset0:51 offset1:52
	s_waitcnt vmcnt(0) lgkmcnt(0)
	v_fmac_f64_e32 v[58:59], v[64:65], v[60:61]
	buffer_load_dword v61, off, s[0:3], 0 offset:196
	buffer_load_dword v60, off, s[0:3], 0 offset:192
	buffer_load_dword v65, off, s[0:3], 0 offset:204
	buffer_load_dword v64, off, s[0:3], 0 offset:200
	s_waitcnt vmcnt(2)
	v_fmac_f64_e32 v[58:59], v[60:61], v[62:63]
	ds_read2_b64 v[60:63], v76 offset0:53 offset1:54
	s_waitcnt vmcnt(0) lgkmcnt(0)
	v_fmac_f64_e32 v[58:59], v[64:65], v[60:61]
	buffer_load_dword v61, off, s[0:3], 0 offset:212
	buffer_load_dword v60, off, s[0:3], 0 offset:208
	s_waitcnt vmcnt(0)
	v_fmac_f64_e32 v[58:59], v[60:61], v[62:63]
	buffer_load_dword v63, off, s[0:3], 0 offset:220
	buffer_load_dword v62, off, s[0:3], 0 offset:216
	ds_read_b64 v[64:65], v76 offset:440
	s_waitcnt vmcnt(0) lgkmcnt(0)
	v_fmac_f64_e32 v[58:59], v[62:63], v[64:65]
	v_add_f64 v[0:1], v[0:1], -v[58:59]
	buffer_store_dword v1, off, s[0:3], 0 offset:4
	buffer_store_dword v0, off, s[0:3], 0
	s_cbranch_vccz .LBB91_231
; %bb.176:
	v_pk_mov_b32 v[0:1], s[10:11], s[10:11] op_sel:[0,1]
	flat_load_dword v0, v[0:1] offset:104
	s_waitcnt vmcnt(0) lgkmcnt(0)
	v_add_u32_e32 v0, -1, v0
	v_cmp_ne_u32_e32 vcc, 26, v0
	s_and_saveexec_b64 s[4:5], vcc
	s_cbranch_execz .LBB91_178
; %bb.177:
	v_mov_b32_e32 v1, 0
	v_lshl_add_u32 v0, v0, 3, v1
	buffer_load_dword v1, v0, s[0:3], 0 offen offset:4
	buffer_load_dword v58, v0, s[0:3], 0 offen
	s_waitcnt vmcnt(1)
	buffer_store_dword v1, off, s[0:3], 0 offset:212
	s_waitcnt vmcnt(1)
	buffer_store_dword v58, off, s[0:3], 0 offset:208
	buffer_store_dword v61, v0, s[0:3], 0 offen offset:4
	buffer_store_dword v60, v0, s[0:3], 0 offen
.LBB91_178:
	s_or_b64 exec, exec, s[4:5]
	v_pk_mov_b32 v[0:1], s[10:11], s[10:11] op_sel:[0,1]
	flat_load_dword v0, v[0:1] offset:100
	s_waitcnt vmcnt(0) lgkmcnt(0)
	v_add_u32_e32 v0, -1, v0
	v_cmp_ne_u32_e32 vcc, 25, v0
	s_and_saveexec_b64 s[4:5], vcc
	s_cbranch_execz .LBB91_180
; %bb.179:
	v_mov_b32_e32 v1, 0
	v_lshl_add_u32 v0, v0, 3, v1
	buffer_load_dword v1, v0, s[0:3], 0 offen
	buffer_load_dword v58, v0, s[0:3], 0 offen offset:4
	buffer_load_dword v59, off, s[0:3], 0 offset:200
	buffer_load_dword v60, off, s[0:3], 0 offset:204
	s_waitcnt vmcnt(3)
	buffer_store_dword v1, off, s[0:3], 0 offset:200
	s_waitcnt vmcnt(3)
	buffer_store_dword v58, off, s[0:3], 0 offset:204
	s_waitcnt vmcnt(3)
	buffer_store_dword v59, v0, s[0:3], 0 offen
	s_waitcnt vmcnt(3)
	buffer_store_dword v60, v0, s[0:3], 0 offen offset:4
.LBB91_180:
	s_or_b64 exec, exec, s[4:5]
	v_pk_mov_b32 v[0:1], s[10:11], s[10:11] op_sel:[0,1]
	flat_load_dword v0, v[0:1] offset:96
	s_waitcnt vmcnt(0) lgkmcnt(0)
	v_add_u32_e32 v0, -1, v0
	v_cmp_ne_u32_e32 vcc, 24, v0
	s_and_saveexec_b64 s[4:5], vcc
	s_cbranch_execz .LBB91_182
; %bb.181:
	v_mov_b32_e32 v1, 0
	v_lshl_add_u32 v0, v0, 3, v1
	buffer_load_dword v1, v0, s[0:3], 0 offen
	buffer_load_dword v58, v0, s[0:3], 0 offen offset:4
	buffer_load_dword v59, off, s[0:3], 0 offset:196
	buffer_load_dword v60, off, s[0:3], 0 offset:192
	s_waitcnt vmcnt(3)
	buffer_store_dword v1, off, s[0:3], 0 offset:192
	s_waitcnt vmcnt(3)
	buffer_store_dword v58, off, s[0:3], 0 offset:196
	s_waitcnt vmcnt(3)
	buffer_store_dword v59, v0, s[0:3], 0 offen offset:4
	s_waitcnt vmcnt(3)
	buffer_store_dword v60, v0, s[0:3], 0 offen
.LBB91_182:
	s_or_b64 exec, exec, s[4:5]
	v_pk_mov_b32 v[0:1], s[10:11], s[10:11] op_sel:[0,1]
	flat_load_dword v0, v[0:1] offset:92
	s_waitcnt vmcnt(0) lgkmcnt(0)
	v_add_u32_e32 v0, -1, v0
	v_cmp_ne_u32_e32 vcc, 23, v0
	s_and_saveexec_b64 s[4:5], vcc
	s_cbranch_execz .LBB91_184
; %bb.183:
	v_mov_b32_e32 v1, 0
	v_lshl_add_u32 v0, v0, 3, v1
	buffer_load_dword v1, v0, s[0:3], 0 offen
	buffer_load_dword v58, v0, s[0:3], 0 offen offset:4
	buffer_load_dword v59, off, s[0:3], 0 offset:184
	buffer_load_dword v60, off, s[0:3], 0 offset:188
	s_waitcnt vmcnt(3)
	buffer_store_dword v1, off, s[0:3], 0 offset:184
	s_waitcnt vmcnt(3)
	buffer_store_dword v58, off, s[0:3], 0 offset:188
	s_waitcnt vmcnt(3)
	buffer_store_dword v59, v0, s[0:3], 0 offen
	s_waitcnt vmcnt(3)
	buffer_store_dword v60, v0, s[0:3], 0 offen offset:4
.LBB91_184:
	s_or_b64 exec, exec, s[4:5]
	v_pk_mov_b32 v[0:1], s[10:11], s[10:11] op_sel:[0,1]
	flat_load_dword v0, v[0:1] offset:88
	s_waitcnt vmcnt(0) lgkmcnt(0)
	v_add_u32_e32 v0, -1, v0
	v_cmp_ne_u32_e32 vcc, 22, v0
	s_and_saveexec_b64 s[4:5], vcc
	s_cbranch_execz .LBB91_186
; %bb.185:
	v_mov_b32_e32 v1, 0
	v_lshl_add_u32 v0, v0, 3, v1
	buffer_load_dword v1, v0, s[0:3], 0 offen
	buffer_load_dword v58, v0, s[0:3], 0 offen offset:4
	buffer_load_dword v59, off, s[0:3], 0 offset:180
	buffer_load_dword v60, off, s[0:3], 0 offset:176
	s_waitcnt vmcnt(3)
	buffer_store_dword v1, off, s[0:3], 0 offset:176
	s_waitcnt vmcnt(3)
	buffer_store_dword v58, off, s[0:3], 0 offset:180
	s_waitcnt vmcnt(3)
	buffer_store_dword v59, v0, s[0:3], 0 offen offset:4
	s_waitcnt vmcnt(3)
	buffer_store_dword v60, v0, s[0:3], 0 offen
.LBB91_186:
	;; [unrolled: 48-line block ×12, first 2 shown]
	s_or_b64 exec, exec, s[4:5]
	v_pk_mov_b32 v[0:1], s[10:11], s[10:11] op_sel:[0,1]
	flat_load_dword v0, v[0:1] offset:4
	s_waitcnt vmcnt(0) lgkmcnt(0)
	v_add_u32_e32 v0, -1, v0
	v_cmp_ne_u32_e32 vcc, 1, v0
	s_and_saveexec_b64 s[4:5], vcc
	s_cbranch_execz .LBB91_228
; %bb.227:
	v_mov_b32_e32 v1, 0
	v_lshl_add_u32 v0, v0, 3, v1
	buffer_load_dword v1, v0, s[0:3], 0 offen
	buffer_load_dword v58, v0, s[0:3], 0 offen offset:4
	buffer_load_dword v59, off, s[0:3], 0 offset:8
	buffer_load_dword v60, off, s[0:3], 0 offset:12
	s_waitcnt vmcnt(3)
	buffer_store_dword v1, off, s[0:3], 0 offset:8
	s_waitcnt vmcnt(3)
	buffer_store_dword v58, off, s[0:3], 0 offset:12
	s_waitcnt vmcnt(3)
	buffer_store_dword v59, v0, s[0:3], 0 offen
	s_waitcnt vmcnt(3)
	buffer_store_dword v60, v0, s[0:3], 0 offen offset:4
.LBB91_228:
	s_or_b64 exec, exec, s[4:5]
	v_pk_mov_b32 v[0:1], s[10:11], s[10:11] op_sel:[0,1]
	flat_load_dword v58, v[0:1]
	s_nop 0
	buffer_load_dword v0, off, s[0:3], 0
	buffer_load_dword v1, off, s[0:3], 0 offset:4
	s_waitcnt vmcnt(0) lgkmcnt(0)
	v_add_u32_e32 v58, -1, v58
	v_cmp_ne_u32_e32 vcc, 0, v58
	s_and_saveexec_b64 s[4:5], vcc
	s_cbranch_execz .LBB91_230
; %bb.229:
	v_mov_b32_e32 v59, 0
	v_lshl_add_u32 v58, v58, 3, v59
	buffer_load_dword v59, v58, s[0:3], 0 offen offset:4
	buffer_load_dword v60, v58, s[0:3], 0 offen
	s_waitcnt vmcnt(1)
	buffer_store_dword v59, off, s[0:3], 0 offset:4
	s_waitcnt vmcnt(1)
	buffer_store_dword v60, off, s[0:3], 0
	buffer_store_dword v1, v58, s[0:3], 0 offen offset:4
	buffer_store_dword v0, v58, s[0:3], 0 offen
	buffer_load_dword v0, off, s[0:3], 0
	s_nop 0
	buffer_load_dword v1, off, s[0:3], 0 offset:4
.LBB91_230:
	s_or_b64 exec, exec, s[4:5]
.LBB91_231:
	buffer_load_dword v58, off, s[0:3], 0 offset:8
	buffer_load_dword v59, off, s[0:3], 0 offset:12
	;; [unrolled: 1-line block ×54, first 2 shown]
	s_waitcnt vmcnt(54)
	global_store_dwordx2 v[48:49], v[0:1], off
	s_waitcnt vmcnt(53)
	global_store_dwordx2 v[50:51], v[58:59], off
	s_waitcnt vmcnt(52)
	global_store_dwordx2 v[2:3], v[60:61], off
	s_waitcnt vmcnt(51)
	global_store_dwordx2 v[4:5], v[62:63], off
	s_waitcnt vmcnt(50)
	global_store_dwordx2 v[6:7], v[64:65], off
	s_waitcnt vmcnt(49)
	global_store_dwordx2 v[8:9], v[66:67], off
	s_waitcnt vmcnt(48)
	global_store_dwordx2 v[10:11], v[68:69], off
	s_waitcnt vmcnt(47)
	global_store_dwordx2 v[12:13], v[70:71], off
	s_waitcnt vmcnt(46)
	global_store_dwordx2 v[14:15], v[72:73], off
	s_waitcnt vmcnt(45)
	global_store_dwordx2 v[16:17], v[74:75], off
	s_waitcnt vmcnt(44)
	global_store_dwordx2 v[18:19], v[76:77], off
	s_waitcnt vmcnt(43)
	global_store_dwordx2 v[20:21], v[78:79], off
	s_waitcnt vmcnt(42)
	global_store_dwordx2 v[22:23], v[80:81], off
	s_waitcnt vmcnt(41)
	global_store_dwordx2 v[24:25], v[82:83], off
	s_waitcnt vmcnt(40)
	global_store_dwordx2 v[26:27], v[84:85], off
	s_waitcnt vmcnt(39)
	global_store_dwordx2 v[28:29], v[86:87], off
	s_waitcnt vmcnt(38)
	global_store_dwordx2 v[30:31], v[88:89], off
	s_waitcnt vmcnt(37)
	global_store_dwordx2 v[32:33], v[90:91], off
	s_waitcnt vmcnt(36)
	global_store_dwordx2 v[34:35], v[92:93], off
	s_waitcnt vmcnt(35)
	global_store_dwordx2 v[36:37], v[94:95], off
	s_waitcnt vmcnt(34)
	global_store_dwordx2 v[38:39], v[96:97], off
	s_waitcnt vmcnt(33)
	global_store_dwordx2 v[40:41], v[98:99], off
	s_waitcnt vmcnt(32)
	global_store_dwordx2 v[42:43], v[100:101], off
	s_waitcnt vmcnt(31)
	global_store_dwordx2 v[44:45], v[102:103], off
	s_waitcnt vmcnt(30)
	global_store_dwordx2 v[46:47], v[104:105], off
	s_waitcnt vmcnt(29)
	global_store_dwordx2 v[52:53], v[106:107], off
	s_waitcnt vmcnt(28)
	global_store_dwordx2 v[54:55], v[108:109], off
	s_waitcnt vmcnt(27)
	global_store_dwordx2 v[56:57], v[110:111], off
	s_endpgm
	.section	.rodata,"a",@progbits
	.p2align	6, 0x0
	.amdhsa_kernel _ZN9rocsolver6v33100L18getri_kernel_smallILi28EdPKPdEEvT1_iilPiilS6_bb
		.amdhsa_group_segment_fixed_size 456
		.amdhsa_private_segment_fixed_size 240
		.amdhsa_kernarg_size 60
		.amdhsa_user_sgpr_count 8
		.amdhsa_user_sgpr_private_segment_buffer 1
		.amdhsa_user_sgpr_dispatch_ptr 0
		.amdhsa_user_sgpr_queue_ptr 0
		.amdhsa_user_sgpr_kernarg_segment_ptr 1
		.amdhsa_user_sgpr_dispatch_id 0
		.amdhsa_user_sgpr_flat_scratch_init 1
		.amdhsa_user_sgpr_kernarg_preload_length 0
		.amdhsa_user_sgpr_kernarg_preload_offset 0
		.amdhsa_user_sgpr_private_segment_size 0
		.amdhsa_uses_dynamic_stack 0
		.amdhsa_system_sgpr_private_segment_wavefront_offset 1
		.amdhsa_system_sgpr_workgroup_id_x 1
		.amdhsa_system_sgpr_workgroup_id_y 0
		.amdhsa_system_sgpr_workgroup_id_z 0
		.amdhsa_system_sgpr_workgroup_info 0
		.amdhsa_system_vgpr_workitem_id 0
		.amdhsa_next_free_vgpr 126
		.amdhsa_next_free_sgpr 22
		.amdhsa_accum_offset 128
		.amdhsa_reserve_vcc 1
		.amdhsa_reserve_flat_scratch 1
		.amdhsa_float_round_mode_32 0
		.amdhsa_float_round_mode_16_64 0
		.amdhsa_float_denorm_mode_32 3
		.amdhsa_float_denorm_mode_16_64 3
		.amdhsa_dx10_clamp 1
		.amdhsa_ieee_mode 1
		.amdhsa_fp16_overflow 0
		.amdhsa_tg_split 0
		.amdhsa_exception_fp_ieee_invalid_op 0
		.amdhsa_exception_fp_denorm_src 0
		.amdhsa_exception_fp_ieee_div_zero 0
		.amdhsa_exception_fp_ieee_overflow 0
		.amdhsa_exception_fp_ieee_underflow 0
		.amdhsa_exception_fp_ieee_inexact 0
		.amdhsa_exception_int_div_zero 0
	.end_amdhsa_kernel
	.section	.text._ZN9rocsolver6v33100L18getri_kernel_smallILi28EdPKPdEEvT1_iilPiilS6_bb,"axG",@progbits,_ZN9rocsolver6v33100L18getri_kernel_smallILi28EdPKPdEEvT1_iilPiilS6_bb,comdat
.Lfunc_end91:
	.size	_ZN9rocsolver6v33100L18getri_kernel_smallILi28EdPKPdEEvT1_iilPiilS6_bb, .Lfunc_end91-_ZN9rocsolver6v33100L18getri_kernel_smallILi28EdPKPdEEvT1_iilPiilS6_bb
                                        ; -- End function
	.section	.AMDGPU.csdata,"",@progbits
; Kernel info:
; codeLenInByte = 25388
; NumSgprs: 28
; NumVgprs: 126
; NumAgprs: 0
; TotalNumVgprs: 126
; ScratchSize: 240
; MemoryBound: 0
; FloatMode: 240
; IeeeMode: 1
; LDSByteSize: 456 bytes/workgroup (compile time only)
; SGPRBlocks: 3
; VGPRBlocks: 15
; NumSGPRsForWavesPerEU: 28
; NumVGPRsForWavesPerEU: 126
; AccumOffset: 128
; Occupancy: 4
; WaveLimiterHint : 1
; COMPUTE_PGM_RSRC2:SCRATCH_EN: 1
; COMPUTE_PGM_RSRC2:USER_SGPR: 8
; COMPUTE_PGM_RSRC2:TRAP_HANDLER: 0
; COMPUTE_PGM_RSRC2:TGID_X_EN: 1
; COMPUTE_PGM_RSRC2:TGID_Y_EN: 0
; COMPUTE_PGM_RSRC2:TGID_Z_EN: 0
; COMPUTE_PGM_RSRC2:TIDIG_COMP_CNT: 0
; COMPUTE_PGM_RSRC3_GFX90A:ACCUM_OFFSET: 31
; COMPUTE_PGM_RSRC3_GFX90A:TG_SPLIT: 0
	.section	.text._ZN9rocsolver6v33100L18getri_kernel_smallILi29EdPKPdEEvT1_iilPiilS6_bb,"axG",@progbits,_ZN9rocsolver6v33100L18getri_kernel_smallILi29EdPKPdEEvT1_iilPiilS6_bb,comdat
	.globl	_ZN9rocsolver6v33100L18getri_kernel_smallILi29EdPKPdEEvT1_iilPiilS6_bb ; -- Begin function _ZN9rocsolver6v33100L18getri_kernel_smallILi29EdPKPdEEvT1_iilPiilS6_bb
	.p2align	8
	.type	_ZN9rocsolver6v33100L18getri_kernel_smallILi29EdPKPdEEvT1_iilPiilS6_bb,@function
_ZN9rocsolver6v33100L18getri_kernel_smallILi29EdPKPdEEvT1_iilPiilS6_bb: ; @_ZN9rocsolver6v33100L18getri_kernel_smallILi29EdPKPdEEvT1_iilPiilS6_bb
; %bb.0:
	s_add_u32 flat_scratch_lo, s6, s9
	s_addc_u32 flat_scratch_hi, s7, 0
	s_add_u32 s0, s0, s9
	s_addc_u32 s1, s1, 0
	v_cmp_gt_u32_e32 vcc, 29, v0
	s_and_saveexec_b64 s[6:7], vcc
	s_cbranch_execz .LBB92_124
; %bb.1:
	s_load_dword s20, s[4:5], 0x38
	s_load_dwordx2 s[6:7], s[4:5], 0x0
	s_load_dwordx4 s[12:15], s[4:5], 0x28
	s_waitcnt lgkmcnt(0)
	s_bitcmp1_b32 s20, 8
	s_cselect_b64 s[16:17], -1, 0
	s_ashr_i32 s9, s8, 31
	s_lshl_b64 s[10:11], s[8:9], 3
	s_add_u32 s6, s6, s10
	s_addc_u32 s7, s7, s11
	s_load_dwordx2 s[18:19], s[6:7], 0x0
	s_bfe_u32 s6, s20, 0x10008
	s_cmp_eq_u32 s6, 0
                                        ; implicit-def: $sgpr10_sgpr11
	s_cbranch_scc1 .LBB92_3
; %bb.2:
	s_load_dword s6, s[4:5], 0x20
	s_load_dwordx2 s[10:11], s[4:5], 0x18
	s_mul_i32 s7, s8, s13
	s_mul_hi_u32 s13, s8, s12
	s_add_i32 s13, s13, s7
	s_mul_i32 s21, s9, s12
	s_add_i32 s13, s13, s21
	s_mul_i32 s12, s8, s12
	s_waitcnt lgkmcnt(0)
	s_ashr_i32 s7, s6, 31
	s_lshl_b64 s[12:13], s[12:13], 2
	s_add_u32 s10, s10, s12
	s_addc_u32 s11, s11, s13
	s_lshl_b64 s[6:7], s[6:7], 2
	s_add_u32 s10, s10, s6
	s_addc_u32 s11, s11, s7
.LBB92_3:
	s_load_dwordx2 s[6:7], s[4:5], 0x8
	v_lshlrev_b32_e32 v1, 3, v0
	s_waitcnt lgkmcnt(0)
	s_ashr_i32 s5, s6, 31
	s_mov_b32 s4, s6
	s_lshl_b64 s[4:5], s[4:5], 3
	s_add_u32 s4, s18, s4
	s_addc_u32 s5, s19, s5
	s_add_i32 s6, s7, s7
	v_add_u32_e32 v4, s6, v0
	v_ashrrev_i32_e32 v5, 31, v4
	v_lshlrev_b64 v[2:3], 3, v[4:5]
	v_add_u32_e32 v6, s7, v4
	v_mov_b32_e32 v5, s5
	v_add_co_u32_e32 v2, vcc, s4, v2
	v_ashrrev_i32_e32 v7, 31, v6
	v_addc_co_u32_e32 v3, vcc, v5, v3, vcc
	v_lshlrev_b64 v[4:5], 3, v[6:7]
	v_add_u32_e32 v8, s7, v6
	v_mov_b32_e32 v7, s5
	v_add_co_u32_e32 v4, vcc, s4, v4
	v_ashrrev_i32_e32 v9, 31, v8
	v_addc_co_u32_e32 v5, vcc, v7, v5, vcc
	;; [unrolled: 6-line block ×22, first 2 shown]
	v_lshlrev_b64 v[46:47], 3, v[48:49]
	v_mov_b32_e32 v49, s5
	v_add_co_u32_e32 v46, vcc, s4, v46
	v_addc_co_u32_e32 v47, vcc, v49, v47, vcc
	v_mov_b32_e32 v51, s5
	v_add_co_u32_e32 v50, vcc, s4, v1
	s_ashr_i32 s13, s7, 31
	s_mov_b32 s12, s7
	v_add_u32_e32 v54, s7, v48
	v_addc_co_u32_e32 v51, vcc, 0, v51, vcc
	s_lshl_b64 s[12:13], s[12:13], 3
	v_ashrrev_i32_e32 v55, 31, v54
	v_mov_b32_e32 v53, s13
	v_add_co_u32_e32 v52, vcc, s12, v50
	v_lshlrev_b64 v[48:49], 3, v[54:55]
	v_addc_co_u32_e32 v53, vcc, v51, v53, vcc
	v_add_u32_e32 v56, s7, v54
	v_mov_b32_e32 v55, s5
	v_add_co_u32_e32 v48, vcc, s4, v48
	v_ashrrev_i32_e32 v57, 31, v56
	v_addc_co_u32_e32 v49, vcc, v55, v49, vcc
	v_lshlrev_b64 v[54:55], 3, v[56:57]
	v_add_u32_e32 v58, s7, v56
	v_mov_b32_e32 v57, s5
	v_add_co_u32_e32 v54, vcc, s4, v54
	v_ashrrev_i32_e32 v59, 31, v58
	v_addc_co_u32_e32 v55, vcc, v57, v55, vcc
	v_lshlrev_b64 v[56:57], 3, v[58:59]
	v_mov_b32_e32 v59, s5
	v_add_co_u32_e32 v56, vcc, s4, v56
	global_load_dwordx2 v[60:61], v1, s[4:5]
	global_load_dwordx2 v[62:63], v[52:53], off
	global_load_dwordx2 v[64:65], v[2:3], off
	;; [unrolled: 1-line block ×19, first 2 shown]
	v_addc_co_u32_e32 v57, vcc, v59, v57, vcc
	global_load_dwordx2 v[100:101], v[38:39], off
	global_load_dwordx2 v[102:103], v[40:41], off
	;; [unrolled: 1-line block ×8, first 2 shown]
	v_add_u32_e32 v58, s7, v58
	v_ashrrev_i32_e32 v59, 31, v58
	v_lshlrev_b64 v[58:59], 3, v[58:59]
	v_mov_b32_e32 v116, s5
	v_add_co_u32_e32 v58, vcc, s4, v58
	v_addc_co_u32_e32 v59, vcc, v116, v59, vcc
	global_load_dwordx2 v[116:117], v[58:59], off
	s_bitcmp0_b32 s20, 0
	s_mov_b64 s[6:7], -1
	s_waitcnt vmcnt(28)
	buffer_store_dword v61, off, s[0:3], 0 offset:4
	buffer_store_dword v60, off, s[0:3], 0
	s_waitcnt vmcnt(29)
	buffer_store_dword v63, off, s[0:3], 0 offset:12
	buffer_store_dword v62, off, s[0:3], 0 offset:8
	s_waitcnt vmcnt(30)
	buffer_store_dword v65, off, s[0:3], 0 offset:20
	buffer_store_dword v64, off, s[0:3], 0 offset:16
	;; [unrolled: 3-line block ×28, first 2 shown]
	s_cbranch_scc1 .LBB92_122
; %bb.4:
	v_cmp_eq_u32_e64 s[4:5], 0, v0
	s_and_saveexec_b64 s[6:7], s[4:5]
	s_cbranch_execz .LBB92_6
; %bb.5:
	v_mov_b32_e32 v60, 0
	ds_write_b32 v60, v60 offset:232
.LBB92_6:
	s_or_b64 exec, exec, s[6:7]
	v_mov_b32_e32 v60, 0
	v_lshl_add_u32 v60, v0, 3, v60
	s_waitcnt lgkmcnt(0)
	; wave barrier
	s_waitcnt lgkmcnt(0)
	buffer_load_dword v62, v60, s[0:3], 0 offen
	buffer_load_dword v63, v60, s[0:3], 0 offen offset:4
	s_waitcnt vmcnt(0)
	v_cmp_eq_f64_e32 vcc, 0, v[62:63]
	s_and_saveexec_b64 s[12:13], vcc
	s_cbranch_execz .LBB92_10
; %bb.7:
	v_mov_b32_e32 v61, 0
	ds_read_b32 v63, v61 offset:232
	v_add_u32_e32 v62, 1, v0
	s_waitcnt lgkmcnt(0)
	v_readfirstlane_b32 s6, v63
	s_cmp_eq_u32 s6, 0
	s_cselect_b64 s[18:19], -1, 0
	v_cmp_gt_i32_e32 vcc, s6, v62
	s_or_b64 s[18:19], s[18:19], vcc
	s_and_b64 exec, exec, s[18:19]
	s_cbranch_execz .LBB92_10
; %bb.8:
	s_mov_b64 s[18:19], 0
	v_mov_b32_e32 v63, s6
.LBB92_9:                               ; =>This Inner Loop Header: Depth=1
	ds_cmpst_rtn_b32 v63, v61, v63, v62 offset:232
	s_waitcnt lgkmcnt(0)
	v_cmp_ne_u32_e32 vcc, 0, v63
	v_cmp_le_i32_e64 s[6:7], v63, v62
	s_and_b64 s[6:7], vcc, s[6:7]
	s_and_b64 s[6:7], exec, s[6:7]
	s_or_b64 s[18:19], s[6:7], s[18:19]
	s_andn2_b64 exec, exec, s[18:19]
	s_cbranch_execnz .LBB92_9
.LBB92_10:
	s_or_b64 exec, exec, s[12:13]
	v_mov_b32_e32 v62, 0
	s_waitcnt lgkmcnt(0)
	; wave barrier
	ds_read_b32 v61, v62 offset:232
	s_and_saveexec_b64 s[6:7], s[4:5]
	s_cbranch_execz .LBB92_12
; %bb.11:
	s_lshl_b64 s[12:13], s[8:9], 2
	s_add_u32 s12, s14, s12
	s_addc_u32 s13, s15, s13
	s_waitcnt lgkmcnt(0)
	global_store_dword v62, v61, s[12:13]
.LBB92_12:
	s_or_b64 exec, exec, s[6:7]
	s_waitcnt lgkmcnt(0)
	v_cmp_ne_u32_e32 vcc, 0, v61
	s_mov_b64 s[6:7], 0
	s_cbranch_vccnz .LBB92_122
; %bb.13:
	buffer_load_dword v62, v60, s[0:3], 0 offen
	buffer_load_dword v63, v60, s[0:3], 0 offen offset:4
	s_waitcnt vmcnt(0)
	v_div_scale_f64 v[64:65], s[6:7], v[62:63], v[62:63], 1.0
	v_rcp_f64_e32 v[66:67], v[64:65]
	v_div_scale_f64 v[68:69], vcc, 1.0, v[62:63], 1.0
	v_fma_f64 v[70:71], -v[64:65], v[66:67], 1.0
	v_fmac_f64_e32 v[66:67], v[66:67], v[70:71]
	v_fma_f64 v[70:71], -v[64:65], v[66:67], 1.0
	v_fmac_f64_e32 v[66:67], v[66:67], v[70:71]
	v_mul_f64 v[70:71], v[68:69], v[66:67]
	v_fma_f64 v[64:65], -v[64:65], v[70:71], v[68:69]
	v_div_fmas_f64 v[64:65], v[64:65], v[66:67], v[70:71]
	v_div_fixup_f64 v[64:65], v[64:65], v[62:63], 1.0
	buffer_store_dword v65, v60, s[0:3], 0 offen offset:4
	buffer_store_dword v64, v60, s[0:3], 0 offen
	buffer_load_dword v67, off, s[0:3], 0 offset:12
	buffer_load_dword v66, off, s[0:3], 0 offset:8
	v_add_u32_e32 v62, 0xf0, v1
	v_xor_b32_e32 v65, 0x80000000, v65
	s_waitcnt vmcnt(0)
	ds_write2_b64 v1, v[64:65], v[66:67] offset1:30
	s_waitcnt lgkmcnt(0)
	; wave barrier
	s_waitcnt lgkmcnt(0)
	s_and_saveexec_b64 s[6:7], s[4:5]
	s_cbranch_execz .LBB92_15
; %bb.14:
	buffer_load_dword v64, v60, s[0:3], 0 offen
	buffer_load_dword v65, v60, s[0:3], 0 offen offset:4
	v_mov_b32_e32 v61, 0
	ds_read_b64 v[66:67], v62
	ds_read_b64 v[68:69], v61 offset:8
	s_waitcnt vmcnt(0) lgkmcnt(1)
	v_fma_f64 v[64:65], v[64:65], v[66:67], 0
	s_waitcnt lgkmcnt(0)
	v_mul_f64 v[64:65], v[64:65], v[68:69]
	buffer_store_dword v64, off, s[0:3], 0 offset:8
	buffer_store_dword v65, off, s[0:3], 0 offset:12
.LBB92_15:
	s_or_b64 exec, exec, s[6:7]
	s_waitcnt lgkmcnt(0)
	; wave barrier
	buffer_load_dword v64, off, s[0:3], 0 offset:16
	buffer_load_dword v65, off, s[0:3], 0 offset:20
	v_cmp_gt_u32_e32 vcc, 2, v0
	s_waitcnt vmcnt(0)
	ds_write_b64 v62, v[64:65]
	s_waitcnt lgkmcnt(0)
	; wave barrier
	s_waitcnt lgkmcnt(0)
	s_and_saveexec_b64 s[6:7], vcc
	s_cbranch_execz .LBB92_17
; %bb.16:
	buffer_load_dword v61, v60, s[0:3], 0 offen offset:4
	buffer_load_dword v68, off, s[0:3], 0 offset:8
	s_nop 0
	buffer_load_dword v60, v60, s[0:3], 0 offen
	s_nop 0
	buffer_load_dword v69, off, s[0:3], 0 offset:12
	ds_read_b64 v[70:71], v62
	v_mov_b32_e32 v63, 0
	ds_read2_b64 v[64:67], v63 offset0:2 offset1:31
	s_waitcnt vmcnt(1) lgkmcnt(1)
	v_fma_f64 v[60:61], v[60:61], v[70:71], 0
	s_waitcnt vmcnt(0) lgkmcnt(0)
	v_fma_f64 v[66:67], v[68:69], v[66:67], v[60:61]
	v_cndmask_b32_e64 v61, v61, v67, s[4:5]
	v_cndmask_b32_e64 v60, v60, v66, s[4:5]
	v_mul_f64 v[60:61], v[60:61], v[64:65]
	buffer_store_dword v61, off, s[0:3], 0 offset:20
	buffer_store_dword v60, off, s[0:3], 0 offset:16
.LBB92_17:
	s_or_b64 exec, exec, s[6:7]
	s_waitcnt lgkmcnt(0)
	; wave barrier
	buffer_load_dword v60, off, s[0:3], 0 offset:24
	buffer_load_dword v61, off, s[0:3], 0 offset:28
	v_cmp_gt_u32_e32 vcc, 3, v0
	v_add_u32_e32 v63, -1, v0
	s_waitcnt vmcnt(0)
	ds_write_b64 v62, v[60:61]
	s_waitcnt lgkmcnt(0)
	; wave barrier
	s_waitcnt lgkmcnt(0)
	s_and_saveexec_b64 s[4:5], vcc
	s_cbranch_execz .LBB92_21
; %bb.18:
	v_add_u32_e32 v64, -1, v0
	v_add_u32_e32 v65, 0xf0, v1
	v_add_u32_e32 v66, 0, v1
	s_mov_b64 s[6:7], 0
	v_pk_mov_b32 v[60:61], 0, 0
.LBB92_19:                              ; =>This Inner Loop Header: Depth=1
	buffer_load_dword v68, v66, s[0:3], 0 offen
	buffer_load_dword v69, v66, s[0:3], 0 offen offset:4
	ds_read_b64 v[70:71], v65
	v_add_u32_e32 v64, 1, v64
	v_cmp_lt_u32_e32 vcc, 1, v64
	v_add_u32_e32 v65, 8, v65
	v_add_u32_e32 v66, 8, v66
	s_or_b64 s[6:7], vcc, s[6:7]
	s_waitcnt vmcnt(0) lgkmcnt(0)
	v_fmac_f64_e32 v[60:61], v[68:69], v[70:71]
	s_andn2_b64 exec, exec, s[6:7]
	s_cbranch_execnz .LBB92_19
; %bb.20:
	s_or_b64 exec, exec, s[6:7]
	v_mov_b32_e32 v64, 0
	ds_read_b64 v[64:65], v64 offset:24
	s_waitcnt lgkmcnt(0)
	v_mul_f64 v[60:61], v[60:61], v[64:65]
	buffer_store_dword v61, off, s[0:3], 0 offset:28
	buffer_store_dword v60, off, s[0:3], 0 offset:24
.LBB92_21:
	s_or_b64 exec, exec, s[4:5]
	s_waitcnt lgkmcnt(0)
	; wave barrier
	buffer_load_dword v60, off, s[0:3], 0 offset:32
	buffer_load_dword v61, off, s[0:3], 0 offset:36
	v_cmp_gt_u32_e32 vcc, 4, v0
	s_waitcnt vmcnt(0)
	ds_write_b64 v62, v[60:61]
	s_waitcnt lgkmcnt(0)
	; wave barrier
	s_waitcnt lgkmcnt(0)
	s_and_saveexec_b64 s[4:5], vcc
	s_cbranch_execz .LBB92_25
; %bb.22:
	v_add_u32_e32 v64, -1, v0
	v_add_u32_e32 v65, 0xf0, v1
	v_add_u32_e32 v66, 0, v1
	s_mov_b64 s[6:7], 0
	v_pk_mov_b32 v[60:61], 0, 0
.LBB92_23:                              ; =>This Inner Loop Header: Depth=1
	buffer_load_dword v68, v66, s[0:3], 0 offen
	buffer_load_dword v69, v66, s[0:3], 0 offen offset:4
	ds_read_b64 v[70:71], v65
	v_add_u32_e32 v64, 1, v64
	v_cmp_lt_u32_e32 vcc, 2, v64
	v_add_u32_e32 v65, 8, v65
	v_add_u32_e32 v66, 8, v66
	s_or_b64 s[6:7], vcc, s[6:7]
	s_waitcnt vmcnt(0) lgkmcnt(0)
	v_fmac_f64_e32 v[60:61], v[68:69], v[70:71]
	s_andn2_b64 exec, exec, s[6:7]
	s_cbranch_execnz .LBB92_23
; %bb.24:
	s_or_b64 exec, exec, s[6:7]
	v_mov_b32_e32 v64, 0
	ds_read_b64 v[64:65], v64 offset:32
	s_waitcnt lgkmcnt(0)
	v_mul_f64 v[60:61], v[60:61], v[64:65]
	buffer_store_dword v61, off, s[0:3], 0 offset:36
	buffer_store_dword v60, off, s[0:3], 0 offset:32
.LBB92_25:
	s_or_b64 exec, exec, s[4:5]
	s_waitcnt lgkmcnt(0)
	; wave barrier
	buffer_load_dword v60, off, s[0:3], 0 offset:40
	buffer_load_dword v61, off, s[0:3], 0 offset:44
	v_cmp_gt_u32_e32 vcc, 5, v0
	;; [unrolled: 41-line block ×21, first 2 shown]
	s_waitcnt vmcnt(0)
	ds_write_b64 v62, v[60:61]
	s_waitcnt lgkmcnt(0)
	; wave barrier
	s_waitcnt lgkmcnt(0)
	s_and_saveexec_b64 s[4:5], vcc
	s_cbranch_execz .LBB92_105
; %bb.102:
	v_add_u32_e32 v64, -1, v0
	v_add_u32_e32 v65, 0xf0, v1
	v_add_u32_e32 v66, 0, v1
	s_mov_b64 s[6:7], 0
	v_pk_mov_b32 v[60:61], 0, 0
.LBB92_103:                             ; =>This Inner Loop Header: Depth=1
	buffer_load_dword v68, v66, s[0:3], 0 offen
	buffer_load_dword v69, v66, s[0:3], 0 offen offset:4
	ds_read_b64 v[70:71], v65
	v_add_u32_e32 v64, 1, v64
	v_cmp_lt_u32_e32 vcc, 22, v64
	v_add_u32_e32 v65, 8, v65
	v_add_u32_e32 v66, 8, v66
	s_or_b64 s[6:7], vcc, s[6:7]
	s_waitcnt vmcnt(0) lgkmcnt(0)
	v_fmac_f64_e32 v[60:61], v[68:69], v[70:71]
	s_andn2_b64 exec, exec, s[6:7]
	s_cbranch_execnz .LBB92_103
; %bb.104:
	s_or_b64 exec, exec, s[6:7]
	v_mov_b32_e32 v64, 0
	ds_read_b64 v[64:65], v64 offset:192
	s_waitcnt lgkmcnt(0)
	v_mul_f64 v[60:61], v[60:61], v[64:65]
	buffer_store_dword v61, off, s[0:3], 0 offset:196
	buffer_store_dword v60, off, s[0:3], 0 offset:192
.LBB92_105:
	s_or_b64 exec, exec, s[4:5]
	s_waitcnt lgkmcnt(0)
	; wave barrier
	buffer_load_dword v60, off, s[0:3], 0 offset:200
	buffer_load_dword v61, off, s[0:3], 0 offset:204
	v_cmp_gt_u32_e32 vcc, 25, v0
	s_waitcnt vmcnt(0)
	ds_write_b64 v62, v[60:61]
	s_waitcnt lgkmcnt(0)
	; wave barrier
	s_waitcnt lgkmcnt(0)
	s_and_saveexec_b64 s[4:5], vcc
	s_cbranch_execz .LBB92_109
; %bb.106:
	v_add_u32_e32 v64, -1, v0
	v_add_u32_e32 v65, 0xf0, v1
	v_add_u32_e32 v66, 0, v1
	s_mov_b64 s[6:7], 0
	v_pk_mov_b32 v[60:61], 0, 0
.LBB92_107:                             ; =>This Inner Loop Header: Depth=1
	buffer_load_dword v68, v66, s[0:3], 0 offen
	buffer_load_dword v69, v66, s[0:3], 0 offen offset:4
	ds_read_b64 v[70:71], v65
	v_add_u32_e32 v64, 1, v64
	v_cmp_lt_u32_e32 vcc, 23, v64
	v_add_u32_e32 v65, 8, v65
	v_add_u32_e32 v66, 8, v66
	s_or_b64 s[6:7], vcc, s[6:7]
	s_waitcnt vmcnt(0) lgkmcnt(0)
	v_fmac_f64_e32 v[60:61], v[68:69], v[70:71]
	s_andn2_b64 exec, exec, s[6:7]
	s_cbranch_execnz .LBB92_107
; %bb.108:
	s_or_b64 exec, exec, s[6:7]
	v_mov_b32_e32 v64, 0
	ds_read_b64 v[64:65], v64 offset:200
	s_waitcnt lgkmcnt(0)
	v_mul_f64 v[60:61], v[60:61], v[64:65]
	buffer_store_dword v61, off, s[0:3], 0 offset:204
	buffer_store_dword v60, off, s[0:3], 0 offset:200
.LBB92_109:
	s_or_b64 exec, exec, s[4:5]
	s_waitcnt lgkmcnt(0)
	; wave barrier
	buffer_load_dword v60, off, s[0:3], 0 offset:208
	buffer_load_dword v61, off, s[0:3], 0 offset:212
	v_cmp_gt_u32_e32 vcc, 26, v0
	;; [unrolled: 41-line block ×3, first 2 shown]
	s_waitcnt vmcnt(0)
	ds_write_b64 v62, v[60:61]
	s_waitcnt lgkmcnt(0)
	; wave barrier
	s_waitcnt lgkmcnt(0)
	s_and_saveexec_b64 s[4:5], vcc
	s_cbranch_execz .LBB92_117
; %bb.114:
	v_add_u32_e32 v64, -1, v0
	v_add_u32_e32 v65, 0xf0, v1
	v_add_u32_e32 v66, 0, v1
	s_mov_b64 s[6:7], 0
	v_pk_mov_b32 v[60:61], 0, 0
.LBB92_115:                             ; =>This Inner Loop Header: Depth=1
	buffer_load_dword v68, v66, s[0:3], 0 offen
	buffer_load_dword v69, v66, s[0:3], 0 offen offset:4
	ds_read_b64 v[70:71], v65
	v_add_u32_e32 v64, 1, v64
	v_cmp_lt_u32_e32 vcc, 25, v64
	v_add_u32_e32 v65, 8, v65
	v_add_u32_e32 v66, 8, v66
	s_or_b64 s[6:7], vcc, s[6:7]
	s_waitcnt vmcnt(0) lgkmcnt(0)
	v_fmac_f64_e32 v[60:61], v[68:69], v[70:71]
	s_andn2_b64 exec, exec, s[6:7]
	s_cbranch_execnz .LBB92_115
; %bb.116:
	s_or_b64 exec, exec, s[6:7]
	v_mov_b32_e32 v64, 0
	ds_read_b64 v[64:65], v64 offset:216
	s_waitcnt lgkmcnt(0)
	v_mul_f64 v[60:61], v[60:61], v[64:65]
	buffer_store_dword v61, off, s[0:3], 0 offset:220
	buffer_store_dword v60, off, s[0:3], 0 offset:216
.LBB92_117:
	s_or_b64 exec, exec, s[4:5]
	s_waitcnt lgkmcnt(0)
	; wave barrier
	buffer_load_dword v60, off, s[0:3], 0 offset:224
	buffer_load_dword v61, off, s[0:3], 0 offset:228
	v_cmp_ne_u32_e32 vcc, 28, v0
	s_waitcnt vmcnt(0)
	ds_write_b64 v62, v[60:61]
	s_waitcnt lgkmcnt(0)
	; wave barrier
	s_waitcnt lgkmcnt(0)
	s_and_saveexec_b64 s[4:5], vcc
	s_cbranch_execz .LBB92_121
; %bb.118:
	v_add_u32_e32 v62, 0xf0, v1
	v_add_u32_e32 v1, 0, v1
	s_mov_b64 s[6:7], 0
	v_pk_mov_b32 v[60:61], 0, 0
.LBB92_119:                             ; =>This Inner Loop Header: Depth=1
	buffer_load_dword v64, v1, s[0:3], 0 offen
	buffer_load_dword v65, v1, s[0:3], 0 offen offset:4
	ds_read_b64 v[66:67], v62
	v_add_u32_e32 v63, 1, v63
	v_cmp_lt_u32_e32 vcc, 26, v63
	v_add_u32_e32 v62, 8, v62
	v_add_u32_e32 v1, 8, v1
	s_or_b64 s[6:7], vcc, s[6:7]
	s_waitcnt vmcnt(0) lgkmcnt(0)
	v_fmac_f64_e32 v[60:61], v[64:65], v[66:67]
	s_andn2_b64 exec, exec, s[6:7]
	s_cbranch_execnz .LBB92_119
; %bb.120:
	s_or_b64 exec, exec, s[6:7]
	v_mov_b32_e32 v1, 0
	ds_read_b64 v[62:63], v1 offset:224
	s_waitcnt lgkmcnt(0)
	v_mul_f64 v[60:61], v[60:61], v[62:63]
	buffer_store_dword v61, off, s[0:3], 0 offset:228
	buffer_store_dword v60, off, s[0:3], 0 offset:224
.LBB92_121:
	s_or_b64 exec, exec, s[4:5]
	s_mov_b64 s[6:7], -1
	s_waitcnt lgkmcnt(0)
	; wave barrier
.LBB92_122:
	s_and_b64 vcc, exec, s[6:7]
	s_cbranch_vccz .LBB92_124
; %bb.123:
	s_lshl_b64 s[4:5], s[8:9], 2
	s_add_u32 s4, s14, s4
	s_addc_u32 s5, s15, s5
	v_mov_b32_e32 v1, 0
	global_load_dword v1, v1, s[4:5]
	s_waitcnt vmcnt(0)
	v_cmp_ne_u32_e32 vcc, 0, v1
	s_cbranch_vccz .LBB92_125
.LBB92_124:
	s_endpgm
.LBB92_125:
	v_mov_b32_e32 v1, 0xf0
	v_lshl_add_u32 v1, v0, 3, v1
	v_cmp_eq_u32_e32 vcc, 28, v0
	s_and_saveexec_b64 s[4:5], vcc
	s_cbranch_execz .LBB92_127
; %bb.126:
	buffer_load_dword v60, off, s[0:3], 0 offset:216
	buffer_load_dword v61, off, s[0:3], 0 offset:220
	v_mov_b32_e32 v62, 0
	buffer_store_dword v62, off, s[0:3], 0 offset:216
	buffer_store_dword v62, off, s[0:3], 0 offset:220
	s_waitcnt vmcnt(2)
	ds_write_b64 v1, v[60:61]
.LBB92_127:
	s_or_b64 exec, exec, s[4:5]
	s_waitcnt lgkmcnt(0)
	; wave barrier
	s_waitcnt lgkmcnt(0)
	buffer_load_dword v62, off, s[0:3], 0 offset:224
	buffer_load_dword v63, off, s[0:3], 0 offset:228
	;; [unrolled: 1-line block ×4, first 2 shown]
	v_mov_b32_e32 v60, 0
	ds_read_b64 v[66:67], v60 offset:464
	v_cmp_lt_u32_e32 vcc, 26, v0
	s_waitcnt vmcnt(2) lgkmcnt(0)
	v_fma_f64 v[62:63], v[62:63], v[66:67], 0
	s_waitcnt vmcnt(0)
	v_add_f64 v[62:63], v[64:65], -v[62:63]
	buffer_store_dword v62, off, s[0:3], 0 offset:216
	buffer_store_dword v63, off, s[0:3], 0 offset:220
	s_and_saveexec_b64 s[4:5], vcc
	s_cbranch_execz .LBB92_129
; %bb.128:
	buffer_load_dword v62, off, s[0:3], 0 offset:208
	buffer_load_dword v63, off, s[0:3], 0 offset:212
	s_waitcnt vmcnt(0)
	ds_write_b64 v1, v[62:63]
	buffer_store_dword v60, off, s[0:3], 0 offset:208
	buffer_store_dword v60, off, s[0:3], 0 offset:212
.LBB92_129:
	s_or_b64 exec, exec, s[4:5]
	s_waitcnt lgkmcnt(0)
	; wave barrier
	s_waitcnt lgkmcnt(0)
	buffer_load_dword v64, off, s[0:3], 0 offset:216
	buffer_load_dword v65, off, s[0:3], 0 offset:220
	;; [unrolled: 1-line block ×6, first 2 shown]
	ds_read2_b64 v[60:63], v60 offset0:57 offset1:58
	v_cmp_lt_u32_e32 vcc, 25, v0
	s_waitcnt vmcnt(4) lgkmcnt(0)
	v_fma_f64 v[60:61], v[64:65], v[60:61], 0
	s_waitcnt vmcnt(2)
	v_fmac_f64_e32 v[60:61], v[66:67], v[62:63]
	s_waitcnt vmcnt(0)
	v_add_f64 v[60:61], v[68:69], -v[60:61]
	buffer_store_dword v60, off, s[0:3], 0 offset:208
	buffer_store_dword v61, off, s[0:3], 0 offset:212
	s_and_saveexec_b64 s[4:5], vcc
	s_cbranch_execz .LBB92_131
; %bb.130:
	buffer_load_dword v60, off, s[0:3], 0 offset:200
	buffer_load_dword v61, off, s[0:3], 0 offset:204
	v_mov_b32_e32 v62, 0
	buffer_store_dword v62, off, s[0:3], 0 offset:200
	buffer_store_dword v62, off, s[0:3], 0 offset:204
	s_waitcnt vmcnt(2)
	ds_write_b64 v1, v[60:61]
.LBB92_131:
	s_or_b64 exec, exec, s[4:5]
	s_waitcnt lgkmcnt(0)
	; wave barrier
	s_waitcnt lgkmcnt(0)
	buffer_load_dword v66, off, s[0:3], 0 offset:208
	buffer_load_dword v67, off, s[0:3], 0 offset:212
	;; [unrolled: 1-line block ×8, first 2 shown]
	v_mov_b32_e32 v60, 0
	ds_read_b128 v[62:65], v60 offset:448
	ds_read_b64 v[74:75], v60 offset:464
	v_cmp_lt_u32_e32 vcc, 24, v0
	s_waitcnt vmcnt(6) lgkmcnt(1)
	v_fma_f64 v[62:63], v[66:67], v[62:63], 0
	s_waitcnt vmcnt(4)
	v_fmac_f64_e32 v[62:63], v[68:69], v[64:65]
	s_waitcnt vmcnt(2) lgkmcnt(0)
	v_fmac_f64_e32 v[62:63], v[70:71], v[74:75]
	s_waitcnt vmcnt(0)
	v_add_f64 v[62:63], v[72:73], -v[62:63]
	buffer_store_dword v62, off, s[0:3], 0 offset:200
	buffer_store_dword v63, off, s[0:3], 0 offset:204
	s_and_saveexec_b64 s[4:5], vcc
	s_cbranch_execz .LBB92_133
; %bb.132:
	buffer_load_dword v62, off, s[0:3], 0 offset:192
	buffer_load_dword v63, off, s[0:3], 0 offset:196
	s_waitcnt vmcnt(0)
	ds_write_b64 v1, v[62:63]
	buffer_store_dword v60, off, s[0:3], 0 offset:192
	buffer_store_dword v60, off, s[0:3], 0 offset:196
.LBB92_133:
	s_or_b64 exec, exec, s[4:5]
	s_waitcnt lgkmcnt(0)
	; wave barrier
	s_waitcnt lgkmcnt(0)
	buffer_load_dword v70, off, s[0:3], 0 offset:200
	buffer_load_dword v71, off, s[0:3], 0 offset:204
	;; [unrolled: 1-line block ×10, first 2 shown]
	ds_read2_b64 v[62:65], v60 offset0:55 offset1:56
	ds_read2_b64 v[66:69], v60 offset0:57 offset1:58
	v_cmp_lt_u32_e32 vcc, 23, v0
	s_waitcnt vmcnt(8) lgkmcnt(1)
	v_fma_f64 v[60:61], v[70:71], v[62:63], 0
	s_waitcnt vmcnt(6)
	v_fmac_f64_e32 v[60:61], v[72:73], v[64:65]
	s_waitcnt vmcnt(4) lgkmcnt(0)
	v_fmac_f64_e32 v[60:61], v[74:75], v[66:67]
	s_waitcnt vmcnt(2)
	v_fmac_f64_e32 v[60:61], v[76:77], v[68:69]
	s_waitcnt vmcnt(0)
	v_add_f64 v[60:61], v[78:79], -v[60:61]
	buffer_store_dword v60, off, s[0:3], 0 offset:192
	buffer_store_dword v61, off, s[0:3], 0 offset:196
	s_and_saveexec_b64 s[4:5], vcc
	s_cbranch_execz .LBB92_135
; %bb.134:
	buffer_load_dword v60, off, s[0:3], 0 offset:184
	buffer_load_dword v61, off, s[0:3], 0 offset:188
	v_mov_b32_e32 v62, 0
	buffer_store_dword v62, off, s[0:3], 0 offset:184
	buffer_store_dword v62, off, s[0:3], 0 offset:188
	s_waitcnt vmcnt(2)
	ds_write_b64 v1, v[60:61]
.LBB92_135:
	s_or_b64 exec, exec, s[4:5]
	s_waitcnt lgkmcnt(0)
	; wave barrier
	s_waitcnt lgkmcnt(0)
	buffer_load_dword v70, off, s[0:3], 0 offset:192
	buffer_load_dword v71, off, s[0:3], 0 offset:196
	;; [unrolled: 1-line block ×12, first 2 shown]
	v_mov_b32_e32 v60, 0
	ds_read_b128 v[62:65], v60 offset:432
	ds_read_b128 v[66:69], v60 offset:448
	ds_read_b64 v[82:83], v60 offset:464
	v_cmp_lt_u32_e32 vcc, 22, v0
	s_waitcnt vmcnt(10) lgkmcnt(2)
	v_fma_f64 v[62:63], v[70:71], v[62:63], 0
	s_waitcnt vmcnt(8)
	v_fmac_f64_e32 v[62:63], v[72:73], v[64:65]
	s_waitcnt vmcnt(6) lgkmcnt(1)
	v_fmac_f64_e32 v[62:63], v[74:75], v[66:67]
	s_waitcnt vmcnt(4)
	v_fmac_f64_e32 v[62:63], v[76:77], v[68:69]
	s_waitcnt vmcnt(2) lgkmcnt(0)
	v_fmac_f64_e32 v[62:63], v[78:79], v[82:83]
	s_waitcnt vmcnt(0)
	v_add_f64 v[62:63], v[80:81], -v[62:63]
	buffer_store_dword v62, off, s[0:3], 0 offset:184
	buffer_store_dword v63, off, s[0:3], 0 offset:188
	s_and_saveexec_b64 s[4:5], vcc
	s_cbranch_execz .LBB92_137
; %bb.136:
	buffer_load_dword v62, off, s[0:3], 0 offset:176
	buffer_load_dword v63, off, s[0:3], 0 offset:180
	s_waitcnt vmcnt(0)
	ds_write_b64 v1, v[62:63]
	buffer_store_dword v60, off, s[0:3], 0 offset:176
	buffer_store_dword v60, off, s[0:3], 0 offset:180
.LBB92_137:
	s_or_b64 exec, exec, s[4:5]
	s_waitcnt lgkmcnt(0)
	; wave barrier
	s_waitcnt lgkmcnt(0)
	buffer_load_dword v74, off, s[0:3], 0 offset:184
	buffer_load_dword v75, off, s[0:3], 0 offset:188
	;; [unrolled: 1-line block ×14, first 2 shown]
	ds_read2_b64 v[62:65], v60 offset0:53 offset1:54
	ds_read2_b64 v[66:69], v60 offset0:55 offset1:56
	;; [unrolled: 1-line block ×3, first 2 shown]
	v_cmp_lt_u32_e32 vcc, 21, v0
	s_waitcnt vmcnt(12) lgkmcnt(2)
	v_fma_f64 v[60:61], v[74:75], v[62:63], 0
	s_waitcnt vmcnt(10)
	v_fmac_f64_e32 v[60:61], v[76:77], v[64:65]
	s_waitcnt vmcnt(8) lgkmcnt(1)
	v_fmac_f64_e32 v[60:61], v[78:79], v[66:67]
	s_waitcnt vmcnt(6)
	v_fmac_f64_e32 v[60:61], v[80:81], v[68:69]
	s_waitcnt vmcnt(4) lgkmcnt(0)
	v_fmac_f64_e32 v[60:61], v[82:83], v[70:71]
	s_waitcnt vmcnt(2)
	v_fmac_f64_e32 v[60:61], v[84:85], v[72:73]
	s_waitcnt vmcnt(0)
	v_add_f64 v[60:61], v[86:87], -v[60:61]
	buffer_store_dword v60, off, s[0:3], 0 offset:176
	buffer_store_dword v61, off, s[0:3], 0 offset:180
	s_and_saveexec_b64 s[4:5], vcc
	s_cbranch_execz .LBB92_139
; %bb.138:
	buffer_load_dword v60, off, s[0:3], 0 offset:168
	buffer_load_dword v61, off, s[0:3], 0 offset:172
	v_mov_b32_e32 v62, 0
	buffer_store_dword v62, off, s[0:3], 0 offset:168
	buffer_store_dword v62, off, s[0:3], 0 offset:172
	s_waitcnt vmcnt(2)
	ds_write_b64 v1, v[60:61]
.LBB92_139:
	s_or_b64 exec, exec, s[4:5]
	s_waitcnt lgkmcnt(0)
	; wave barrier
	s_waitcnt lgkmcnt(0)
	buffer_load_dword v74, off, s[0:3], 0 offset:176
	buffer_load_dword v75, off, s[0:3], 0 offset:180
	;; [unrolled: 1-line block ×16, first 2 shown]
	v_mov_b32_e32 v60, 0
	ds_read_b128 v[62:65], v60 offset:416
	ds_read_b128 v[66:69], v60 offset:432
	;; [unrolled: 1-line block ×3, first 2 shown]
	ds_read_b64 v[90:91], v60 offset:464
	v_cmp_lt_u32_e32 vcc, 20, v0
	s_waitcnt vmcnt(14) lgkmcnt(3)
	v_fma_f64 v[62:63], v[74:75], v[62:63], 0
	s_waitcnt vmcnt(12)
	v_fmac_f64_e32 v[62:63], v[76:77], v[64:65]
	s_waitcnt vmcnt(10) lgkmcnt(2)
	v_fmac_f64_e32 v[62:63], v[78:79], v[66:67]
	s_waitcnt vmcnt(8)
	v_fmac_f64_e32 v[62:63], v[80:81], v[68:69]
	s_waitcnt vmcnt(6) lgkmcnt(1)
	v_fmac_f64_e32 v[62:63], v[82:83], v[70:71]
	;; [unrolled: 4-line block ×3, first 2 shown]
	s_waitcnt vmcnt(0)
	v_add_f64 v[62:63], v[88:89], -v[62:63]
	buffer_store_dword v62, off, s[0:3], 0 offset:168
	buffer_store_dword v63, off, s[0:3], 0 offset:172
	s_and_saveexec_b64 s[4:5], vcc
	s_cbranch_execz .LBB92_141
; %bb.140:
	buffer_load_dword v62, off, s[0:3], 0 offset:160
	buffer_load_dword v63, off, s[0:3], 0 offset:164
	s_waitcnt vmcnt(0)
	ds_write_b64 v1, v[62:63]
	buffer_store_dword v60, off, s[0:3], 0 offset:160
	buffer_store_dword v60, off, s[0:3], 0 offset:164
.LBB92_141:
	s_or_b64 exec, exec, s[4:5]
	s_waitcnt lgkmcnt(0)
	; wave barrier
	s_waitcnt lgkmcnt(0)
	buffer_load_dword v78, off, s[0:3], 0 offset:168
	buffer_load_dword v79, off, s[0:3], 0 offset:172
	;; [unrolled: 1-line block ×18, first 2 shown]
	ds_read2_b64 v[62:65], v60 offset0:51 offset1:52
	ds_read2_b64 v[66:69], v60 offset0:53 offset1:54
	;; [unrolled: 1-line block ×4, first 2 shown]
	v_cmp_lt_u32_e32 vcc, 19, v0
	s_waitcnt vmcnt(16) lgkmcnt(3)
	v_fma_f64 v[60:61], v[78:79], v[62:63], 0
	s_waitcnt vmcnt(14)
	v_fmac_f64_e32 v[60:61], v[80:81], v[64:65]
	s_waitcnt vmcnt(12) lgkmcnt(2)
	v_fmac_f64_e32 v[60:61], v[82:83], v[66:67]
	s_waitcnt vmcnt(10)
	v_fmac_f64_e32 v[60:61], v[84:85], v[68:69]
	s_waitcnt vmcnt(8) lgkmcnt(1)
	v_fmac_f64_e32 v[60:61], v[86:87], v[70:71]
	;; [unrolled: 4-line block ×3, first 2 shown]
	s_waitcnt vmcnt(2)
	v_fmac_f64_e32 v[60:61], v[92:93], v[76:77]
	s_waitcnt vmcnt(0)
	v_add_f64 v[60:61], v[94:95], -v[60:61]
	buffer_store_dword v60, off, s[0:3], 0 offset:160
	buffer_store_dword v61, off, s[0:3], 0 offset:164
	s_and_saveexec_b64 s[4:5], vcc
	s_cbranch_execz .LBB92_143
; %bb.142:
	buffer_load_dword v60, off, s[0:3], 0 offset:152
	buffer_load_dword v61, off, s[0:3], 0 offset:156
	v_mov_b32_e32 v62, 0
	buffer_store_dword v62, off, s[0:3], 0 offset:152
	buffer_store_dword v62, off, s[0:3], 0 offset:156
	s_waitcnt vmcnt(2)
	ds_write_b64 v1, v[60:61]
.LBB92_143:
	s_or_b64 exec, exec, s[4:5]
	s_waitcnt lgkmcnt(0)
	; wave barrier
	s_waitcnt lgkmcnt(0)
	buffer_load_dword v78, off, s[0:3], 0 offset:160
	buffer_load_dword v79, off, s[0:3], 0 offset:164
	;; [unrolled: 1-line block ×20, first 2 shown]
	v_mov_b32_e32 v60, 0
	ds_read_b128 v[62:65], v60 offset:400
	ds_read_b128 v[66:69], v60 offset:416
	;; [unrolled: 1-line block ×4, first 2 shown]
	ds_read_b64 v[98:99], v60 offset:464
	v_cmp_lt_u32_e32 vcc, 18, v0
	s_waitcnt vmcnt(18) lgkmcnt(4)
	v_fma_f64 v[62:63], v[78:79], v[62:63], 0
	s_waitcnt vmcnt(16)
	v_fmac_f64_e32 v[62:63], v[80:81], v[64:65]
	s_waitcnt vmcnt(14) lgkmcnt(3)
	v_fmac_f64_e32 v[62:63], v[82:83], v[66:67]
	s_waitcnt vmcnt(12)
	v_fmac_f64_e32 v[62:63], v[84:85], v[68:69]
	s_waitcnt vmcnt(10) lgkmcnt(2)
	v_fmac_f64_e32 v[62:63], v[86:87], v[70:71]
	;; [unrolled: 4-line block ×3, first 2 shown]
	s_waitcnt vmcnt(2)
	v_fmac_f64_e32 v[62:63], v[94:95], v[76:77]
	s_waitcnt lgkmcnt(0)
	v_fmac_f64_e32 v[62:63], v[92:93], v[98:99]
	s_waitcnt vmcnt(0)
	v_add_f64 v[62:63], v[96:97], -v[62:63]
	buffer_store_dword v62, off, s[0:3], 0 offset:152
	buffer_store_dword v63, off, s[0:3], 0 offset:156
	s_and_saveexec_b64 s[4:5], vcc
	s_cbranch_execz .LBB92_145
; %bb.144:
	buffer_load_dword v62, off, s[0:3], 0 offset:144
	buffer_load_dword v63, off, s[0:3], 0 offset:148
	s_waitcnt vmcnt(0)
	ds_write_b64 v1, v[62:63]
	buffer_store_dword v60, off, s[0:3], 0 offset:144
	buffer_store_dword v60, off, s[0:3], 0 offset:148
.LBB92_145:
	s_or_b64 exec, exec, s[4:5]
	s_waitcnt lgkmcnt(0)
	; wave barrier
	s_waitcnt lgkmcnt(0)
	buffer_load_dword v82, off, s[0:3], 0 offset:152
	buffer_load_dword v83, off, s[0:3], 0 offset:156
	;; [unrolled: 1-line block ×22, first 2 shown]
	ds_read2_b64 v[62:65], v60 offset0:49 offset1:50
	ds_read2_b64 v[66:69], v60 offset0:51 offset1:52
	;; [unrolled: 1-line block ×5, first 2 shown]
	v_cmp_lt_u32_e32 vcc, 17, v0
	s_waitcnt vmcnt(20) lgkmcnt(4)
	v_fma_f64 v[60:61], v[82:83], v[62:63], 0
	s_waitcnt vmcnt(18)
	v_fmac_f64_e32 v[60:61], v[84:85], v[64:65]
	s_waitcnt vmcnt(16) lgkmcnt(3)
	v_fmac_f64_e32 v[60:61], v[86:87], v[66:67]
	s_waitcnt vmcnt(14)
	v_fmac_f64_e32 v[60:61], v[88:89], v[68:69]
	s_waitcnt vmcnt(12) lgkmcnt(2)
	v_fmac_f64_e32 v[60:61], v[90:91], v[70:71]
	;; [unrolled: 4-line block ×3, first 2 shown]
	s_waitcnt vmcnt(3)
	v_fmac_f64_e32 v[60:61], v[100:101], v[76:77]
	s_waitcnt lgkmcnt(0)
	v_fmac_f64_e32 v[60:61], v[98:99], v[78:79]
	s_waitcnt vmcnt(2)
	v_fmac_f64_e32 v[60:61], v[96:97], v[80:81]
	s_waitcnt vmcnt(0)
	v_add_f64 v[60:61], v[102:103], -v[60:61]
	buffer_store_dword v60, off, s[0:3], 0 offset:144
	buffer_store_dword v61, off, s[0:3], 0 offset:148
	s_and_saveexec_b64 s[4:5], vcc
	s_cbranch_execz .LBB92_147
; %bb.146:
	buffer_load_dword v60, off, s[0:3], 0 offset:136
	buffer_load_dword v61, off, s[0:3], 0 offset:140
	v_mov_b32_e32 v62, 0
	buffer_store_dword v62, off, s[0:3], 0 offset:136
	buffer_store_dword v62, off, s[0:3], 0 offset:140
	s_waitcnt vmcnt(2)
	ds_write_b64 v1, v[60:61]
.LBB92_147:
	s_or_b64 exec, exec, s[4:5]
	s_waitcnt lgkmcnt(0)
	; wave barrier
	s_waitcnt lgkmcnt(0)
	buffer_load_dword v82, off, s[0:3], 0 offset:144
	buffer_load_dword v83, off, s[0:3], 0 offset:148
	;; [unrolled: 1-line block ×24, first 2 shown]
	v_mov_b32_e32 v60, 0
	ds_read_b128 v[62:65], v60 offset:384
	ds_read_b128 v[66:69], v60 offset:400
	;; [unrolled: 1-line block ×5, first 2 shown]
	ds_read_b64 v[106:107], v60 offset:464
	v_cmp_lt_u32_e32 vcc, 16, v0
	s_waitcnt vmcnt(22) lgkmcnt(5)
	v_fma_f64 v[62:63], v[82:83], v[62:63], 0
	s_waitcnt vmcnt(20)
	v_fmac_f64_e32 v[62:63], v[84:85], v[64:65]
	s_waitcnt vmcnt(18) lgkmcnt(4)
	v_fmac_f64_e32 v[62:63], v[86:87], v[66:67]
	s_waitcnt vmcnt(16)
	v_fmac_f64_e32 v[62:63], v[88:89], v[68:69]
	s_waitcnt vmcnt(14) lgkmcnt(3)
	v_fmac_f64_e32 v[62:63], v[90:91], v[70:71]
	;; [unrolled: 4-line block ×3, first 2 shown]
	s_waitcnt vmcnt(4)
	v_fmac_f64_e32 v[62:63], v[102:103], v[76:77]
	s_waitcnt lgkmcnt(1)
	v_fmac_f64_e32 v[62:63], v[100:101], v[78:79]
	s_waitcnt vmcnt(3)
	v_fmac_f64_e32 v[62:63], v[98:99], v[80:81]
	s_waitcnt vmcnt(2) lgkmcnt(0)
	v_fmac_f64_e32 v[62:63], v[96:97], v[106:107]
	s_waitcnt vmcnt(0)
	v_add_f64 v[62:63], v[104:105], -v[62:63]
	buffer_store_dword v63, off, s[0:3], 0 offset:140
	buffer_store_dword v62, off, s[0:3], 0 offset:136
	s_and_saveexec_b64 s[4:5], vcc
	s_cbranch_execz .LBB92_149
; %bb.148:
	buffer_load_dword v62, off, s[0:3], 0 offset:128
	buffer_load_dword v63, off, s[0:3], 0 offset:132
	s_waitcnt vmcnt(0)
	ds_write_b64 v1, v[62:63]
	buffer_store_dword v60, off, s[0:3], 0 offset:128
	buffer_store_dword v60, off, s[0:3], 0 offset:132
.LBB92_149:
	s_or_b64 exec, exec, s[4:5]
	s_waitcnt lgkmcnt(0)
	; wave barrier
	s_waitcnt lgkmcnt(0)
	buffer_load_dword v86, off, s[0:3], 0 offset:136
	buffer_load_dword v87, off, s[0:3], 0 offset:140
	;; [unrolled: 1-line block ×26, first 2 shown]
	ds_read2_b64 v[62:65], v60 offset0:47 offset1:48
	ds_read2_b64 v[66:69], v60 offset0:49 offset1:50
	;; [unrolled: 1-line block ×6, first 2 shown]
	v_cmp_lt_u32_e32 vcc, 15, v0
	s_waitcnt vmcnt(24) lgkmcnt(5)
	v_fma_f64 v[60:61], v[86:87], v[62:63], 0
	s_waitcnt vmcnt(22)
	v_fmac_f64_e32 v[60:61], v[88:89], v[64:65]
	s_waitcnt vmcnt(20) lgkmcnt(4)
	v_fmac_f64_e32 v[60:61], v[90:91], v[66:67]
	s_waitcnt vmcnt(18)
	v_fmac_f64_e32 v[60:61], v[92:93], v[68:69]
	s_waitcnt vmcnt(16) lgkmcnt(3)
	v_fmac_f64_e32 v[60:61], v[94:95], v[70:71]
	;; [unrolled: 4-line block ×3, first 2 shown]
	s_waitcnt vmcnt(5)
	v_fmac_f64_e32 v[60:61], v[106:107], v[76:77]
	s_waitcnt lgkmcnt(1)
	v_fmac_f64_e32 v[60:61], v[104:105], v[78:79]
	v_fmac_f64_e32 v[60:61], v[102:103], v[80:81]
	s_waitcnt vmcnt(4) lgkmcnt(0)
	v_fmac_f64_e32 v[60:61], v[100:101], v[82:83]
	s_waitcnt vmcnt(2)
	v_fmac_f64_e32 v[60:61], v[108:109], v[84:85]
	s_waitcnt vmcnt(0)
	v_add_f64 v[60:61], v[110:111], -v[60:61]
	buffer_store_dword v61, off, s[0:3], 0 offset:132
	buffer_store_dword v60, off, s[0:3], 0 offset:128
	s_and_saveexec_b64 s[4:5], vcc
	s_cbranch_execz .LBB92_151
; %bb.150:
	buffer_load_dword v60, off, s[0:3], 0 offset:120
	buffer_load_dword v61, off, s[0:3], 0 offset:124
	v_mov_b32_e32 v62, 0
	buffer_store_dword v62, off, s[0:3], 0 offset:120
	buffer_store_dword v62, off, s[0:3], 0 offset:124
	s_waitcnt vmcnt(2)
	ds_write_b64 v1, v[60:61]
.LBB92_151:
	s_or_b64 exec, exec, s[4:5]
	s_waitcnt lgkmcnt(0)
	; wave barrier
	s_waitcnt lgkmcnt(0)
	buffer_load_dword v86, off, s[0:3], 0 offset:128
	buffer_load_dword v87, off, s[0:3], 0 offset:132
	;; [unrolled: 1-line block ×28, first 2 shown]
	v_mov_b32_e32 v60, 0
	ds_read_b128 v[62:65], v60 offset:368
	ds_read_b128 v[66:69], v60 offset:384
	;; [unrolled: 1-line block ×6, first 2 shown]
	ds_read_b64 v[114:115], v60 offset:464
	v_cmp_lt_u32_e32 vcc, 14, v0
	s_waitcnt vmcnt(26) lgkmcnt(6)
	v_fma_f64 v[62:63], v[86:87], v[62:63], 0
	s_waitcnt vmcnt(24)
	v_fmac_f64_e32 v[62:63], v[88:89], v[64:65]
	s_waitcnt vmcnt(22) lgkmcnt(5)
	v_fmac_f64_e32 v[62:63], v[90:91], v[66:67]
	s_waitcnt vmcnt(20)
	v_fmac_f64_e32 v[62:63], v[92:93], v[68:69]
	s_waitcnt vmcnt(18) lgkmcnt(4)
	v_fmac_f64_e32 v[62:63], v[94:95], v[70:71]
	;; [unrolled: 4-line block ×3, first 2 shown]
	s_waitcnt vmcnt(6)
	v_fmac_f64_e32 v[62:63], v[106:107], v[76:77]
	s_waitcnt lgkmcnt(2)
	v_fmac_f64_e32 v[62:63], v[104:105], v[78:79]
	v_fmac_f64_e32 v[62:63], v[102:103], v[80:81]
	s_waitcnt lgkmcnt(1)
	v_fmac_f64_e32 v[62:63], v[100:101], v[82:83]
	s_waitcnt vmcnt(2)
	v_fmac_f64_e32 v[62:63], v[110:111], v[84:85]
	s_waitcnt lgkmcnt(0)
	v_fmac_f64_e32 v[62:63], v[108:109], v[114:115]
	s_waitcnt vmcnt(0)
	v_add_f64 v[62:63], v[112:113], -v[62:63]
	buffer_store_dword v63, off, s[0:3], 0 offset:124
	buffer_store_dword v62, off, s[0:3], 0 offset:120
	s_and_saveexec_b64 s[4:5], vcc
	s_cbranch_execz .LBB92_153
; %bb.152:
	buffer_load_dword v62, off, s[0:3], 0 offset:112
	buffer_load_dword v63, off, s[0:3], 0 offset:116
	s_waitcnt vmcnt(0)
	ds_write_b64 v1, v[62:63]
	buffer_store_dword v60, off, s[0:3], 0 offset:112
	buffer_store_dword v60, off, s[0:3], 0 offset:116
.LBB92_153:
	s_or_b64 exec, exec, s[4:5]
	s_waitcnt lgkmcnt(0)
	; wave barrier
	s_waitcnt lgkmcnt(0)
	buffer_load_dword v90, off, s[0:3], 0 offset:120
	buffer_load_dword v91, off, s[0:3], 0 offset:124
	buffer_load_dword v92, off, s[0:3], 0 offset:128
	buffer_load_dword v93, off, s[0:3], 0 offset:132
	buffer_load_dword v94, off, s[0:3], 0 offset:136
	buffer_load_dword v95, off, s[0:3], 0 offset:140
	buffer_load_dword v96, off, s[0:3], 0 offset:144
	buffer_load_dword v97, off, s[0:3], 0 offset:148
	buffer_load_dword v98, off, s[0:3], 0 offset:152
	buffer_load_dword v99, off, s[0:3], 0 offset:156
	buffer_load_dword v100, off, s[0:3], 0 offset:160
	buffer_load_dword v101, off, s[0:3], 0 offset:164
	buffer_load_dword v102, off, s[0:3], 0 offset:168
	buffer_load_dword v103, off, s[0:3], 0 offset:172
	buffer_load_dword v105, off, s[0:3], 0 offset:204
	buffer_load_dword v104, off, s[0:3], 0 offset:200
	buffer_load_dword v107, off, s[0:3], 0 offset:196
	buffer_load_dword v106, off, s[0:3], 0 offset:192
	buffer_load_dword v109, off, s[0:3], 0 offset:188
	buffer_load_dword v108, off, s[0:3], 0 offset:184
	buffer_load_dword v111, off, s[0:3], 0 offset:180
	buffer_load_dword v110, off, s[0:3], 0 offset:176
	buffer_load_dword v112, off, s[0:3], 0 offset:224
	buffer_load_dword v115, off, s[0:3], 0 offset:220
	buffer_load_dword v114, off, s[0:3], 0 offset:216
	buffer_load_dword v117, off, s[0:3], 0 offset:212
	buffer_load_dword v116, off, s[0:3], 0 offset:208
	buffer_load_dword v113, off, s[0:3], 0 offset:228
	buffer_load_dword v118, off, s[0:3], 0 offset:112
	buffer_load_dword v119, off, s[0:3], 0 offset:116
	ds_read2_b64 v[62:65], v60 offset0:45 offset1:46
	ds_read2_b64 v[66:69], v60 offset0:47 offset1:48
	ds_read2_b64 v[70:73], v60 offset0:49 offset1:50
	ds_read2_b64 v[74:77], v60 offset0:51 offset1:52
	ds_read2_b64 v[78:81], v60 offset0:53 offset1:54
	ds_read2_b64 v[82:85], v60 offset0:55 offset1:56
	ds_read2_b64 v[86:89], v60 offset0:57 offset1:58
	v_cmp_lt_u32_e32 vcc, 13, v0
	s_waitcnt vmcnt(28) lgkmcnt(6)
	v_fma_f64 v[60:61], v[90:91], v[62:63], 0
	s_waitcnt vmcnt(26)
	v_fmac_f64_e32 v[60:61], v[92:93], v[64:65]
	s_waitcnt vmcnt(24) lgkmcnt(5)
	v_fmac_f64_e32 v[60:61], v[94:95], v[66:67]
	s_waitcnt vmcnt(22)
	v_fmac_f64_e32 v[60:61], v[96:97], v[68:69]
	s_waitcnt vmcnt(20) lgkmcnt(4)
	v_fmac_f64_e32 v[60:61], v[98:99], v[70:71]
	;; [unrolled: 4-line block ×3, first 2 shown]
	s_waitcnt vmcnt(8)
	v_fmac_f64_e32 v[60:61], v[110:111], v[76:77]
	s_waitcnt lgkmcnt(2)
	v_fmac_f64_e32 v[60:61], v[108:109], v[78:79]
	v_fmac_f64_e32 v[60:61], v[106:107], v[80:81]
	s_waitcnt lgkmcnt(1)
	v_fmac_f64_e32 v[60:61], v[104:105], v[82:83]
	s_waitcnt vmcnt(3)
	v_fmac_f64_e32 v[60:61], v[116:117], v[84:85]
	s_waitcnt lgkmcnt(0)
	v_fmac_f64_e32 v[60:61], v[114:115], v[86:87]
	s_waitcnt vmcnt(2)
	v_fmac_f64_e32 v[60:61], v[112:113], v[88:89]
	s_waitcnt vmcnt(0)
	v_add_f64 v[60:61], v[118:119], -v[60:61]
	buffer_store_dword v61, off, s[0:3], 0 offset:116
	buffer_store_dword v60, off, s[0:3], 0 offset:112
	s_and_saveexec_b64 s[4:5], vcc
	s_cbranch_execz .LBB92_155
; %bb.154:
	buffer_load_dword v60, off, s[0:3], 0 offset:104
	buffer_load_dword v61, off, s[0:3], 0 offset:108
	v_mov_b32_e32 v62, 0
	buffer_store_dword v62, off, s[0:3], 0 offset:104
	buffer_store_dword v62, off, s[0:3], 0 offset:108
	s_waitcnt vmcnt(2)
	ds_write_b64 v1, v[60:61]
.LBB92_155:
	s_or_b64 exec, exec, s[4:5]
	s_waitcnt lgkmcnt(0)
	; wave barrier
	s_waitcnt lgkmcnt(0)
	buffer_load_dword v90, off, s[0:3], 0 offset:112
	buffer_load_dword v91, off, s[0:3], 0 offset:116
	;; [unrolled: 1-line block ×32, first 2 shown]
	v_mov_b32_e32 v60, 0
	ds_read_b128 v[62:65], v60 offset:352
	ds_read_b128 v[66:69], v60 offset:368
	;; [unrolled: 1-line block ×7, first 2 shown]
	ds_read_b64 v[122:123], v60 offset:464
	v_cmp_lt_u32_e32 vcc, 12, v0
	s_waitcnt vmcnt(30) lgkmcnt(7)
	v_fma_f64 v[62:63], v[90:91], v[62:63], 0
	s_waitcnt vmcnt(28)
	v_fmac_f64_e32 v[62:63], v[92:93], v[64:65]
	s_waitcnt vmcnt(26) lgkmcnt(6)
	v_fmac_f64_e32 v[62:63], v[94:95], v[66:67]
	s_waitcnt vmcnt(24)
	v_fmac_f64_e32 v[62:63], v[96:97], v[68:69]
	s_waitcnt vmcnt(22) lgkmcnt(5)
	v_fmac_f64_e32 v[62:63], v[98:99], v[70:71]
	s_waitcnt vmcnt(20)
	v_fmac_f64_e32 v[62:63], v[100:101], v[72:73]
	s_waitcnt vmcnt(18) lgkmcnt(4)
	v_fmac_f64_e32 v[62:63], v[102:103], v[74:75]
	s_waitcnt vmcnt(10)
	v_fmac_f64_e32 v[62:63], v[110:111], v[76:77]
	s_waitcnt lgkmcnt(3)
	v_fmac_f64_e32 v[62:63], v[108:109], v[78:79]
	v_fmac_f64_e32 v[62:63], v[106:107], v[80:81]
	s_waitcnt lgkmcnt(2)
	v_fmac_f64_e32 v[62:63], v[104:105], v[82:83]
	s_waitcnt vmcnt(4)
	v_fmac_f64_e32 v[62:63], v[118:119], v[84:85]
	s_waitcnt lgkmcnt(1)
	v_fmac_f64_e32 v[62:63], v[116:117], v[86:87]
	s_waitcnt vmcnt(3)
	v_fmac_f64_e32 v[62:63], v[114:115], v[88:89]
	s_waitcnt vmcnt(2) lgkmcnt(0)
	v_fmac_f64_e32 v[62:63], v[112:113], v[122:123]
	s_waitcnt vmcnt(0)
	v_add_f64 v[62:63], v[120:121], -v[62:63]
	buffer_store_dword v63, off, s[0:3], 0 offset:108
	buffer_store_dword v62, off, s[0:3], 0 offset:104
	s_and_saveexec_b64 s[4:5], vcc
	s_cbranch_execz .LBB92_157
; %bb.156:
	buffer_load_dword v62, off, s[0:3], 0 offset:96
	buffer_load_dword v63, off, s[0:3], 0 offset:100
	s_waitcnt vmcnt(0)
	ds_write_b64 v1, v[62:63]
	buffer_store_dword v60, off, s[0:3], 0 offset:96
	buffer_store_dword v60, off, s[0:3], 0 offset:100
.LBB92_157:
	s_or_b64 exec, exec, s[4:5]
	s_waitcnt lgkmcnt(0)
	; wave barrier
	s_waitcnt lgkmcnt(0)
	buffer_load_dword v94, off, s[0:3], 0 offset:104
	buffer_load_dword v95, off, s[0:3], 0 offset:108
	buffer_load_dword v96, off, s[0:3], 0 offset:112
	buffer_load_dword v97, off, s[0:3], 0 offset:116
	buffer_load_dword v98, off, s[0:3], 0 offset:120
	buffer_load_dword v99, off, s[0:3], 0 offset:124
	buffer_load_dword v100, off, s[0:3], 0 offset:128
	buffer_load_dword v101, off, s[0:3], 0 offset:132
	buffer_load_dword v102, off, s[0:3], 0 offset:136
	buffer_load_dword v103, off, s[0:3], 0 offset:140
	buffer_load_dword v104, off, s[0:3], 0 offset:144
	buffer_load_dword v105, off, s[0:3], 0 offset:148
	buffer_load_dword v106, off, s[0:3], 0 offset:152
	buffer_load_dword v107, off, s[0:3], 0 offset:156
	buffer_load_dword v109, off, s[0:3], 0 offset:188
	buffer_load_dword v108, off, s[0:3], 0 offset:184
	buffer_load_dword v111, off, s[0:3], 0 offset:180
	buffer_load_dword v110, off, s[0:3], 0 offset:176
	buffer_load_dword v113, off, s[0:3], 0 offset:172
	buffer_load_dword v112, off, s[0:3], 0 offset:168
	buffer_load_dword v115, off, s[0:3], 0 offset:164
	buffer_load_dword v114, off, s[0:3], 0 offset:160
	buffer_load_dword v116, off, s[0:3], 0 offset:216
	buffer_load_dword v119, off, s[0:3], 0 offset:212
	buffer_load_dword v118, off, s[0:3], 0 offset:208
	buffer_load_dword v121, off, s[0:3], 0 offset:204
	buffer_load_dword v120, off, s[0:3], 0 offset:200
	buffer_load_dword v123, off, s[0:3], 0 offset:196
	buffer_load_dword v122, off, s[0:3], 0 offset:192
	buffer_load_dword v117, off, s[0:3], 0 offset:220
	buffer_load_dword v125, off, s[0:3], 0 offset:228
	buffer_load_dword v124, off, s[0:3], 0 offset:224
	buffer_load_dword v126, off, s[0:3], 0 offset:96
	buffer_load_dword v127, off, s[0:3], 0 offset:100
	ds_read2_b64 v[62:65], v60 offset0:43 offset1:44
	ds_read2_b64 v[66:69], v60 offset0:45 offset1:46
	;; [unrolled: 1-line block ×8, first 2 shown]
	v_cmp_lt_u32_e32 vcc, 11, v0
	s_waitcnt vmcnt(32) lgkmcnt(7)
	v_fma_f64 v[60:61], v[94:95], v[62:63], 0
	s_waitcnt vmcnt(30)
	v_fmac_f64_e32 v[60:61], v[96:97], v[64:65]
	s_waitcnt vmcnt(28) lgkmcnt(6)
	v_fmac_f64_e32 v[60:61], v[98:99], v[66:67]
	s_waitcnt vmcnt(26)
	v_fmac_f64_e32 v[60:61], v[100:101], v[68:69]
	s_waitcnt vmcnt(24) lgkmcnt(5)
	v_fmac_f64_e32 v[60:61], v[102:103], v[70:71]
	;; [unrolled: 4-line block ×3, first 2 shown]
	s_waitcnt vmcnt(12)
	v_fmac_f64_e32 v[60:61], v[114:115], v[76:77]
	s_waitcnt lgkmcnt(3)
	v_fmac_f64_e32 v[60:61], v[112:113], v[78:79]
	v_fmac_f64_e32 v[60:61], v[110:111], v[80:81]
	s_waitcnt lgkmcnt(2)
	v_fmac_f64_e32 v[60:61], v[108:109], v[82:83]
	s_waitcnt vmcnt(5)
	v_fmac_f64_e32 v[60:61], v[122:123], v[84:85]
	s_waitcnt lgkmcnt(1)
	v_fmac_f64_e32 v[60:61], v[120:121], v[86:87]
	v_fmac_f64_e32 v[60:61], v[118:119], v[88:89]
	s_waitcnt vmcnt(4) lgkmcnt(0)
	v_fmac_f64_e32 v[60:61], v[116:117], v[90:91]
	s_waitcnt vmcnt(2)
	v_fmac_f64_e32 v[60:61], v[124:125], v[92:93]
	s_waitcnt vmcnt(0)
	v_add_f64 v[60:61], v[126:127], -v[60:61]
	buffer_store_dword v61, off, s[0:3], 0 offset:100
	buffer_store_dword v60, off, s[0:3], 0 offset:96
	s_and_saveexec_b64 s[4:5], vcc
	s_cbranch_execz .LBB92_159
; %bb.158:
	buffer_load_dword v60, off, s[0:3], 0 offset:88
	buffer_load_dword v61, off, s[0:3], 0 offset:92
	v_mov_b32_e32 v62, 0
	buffer_store_dword v62, off, s[0:3], 0 offset:88
	buffer_store_dword v62, off, s[0:3], 0 offset:92
	s_waitcnt vmcnt(2)
	ds_write_b64 v1, v[60:61]
.LBB92_159:
	s_or_b64 exec, exec, s[4:5]
	s_waitcnt lgkmcnt(0)
	; wave barrier
	s_waitcnt lgkmcnt(0)
	buffer_load_dword v60, off, s[0:3], 0 offset:88
	buffer_load_dword v61, off, s[0:3], 0 offset:92
	;; [unrolled: 1-line block ×16, first 2 shown]
	v_mov_b32_e32 v64, 0
	ds_read_b128 v[66:69], v64 offset:336
	ds_read_b128 v[70:73], v64 offset:352
	;; [unrolled: 1-line block ×4, first 2 shown]
	v_cmp_lt_u32_e32 vcc, 10, v0
	s_waitcnt vmcnt(12) lgkmcnt(3)
	v_fma_f64 v[62:63], v[62:63], v[66:67], 0
	buffer_load_dword v67, off, s[0:3], 0 offset:156
	buffer_load_dword v66, off, s[0:3], 0 offset:152
	s_waitcnt vmcnt(12)
	v_fmac_f64_e32 v[62:63], v[82:83], v[68:69]
	s_waitcnt vmcnt(10) lgkmcnt(2)
	v_fmac_f64_e32 v[62:63], v[84:85], v[70:71]
	buffer_load_dword v71, off, s[0:3], 0 offset:164
	buffer_load_dword v70, off, s[0:3], 0 offset:160
	s_waitcnt vmcnt(10)
	v_fmac_f64_e32 v[62:63], v[86:87], v[72:73]
	s_waitcnt vmcnt(8) lgkmcnt(1)
	v_fmac_f64_e32 v[62:63], v[88:89], v[74:75]
	s_waitcnt vmcnt(6)
	v_fmac_f64_e32 v[62:63], v[90:91], v[76:77]
	s_waitcnt vmcnt(4) lgkmcnt(0)
	v_fmac_f64_e32 v[62:63], v[92:93], v[78:79]
	s_waitcnt vmcnt(2)
	v_fmac_f64_e32 v[62:63], v[66:67], v[80:81]
	ds_read_b128 v[66:69], v64 offset:400
	s_waitcnt vmcnt(0) lgkmcnt(0)
	v_fmac_f64_e32 v[62:63], v[70:71], v[66:67]
	buffer_load_dword v67, off, s[0:3], 0 offset:172
	buffer_load_dword v66, off, s[0:3], 0 offset:168
	buffer_load_dword v71, off, s[0:3], 0 offset:180
	buffer_load_dword v70, off, s[0:3], 0 offset:176
	s_waitcnt vmcnt(2)
	v_fmac_f64_e32 v[62:63], v[66:67], v[68:69]
	ds_read_b128 v[66:69], v64 offset:416
	s_waitcnt vmcnt(0) lgkmcnt(0)
	v_fmac_f64_e32 v[62:63], v[70:71], v[66:67]
	buffer_load_dword v67, off, s[0:3], 0 offset:188
	buffer_load_dword v66, off, s[0:3], 0 offset:184
	buffer_load_dword v71, off, s[0:3], 0 offset:196
	buffer_load_dword v70, off, s[0:3], 0 offset:192
	;; [unrolled: 9-line block ×3, first 2 shown]
	s_waitcnt vmcnt(2)
	v_fmac_f64_e32 v[62:63], v[66:67], v[68:69]
	ds_read_b128 v[66:69], v64 offset:448
	s_waitcnt vmcnt(0) lgkmcnt(0)
	v_fmac_f64_e32 v[62:63], v[70:71], v[66:67]
	buffer_load_dword v67, off, s[0:3], 0 offset:220
	buffer_load_dword v66, off, s[0:3], 0 offset:216
	s_waitcnt vmcnt(0)
	v_fmac_f64_e32 v[62:63], v[66:67], v[68:69]
	buffer_load_dword v67, off, s[0:3], 0 offset:228
	buffer_load_dword v66, off, s[0:3], 0 offset:224
	ds_read_b64 v[68:69], v64 offset:464
	s_waitcnt vmcnt(0) lgkmcnt(0)
	v_fmac_f64_e32 v[62:63], v[66:67], v[68:69]
	v_add_f64 v[60:61], v[60:61], -v[62:63]
	buffer_store_dword v61, off, s[0:3], 0 offset:92
	buffer_store_dword v60, off, s[0:3], 0 offset:88
	s_and_saveexec_b64 s[4:5], vcc
	s_cbranch_execz .LBB92_161
; %bb.160:
	buffer_load_dword v60, off, s[0:3], 0 offset:80
	buffer_load_dword v61, off, s[0:3], 0 offset:84
	s_waitcnt vmcnt(0)
	ds_write_b64 v1, v[60:61]
	buffer_store_dword v64, off, s[0:3], 0 offset:80
	buffer_store_dword v64, off, s[0:3], 0 offset:84
.LBB92_161:
	s_or_b64 exec, exec, s[4:5]
	s_waitcnt lgkmcnt(0)
	; wave barrier
	s_waitcnt lgkmcnt(0)
	buffer_load_dword v60, off, s[0:3], 0 offset:80
	buffer_load_dword v61, off, s[0:3], 0 offset:84
	;; [unrolled: 1-line block ×16, first 2 shown]
	ds_read2_b64 v[66:69], v64 offset0:41 offset1:42
	v_cmp_lt_u32_e32 vcc, 9, v0
	s_waitcnt vmcnt(12) lgkmcnt(0)
	v_fma_f64 v[62:63], v[62:63], v[66:67], 0
	s_waitcnt vmcnt(10)
	v_fmac_f64_e32 v[62:63], v[70:71], v[68:69]
	ds_read2_b64 v[66:69], v64 offset0:43 offset1:44
	s_waitcnt vmcnt(8) lgkmcnt(0)
	v_fmac_f64_e32 v[62:63], v[72:73], v[66:67]
	s_waitcnt vmcnt(6)
	v_fmac_f64_e32 v[62:63], v[74:75], v[68:69]
	ds_read2_b64 v[66:69], v64 offset0:45 offset1:46
	s_waitcnt vmcnt(4) lgkmcnt(0)
	v_fmac_f64_e32 v[62:63], v[76:77], v[66:67]
	;; [unrolled: 5-line block ×3, first 2 shown]
	buffer_load_dword v67, off, s[0:3], 0 offset:148
	buffer_load_dword v66, off, s[0:3], 0 offset:144
	buffer_load_dword v71, off, s[0:3], 0 offset:156
	buffer_load_dword v70, off, s[0:3], 0 offset:152
	s_waitcnt vmcnt(2)
	v_fmac_f64_e32 v[62:63], v[66:67], v[68:69]
	ds_read2_b64 v[66:69], v64 offset0:49 offset1:50
	s_waitcnt vmcnt(0) lgkmcnt(0)
	v_fmac_f64_e32 v[62:63], v[70:71], v[66:67]
	buffer_load_dword v67, off, s[0:3], 0 offset:164
	buffer_load_dword v66, off, s[0:3], 0 offset:160
	buffer_load_dword v71, off, s[0:3], 0 offset:172
	buffer_load_dword v70, off, s[0:3], 0 offset:168
	s_waitcnt vmcnt(2)
	v_fmac_f64_e32 v[62:63], v[66:67], v[68:69]
	ds_read2_b64 v[66:69], v64 offset0:51 offset1:52
	s_waitcnt vmcnt(0) lgkmcnt(0)
	v_fmac_f64_e32 v[62:63], v[70:71], v[66:67]
	;; [unrolled: 9-line block ×4, first 2 shown]
	buffer_load_dword v67, off, s[0:3], 0 offset:212
	buffer_load_dword v66, off, s[0:3], 0 offset:208
	s_waitcnt vmcnt(0)
	v_fmac_f64_e32 v[62:63], v[66:67], v[68:69]
	buffer_load_dword v69, off, s[0:3], 0 offset:220
	buffer_load_dword v68, off, s[0:3], 0 offset:216
	ds_read2_b64 v[64:67], v64 offset0:57 offset1:58
	s_waitcnt vmcnt(0) lgkmcnt(0)
	v_fmac_f64_e32 v[62:63], v[68:69], v[64:65]
	buffer_load_dword v65, off, s[0:3], 0 offset:228
	buffer_load_dword v64, off, s[0:3], 0 offset:224
	s_waitcnt vmcnt(0)
	v_fmac_f64_e32 v[62:63], v[64:65], v[66:67]
	v_add_f64 v[60:61], v[60:61], -v[62:63]
	buffer_store_dword v61, off, s[0:3], 0 offset:84
	buffer_store_dword v60, off, s[0:3], 0 offset:80
	s_and_saveexec_b64 s[4:5], vcc
	s_cbranch_execz .LBB92_163
; %bb.162:
	buffer_load_dword v60, off, s[0:3], 0 offset:72
	buffer_load_dword v61, off, s[0:3], 0 offset:76
	v_mov_b32_e32 v62, 0
	buffer_store_dword v62, off, s[0:3], 0 offset:72
	buffer_store_dword v62, off, s[0:3], 0 offset:76
	s_waitcnt vmcnt(2)
	ds_write_b64 v1, v[60:61]
.LBB92_163:
	s_or_b64 exec, exec, s[4:5]
	s_waitcnt lgkmcnt(0)
	; wave barrier
	s_waitcnt lgkmcnt(0)
	buffer_load_dword v60, off, s[0:3], 0 offset:72
	buffer_load_dword v61, off, s[0:3], 0 offset:76
	buffer_load_dword v62, off, s[0:3], 0 offset:80
	buffer_load_dword v63, off, s[0:3], 0 offset:84
	buffer_load_dword v82, off, s[0:3], 0 offset:88
	buffer_load_dword v83, off, s[0:3], 0 offset:92
	buffer_load_dword v84, off, s[0:3], 0 offset:96
	buffer_load_dword v85, off, s[0:3], 0 offset:100
	buffer_load_dword v86, off, s[0:3], 0 offset:104
	buffer_load_dword v87, off, s[0:3], 0 offset:108
	buffer_load_dword v88, off, s[0:3], 0 offset:112
	buffer_load_dword v89, off, s[0:3], 0 offset:116
	buffer_load_dword v90, off, s[0:3], 0 offset:120
	buffer_load_dword v91, off, s[0:3], 0 offset:124
	buffer_load_dword v92, off, s[0:3], 0 offset:128
	buffer_load_dword v93, off, s[0:3], 0 offset:132
	v_mov_b32_e32 v64, 0
	ds_read_b128 v[66:69], v64 offset:320
	ds_read_b128 v[70:73], v64 offset:336
	;; [unrolled: 1-line block ×4, first 2 shown]
	v_cmp_lt_u32_e32 vcc, 8, v0
	s_waitcnt vmcnt(12) lgkmcnt(3)
	v_fma_f64 v[62:63], v[62:63], v[66:67], 0
	buffer_load_dword v67, off, s[0:3], 0 offset:140
	buffer_load_dword v66, off, s[0:3], 0 offset:136
	s_waitcnt vmcnt(12)
	v_fmac_f64_e32 v[62:63], v[82:83], v[68:69]
	s_waitcnt vmcnt(10) lgkmcnt(2)
	v_fmac_f64_e32 v[62:63], v[84:85], v[70:71]
	buffer_load_dword v71, off, s[0:3], 0 offset:148
	buffer_load_dword v70, off, s[0:3], 0 offset:144
	s_waitcnt vmcnt(10)
	v_fmac_f64_e32 v[62:63], v[86:87], v[72:73]
	s_waitcnt vmcnt(8) lgkmcnt(1)
	v_fmac_f64_e32 v[62:63], v[88:89], v[74:75]
	s_waitcnt vmcnt(6)
	v_fmac_f64_e32 v[62:63], v[90:91], v[76:77]
	s_waitcnt vmcnt(4) lgkmcnt(0)
	v_fmac_f64_e32 v[62:63], v[92:93], v[78:79]
	s_waitcnt vmcnt(2)
	v_fmac_f64_e32 v[62:63], v[66:67], v[80:81]
	ds_read_b128 v[66:69], v64 offset:384
	s_waitcnt vmcnt(0) lgkmcnt(0)
	v_fmac_f64_e32 v[62:63], v[70:71], v[66:67]
	buffer_load_dword v67, off, s[0:3], 0 offset:156
	buffer_load_dword v66, off, s[0:3], 0 offset:152
	buffer_load_dword v71, off, s[0:3], 0 offset:164
	buffer_load_dword v70, off, s[0:3], 0 offset:160
	s_waitcnt vmcnt(2)
	v_fmac_f64_e32 v[62:63], v[66:67], v[68:69]
	ds_read_b128 v[66:69], v64 offset:400
	s_waitcnt vmcnt(0) lgkmcnt(0)
	v_fmac_f64_e32 v[62:63], v[70:71], v[66:67]
	buffer_load_dword v67, off, s[0:3], 0 offset:172
	buffer_load_dword v66, off, s[0:3], 0 offset:168
	buffer_load_dword v71, off, s[0:3], 0 offset:180
	buffer_load_dword v70, off, s[0:3], 0 offset:176
	;; [unrolled: 9-line block ×4, first 2 shown]
	s_waitcnt vmcnt(2)
	v_fmac_f64_e32 v[62:63], v[66:67], v[68:69]
	ds_read_b128 v[66:69], v64 offset:448
	s_waitcnt vmcnt(0) lgkmcnt(0)
	v_fmac_f64_e32 v[62:63], v[70:71], v[66:67]
	buffer_load_dword v67, off, s[0:3], 0 offset:220
	buffer_load_dword v66, off, s[0:3], 0 offset:216
	s_waitcnt vmcnt(0)
	v_fmac_f64_e32 v[62:63], v[66:67], v[68:69]
	buffer_load_dword v67, off, s[0:3], 0 offset:228
	buffer_load_dword v66, off, s[0:3], 0 offset:224
	ds_read_b64 v[68:69], v64 offset:464
	s_waitcnt vmcnt(0) lgkmcnt(0)
	v_fmac_f64_e32 v[62:63], v[66:67], v[68:69]
	v_add_f64 v[60:61], v[60:61], -v[62:63]
	buffer_store_dword v61, off, s[0:3], 0 offset:76
	buffer_store_dword v60, off, s[0:3], 0 offset:72
	s_and_saveexec_b64 s[4:5], vcc
	s_cbranch_execz .LBB92_165
; %bb.164:
	buffer_load_dword v60, off, s[0:3], 0 offset:64
	buffer_load_dword v61, off, s[0:3], 0 offset:68
	s_waitcnt vmcnt(0)
	ds_write_b64 v1, v[60:61]
	buffer_store_dword v64, off, s[0:3], 0 offset:64
	buffer_store_dword v64, off, s[0:3], 0 offset:68
.LBB92_165:
	s_or_b64 exec, exec, s[4:5]
	s_waitcnt lgkmcnt(0)
	; wave barrier
	s_waitcnt lgkmcnt(0)
	buffer_load_dword v60, off, s[0:3], 0 offset:64
	buffer_load_dword v61, off, s[0:3], 0 offset:68
	;; [unrolled: 1-line block ×16, first 2 shown]
	ds_read2_b64 v[66:69], v64 offset0:39 offset1:40
	v_cmp_lt_u32_e32 vcc, 7, v0
	s_waitcnt vmcnt(12) lgkmcnt(0)
	v_fma_f64 v[62:63], v[62:63], v[66:67], 0
	s_waitcnt vmcnt(10)
	v_fmac_f64_e32 v[62:63], v[70:71], v[68:69]
	ds_read2_b64 v[66:69], v64 offset0:41 offset1:42
	s_waitcnt vmcnt(8) lgkmcnt(0)
	v_fmac_f64_e32 v[62:63], v[72:73], v[66:67]
	s_waitcnt vmcnt(6)
	v_fmac_f64_e32 v[62:63], v[74:75], v[68:69]
	ds_read2_b64 v[66:69], v64 offset0:43 offset1:44
	s_waitcnt vmcnt(4) lgkmcnt(0)
	v_fmac_f64_e32 v[62:63], v[76:77], v[66:67]
	;; [unrolled: 5-line block ×3, first 2 shown]
	buffer_load_dword v67, off, s[0:3], 0 offset:132
	buffer_load_dword v66, off, s[0:3], 0 offset:128
	buffer_load_dword v71, off, s[0:3], 0 offset:140
	buffer_load_dword v70, off, s[0:3], 0 offset:136
	s_waitcnt vmcnt(2)
	v_fmac_f64_e32 v[62:63], v[66:67], v[68:69]
	ds_read2_b64 v[66:69], v64 offset0:47 offset1:48
	s_waitcnt vmcnt(0) lgkmcnt(0)
	v_fmac_f64_e32 v[62:63], v[70:71], v[66:67]
	buffer_load_dword v67, off, s[0:3], 0 offset:148
	buffer_load_dword v66, off, s[0:3], 0 offset:144
	buffer_load_dword v71, off, s[0:3], 0 offset:156
	buffer_load_dword v70, off, s[0:3], 0 offset:152
	s_waitcnt vmcnt(2)
	v_fmac_f64_e32 v[62:63], v[66:67], v[68:69]
	ds_read2_b64 v[66:69], v64 offset0:49 offset1:50
	s_waitcnt vmcnt(0) lgkmcnt(0)
	v_fmac_f64_e32 v[62:63], v[70:71], v[66:67]
	;; [unrolled: 9-line block ×5, first 2 shown]
	buffer_load_dword v67, off, s[0:3], 0 offset:212
	buffer_load_dword v66, off, s[0:3], 0 offset:208
	s_waitcnt vmcnt(0)
	v_fmac_f64_e32 v[62:63], v[66:67], v[68:69]
	buffer_load_dword v69, off, s[0:3], 0 offset:220
	buffer_load_dword v68, off, s[0:3], 0 offset:216
	ds_read2_b64 v[64:67], v64 offset0:57 offset1:58
	s_waitcnt vmcnt(0) lgkmcnt(0)
	v_fmac_f64_e32 v[62:63], v[68:69], v[64:65]
	buffer_load_dword v65, off, s[0:3], 0 offset:228
	buffer_load_dword v64, off, s[0:3], 0 offset:224
	s_waitcnt vmcnt(0)
	v_fmac_f64_e32 v[62:63], v[64:65], v[66:67]
	v_add_f64 v[60:61], v[60:61], -v[62:63]
	buffer_store_dword v61, off, s[0:3], 0 offset:68
	buffer_store_dword v60, off, s[0:3], 0 offset:64
	s_and_saveexec_b64 s[4:5], vcc
	s_cbranch_execz .LBB92_167
; %bb.166:
	buffer_load_dword v60, off, s[0:3], 0 offset:56
	buffer_load_dword v61, off, s[0:3], 0 offset:60
	v_mov_b32_e32 v62, 0
	buffer_store_dword v62, off, s[0:3], 0 offset:56
	buffer_store_dword v62, off, s[0:3], 0 offset:60
	s_waitcnt vmcnt(2)
	ds_write_b64 v1, v[60:61]
.LBB92_167:
	s_or_b64 exec, exec, s[4:5]
	s_waitcnt lgkmcnt(0)
	; wave barrier
	s_waitcnt lgkmcnt(0)
	buffer_load_dword v60, off, s[0:3], 0 offset:56
	buffer_load_dword v61, off, s[0:3], 0 offset:60
	;; [unrolled: 1-line block ×16, first 2 shown]
	v_mov_b32_e32 v64, 0
	ds_read_b128 v[66:69], v64 offset:304
	ds_read_b128 v[70:73], v64 offset:320
	;; [unrolled: 1-line block ×4, first 2 shown]
	v_cmp_lt_u32_e32 vcc, 6, v0
	s_waitcnt vmcnt(12) lgkmcnt(3)
	v_fma_f64 v[62:63], v[62:63], v[66:67], 0
	buffer_load_dword v67, off, s[0:3], 0 offset:124
	buffer_load_dword v66, off, s[0:3], 0 offset:120
	s_waitcnt vmcnt(12)
	v_fmac_f64_e32 v[62:63], v[82:83], v[68:69]
	s_waitcnt vmcnt(10) lgkmcnt(2)
	v_fmac_f64_e32 v[62:63], v[84:85], v[70:71]
	buffer_load_dword v71, off, s[0:3], 0 offset:132
	buffer_load_dword v70, off, s[0:3], 0 offset:128
	s_waitcnt vmcnt(10)
	v_fmac_f64_e32 v[62:63], v[86:87], v[72:73]
	s_waitcnt vmcnt(8) lgkmcnt(1)
	v_fmac_f64_e32 v[62:63], v[88:89], v[74:75]
	s_waitcnt vmcnt(6)
	v_fmac_f64_e32 v[62:63], v[90:91], v[76:77]
	s_waitcnt vmcnt(4) lgkmcnt(0)
	v_fmac_f64_e32 v[62:63], v[92:93], v[78:79]
	s_waitcnt vmcnt(2)
	v_fmac_f64_e32 v[62:63], v[66:67], v[80:81]
	ds_read_b128 v[66:69], v64 offset:368
	s_waitcnt vmcnt(0) lgkmcnt(0)
	v_fmac_f64_e32 v[62:63], v[70:71], v[66:67]
	buffer_load_dword v67, off, s[0:3], 0 offset:140
	buffer_load_dword v66, off, s[0:3], 0 offset:136
	buffer_load_dword v71, off, s[0:3], 0 offset:148
	buffer_load_dword v70, off, s[0:3], 0 offset:144
	s_waitcnt vmcnt(2)
	v_fmac_f64_e32 v[62:63], v[66:67], v[68:69]
	ds_read_b128 v[66:69], v64 offset:384
	s_waitcnt vmcnt(0) lgkmcnt(0)
	v_fmac_f64_e32 v[62:63], v[70:71], v[66:67]
	buffer_load_dword v67, off, s[0:3], 0 offset:156
	buffer_load_dword v66, off, s[0:3], 0 offset:152
	buffer_load_dword v71, off, s[0:3], 0 offset:164
	buffer_load_dword v70, off, s[0:3], 0 offset:160
	;; [unrolled: 9-line block ×5, first 2 shown]
	s_waitcnt vmcnt(2)
	v_fmac_f64_e32 v[62:63], v[66:67], v[68:69]
	ds_read_b128 v[66:69], v64 offset:448
	s_waitcnt vmcnt(0) lgkmcnt(0)
	v_fmac_f64_e32 v[62:63], v[70:71], v[66:67]
	buffer_load_dword v67, off, s[0:3], 0 offset:220
	buffer_load_dword v66, off, s[0:3], 0 offset:216
	s_waitcnt vmcnt(0)
	v_fmac_f64_e32 v[62:63], v[66:67], v[68:69]
	buffer_load_dword v67, off, s[0:3], 0 offset:228
	buffer_load_dword v66, off, s[0:3], 0 offset:224
	ds_read_b64 v[68:69], v64 offset:464
	s_waitcnt vmcnt(0) lgkmcnt(0)
	v_fmac_f64_e32 v[62:63], v[66:67], v[68:69]
	v_add_f64 v[60:61], v[60:61], -v[62:63]
	buffer_store_dword v61, off, s[0:3], 0 offset:60
	buffer_store_dword v60, off, s[0:3], 0 offset:56
	s_and_saveexec_b64 s[4:5], vcc
	s_cbranch_execz .LBB92_169
; %bb.168:
	buffer_load_dword v60, off, s[0:3], 0 offset:48
	buffer_load_dword v61, off, s[0:3], 0 offset:52
	s_waitcnt vmcnt(0)
	ds_write_b64 v1, v[60:61]
	buffer_store_dword v64, off, s[0:3], 0 offset:48
	buffer_store_dword v64, off, s[0:3], 0 offset:52
.LBB92_169:
	s_or_b64 exec, exec, s[4:5]
	s_waitcnt lgkmcnt(0)
	; wave barrier
	s_waitcnt lgkmcnt(0)
	buffer_load_dword v60, off, s[0:3], 0 offset:48
	buffer_load_dword v61, off, s[0:3], 0 offset:52
	;; [unrolled: 1-line block ×16, first 2 shown]
	ds_read2_b64 v[66:69], v64 offset0:37 offset1:38
	v_cmp_lt_u32_e32 vcc, 5, v0
	s_waitcnt vmcnt(12) lgkmcnt(0)
	v_fma_f64 v[62:63], v[62:63], v[66:67], 0
	s_waitcnt vmcnt(10)
	v_fmac_f64_e32 v[62:63], v[70:71], v[68:69]
	ds_read2_b64 v[66:69], v64 offset0:39 offset1:40
	s_waitcnt vmcnt(8) lgkmcnt(0)
	v_fmac_f64_e32 v[62:63], v[72:73], v[66:67]
	s_waitcnt vmcnt(6)
	v_fmac_f64_e32 v[62:63], v[74:75], v[68:69]
	ds_read2_b64 v[66:69], v64 offset0:41 offset1:42
	s_waitcnt vmcnt(4) lgkmcnt(0)
	v_fmac_f64_e32 v[62:63], v[76:77], v[66:67]
	;; [unrolled: 5-line block ×3, first 2 shown]
	buffer_load_dword v67, off, s[0:3], 0 offset:116
	buffer_load_dword v66, off, s[0:3], 0 offset:112
	buffer_load_dword v71, off, s[0:3], 0 offset:124
	buffer_load_dword v70, off, s[0:3], 0 offset:120
	s_waitcnt vmcnt(2)
	v_fmac_f64_e32 v[62:63], v[66:67], v[68:69]
	ds_read2_b64 v[66:69], v64 offset0:45 offset1:46
	s_waitcnt vmcnt(0) lgkmcnt(0)
	v_fmac_f64_e32 v[62:63], v[70:71], v[66:67]
	buffer_load_dword v67, off, s[0:3], 0 offset:132
	buffer_load_dword v66, off, s[0:3], 0 offset:128
	buffer_load_dword v71, off, s[0:3], 0 offset:140
	buffer_load_dword v70, off, s[0:3], 0 offset:136
	s_waitcnt vmcnt(2)
	v_fmac_f64_e32 v[62:63], v[66:67], v[68:69]
	ds_read2_b64 v[66:69], v64 offset0:47 offset1:48
	s_waitcnt vmcnt(0) lgkmcnt(0)
	v_fmac_f64_e32 v[62:63], v[70:71], v[66:67]
	;; [unrolled: 9-line block ×6, first 2 shown]
	buffer_load_dword v67, off, s[0:3], 0 offset:212
	buffer_load_dword v66, off, s[0:3], 0 offset:208
	s_waitcnt vmcnt(0)
	v_fmac_f64_e32 v[62:63], v[66:67], v[68:69]
	buffer_load_dword v69, off, s[0:3], 0 offset:220
	buffer_load_dword v68, off, s[0:3], 0 offset:216
	ds_read2_b64 v[64:67], v64 offset0:57 offset1:58
	s_waitcnt vmcnt(0) lgkmcnt(0)
	v_fmac_f64_e32 v[62:63], v[68:69], v[64:65]
	buffer_load_dword v65, off, s[0:3], 0 offset:228
	buffer_load_dword v64, off, s[0:3], 0 offset:224
	s_waitcnt vmcnt(0)
	v_fmac_f64_e32 v[62:63], v[64:65], v[66:67]
	v_add_f64 v[60:61], v[60:61], -v[62:63]
	buffer_store_dword v61, off, s[0:3], 0 offset:52
	buffer_store_dword v60, off, s[0:3], 0 offset:48
	s_and_saveexec_b64 s[4:5], vcc
	s_cbranch_execz .LBB92_171
; %bb.170:
	buffer_load_dword v60, off, s[0:3], 0 offset:40
	buffer_load_dword v61, off, s[0:3], 0 offset:44
	v_mov_b32_e32 v62, 0
	buffer_store_dword v62, off, s[0:3], 0 offset:40
	buffer_store_dword v62, off, s[0:3], 0 offset:44
	s_waitcnt vmcnt(2)
	ds_write_b64 v1, v[60:61]
.LBB92_171:
	s_or_b64 exec, exec, s[4:5]
	s_waitcnt lgkmcnt(0)
	; wave barrier
	s_waitcnt lgkmcnt(0)
	buffer_load_dword v60, off, s[0:3], 0 offset:40
	buffer_load_dword v61, off, s[0:3], 0 offset:44
	;; [unrolled: 1-line block ×16, first 2 shown]
	v_mov_b32_e32 v64, 0
	ds_read_b128 v[66:69], v64 offset:288
	ds_read_b128 v[70:73], v64 offset:304
	;; [unrolled: 1-line block ×4, first 2 shown]
	v_cmp_lt_u32_e32 vcc, 4, v0
	s_waitcnt vmcnt(12) lgkmcnt(3)
	v_fma_f64 v[62:63], v[62:63], v[66:67], 0
	buffer_load_dword v67, off, s[0:3], 0 offset:108
	buffer_load_dword v66, off, s[0:3], 0 offset:104
	s_waitcnt vmcnt(12)
	v_fmac_f64_e32 v[62:63], v[82:83], v[68:69]
	s_waitcnt vmcnt(10) lgkmcnt(2)
	v_fmac_f64_e32 v[62:63], v[84:85], v[70:71]
	buffer_load_dword v71, off, s[0:3], 0 offset:116
	buffer_load_dword v70, off, s[0:3], 0 offset:112
	s_waitcnt vmcnt(10)
	v_fmac_f64_e32 v[62:63], v[86:87], v[72:73]
	s_waitcnt vmcnt(8) lgkmcnt(1)
	v_fmac_f64_e32 v[62:63], v[88:89], v[74:75]
	s_waitcnt vmcnt(6)
	v_fmac_f64_e32 v[62:63], v[90:91], v[76:77]
	s_waitcnt vmcnt(4) lgkmcnt(0)
	v_fmac_f64_e32 v[62:63], v[92:93], v[78:79]
	s_waitcnt vmcnt(2)
	v_fmac_f64_e32 v[62:63], v[66:67], v[80:81]
	ds_read_b128 v[66:69], v64 offset:352
	s_waitcnt vmcnt(0) lgkmcnt(0)
	v_fmac_f64_e32 v[62:63], v[70:71], v[66:67]
	buffer_load_dword v67, off, s[0:3], 0 offset:124
	buffer_load_dword v66, off, s[0:3], 0 offset:120
	buffer_load_dword v71, off, s[0:3], 0 offset:132
	buffer_load_dword v70, off, s[0:3], 0 offset:128
	s_waitcnt vmcnt(2)
	v_fmac_f64_e32 v[62:63], v[66:67], v[68:69]
	ds_read_b128 v[66:69], v64 offset:368
	s_waitcnt vmcnt(0) lgkmcnt(0)
	v_fmac_f64_e32 v[62:63], v[70:71], v[66:67]
	buffer_load_dword v67, off, s[0:3], 0 offset:140
	buffer_load_dword v66, off, s[0:3], 0 offset:136
	buffer_load_dword v71, off, s[0:3], 0 offset:148
	buffer_load_dword v70, off, s[0:3], 0 offset:144
	;; [unrolled: 9-line block ×6, first 2 shown]
	s_waitcnt vmcnt(2)
	v_fmac_f64_e32 v[62:63], v[66:67], v[68:69]
	ds_read_b128 v[66:69], v64 offset:448
	s_waitcnt vmcnt(0) lgkmcnt(0)
	v_fmac_f64_e32 v[62:63], v[70:71], v[66:67]
	buffer_load_dword v67, off, s[0:3], 0 offset:220
	buffer_load_dword v66, off, s[0:3], 0 offset:216
	s_waitcnt vmcnt(0)
	v_fmac_f64_e32 v[62:63], v[66:67], v[68:69]
	buffer_load_dword v67, off, s[0:3], 0 offset:228
	buffer_load_dword v66, off, s[0:3], 0 offset:224
	ds_read_b64 v[68:69], v64 offset:464
	s_waitcnt vmcnt(0) lgkmcnt(0)
	v_fmac_f64_e32 v[62:63], v[66:67], v[68:69]
	v_add_f64 v[60:61], v[60:61], -v[62:63]
	buffer_store_dword v61, off, s[0:3], 0 offset:44
	buffer_store_dword v60, off, s[0:3], 0 offset:40
	s_and_saveexec_b64 s[4:5], vcc
	s_cbranch_execz .LBB92_173
; %bb.172:
	buffer_load_dword v60, off, s[0:3], 0 offset:32
	buffer_load_dword v61, off, s[0:3], 0 offset:36
	s_waitcnt vmcnt(0)
	ds_write_b64 v1, v[60:61]
	buffer_store_dword v64, off, s[0:3], 0 offset:32
	buffer_store_dword v64, off, s[0:3], 0 offset:36
.LBB92_173:
	s_or_b64 exec, exec, s[4:5]
	s_waitcnt lgkmcnt(0)
	; wave barrier
	s_waitcnt lgkmcnt(0)
	buffer_load_dword v60, off, s[0:3], 0 offset:32
	buffer_load_dword v61, off, s[0:3], 0 offset:36
	;; [unrolled: 1-line block ×16, first 2 shown]
	ds_read2_b64 v[66:69], v64 offset0:35 offset1:36
	v_cmp_lt_u32_e32 vcc, 3, v0
	s_waitcnt vmcnt(12) lgkmcnt(0)
	v_fma_f64 v[62:63], v[62:63], v[66:67], 0
	s_waitcnt vmcnt(10)
	v_fmac_f64_e32 v[62:63], v[70:71], v[68:69]
	ds_read2_b64 v[66:69], v64 offset0:37 offset1:38
	s_waitcnt vmcnt(8) lgkmcnt(0)
	v_fmac_f64_e32 v[62:63], v[72:73], v[66:67]
	s_waitcnt vmcnt(6)
	v_fmac_f64_e32 v[62:63], v[74:75], v[68:69]
	ds_read2_b64 v[66:69], v64 offset0:39 offset1:40
	s_waitcnt vmcnt(4) lgkmcnt(0)
	v_fmac_f64_e32 v[62:63], v[76:77], v[66:67]
	;; [unrolled: 5-line block ×3, first 2 shown]
	buffer_load_dword v67, off, s[0:3], 0 offset:100
	buffer_load_dword v66, off, s[0:3], 0 offset:96
	buffer_load_dword v71, off, s[0:3], 0 offset:108
	buffer_load_dword v70, off, s[0:3], 0 offset:104
	s_waitcnt vmcnt(2)
	v_fmac_f64_e32 v[62:63], v[66:67], v[68:69]
	ds_read2_b64 v[66:69], v64 offset0:43 offset1:44
	s_waitcnt vmcnt(0) lgkmcnt(0)
	v_fmac_f64_e32 v[62:63], v[70:71], v[66:67]
	buffer_load_dword v67, off, s[0:3], 0 offset:116
	buffer_load_dword v66, off, s[0:3], 0 offset:112
	buffer_load_dword v71, off, s[0:3], 0 offset:124
	buffer_load_dword v70, off, s[0:3], 0 offset:120
	s_waitcnt vmcnt(2)
	v_fmac_f64_e32 v[62:63], v[66:67], v[68:69]
	ds_read2_b64 v[66:69], v64 offset0:45 offset1:46
	s_waitcnt vmcnt(0) lgkmcnt(0)
	v_fmac_f64_e32 v[62:63], v[70:71], v[66:67]
	;; [unrolled: 9-line block ×7, first 2 shown]
	buffer_load_dword v67, off, s[0:3], 0 offset:212
	buffer_load_dword v66, off, s[0:3], 0 offset:208
	s_waitcnt vmcnt(0)
	v_fmac_f64_e32 v[62:63], v[66:67], v[68:69]
	buffer_load_dword v69, off, s[0:3], 0 offset:220
	buffer_load_dword v68, off, s[0:3], 0 offset:216
	ds_read2_b64 v[64:67], v64 offset0:57 offset1:58
	s_waitcnt vmcnt(0) lgkmcnt(0)
	v_fmac_f64_e32 v[62:63], v[68:69], v[64:65]
	buffer_load_dword v65, off, s[0:3], 0 offset:228
	buffer_load_dword v64, off, s[0:3], 0 offset:224
	s_waitcnt vmcnt(0)
	v_fmac_f64_e32 v[62:63], v[64:65], v[66:67]
	v_add_f64 v[60:61], v[60:61], -v[62:63]
	buffer_store_dword v61, off, s[0:3], 0 offset:36
	buffer_store_dword v60, off, s[0:3], 0 offset:32
	s_and_saveexec_b64 s[4:5], vcc
	s_cbranch_execz .LBB92_175
; %bb.174:
	buffer_load_dword v60, off, s[0:3], 0 offset:24
	buffer_load_dword v61, off, s[0:3], 0 offset:28
	v_mov_b32_e32 v62, 0
	buffer_store_dword v62, off, s[0:3], 0 offset:24
	buffer_store_dword v62, off, s[0:3], 0 offset:28
	s_waitcnt vmcnt(2)
	ds_write_b64 v1, v[60:61]
.LBB92_175:
	s_or_b64 exec, exec, s[4:5]
	s_waitcnt lgkmcnt(0)
	; wave barrier
	s_waitcnt lgkmcnt(0)
	buffer_load_dword v60, off, s[0:3], 0 offset:24
	buffer_load_dword v61, off, s[0:3], 0 offset:28
	;; [unrolled: 1-line block ×16, first 2 shown]
	v_mov_b32_e32 v64, 0
	ds_read_b128 v[66:69], v64 offset:272
	ds_read_b128 v[70:73], v64 offset:288
	ds_read_b128 v[74:77], v64 offset:304
	ds_read_b128 v[78:81], v64 offset:320
	v_cmp_lt_u32_e32 vcc, 2, v0
	s_waitcnt vmcnt(12) lgkmcnt(3)
	v_fma_f64 v[62:63], v[62:63], v[66:67], 0
	buffer_load_dword v67, off, s[0:3], 0 offset:92
	buffer_load_dword v66, off, s[0:3], 0 offset:88
	s_waitcnt vmcnt(12)
	v_fmac_f64_e32 v[62:63], v[82:83], v[68:69]
	s_waitcnt vmcnt(10) lgkmcnt(2)
	v_fmac_f64_e32 v[62:63], v[84:85], v[70:71]
	buffer_load_dword v71, off, s[0:3], 0 offset:100
	buffer_load_dword v70, off, s[0:3], 0 offset:96
	s_waitcnt vmcnt(10)
	v_fmac_f64_e32 v[62:63], v[86:87], v[72:73]
	s_waitcnt vmcnt(8) lgkmcnt(1)
	v_fmac_f64_e32 v[62:63], v[88:89], v[74:75]
	s_waitcnt vmcnt(6)
	v_fmac_f64_e32 v[62:63], v[90:91], v[76:77]
	s_waitcnt vmcnt(4) lgkmcnt(0)
	v_fmac_f64_e32 v[62:63], v[92:93], v[78:79]
	s_waitcnt vmcnt(2)
	v_fmac_f64_e32 v[62:63], v[66:67], v[80:81]
	ds_read_b128 v[66:69], v64 offset:336
	s_waitcnt vmcnt(0) lgkmcnt(0)
	v_fmac_f64_e32 v[62:63], v[70:71], v[66:67]
	buffer_load_dword v67, off, s[0:3], 0 offset:108
	buffer_load_dword v66, off, s[0:3], 0 offset:104
	buffer_load_dword v71, off, s[0:3], 0 offset:116
	buffer_load_dword v70, off, s[0:3], 0 offset:112
	s_waitcnt vmcnt(2)
	v_fmac_f64_e32 v[62:63], v[66:67], v[68:69]
	ds_read_b128 v[66:69], v64 offset:352
	s_waitcnt vmcnt(0) lgkmcnt(0)
	v_fmac_f64_e32 v[62:63], v[70:71], v[66:67]
	buffer_load_dword v67, off, s[0:3], 0 offset:124
	buffer_load_dword v66, off, s[0:3], 0 offset:120
	buffer_load_dword v71, off, s[0:3], 0 offset:132
	buffer_load_dword v70, off, s[0:3], 0 offset:128
	;; [unrolled: 9-line block ×7, first 2 shown]
	s_waitcnt vmcnt(2)
	v_fmac_f64_e32 v[62:63], v[66:67], v[68:69]
	ds_read_b128 v[66:69], v64 offset:448
	s_waitcnt vmcnt(0) lgkmcnt(0)
	v_fmac_f64_e32 v[62:63], v[70:71], v[66:67]
	buffer_load_dword v67, off, s[0:3], 0 offset:220
	buffer_load_dword v66, off, s[0:3], 0 offset:216
	s_waitcnt vmcnt(0)
	v_fmac_f64_e32 v[62:63], v[66:67], v[68:69]
	buffer_load_dword v67, off, s[0:3], 0 offset:228
	buffer_load_dword v66, off, s[0:3], 0 offset:224
	ds_read_b64 v[68:69], v64 offset:464
	s_waitcnt vmcnt(0) lgkmcnt(0)
	v_fmac_f64_e32 v[62:63], v[66:67], v[68:69]
	v_add_f64 v[60:61], v[60:61], -v[62:63]
	buffer_store_dword v61, off, s[0:3], 0 offset:28
	buffer_store_dword v60, off, s[0:3], 0 offset:24
	s_and_saveexec_b64 s[4:5], vcc
	s_cbranch_execz .LBB92_177
; %bb.176:
	buffer_load_dword v60, off, s[0:3], 0 offset:16
	buffer_load_dword v61, off, s[0:3], 0 offset:20
	s_waitcnt vmcnt(0)
	ds_write_b64 v1, v[60:61]
	buffer_store_dword v64, off, s[0:3], 0 offset:16
	buffer_store_dword v64, off, s[0:3], 0 offset:20
.LBB92_177:
	s_or_b64 exec, exec, s[4:5]
	s_waitcnt lgkmcnt(0)
	; wave barrier
	s_waitcnt lgkmcnt(0)
	buffer_load_dword v60, off, s[0:3], 0 offset:16
	buffer_load_dword v61, off, s[0:3], 0 offset:20
	;; [unrolled: 1-line block ×16, first 2 shown]
	ds_read2_b64 v[66:69], v64 offset0:33 offset1:34
	v_cmp_lt_u32_e32 vcc, 1, v0
	s_waitcnt vmcnt(12) lgkmcnt(0)
	v_fma_f64 v[62:63], v[62:63], v[66:67], 0
	s_waitcnt vmcnt(10)
	v_fmac_f64_e32 v[62:63], v[70:71], v[68:69]
	ds_read2_b64 v[66:69], v64 offset0:35 offset1:36
	s_waitcnt vmcnt(8) lgkmcnt(0)
	v_fmac_f64_e32 v[62:63], v[72:73], v[66:67]
	s_waitcnt vmcnt(6)
	v_fmac_f64_e32 v[62:63], v[74:75], v[68:69]
	ds_read2_b64 v[66:69], v64 offset0:37 offset1:38
	s_waitcnt vmcnt(4) lgkmcnt(0)
	v_fmac_f64_e32 v[62:63], v[76:77], v[66:67]
	;; [unrolled: 5-line block ×3, first 2 shown]
	buffer_load_dword v67, off, s[0:3], 0 offset:84
	buffer_load_dword v66, off, s[0:3], 0 offset:80
	buffer_load_dword v71, off, s[0:3], 0 offset:92
	buffer_load_dword v70, off, s[0:3], 0 offset:88
	s_waitcnt vmcnt(2)
	v_fmac_f64_e32 v[62:63], v[66:67], v[68:69]
	ds_read2_b64 v[66:69], v64 offset0:41 offset1:42
	s_waitcnt vmcnt(0) lgkmcnt(0)
	v_fmac_f64_e32 v[62:63], v[70:71], v[66:67]
	buffer_load_dword v67, off, s[0:3], 0 offset:100
	buffer_load_dword v66, off, s[0:3], 0 offset:96
	buffer_load_dword v71, off, s[0:3], 0 offset:108
	buffer_load_dword v70, off, s[0:3], 0 offset:104
	s_waitcnt vmcnt(2)
	v_fmac_f64_e32 v[62:63], v[66:67], v[68:69]
	ds_read2_b64 v[66:69], v64 offset0:43 offset1:44
	s_waitcnt vmcnt(0) lgkmcnt(0)
	v_fmac_f64_e32 v[62:63], v[70:71], v[66:67]
	buffer_load_dword v67, off, s[0:3], 0 offset:116
	buffer_load_dword v66, off, s[0:3], 0 offset:112
	buffer_load_dword v71, off, s[0:3], 0 offset:124
	buffer_load_dword v70, off, s[0:3], 0 offset:120
	s_waitcnt vmcnt(2)
	v_fmac_f64_e32 v[62:63], v[66:67], v[68:69]
	ds_read2_b64 v[66:69], v64 offset0:45 offset1:46
	s_waitcnt vmcnt(0) lgkmcnt(0)
	v_fmac_f64_e32 v[62:63], v[70:71], v[66:67]
	buffer_load_dword v67, off, s[0:3], 0 offset:132
	buffer_load_dword v66, off, s[0:3], 0 offset:128
	buffer_load_dword v71, off, s[0:3], 0 offset:140
	buffer_load_dword v70, off, s[0:3], 0 offset:136
	s_waitcnt vmcnt(2)
	v_fmac_f64_e32 v[62:63], v[66:67], v[68:69]
	ds_read2_b64 v[66:69], v64 offset0:47 offset1:48
	s_waitcnt vmcnt(0) lgkmcnt(0)
	v_fmac_f64_e32 v[62:63], v[70:71], v[66:67]
	buffer_load_dword v67, off, s[0:3], 0 offset:148
	buffer_load_dword v66, off, s[0:3], 0 offset:144
	buffer_load_dword v71, off, s[0:3], 0 offset:156
	buffer_load_dword v70, off, s[0:3], 0 offset:152
	s_waitcnt vmcnt(2)
	v_fmac_f64_e32 v[62:63], v[66:67], v[68:69]
	ds_read2_b64 v[66:69], v64 offset0:49 offset1:50
	s_waitcnt vmcnt(0) lgkmcnt(0)
	v_fmac_f64_e32 v[62:63], v[70:71], v[66:67]
	buffer_load_dword v67, off, s[0:3], 0 offset:164
	buffer_load_dword v66, off, s[0:3], 0 offset:160
	buffer_load_dword v71, off, s[0:3], 0 offset:172
	buffer_load_dword v70, off, s[0:3], 0 offset:168
	s_waitcnt vmcnt(2)
	v_fmac_f64_e32 v[62:63], v[66:67], v[68:69]
	ds_read2_b64 v[66:69], v64 offset0:51 offset1:52
	s_waitcnt vmcnt(0) lgkmcnt(0)
	v_fmac_f64_e32 v[62:63], v[70:71], v[66:67]
	buffer_load_dword v67, off, s[0:3], 0 offset:180
	buffer_load_dword v66, off, s[0:3], 0 offset:176
	buffer_load_dword v71, off, s[0:3], 0 offset:188
	buffer_load_dword v70, off, s[0:3], 0 offset:184
	s_waitcnt vmcnt(2)
	v_fmac_f64_e32 v[62:63], v[66:67], v[68:69]
	ds_read2_b64 v[66:69], v64 offset0:53 offset1:54
	s_waitcnt vmcnt(0) lgkmcnt(0)
	v_fmac_f64_e32 v[62:63], v[70:71], v[66:67]
	buffer_load_dword v67, off, s[0:3], 0 offset:196
	buffer_load_dword v66, off, s[0:3], 0 offset:192
	buffer_load_dword v71, off, s[0:3], 0 offset:204
	buffer_load_dword v70, off, s[0:3], 0 offset:200
	s_waitcnt vmcnt(2)
	v_fmac_f64_e32 v[62:63], v[66:67], v[68:69]
	ds_read2_b64 v[66:69], v64 offset0:55 offset1:56
	s_waitcnt vmcnt(0) lgkmcnt(0)
	v_fmac_f64_e32 v[62:63], v[70:71], v[66:67]
	buffer_load_dword v67, off, s[0:3], 0 offset:212
	buffer_load_dword v66, off, s[0:3], 0 offset:208
	s_waitcnt vmcnt(0)
	v_fmac_f64_e32 v[62:63], v[66:67], v[68:69]
	buffer_load_dword v69, off, s[0:3], 0 offset:220
	buffer_load_dword v68, off, s[0:3], 0 offset:216
	ds_read2_b64 v[64:67], v64 offset0:57 offset1:58
	s_waitcnt vmcnt(0) lgkmcnt(0)
	v_fmac_f64_e32 v[62:63], v[68:69], v[64:65]
	buffer_load_dword v65, off, s[0:3], 0 offset:228
	buffer_load_dword v64, off, s[0:3], 0 offset:224
	s_waitcnt vmcnt(0)
	v_fmac_f64_e32 v[62:63], v[64:65], v[66:67]
	v_add_f64 v[60:61], v[60:61], -v[62:63]
	buffer_store_dword v61, off, s[0:3], 0 offset:20
	buffer_store_dword v60, off, s[0:3], 0 offset:16
	s_and_saveexec_b64 s[4:5], vcc
	s_cbranch_execz .LBB92_179
; %bb.178:
	buffer_load_dword v60, off, s[0:3], 0 offset:8
	buffer_load_dword v61, off, s[0:3], 0 offset:12
	v_mov_b32_e32 v62, 0
	buffer_store_dword v62, off, s[0:3], 0 offset:8
	buffer_store_dword v62, off, s[0:3], 0 offset:12
	s_waitcnt vmcnt(2)
	ds_write_b64 v1, v[60:61]
.LBB92_179:
	s_or_b64 exec, exec, s[4:5]
	s_waitcnt lgkmcnt(0)
	; wave barrier
	s_waitcnt lgkmcnt(0)
	buffer_load_dword v60, off, s[0:3], 0 offset:8
	buffer_load_dword v61, off, s[0:3], 0 offset:12
	;; [unrolled: 1-line block ×16, first 2 shown]
	v_mov_b32_e32 v64, 0
	ds_read_b128 v[66:69], v64 offset:256
	ds_read_b128 v[70:73], v64 offset:272
	;; [unrolled: 1-line block ×4, first 2 shown]
	v_cmp_ne_u32_e32 vcc, 0, v0
	s_waitcnt vmcnt(12) lgkmcnt(3)
	v_fma_f64 v[62:63], v[62:63], v[66:67], 0
	buffer_load_dword v67, off, s[0:3], 0 offset:76
	buffer_load_dword v66, off, s[0:3], 0 offset:72
	s_waitcnt vmcnt(12)
	v_fmac_f64_e32 v[62:63], v[82:83], v[68:69]
	s_waitcnt vmcnt(10) lgkmcnt(2)
	v_fmac_f64_e32 v[62:63], v[84:85], v[70:71]
	buffer_load_dword v71, off, s[0:3], 0 offset:84
	buffer_load_dword v70, off, s[0:3], 0 offset:80
	s_waitcnt vmcnt(10)
	v_fmac_f64_e32 v[62:63], v[86:87], v[72:73]
	s_waitcnt vmcnt(8) lgkmcnt(1)
	v_fmac_f64_e32 v[62:63], v[88:89], v[74:75]
	s_waitcnt vmcnt(6)
	v_fmac_f64_e32 v[62:63], v[90:91], v[76:77]
	s_waitcnt vmcnt(4) lgkmcnt(0)
	v_fmac_f64_e32 v[62:63], v[92:93], v[78:79]
	s_waitcnt vmcnt(2)
	v_fmac_f64_e32 v[62:63], v[66:67], v[80:81]
	ds_read_b128 v[66:69], v64 offset:320
	s_waitcnt vmcnt(0) lgkmcnt(0)
	v_fmac_f64_e32 v[62:63], v[70:71], v[66:67]
	buffer_load_dword v67, off, s[0:3], 0 offset:92
	buffer_load_dword v66, off, s[0:3], 0 offset:88
	buffer_load_dword v71, off, s[0:3], 0 offset:100
	buffer_load_dword v70, off, s[0:3], 0 offset:96
	s_waitcnt vmcnt(2)
	v_fmac_f64_e32 v[62:63], v[66:67], v[68:69]
	ds_read_b128 v[66:69], v64 offset:336
	s_waitcnt vmcnt(0) lgkmcnt(0)
	v_fmac_f64_e32 v[62:63], v[70:71], v[66:67]
	buffer_load_dword v67, off, s[0:3], 0 offset:108
	buffer_load_dword v66, off, s[0:3], 0 offset:104
	buffer_load_dword v71, off, s[0:3], 0 offset:116
	buffer_load_dword v70, off, s[0:3], 0 offset:112
	;; [unrolled: 9-line block ×8, first 2 shown]
	s_waitcnt vmcnt(2)
	v_fmac_f64_e32 v[62:63], v[66:67], v[68:69]
	ds_read_b128 v[66:69], v64 offset:448
	s_waitcnt vmcnt(0) lgkmcnt(0)
	v_fmac_f64_e32 v[62:63], v[70:71], v[66:67]
	buffer_load_dword v67, off, s[0:3], 0 offset:220
	buffer_load_dword v66, off, s[0:3], 0 offset:216
	s_waitcnt vmcnt(0)
	v_fmac_f64_e32 v[62:63], v[66:67], v[68:69]
	buffer_load_dword v67, off, s[0:3], 0 offset:228
	buffer_load_dword v66, off, s[0:3], 0 offset:224
	ds_read_b64 v[68:69], v64 offset:464
	s_waitcnt vmcnt(0) lgkmcnt(0)
	v_fmac_f64_e32 v[62:63], v[66:67], v[68:69]
	v_add_f64 v[60:61], v[60:61], -v[62:63]
	buffer_store_dword v61, off, s[0:3], 0 offset:12
	buffer_store_dword v60, off, s[0:3], 0 offset:8
	s_and_saveexec_b64 s[4:5], vcc
	s_cbranch_execz .LBB92_181
; %bb.180:
	buffer_load_dword v60, off, s[0:3], 0
	buffer_load_dword v61, off, s[0:3], 0 offset:4
	s_waitcnt vmcnt(0)
	ds_write_b64 v1, v[60:61]
	buffer_store_dword v64, off, s[0:3], 0
	buffer_store_dword v64, off, s[0:3], 0 offset:4
.LBB92_181:
	s_or_b64 exec, exec, s[4:5]
	s_waitcnt lgkmcnt(0)
	; wave barrier
	s_waitcnt lgkmcnt(0)
	buffer_load_dword v0, off, s[0:3], 0
	buffer_load_dword v1, off, s[0:3], 0 offset:4
	buffer_load_dword v66, off, s[0:3], 0 offset:8
	;; [unrolled: 1-line block ×15, first 2 shown]
	ds_read2_b64 v[60:63], v64 offset0:31 offset1:32
	s_and_b64 vcc, exec, s[16:17]
	s_waitcnt vmcnt(12) lgkmcnt(0)
	v_fma_f64 v[60:61], v[66:67], v[60:61], 0
	s_waitcnt vmcnt(10)
	v_fmac_f64_e32 v[60:61], v[68:69], v[62:63]
	ds_read2_b64 v[66:69], v64 offset0:33 offset1:34
	s_waitcnt vmcnt(8) lgkmcnt(0)
	v_fmac_f64_e32 v[60:61], v[70:71], v[66:67]
	s_waitcnt vmcnt(6)
	v_fmac_f64_e32 v[60:61], v[72:73], v[68:69]
	ds_read2_b64 v[66:69], v64 offset0:35 offset1:36
	s_waitcnt vmcnt(4) lgkmcnt(0)
	v_fmac_f64_e32 v[60:61], v[74:75], v[66:67]
	s_waitcnt vmcnt(2)
	v_fmac_f64_e32 v[60:61], v[76:77], v[68:69]
	ds_read2_b64 v[66:69], v64 offset0:37 offset1:38
	buffer_load_dword v63, off, s[0:3], 0 offset:68
	buffer_load_dword v62, off, s[0:3], 0 offset:64
	s_waitcnt vmcnt(2) lgkmcnt(0)
	v_fmac_f64_e32 v[60:61], v[78:79], v[66:67]
	s_waitcnt vmcnt(0)
	v_fmac_f64_e32 v[60:61], v[62:63], v[68:69]
	buffer_load_dword v63, off, s[0:3], 0 offset:76
	buffer_load_dword v62, off, s[0:3], 0 offset:72
	ds_read2_b64 v[66:69], v64 offset0:39 offset1:40
	s_waitcnt vmcnt(0) lgkmcnt(0)
	v_fmac_f64_e32 v[60:61], v[62:63], v[66:67]
	buffer_load_dword v63, off, s[0:3], 0 offset:84
	buffer_load_dword v62, off, s[0:3], 0 offset:80
	s_waitcnt vmcnt(0)
	v_fmac_f64_e32 v[60:61], v[62:63], v[68:69]
	buffer_load_dword v63, off, s[0:3], 0 offset:92
	buffer_load_dword v62, off, s[0:3], 0 offset:88
	ds_read2_b64 v[66:69], v64 offset0:41 offset1:42
	s_waitcnt vmcnt(0) lgkmcnt(0)
	v_fmac_f64_e32 v[60:61], v[62:63], v[66:67]
	buffer_load_dword v63, off, s[0:3], 0 offset:100
	buffer_load_dword v62, off, s[0:3], 0 offset:96
	;; [unrolled: 9-line block ×10, first 2 shown]
	s_waitcnt vmcnt(0)
	v_fmac_f64_e32 v[60:61], v[64:65], v[66:67]
	v_add_f64 v[0:1], v[0:1], -v[60:61]
	buffer_store_dword v1, off, s[0:3], 0 offset:4
	buffer_store_dword v0, off, s[0:3], 0
	s_cbranch_vccz .LBB92_239
; %bb.182:
	v_pk_mov_b32 v[0:1], s[10:11], s[10:11] op_sel:[0,1]
	flat_load_dword v0, v[0:1] offset:108
	s_waitcnt vmcnt(0) lgkmcnt(0)
	v_add_u32_e32 v0, -1, v0
	v_cmp_ne_u32_e32 vcc, 27, v0
	s_and_saveexec_b64 s[4:5], vcc
	s_cbranch_execz .LBB92_184
; %bb.183:
	v_mov_b32_e32 v1, 0
	v_lshl_add_u32 v0, v0, 3, v1
	buffer_load_dword v1, v0, s[0:3], 0 offen
	buffer_load_dword v60, v0, s[0:3], 0 offen offset:4
	s_waitcnt vmcnt(1)
	buffer_store_dword v1, off, s[0:3], 0 offset:216
	s_waitcnt vmcnt(1)
	buffer_store_dword v60, off, s[0:3], 0 offset:220
	buffer_store_dword v62, v0, s[0:3], 0 offen
	buffer_store_dword v63, v0, s[0:3], 0 offen offset:4
.LBB92_184:
	s_or_b64 exec, exec, s[4:5]
	v_pk_mov_b32 v[0:1], s[10:11], s[10:11] op_sel:[0,1]
	flat_load_dword v0, v[0:1] offset:104
	s_waitcnt vmcnt(0) lgkmcnt(0)
	v_add_u32_e32 v0, -1, v0
	v_cmp_ne_u32_e32 vcc, 26, v0
	s_and_saveexec_b64 s[4:5], vcc
	s_cbranch_execz .LBB92_186
; %bb.185:
	v_mov_b32_e32 v1, 0
	v_lshl_add_u32 v0, v0, 3, v1
	buffer_load_dword v1, v0, s[0:3], 0 offen
	buffer_load_dword v60, v0, s[0:3], 0 offen offset:4
	buffer_load_dword v61, off, s[0:3], 0 offset:212
	buffer_load_dword v62, off, s[0:3], 0 offset:208
	s_waitcnt vmcnt(3)
	buffer_store_dword v1, off, s[0:3], 0 offset:208
	s_waitcnt vmcnt(3)
	buffer_store_dword v60, off, s[0:3], 0 offset:212
	s_waitcnt vmcnt(3)
	buffer_store_dword v61, v0, s[0:3], 0 offen offset:4
	s_waitcnt vmcnt(3)
	buffer_store_dword v62, v0, s[0:3], 0 offen
.LBB92_186:
	s_or_b64 exec, exec, s[4:5]
	v_pk_mov_b32 v[0:1], s[10:11], s[10:11] op_sel:[0,1]
	flat_load_dword v0, v[0:1] offset:100
	s_waitcnt vmcnt(0) lgkmcnt(0)
	v_add_u32_e32 v0, -1, v0
	v_cmp_ne_u32_e32 vcc, 25, v0
	s_and_saveexec_b64 s[4:5], vcc
	s_cbranch_execz .LBB92_188
; %bb.187:
	v_mov_b32_e32 v1, 0
	v_lshl_add_u32 v0, v0, 3, v1
	buffer_load_dword v1, v0, s[0:3], 0 offen
	buffer_load_dword v60, v0, s[0:3], 0 offen offset:4
	buffer_load_dword v61, off, s[0:3], 0 offset:200
	buffer_load_dword v62, off, s[0:3], 0 offset:204
	s_waitcnt vmcnt(3)
	buffer_store_dword v1, off, s[0:3], 0 offset:200
	s_waitcnt vmcnt(3)
	buffer_store_dword v60, off, s[0:3], 0 offset:204
	s_waitcnt vmcnt(3)
	buffer_store_dword v61, v0, s[0:3], 0 offen
	s_waitcnt vmcnt(3)
	buffer_store_dword v62, v0, s[0:3], 0 offen offset:4
.LBB92_188:
	s_or_b64 exec, exec, s[4:5]
	v_pk_mov_b32 v[0:1], s[10:11], s[10:11] op_sel:[0,1]
	flat_load_dword v0, v[0:1] offset:96
	s_waitcnt vmcnt(0) lgkmcnt(0)
	v_add_u32_e32 v0, -1, v0
	v_cmp_ne_u32_e32 vcc, 24, v0
	s_and_saveexec_b64 s[4:5], vcc
	s_cbranch_execz .LBB92_190
; %bb.189:
	v_mov_b32_e32 v1, 0
	v_lshl_add_u32 v0, v0, 3, v1
	buffer_load_dword v1, v0, s[0:3], 0 offen
	buffer_load_dword v60, v0, s[0:3], 0 offen offset:4
	buffer_load_dword v61, off, s[0:3], 0 offset:196
	buffer_load_dword v62, off, s[0:3], 0 offset:192
	s_waitcnt vmcnt(3)
	buffer_store_dword v1, off, s[0:3], 0 offset:192
	s_waitcnt vmcnt(3)
	buffer_store_dword v60, off, s[0:3], 0 offset:196
	s_waitcnt vmcnt(3)
	buffer_store_dword v61, v0, s[0:3], 0 offen offset:4
	s_waitcnt vmcnt(3)
	buffer_store_dword v62, v0, s[0:3], 0 offen
.LBB92_190:
	s_or_b64 exec, exec, s[4:5]
	v_pk_mov_b32 v[0:1], s[10:11], s[10:11] op_sel:[0,1]
	flat_load_dword v0, v[0:1] offset:92
	s_waitcnt vmcnt(0) lgkmcnt(0)
	v_add_u32_e32 v0, -1, v0
	v_cmp_ne_u32_e32 vcc, 23, v0
	s_and_saveexec_b64 s[4:5], vcc
	s_cbranch_execz .LBB92_192
; %bb.191:
	v_mov_b32_e32 v1, 0
	v_lshl_add_u32 v0, v0, 3, v1
	buffer_load_dword v1, v0, s[0:3], 0 offen
	buffer_load_dword v60, v0, s[0:3], 0 offen offset:4
	buffer_load_dword v61, off, s[0:3], 0 offset:184
	buffer_load_dword v62, off, s[0:3], 0 offset:188
	s_waitcnt vmcnt(3)
	buffer_store_dword v1, off, s[0:3], 0 offset:184
	s_waitcnt vmcnt(3)
	buffer_store_dword v60, off, s[0:3], 0 offset:188
	s_waitcnt vmcnt(3)
	buffer_store_dword v61, v0, s[0:3], 0 offen
	s_waitcnt vmcnt(3)
	buffer_store_dword v62, v0, s[0:3], 0 offen offset:4
.LBB92_192:
	;; [unrolled: 48-line block ×13, first 2 shown]
	s_or_b64 exec, exec, s[4:5]
	v_pk_mov_b32 v[0:1], s[10:11], s[10:11] op_sel:[0,1]
	flat_load_dword v60, v[0:1]
	s_nop 0
	buffer_load_dword v0, off, s[0:3], 0
	buffer_load_dword v1, off, s[0:3], 0 offset:4
	s_waitcnt vmcnt(0) lgkmcnt(0)
	v_add_u32_e32 v60, -1, v60
	v_cmp_ne_u32_e32 vcc, 0, v60
	s_and_saveexec_b64 s[4:5], vcc
	s_cbranch_execz .LBB92_238
; %bb.237:
	v_mov_b32_e32 v61, 0
	v_lshl_add_u32 v60, v60, 3, v61
	buffer_load_dword v61, v60, s[0:3], 0 offen offset:4
	buffer_load_dword v62, v60, s[0:3], 0 offen
	s_waitcnt vmcnt(1)
	buffer_store_dword v61, off, s[0:3], 0 offset:4
	s_waitcnt vmcnt(1)
	buffer_store_dword v62, off, s[0:3], 0
	buffer_store_dword v1, v60, s[0:3], 0 offen offset:4
	buffer_store_dword v0, v60, s[0:3], 0 offen
	buffer_load_dword v0, off, s[0:3], 0
	s_nop 0
	buffer_load_dword v1, off, s[0:3], 0 offset:4
.LBB92_238:
	s_or_b64 exec, exec, s[4:5]
.LBB92_239:
	buffer_load_dword v60, off, s[0:3], 0 offset:8
	buffer_load_dword v61, off, s[0:3], 0 offset:12
	;; [unrolled: 1-line block ×56, first 2 shown]
	s_waitcnt vmcnt(56)
	global_store_dwordx2 v[50:51], v[0:1], off
	s_waitcnt vmcnt(55)
	global_store_dwordx2 v[52:53], v[60:61], off
	;; [unrolled: 2-line block ×29, first 2 shown]
	s_endpgm
	.section	.rodata,"a",@progbits
	.p2align	6, 0x0
	.amdhsa_kernel _ZN9rocsolver6v33100L18getri_kernel_smallILi29EdPKPdEEvT1_iilPiilS6_bb
		.amdhsa_group_segment_fixed_size 472
		.amdhsa_private_segment_fixed_size 240
		.amdhsa_kernarg_size 60
		.amdhsa_user_sgpr_count 8
		.amdhsa_user_sgpr_private_segment_buffer 1
		.amdhsa_user_sgpr_dispatch_ptr 0
		.amdhsa_user_sgpr_queue_ptr 0
		.amdhsa_user_sgpr_kernarg_segment_ptr 1
		.amdhsa_user_sgpr_dispatch_id 0
		.amdhsa_user_sgpr_flat_scratch_init 1
		.amdhsa_user_sgpr_kernarg_preload_length 0
		.amdhsa_user_sgpr_kernarg_preload_offset 0
		.amdhsa_user_sgpr_private_segment_size 0
		.amdhsa_uses_dynamic_stack 0
		.amdhsa_system_sgpr_private_segment_wavefront_offset 1
		.amdhsa_system_sgpr_workgroup_id_x 1
		.amdhsa_system_sgpr_workgroup_id_y 0
		.amdhsa_system_sgpr_workgroup_id_z 0
		.amdhsa_system_sgpr_workgroup_info 0
		.amdhsa_system_vgpr_workitem_id 0
		.amdhsa_next_free_vgpr 128
		.amdhsa_next_free_sgpr 22
		.amdhsa_accum_offset 128
		.amdhsa_reserve_vcc 1
		.amdhsa_reserve_flat_scratch 1
		.amdhsa_float_round_mode_32 0
		.amdhsa_float_round_mode_16_64 0
		.amdhsa_float_denorm_mode_32 3
		.amdhsa_float_denorm_mode_16_64 3
		.amdhsa_dx10_clamp 1
		.amdhsa_ieee_mode 1
		.amdhsa_fp16_overflow 0
		.amdhsa_tg_split 0
		.amdhsa_exception_fp_ieee_invalid_op 0
		.amdhsa_exception_fp_denorm_src 0
		.amdhsa_exception_fp_ieee_div_zero 0
		.amdhsa_exception_fp_ieee_overflow 0
		.amdhsa_exception_fp_ieee_underflow 0
		.amdhsa_exception_fp_ieee_inexact 0
		.amdhsa_exception_int_div_zero 0
	.end_amdhsa_kernel
	.section	.text._ZN9rocsolver6v33100L18getri_kernel_smallILi29EdPKPdEEvT1_iilPiilS6_bb,"axG",@progbits,_ZN9rocsolver6v33100L18getri_kernel_smallILi29EdPKPdEEvT1_iilPiilS6_bb,comdat
.Lfunc_end92:
	.size	_ZN9rocsolver6v33100L18getri_kernel_smallILi29EdPKPdEEvT1_iilPiilS6_bb, .Lfunc_end92-_ZN9rocsolver6v33100L18getri_kernel_smallILi29EdPKPdEEvT1_iilPiilS6_bb
                                        ; -- End function
	.section	.AMDGPU.csdata,"",@progbits
; Kernel info:
; codeLenInByte = 26688
; NumSgprs: 28
; NumVgprs: 128
; NumAgprs: 0
; TotalNumVgprs: 128
; ScratchSize: 240
; MemoryBound: 0
; FloatMode: 240
; IeeeMode: 1
; LDSByteSize: 472 bytes/workgroup (compile time only)
; SGPRBlocks: 3
; VGPRBlocks: 15
; NumSGPRsForWavesPerEU: 28
; NumVGPRsForWavesPerEU: 128
; AccumOffset: 128
; Occupancy: 4
; WaveLimiterHint : 1
; COMPUTE_PGM_RSRC2:SCRATCH_EN: 1
; COMPUTE_PGM_RSRC2:USER_SGPR: 8
; COMPUTE_PGM_RSRC2:TRAP_HANDLER: 0
; COMPUTE_PGM_RSRC2:TGID_X_EN: 1
; COMPUTE_PGM_RSRC2:TGID_Y_EN: 0
; COMPUTE_PGM_RSRC2:TGID_Z_EN: 0
; COMPUTE_PGM_RSRC2:TIDIG_COMP_CNT: 0
; COMPUTE_PGM_RSRC3_GFX90A:ACCUM_OFFSET: 31
; COMPUTE_PGM_RSRC3_GFX90A:TG_SPLIT: 0
	.section	.text._ZN9rocsolver6v33100L18getri_kernel_smallILi30EdPKPdEEvT1_iilPiilS6_bb,"axG",@progbits,_ZN9rocsolver6v33100L18getri_kernel_smallILi30EdPKPdEEvT1_iilPiilS6_bb,comdat
	.globl	_ZN9rocsolver6v33100L18getri_kernel_smallILi30EdPKPdEEvT1_iilPiilS6_bb ; -- Begin function _ZN9rocsolver6v33100L18getri_kernel_smallILi30EdPKPdEEvT1_iilPiilS6_bb
	.p2align	8
	.type	_ZN9rocsolver6v33100L18getri_kernel_smallILi30EdPKPdEEvT1_iilPiilS6_bb,@function
_ZN9rocsolver6v33100L18getri_kernel_smallILi30EdPKPdEEvT1_iilPiilS6_bb: ; @_ZN9rocsolver6v33100L18getri_kernel_smallILi30EdPKPdEEvT1_iilPiilS6_bb
; %bb.0:
	s_add_u32 flat_scratch_lo, s6, s9
	s_addc_u32 flat_scratch_hi, s7, 0
	s_add_u32 s0, s0, s9
	s_addc_u32 s1, s1, 0
	v_cmp_gt_u32_e32 vcc, 30, v0
	s_and_saveexec_b64 s[6:7], vcc
	s_cbranch_execz .LBB93_128
; %bb.1:
	s_load_dword s20, s[4:5], 0x38
	s_load_dwordx2 s[6:7], s[4:5], 0x0
	s_load_dwordx4 s[12:15], s[4:5], 0x28
	s_waitcnt lgkmcnt(0)
	s_bitcmp1_b32 s20, 8
	s_cselect_b64 s[16:17], -1, 0
	s_ashr_i32 s9, s8, 31
	s_lshl_b64 s[10:11], s[8:9], 3
	s_add_u32 s6, s6, s10
	s_addc_u32 s7, s7, s11
	s_load_dwordx2 s[18:19], s[6:7], 0x0
	s_bfe_u32 s6, s20, 0x10008
	s_cmp_eq_u32 s6, 0
                                        ; implicit-def: $sgpr10_sgpr11
	s_cbranch_scc1 .LBB93_3
; %bb.2:
	s_load_dword s6, s[4:5], 0x20
	s_load_dwordx2 s[10:11], s[4:5], 0x18
	s_mul_i32 s7, s8, s13
	s_mul_hi_u32 s13, s8, s12
	s_add_i32 s13, s13, s7
	s_mul_i32 s21, s9, s12
	s_add_i32 s13, s13, s21
	s_mul_i32 s12, s8, s12
	s_waitcnt lgkmcnt(0)
	s_ashr_i32 s7, s6, 31
	s_lshl_b64 s[12:13], s[12:13], 2
	s_add_u32 s10, s10, s12
	s_addc_u32 s11, s11, s13
	s_lshl_b64 s[6:7], s[6:7], 2
	s_add_u32 s10, s10, s6
	s_addc_u32 s11, s11, s7
.LBB93_3:
	s_load_dwordx2 s[6:7], s[4:5], 0x8
	s_waitcnt lgkmcnt(0)
	s_ashr_i32 s5, s6, 31
	s_mov_b32 s4, s6
	s_lshl_b64 s[4:5], s[4:5], 3
	s_add_u32 s4, s18, s4
	s_addc_u32 s5, s19, s5
	s_add_i32 s6, s7, s7
	v_add_u32_e32 v4, s6, v0
	v_ashrrev_i32_e32 v5, 31, v4
	v_lshlrev_b64 v[2:3], 3, v[4:5]
	v_add_u32_e32 v6, s7, v4
	v_mov_b32_e32 v1, s5
	v_add_co_u32_e32 v2, vcc, s4, v2
	v_ashrrev_i32_e32 v7, 31, v6
	v_addc_co_u32_e32 v3, vcc, v1, v3, vcc
	v_lshlrev_b64 v[4:5], 3, v[6:7]
	v_add_u32_e32 v8, s7, v6
	v_add_co_u32_e32 v4, vcc, s4, v4
	v_ashrrev_i32_e32 v9, 31, v8
	v_addc_co_u32_e32 v5, vcc, v1, v5, vcc
	v_lshlrev_b64 v[6:7], 3, v[8:9]
	v_add_u32_e32 v10, s7, v8
	;; [unrolled: 5-line block ×22, first 2 shown]
	v_add_co_u32_e32 v46, vcc, s4, v46
	v_ashrrev_i32_e32 v51, 31, v50
	v_addc_co_u32_e32 v47, vcc, v1, v47, vcc
	v_lshlrev_b64 v[48:49], 3, v[50:51]
	v_add_co_u32_e32 v48, vcc, s4, v48
	v_addc_co_u32_e32 v49, vcc, v1, v49, vcc
	v_lshlrev_b32_e32 v1, 3, v0
	v_mov_b32_e32 v53, s5
	v_add_co_u32_e32 v52, vcc, s4, v1
	s_ashr_i32 s13, s7, 31
	s_mov_b32 s12, s7
	v_add_u32_e32 v56, s7, v50
	v_addc_co_u32_e32 v53, vcc, 0, v53, vcc
	s_lshl_b64 s[12:13], s[12:13], 3
	v_ashrrev_i32_e32 v57, 31, v56
	v_mov_b32_e32 v55, s13
	v_add_co_u32_e32 v54, vcc, s12, v52
	v_lshlrev_b64 v[50:51], 3, v[56:57]
	v_addc_co_u32_e32 v55, vcc, v53, v55, vcc
	v_add_u32_e32 v58, s7, v56
	v_mov_b32_e32 v57, s5
	v_add_co_u32_e32 v50, vcc, s4, v50
	v_ashrrev_i32_e32 v59, 31, v58
	v_addc_co_u32_e32 v51, vcc, v57, v51, vcc
	v_lshlrev_b64 v[56:57], 3, v[58:59]
	v_add_u32_e32 v60, s7, v58
	v_mov_b32_e32 v59, s5
	v_add_co_u32_e32 v56, vcc, s4, v56
	v_ashrrev_i32_e32 v61, 31, v60
	v_addc_co_u32_e32 v57, vcc, v59, v57, vcc
	v_lshlrev_b64 v[58:59], 3, v[60:61]
	v_mov_b32_e32 v61, s5
	v_add_co_u32_e32 v58, vcc, s4, v58
	global_load_dwordx2 v[62:63], v1, s[4:5]
	global_load_dwordx2 v[64:65], v[54:55], off
	global_load_dwordx2 v[66:67], v[2:3], off
	;; [unrolled: 1-line block ×20, first 2 shown]
	v_addc_co_u32_e32 v59, vcc, v61, v59, vcc
	global_load_dwordx2 v[104:105], v[40:41], off
	global_load_dwordx2 v[106:107], v[42:43], off
	;; [unrolled: 1-line block ×8, first 2 shown]
	v_add_u32_e32 v60, s7, v60
	v_ashrrev_i32_e32 v61, 31, v60
	v_lshlrev_b64 v[60:61], 3, v[60:61]
	v_mov_b32_e32 v120, s5
	v_add_co_u32_e32 v60, vcc, s4, v60
	v_addc_co_u32_e32 v61, vcc, v120, v61, vcc
	global_load_dwordx2 v[120:121], v[60:61], off
	s_bitcmp0_b32 s20, 0
	s_mov_b64 s[6:7], -1
	s_waitcnt vmcnt(29)
	buffer_store_dword v63, off, s[0:3], 0 offset:4
	buffer_store_dword v62, off, s[0:3], 0
	s_waitcnt vmcnt(30)
	buffer_store_dword v65, off, s[0:3], 0 offset:12
	buffer_store_dword v64, off, s[0:3], 0 offset:8
	s_waitcnt vmcnt(31)
	buffer_store_dword v67, off, s[0:3], 0 offset:20
	buffer_store_dword v66, off, s[0:3], 0 offset:16
	;; [unrolled: 3-line block ×29, first 2 shown]
	s_cbranch_scc1 .LBB93_126
; %bb.4:
	v_cmp_eq_u32_e64 s[4:5], 0, v0
	s_and_saveexec_b64 s[6:7], s[4:5]
	s_cbranch_execz .LBB93_6
; %bb.5:
	v_mov_b32_e32 v62, 0
	ds_write_b32 v62, v62 offset:480
.LBB93_6:
	s_or_b64 exec, exec, s[6:7]
	v_mov_b32_e32 v62, 0
	v_lshl_add_u32 v62, v0, 3, v62
	s_waitcnt lgkmcnt(0)
	; wave barrier
	s_waitcnt lgkmcnt(0)
	buffer_load_dword v64, v62, s[0:3], 0 offen
	buffer_load_dword v65, v62, s[0:3], 0 offen offset:4
	s_waitcnt vmcnt(0)
	v_cmp_eq_f64_e32 vcc, 0, v[64:65]
	s_and_saveexec_b64 s[12:13], vcc
	s_cbranch_execz .LBB93_10
; %bb.7:
	v_mov_b32_e32 v63, 0
	ds_read_b32 v65, v63 offset:480
	v_add_u32_e32 v64, 1, v0
	s_waitcnt lgkmcnt(0)
	v_readfirstlane_b32 s6, v65
	s_cmp_eq_u32 s6, 0
	s_cselect_b64 s[18:19], -1, 0
	v_cmp_gt_i32_e32 vcc, s6, v64
	s_or_b64 s[18:19], s[18:19], vcc
	s_and_b64 exec, exec, s[18:19]
	s_cbranch_execz .LBB93_10
; %bb.8:
	s_mov_b64 s[18:19], 0
	v_mov_b32_e32 v65, s6
.LBB93_9:                               ; =>This Inner Loop Header: Depth=1
	ds_cmpst_rtn_b32 v65, v63, v65, v64 offset:480
	s_waitcnt lgkmcnt(0)
	v_cmp_ne_u32_e32 vcc, 0, v65
	v_cmp_le_i32_e64 s[6:7], v65, v64
	s_and_b64 s[6:7], vcc, s[6:7]
	s_and_b64 s[6:7], exec, s[6:7]
	s_or_b64 s[18:19], s[6:7], s[18:19]
	s_andn2_b64 exec, exec, s[18:19]
	s_cbranch_execnz .LBB93_9
.LBB93_10:
	s_or_b64 exec, exec, s[12:13]
	v_mov_b32_e32 v64, 0
	s_waitcnt lgkmcnt(0)
	; wave barrier
	ds_read_b32 v63, v64 offset:480
	s_and_saveexec_b64 s[6:7], s[4:5]
	s_cbranch_execz .LBB93_12
; %bb.11:
	s_lshl_b64 s[12:13], s[8:9], 2
	s_add_u32 s12, s14, s12
	s_addc_u32 s13, s15, s13
	s_waitcnt lgkmcnt(0)
	global_store_dword v64, v63, s[12:13]
.LBB93_12:
	s_or_b64 exec, exec, s[6:7]
	s_waitcnt lgkmcnt(0)
	v_cmp_ne_u32_e32 vcc, 0, v63
	s_mov_b64 s[6:7], 0
	s_cbranch_vccnz .LBB93_126
; %bb.13:
	buffer_load_dword v64, v62, s[0:3], 0 offen
	buffer_load_dword v65, v62, s[0:3], 0 offen offset:4
	s_waitcnt vmcnt(0)
	v_div_scale_f64 v[66:67], s[6:7], v[64:65], v[64:65], 1.0
	v_rcp_f64_e32 v[68:69], v[66:67]
	v_div_scale_f64 v[70:71], vcc, 1.0, v[64:65], 1.0
	v_fma_f64 v[72:73], -v[66:67], v[68:69], 1.0
	v_fmac_f64_e32 v[68:69], v[68:69], v[72:73]
	v_fma_f64 v[72:73], -v[66:67], v[68:69], 1.0
	v_fmac_f64_e32 v[68:69], v[68:69], v[72:73]
	v_mul_f64 v[72:73], v[70:71], v[68:69]
	v_fma_f64 v[66:67], -v[66:67], v[72:73], v[70:71]
	v_div_fmas_f64 v[66:67], v[66:67], v[68:69], v[72:73]
	v_div_fixup_f64 v[66:67], v[66:67], v[64:65], 1.0
	buffer_store_dword v67, v62, s[0:3], 0 offen offset:4
	buffer_store_dword v66, v62, s[0:3], 0 offen
	buffer_load_dword v69, off, s[0:3], 0 offset:12
	buffer_load_dword v68, off, s[0:3], 0 offset:8
	v_add_u32_e32 v64, 0xf0, v1
	v_xor_b32_e32 v67, 0x80000000, v67
	s_waitcnt vmcnt(0)
	ds_write2_b64 v1, v[66:67], v[68:69] offset1:30
	s_waitcnt lgkmcnt(0)
	; wave barrier
	s_waitcnt lgkmcnt(0)
	s_and_saveexec_b64 s[6:7], s[4:5]
	s_cbranch_execz .LBB93_15
; %bb.14:
	buffer_load_dword v66, v62, s[0:3], 0 offen
	buffer_load_dword v67, v62, s[0:3], 0 offen offset:4
	v_mov_b32_e32 v63, 0
	ds_read_b64 v[68:69], v64
	ds_read_b64 v[70:71], v63 offset:8
	s_waitcnt vmcnt(0) lgkmcnt(1)
	v_fma_f64 v[66:67], v[66:67], v[68:69], 0
	s_waitcnt lgkmcnt(0)
	v_mul_f64 v[66:67], v[66:67], v[70:71]
	buffer_store_dword v66, off, s[0:3], 0 offset:8
	buffer_store_dword v67, off, s[0:3], 0 offset:12
.LBB93_15:
	s_or_b64 exec, exec, s[6:7]
	s_waitcnt lgkmcnt(0)
	; wave barrier
	buffer_load_dword v66, off, s[0:3], 0 offset:16
	buffer_load_dword v67, off, s[0:3], 0 offset:20
	v_cmp_gt_u32_e32 vcc, 2, v0
	s_waitcnt vmcnt(0)
	ds_write_b64 v64, v[66:67]
	s_waitcnt lgkmcnt(0)
	; wave barrier
	s_waitcnt lgkmcnt(0)
	s_and_saveexec_b64 s[6:7], vcc
	s_cbranch_execz .LBB93_17
; %bb.16:
	buffer_load_dword v63, v62, s[0:3], 0 offen offset:4
	buffer_load_dword v70, off, s[0:3], 0 offset:8
	s_nop 0
	buffer_load_dword v62, v62, s[0:3], 0 offen
	s_nop 0
	buffer_load_dword v71, off, s[0:3], 0 offset:12
	ds_read_b64 v[72:73], v64
	v_mov_b32_e32 v65, 0
	ds_read2_b64 v[66:69], v65 offset0:2 offset1:31
	s_waitcnt vmcnt(1) lgkmcnt(1)
	v_fma_f64 v[62:63], v[62:63], v[72:73], 0
	s_waitcnt vmcnt(0) lgkmcnt(0)
	v_fma_f64 v[68:69], v[70:71], v[68:69], v[62:63]
	v_cndmask_b32_e64 v63, v63, v69, s[4:5]
	v_cndmask_b32_e64 v62, v62, v68, s[4:5]
	v_mul_f64 v[62:63], v[62:63], v[66:67]
	buffer_store_dword v63, off, s[0:3], 0 offset:20
	buffer_store_dword v62, off, s[0:3], 0 offset:16
.LBB93_17:
	s_or_b64 exec, exec, s[6:7]
	s_waitcnt lgkmcnt(0)
	; wave barrier
	buffer_load_dword v62, off, s[0:3], 0 offset:24
	buffer_load_dword v63, off, s[0:3], 0 offset:28
	v_cmp_gt_u32_e32 vcc, 3, v0
	v_add_u32_e32 v65, -1, v0
	s_waitcnt vmcnt(0)
	ds_write_b64 v64, v[62:63]
	s_waitcnt lgkmcnt(0)
	; wave barrier
	s_waitcnt lgkmcnt(0)
	s_and_saveexec_b64 s[4:5], vcc
	s_cbranch_execz .LBB93_21
; %bb.18:
	v_add_u32_e32 v66, -1, v0
	v_add_u32_e32 v67, 0xf0, v1
	v_add_u32_e32 v68, 0, v1
	s_mov_b64 s[6:7], 0
	v_pk_mov_b32 v[62:63], 0, 0
.LBB93_19:                              ; =>This Inner Loop Header: Depth=1
	buffer_load_dword v70, v68, s[0:3], 0 offen
	buffer_load_dword v71, v68, s[0:3], 0 offen offset:4
	ds_read_b64 v[72:73], v67
	v_add_u32_e32 v66, 1, v66
	v_cmp_lt_u32_e32 vcc, 1, v66
	v_add_u32_e32 v67, 8, v67
	v_add_u32_e32 v68, 8, v68
	s_or_b64 s[6:7], vcc, s[6:7]
	s_waitcnt vmcnt(0) lgkmcnt(0)
	v_fmac_f64_e32 v[62:63], v[70:71], v[72:73]
	s_andn2_b64 exec, exec, s[6:7]
	s_cbranch_execnz .LBB93_19
; %bb.20:
	s_or_b64 exec, exec, s[6:7]
	v_mov_b32_e32 v66, 0
	ds_read_b64 v[66:67], v66 offset:24
	s_waitcnt lgkmcnt(0)
	v_mul_f64 v[62:63], v[62:63], v[66:67]
	buffer_store_dword v63, off, s[0:3], 0 offset:28
	buffer_store_dword v62, off, s[0:3], 0 offset:24
.LBB93_21:
	s_or_b64 exec, exec, s[4:5]
	s_waitcnt lgkmcnt(0)
	; wave barrier
	buffer_load_dword v62, off, s[0:3], 0 offset:32
	buffer_load_dword v63, off, s[0:3], 0 offset:36
	v_cmp_gt_u32_e32 vcc, 4, v0
	s_waitcnt vmcnt(0)
	ds_write_b64 v64, v[62:63]
	s_waitcnt lgkmcnt(0)
	; wave barrier
	s_waitcnt lgkmcnt(0)
	s_and_saveexec_b64 s[4:5], vcc
	s_cbranch_execz .LBB93_25
; %bb.22:
	v_add_u32_e32 v66, -1, v0
	v_add_u32_e32 v67, 0xf0, v1
	v_add_u32_e32 v68, 0, v1
	s_mov_b64 s[6:7], 0
	v_pk_mov_b32 v[62:63], 0, 0
.LBB93_23:                              ; =>This Inner Loop Header: Depth=1
	buffer_load_dword v70, v68, s[0:3], 0 offen
	buffer_load_dword v71, v68, s[0:3], 0 offen offset:4
	ds_read_b64 v[72:73], v67
	v_add_u32_e32 v66, 1, v66
	v_cmp_lt_u32_e32 vcc, 2, v66
	v_add_u32_e32 v67, 8, v67
	v_add_u32_e32 v68, 8, v68
	s_or_b64 s[6:7], vcc, s[6:7]
	s_waitcnt vmcnt(0) lgkmcnt(0)
	v_fmac_f64_e32 v[62:63], v[70:71], v[72:73]
	s_andn2_b64 exec, exec, s[6:7]
	s_cbranch_execnz .LBB93_23
; %bb.24:
	s_or_b64 exec, exec, s[6:7]
	v_mov_b32_e32 v66, 0
	ds_read_b64 v[66:67], v66 offset:32
	s_waitcnt lgkmcnt(0)
	v_mul_f64 v[62:63], v[62:63], v[66:67]
	buffer_store_dword v63, off, s[0:3], 0 offset:36
	buffer_store_dword v62, off, s[0:3], 0 offset:32
.LBB93_25:
	s_or_b64 exec, exec, s[4:5]
	s_waitcnt lgkmcnt(0)
	; wave barrier
	buffer_load_dword v62, off, s[0:3], 0 offset:40
	buffer_load_dword v63, off, s[0:3], 0 offset:44
	v_cmp_gt_u32_e32 vcc, 5, v0
	;; [unrolled: 41-line block ×21, first 2 shown]
	s_waitcnt vmcnt(0)
	ds_write_b64 v64, v[62:63]
	s_waitcnt lgkmcnt(0)
	; wave barrier
	s_waitcnt lgkmcnt(0)
	s_and_saveexec_b64 s[4:5], vcc
	s_cbranch_execz .LBB93_105
; %bb.102:
	v_add_u32_e32 v66, -1, v0
	v_add_u32_e32 v67, 0xf0, v1
	v_add_u32_e32 v68, 0, v1
	s_mov_b64 s[6:7], 0
	v_pk_mov_b32 v[62:63], 0, 0
.LBB93_103:                             ; =>This Inner Loop Header: Depth=1
	buffer_load_dword v70, v68, s[0:3], 0 offen
	buffer_load_dword v71, v68, s[0:3], 0 offen offset:4
	ds_read_b64 v[72:73], v67
	v_add_u32_e32 v66, 1, v66
	v_cmp_lt_u32_e32 vcc, 22, v66
	v_add_u32_e32 v67, 8, v67
	v_add_u32_e32 v68, 8, v68
	s_or_b64 s[6:7], vcc, s[6:7]
	s_waitcnt vmcnt(0) lgkmcnt(0)
	v_fmac_f64_e32 v[62:63], v[70:71], v[72:73]
	s_andn2_b64 exec, exec, s[6:7]
	s_cbranch_execnz .LBB93_103
; %bb.104:
	s_or_b64 exec, exec, s[6:7]
	v_mov_b32_e32 v66, 0
	ds_read_b64 v[66:67], v66 offset:192
	s_waitcnt lgkmcnt(0)
	v_mul_f64 v[62:63], v[62:63], v[66:67]
	buffer_store_dword v63, off, s[0:3], 0 offset:196
	buffer_store_dword v62, off, s[0:3], 0 offset:192
.LBB93_105:
	s_or_b64 exec, exec, s[4:5]
	s_waitcnt lgkmcnt(0)
	; wave barrier
	buffer_load_dword v62, off, s[0:3], 0 offset:200
	buffer_load_dword v63, off, s[0:3], 0 offset:204
	v_cmp_gt_u32_e32 vcc, 25, v0
	s_waitcnt vmcnt(0)
	ds_write_b64 v64, v[62:63]
	s_waitcnt lgkmcnt(0)
	; wave barrier
	s_waitcnt lgkmcnt(0)
	s_and_saveexec_b64 s[4:5], vcc
	s_cbranch_execz .LBB93_109
; %bb.106:
	v_add_u32_e32 v66, -1, v0
	v_add_u32_e32 v67, 0xf0, v1
	v_add_u32_e32 v68, 0, v1
	s_mov_b64 s[6:7], 0
	v_pk_mov_b32 v[62:63], 0, 0
.LBB93_107:                             ; =>This Inner Loop Header: Depth=1
	buffer_load_dword v70, v68, s[0:3], 0 offen
	buffer_load_dword v71, v68, s[0:3], 0 offen offset:4
	ds_read_b64 v[72:73], v67
	v_add_u32_e32 v66, 1, v66
	v_cmp_lt_u32_e32 vcc, 23, v66
	v_add_u32_e32 v67, 8, v67
	v_add_u32_e32 v68, 8, v68
	s_or_b64 s[6:7], vcc, s[6:7]
	s_waitcnt vmcnt(0) lgkmcnt(0)
	v_fmac_f64_e32 v[62:63], v[70:71], v[72:73]
	s_andn2_b64 exec, exec, s[6:7]
	s_cbranch_execnz .LBB93_107
; %bb.108:
	s_or_b64 exec, exec, s[6:7]
	v_mov_b32_e32 v66, 0
	ds_read_b64 v[66:67], v66 offset:200
	s_waitcnt lgkmcnt(0)
	v_mul_f64 v[62:63], v[62:63], v[66:67]
	buffer_store_dword v63, off, s[0:3], 0 offset:204
	buffer_store_dword v62, off, s[0:3], 0 offset:200
.LBB93_109:
	s_or_b64 exec, exec, s[4:5]
	s_waitcnt lgkmcnt(0)
	; wave barrier
	buffer_load_dword v62, off, s[0:3], 0 offset:208
	buffer_load_dword v63, off, s[0:3], 0 offset:212
	v_cmp_gt_u32_e32 vcc, 26, v0
	;; [unrolled: 41-line block ×4, first 2 shown]
	s_waitcnt vmcnt(0)
	ds_write_b64 v64, v[62:63]
	s_waitcnt lgkmcnt(0)
	; wave barrier
	s_waitcnt lgkmcnt(0)
	s_and_saveexec_b64 s[4:5], vcc
	s_cbranch_execz .LBB93_121
; %bb.118:
	v_add_u32_e32 v66, -1, v0
	v_add_u32_e32 v67, 0xf0, v1
	v_add_u32_e32 v68, 0, v1
	s_mov_b64 s[6:7], 0
	v_pk_mov_b32 v[62:63], 0, 0
.LBB93_119:                             ; =>This Inner Loop Header: Depth=1
	buffer_load_dword v70, v68, s[0:3], 0 offen
	buffer_load_dword v71, v68, s[0:3], 0 offen offset:4
	ds_read_b64 v[72:73], v67
	v_add_u32_e32 v66, 1, v66
	v_cmp_lt_u32_e32 vcc, 26, v66
	v_add_u32_e32 v67, 8, v67
	v_add_u32_e32 v68, 8, v68
	s_or_b64 s[6:7], vcc, s[6:7]
	s_waitcnt vmcnt(0) lgkmcnt(0)
	v_fmac_f64_e32 v[62:63], v[70:71], v[72:73]
	s_andn2_b64 exec, exec, s[6:7]
	s_cbranch_execnz .LBB93_119
; %bb.120:
	s_or_b64 exec, exec, s[6:7]
	v_mov_b32_e32 v66, 0
	ds_read_b64 v[66:67], v66 offset:224
	s_waitcnt lgkmcnt(0)
	v_mul_f64 v[62:63], v[62:63], v[66:67]
	buffer_store_dword v63, off, s[0:3], 0 offset:228
	buffer_store_dword v62, off, s[0:3], 0 offset:224
.LBB93_121:
	s_or_b64 exec, exec, s[4:5]
	s_waitcnt lgkmcnt(0)
	; wave barrier
	buffer_load_dword v62, off, s[0:3], 0 offset:232
	buffer_load_dword v63, off, s[0:3], 0 offset:236
	v_cmp_ne_u32_e32 vcc, 29, v0
	s_waitcnt vmcnt(0)
	ds_write_b64 v64, v[62:63]
	s_waitcnt lgkmcnt(0)
	; wave barrier
	s_waitcnt lgkmcnt(0)
	s_and_saveexec_b64 s[4:5], vcc
	s_cbranch_execz .LBB93_125
; %bb.122:
	v_add_u32_e32 v64, 0xf0, v1
	v_add_u32_e32 v1, 0, v1
	s_mov_b64 s[6:7], 0
	v_pk_mov_b32 v[62:63], 0, 0
.LBB93_123:                             ; =>This Inner Loop Header: Depth=1
	buffer_load_dword v66, v1, s[0:3], 0 offen
	buffer_load_dword v67, v1, s[0:3], 0 offen offset:4
	ds_read_b64 v[68:69], v64
	v_add_u32_e32 v65, 1, v65
	v_cmp_lt_u32_e32 vcc, 27, v65
	v_add_u32_e32 v64, 8, v64
	v_add_u32_e32 v1, 8, v1
	s_or_b64 s[6:7], vcc, s[6:7]
	s_waitcnt vmcnt(0) lgkmcnt(0)
	v_fmac_f64_e32 v[62:63], v[66:67], v[68:69]
	s_andn2_b64 exec, exec, s[6:7]
	s_cbranch_execnz .LBB93_123
; %bb.124:
	s_or_b64 exec, exec, s[6:7]
	v_mov_b32_e32 v1, 0
	ds_read_b64 v[64:65], v1 offset:232
	s_waitcnt lgkmcnt(0)
	v_mul_f64 v[62:63], v[62:63], v[64:65]
	buffer_store_dword v63, off, s[0:3], 0 offset:236
	buffer_store_dword v62, off, s[0:3], 0 offset:232
.LBB93_125:
	s_or_b64 exec, exec, s[4:5]
	s_mov_b64 s[6:7], -1
	s_waitcnt lgkmcnt(0)
	; wave barrier
.LBB93_126:
	s_and_b64 vcc, exec, s[6:7]
	s_cbranch_vccz .LBB93_128
; %bb.127:
	s_lshl_b64 s[4:5], s[8:9], 2
	s_add_u32 s4, s14, s4
	s_addc_u32 s5, s15, s5
	v_mov_b32_e32 v1, 0
	global_load_dword v1, v1, s[4:5]
	s_waitcnt vmcnt(0)
	v_cmp_ne_u32_e32 vcc, 0, v1
	s_cbranch_vccz .LBB93_129
.LBB93_128:
	s_endpgm
.LBB93_129:
	v_mov_b32_e32 v1, 0xf0
	v_lshl_add_u32 v1, v0, 3, v1
	v_cmp_eq_u32_e32 vcc, 29, v0
	s_and_saveexec_b64 s[4:5], vcc
	s_cbranch_execz .LBB93_131
; %bb.130:
	buffer_load_dword v62, off, s[0:3], 0 offset:224
	buffer_load_dword v63, off, s[0:3], 0 offset:228
	v_mov_b32_e32 v64, 0
	buffer_store_dword v64, off, s[0:3], 0 offset:224
	buffer_store_dword v64, off, s[0:3], 0 offset:228
	s_waitcnt vmcnt(2)
	ds_write_b64 v1, v[62:63]
.LBB93_131:
	s_or_b64 exec, exec, s[4:5]
	s_waitcnt lgkmcnt(0)
	; wave barrier
	s_waitcnt lgkmcnt(0)
	buffer_load_dword v64, off, s[0:3], 0 offset:232
	buffer_load_dword v65, off, s[0:3], 0 offset:236
	;; [unrolled: 1-line block ×4, first 2 shown]
	v_mov_b32_e32 v62, 0
	ds_read_b64 v[68:69], v62 offset:472
	v_cmp_lt_u32_e32 vcc, 27, v0
	s_waitcnt vmcnt(2) lgkmcnt(0)
	v_fma_f64 v[64:65], v[64:65], v[68:69], 0
	s_waitcnt vmcnt(0)
	v_add_f64 v[64:65], v[66:67], -v[64:65]
	buffer_store_dword v64, off, s[0:3], 0 offset:224
	buffer_store_dword v65, off, s[0:3], 0 offset:228
	s_and_saveexec_b64 s[4:5], vcc
	s_cbranch_execz .LBB93_133
; %bb.132:
	buffer_load_dword v64, off, s[0:3], 0 offset:216
	buffer_load_dword v65, off, s[0:3], 0 offset:220
	s_waitcnt vmcnt(0)
	ds_write_b64 v1, v[64:65]
	buffer_store_dword v62, off, s[0:3], 0 offset:216
	buffer_store_dword v62, off, s[0:3], 0 offset:220
.LBB93_133:
	s_or_b64 exec, exec, s[4:5]
	s_waitcnt lgkmcnt(0)
	; wave barrier
	s_waitcnt lgkmcnt(0)
	buffer_load_dword v66, off, s[0:3], 0 offset:224
	buffer_load_dword v67, off, s[0:3], 0 offset:228
	;; [unrolled: 1-line block ×6, first 2 shown]
	ds_read_b128 v[62:65], v62 offset:464
	v_cmp_lt_u32_e32 vcc, 26, v0
	s_waitcnt vmcnt(4) lgkmcnt(0)
	v_fma_f64 v[62:63], v[66:67], v[62:63], 0
	s_waitcnt vmcnt(2)
	v_fmac_f64_e32 v[62:63], v[68:69], v[64:65]
	s_waitcnt vmcnt(0)
	v_add_f64 v[62:63], v[70:71], -v[62:63]
	buffer_store_dword v62, off, s[0:3], 0 offset:216
	buffer_store_dword v63, off, s[0:3], 0 offset:220
	s_and_saveexec_b64 s[4:5], vcc
	s_cbranch_execz .LBB93_135
; %bb.134:
	buffer_load_dword v62, off, s[0:3], 0 offset:208
	buffer_load_dword v63, off, s[0:3], 0 offset:212
	v_mov_b32_e32 v64, 0
	buffer_store_dword v64, off, s[0:3], 0 offset:208
	buffer_store_dword v64, off, s[0:3], 0 offset:212
	s_waitcnt vmcnt(2)
	ds_write_b64 v1, v[62:63]
.LBB93_135:
	s_or_b64 exec, exec, s[4:5]
	s_waitcnt lgkmcnt(0)
	; wave barrier
	s_waitcnt lgkmcnt(0)
	buffer_load_dword v68, off, s[0:3], 0 offset:216
	buffer_load_dword v69, off, s[0:3], 0 offset:220
	;; [unrolled: 1-line block ×8, first 2 shown]
	v_mov_b32_e32 v62, 0
	ds_read2_b64 v[64:67], v62 offset0:57 offset1:58
	ds_read_b64 v[76:77], v62 offset:472
	v_cmp_lt_u32_e32 vcc, 25, v0
	s_waitcnt vmcnt(6) lgkmcnt(1)
	v_fma_f64 v[64:65], v[68:69], v[64:65], 0
	s_waitcnt vmcnt(4)
	v_fmac_f64_e32 v[64:65], v[70:71], v[66:67]
	s_waitcnt vmcnt(2) lgkmcnt(0)
	v_fmac_f64_e32 v[64:65], v[72:73], v[76:77]
	s_waitcnt vmcnt(0)
	v_add_f64 v[64:65], v[74:75], -v[64:65]
	buffer_store_dword v64, off, s[0:3], 0 offset:208
	buffer_store_dword v65, off, s[0:3], 0 offset:212
	s_and_saveexec_b64 s[4:5], vcc
	s_cbranch_execz .LBB93_137
; %bb.136:
	buffer_load_dword v64, off, s[0:3], 0 offset:200
	buffer_load_dword v65, off, s[0:3], 0 offset:204
	s_waitcnt vmcnt(0)
	ds_write_b64 v1, v[64:65]
	buffer_store_dword v62, off, s[0:3], 0 offset:200
	buffer_store_dword v62, off, s[0:3], 0 offset:204
.LBB93_137:
	s_or_b64 exec, exec, s[4:5]
	s_waitcnt lgkmcnt(0)
	; wave barrier
	s_waitcnt lgkmcnt(0)
	buffer_load_dword v72, off, s[0:3], 0 offset:208
	buffer_load_dword v73, off, s[0:3], 0 offset:212
	;; [unrolled: 1-line block ×10, first 2 shown]
	ds_read_b128 v[64:67], v62 offset:448
	ds_read_b128 v[68:71], v62 offset:464
	v_cmp_lt_u32_e32 vcc, 24, v0
	s_waitcnt vmcnt(8) lgkmcnt(1)
	v_fma_f64 v[62:63], v[72:73], v[64:65], 0
	s_waitcnt vmcnt(6)
	v_fmac_f64_e32 v[62:63], v[74:75], v[66:67]
	s_waitcnt vmcnt(4) lgkmcnt(0)
	v_fmac_f64_e32 v[62:63], v[76:77], v[68:69]
	s_waitcnt vmcnt(2)
	v_fmac_f64_e32 v[62:63], v[78:79], v[70:71]
	s_waitcnt vmcnt(0)
	v_add_f64 v[62:63], v[80:81], -v[62:63]
	buffer_store_dword v62, off, s[0:3], 0 offset:200
	buffer_store_dword v63, off, s[0:3], 0 offset:204
	s_and_saveexec_b64 s[4:5], vcc
	s_cbranch_execz .LBB93_139
; %bb.138:
	buffer_load_dword v62, off, s[0:3], 0 offset:192
	buffer_load_dword v63, off, s[0:3], 0 offset:196
	v_mov_b32_e32 v64, 0
	buffer_store_dword v64, off, s[0:3], 0 offset:192
	buffer_store_dword v64, off, s[0:3], 0 offset:196
	s_waitcnt vmcnt(2)
	ds_write_b64 v1, v[62:63]
.LBB93_139:
	s_or_b64 exec, exec, s[4:5]
	s_waitcnt lgkmcnt(0)
	; wave barrier
	s_waitcnt lgkmcnt(0)
	buffer_load_dword v72, off, s[0:3], 0 offset:200
	buffer_load_dword v73, off, s[0:3], 0 offset:204
	;; [unrolled: 1-line block ×12, first 2 shown]
	v_mov_b32_e32 v62, 0
	ds_read2_b64 v[64:67], v62 offset0:55 offset1:56
	ds_read2_b64 v[68:71], v62 offset0:57 offset1:58
	ds_read_b64 v[84:85], v62 offset:472
	v_cmp_lt_u32_e32 vcc, 23, v0
	s_waitcnt vmcnt(10) lgkmcnt(2)
	v_fma_f64 v[64:65], v[72:73], v[64:65], 0
	s_waitcnt vmcnt(8)
	v_fmac_f64_e32 v[64:65], v[74:75], v[66:67]
	s_waitcnt vmcnt(6) lgkmcnt(1)
	v_fmac_f64_e32 v[64:65], v[76:77], v[68:69]
	s_waitcnt vmcnt(4)
	v_fmac_f64_e32 v[64:65], v[78:79], v[70:71]
	s_waitcnt vmcnt(2) lgkmcnt(0)
	v_fmac_f64_e32 v[64:65], v[80:81], v[84:85]
	s_waitcnt vmcnt(0)
	v_add_f64 v[64:65], v[82:83], -v[64:65]
	buffer_store_dword v64, off, s[0:3], 0 offset:192
	buffer_store_dword v65, off, s[0:3], 0 offset:196
	s_and_saveexec_b64 s[4:5], vcc
	s_cbranch_execz .LBB93_141
; %bb.140:
	buffer_load_dword v64, off, s[0:3], 0 offset:184
	buffer_load_dword v65, off, s[0:3], 0 offset:188
	s_waitcnt vmcnt(0)
	ds_write_b64 v1, v[64:65]
	buffer_store_dword v62, off, s[0:3], 0 offset:184
	buffer_store_dword v62, off, s[0:3], 0 offset:188
.LBB93_141:
	s_or_b64 exec, exec, s[4:5]
	s_waitcnt lgkmcnt(0)
	; wave barrier
	s_waitcnt lgkmcnt(0)
	buffer_load_dword v76, off, s[0:3], 0 offset:192
	buffer_load_dword v77, off, s[0:3], 0 offset:196
	;; [unrolled: 1-line block ×14, first 2 shown]
	ds_read_b128 v[64:67], v62 offset:432
	ds_read_b128 v[68:71], v62 offset:448
	;; [unrolled: 1-line block ×3, first 2 shown]
	v_cmp_lt_u32_e32 vcc, 22, v0
	s_waitcnt vmcnt(12) lgkmcnt(2)
	v_fma_f64 v[62:63], v[76:77], v[64:65], 0
	s_waitcnt vmcnt(10)
	v_fmac_f64_e32 v[62:63], v[78:79], v[66:67]
	s_waitcnt vmcnt(8) lgkmcnt(1)
	v_fmac_f64_e32 v[62:63], v[80:81], v[68:69]
	s_waitcnt vmcnt(6)
	v_fmac_f64_e32 v[62:63], v[82:83], v[70:71]
	s_waitcnt vmcnt(4) lgkmcnt(0)
	v_fmac_f64_e32 v[62:63], v[84:85], v[72:73]
	s_waitcnt vmcnt(2)
	v_fmac_f64_e32 v[62:63], v[86:87], v[74:75]
	s_waitcnt vmcnt(0)
	v_add_f64 v[62:63], v[88:89], -v[62:63]
	buffer_store_dword v62, off, s[0:3], 0 offset:184
	buffer_store_dword v63, off, s[0:3], 0 offset:188
	s_and_saveexec_b64 s[4:5], vcc
	s_cbranch_execz .LBB93_143
; %bb.142:
	buffer_load_dword v62, off, s[0:3], 0 offset:176
	buffer_load_dword v63, off, s[0:3], 0 offset:180
	v_mov_b32_e32 v64, 0
	buffer_store_dword v64, off, s[0:3], 0 offset:176
	buffer_store_dword v64, off, s[0:3], 0 offset:180
	s_waitcnt vmcnt(2)
	ds_write_b64 v1, v[62:63]
.LBB93_143:
	s_or_b64 exec, exec, s[4:5]
	s_waitcnt lgkmcnt(0)
	; wave barrier
	s_waitcnt lgkmcnt(0)
	buffer_load_dword v76, off, s[0:3], 0 offset:184
	buffer_load_dword v77, off, s[0:3], 0 offset:188
	;; [unrolled: 1-line block ×16, first 2 shown]
	v_mov_b32_e32 v62, 0
	ds_read2_b64 v[64:67], v62 offset0:53 offset1:54
	ds_read2_b64 v[68:71], v62 offset0:55 offset1:56
	;; [unrolled: 1-line block ×3, first 2 shown]
	ds_read_b64 v[92:93], v62 offset:472
	v_cmp_lt_u32_e32 vcc, 21, v0
	s_waitcnt vmcnt(14) lgkmcnt(3)
	v_fma_f64 v[64:65], v[76:77], v[64:65], 0
	s_waitcnt vmcnt(12)
	v_fmac_f64_e32 v[64:65], v[78:79], v[66:67]
	s_waitcnt vmcnt(10) lgkmcnt(2)
	v_fmac_f64_e32 v[64:65], v[80:81], v[68:69]
	s_waitcnt vmcnt(8)
	v_fmac_f64_e32 v[64:65], v[82:83], v[70:71]
	s_waitcnt vmcnt(6) lgkmcnt(1)
	v_fmac_f64_e32 v[64:65], v[84:85], v[72:73]
	;; [unrolled: 4-line block ×3, first 2 shown]
	s_waitcnt vmcnt(0)
	v_add_f64 v[64:65], v[90:91], -v[64:65]
	buffer_store_dword v64, off, s[0:3], 0 offset:176
	buffer_store_dword v65, off, s[0:3], 0 offset:180
	s_and_saveexec_b64 s[4:5], vcc
	s_cbranch_execz .LBB93_145
; %bb.144:
	buffer_load_dword v64, off, s[0:3], 0 offset:168
	buffer_load_dword v65, off, s[0:3], 0 offset:172
	s_waitcnt vmcnt(0)
	ds_write_b64 v1, v[64:65]
	buffer_store_dword v62, off, s[0:3], 0 offset:168
	buffer_store_dword v62, off, s[0:3], 0 offset:172
.LBB93_145:
	s_or_b64 exec, exec, s[4:5]
	s_waitcnt lgkmcnt(0)
	; wave barrier
	s_waitcnt lgkmcnt(0)
	buffer_load_dword v80, off, s[0:3], 0 offset:176
	buffer_load_dword v81, off, s[0:3], 0 offset:180
	;; [unrolled: 1-line block ×18, first 2 shown]
	ds_read_b128 v[64:67], v62 offset:416
	ds_read_b128 v[68:71], v62 offset:432
	;; [unrolled: 1-line block ×4, first 2 shown]
	v_cmp_lt_u32_e32 vcc, 20, v0
	s_waitcnt vmcnt(16) lgkmcnt(3)
	v_fma_f64 v[62:63], v[80:81], v[64:65], 0
	s_waitcnt vmcnt(14)
	v_fmac_f64_e32 v[62:63], v[82:83], v[66:67]
	s_waitcnt vmcnt(12) lgkmcnt(2)
	v_fmac_f64_e32 v[62:63], v[84:85], v[68:69]
	s_waitcnt vmcnt(10)
	v_fmac_f64_e32 v[62:63], v[86:87], v[70:71]
	s_waitcnt vmcnt(8) lgkmcnt(1)
	v_fmac_f64_e32 v[62:63], v[88:89], v[72:73]
	;; [unrolled: 4-line block ×3, first 2 shown]
	s_waitcnt vmcnt(2)
	v_fmac_f64_e32 v[62:63], v[94:95], v[78:79]
	s_waitcnt vmcnt(0)
	v_add_f64 v[62:63], v[96:97], -v[62:63]
	buffer_store_dword v62, off, s[0:3], 0 offset:168
	buffer_store_dword v63, off, s[0:3], 0 offset:172
	s_and_saveexec_b64 s[4:5], vcc
	s_cbranch_execz .LBB93_147
; %bb.146:
	buffer_load_dword v62, off, s[0:3], 0 offset:160
	buffer_load_dword v63, off, s[0:3], 0 offset:164
	v_mov_b32_e32 v64, 0
	buffer_store_dword v64, off, s[0:3], 0 offset:160
	buffer_store_dword v64, off, s[0:3], 0 offset:164
	s_waitcnt vmcnt(2)
	ds_write_b64 v1, v[62:63]
.LBB93_147:
	s_or_b64 exec, exec, s[4:5]
	s_waitcnt lgkmcnt(0)
	; wave barrier
	s_waitcnt lgkmcnt(0)
	buffer_load_dword v80, off, s[0:3], 0 offset:168
	buffer_load_dword v81, off, s[0:3], 0 offset:172
	;; [unrolled: 1-line block ×20, first 2 shown]
	v_mov_b32_e32 v62, 0
	ds_read2_b64 v[64:67], v62 offset0:51 offset1:52
	ds_read2_b64 v[68:71], v62 offset0:53 offset1:54
	ds_read2_b64 v[72:75], v62 offset0:55 offset1:56
	ds_read2_b64 v[76:79], v62 offset0:57 offset1:58
	ds_read_b64 v[100:101], v62 offset:472
	v_cmp_lt_u32_e32 vcc, 19, v0
	s_waitcnt vmcnt(18) lgkmcnt(4)
	v_fma_f64 v[64:65], v[80:81], v[64:65], 0
	s_waitcnt vmcnt(16)
	v_fmac_f64_e32 v[64:65], v[82:83], v[66:67]
	s_waitcnt vmcnt(14) lgkmcnt(3)
	v_fmac_f64_e32 v[64:65], v[84:85], v[68:69]
	s_waitcnt vmcnt(12)
	v_fmac_f64_e32 v[64:65], v[86:87], v[70:71]
	s_waitcnt vmcnt(10) lgkmcnt(2)
	v_fmac_f64_e32 v[64:65], v[88:89], v[72:73]
	;; [unrolled: 4-line block ×3, first 2 shown]
	s_waitcnt vmcnt(2)
	v_fmac_f64_e32 v[64:65], v[96:97], v[78:79]
	s_waitcnt lgkmcnt(0)
	v_fmac_f64_e32 v[64:65], v[94:95], v[100:101]
	s_waitcnt vmcnt(0)
	v_add_f64 v[64:65], v[98:99], -v[64:65]
	buffer_store_dword v64, off, s[0:3], 0 offset:160
	buffer_store_dword v65, off, s[0:3], 0 offset:164
	s_and_saveexec_b64 s[4:5], vcc
	s_cbranch_execz .LBB93_149
; %bb.148:
	buffer_load_dword v64, off, s[0:3], 0 offset:152
	buffer_load_dword v65, off, s[0:3], 0 offset:156
	s_waitcnt vmcnt(0)
	ds_write_b64 v1, v[64:65]
	buffer_store_dword v62, off, s[0:3], 0 offset:152
	buffer_store_dword v62, off, s[0:3], 0 offset:156
.LBB93_149:
	s_or_b64 exec, exec, s[4:5]
	s_waitcnt lgkmcnt(0)
	; wave barrier
	s_waitcnt lgkmcnt(0)
	buffer_load_dword v84, off, s[0:3], 0 offset:160
	buffer_load_dword v85, off, s[0:3], 0 offset:164
	;; [unrolled: 1-line block ×22, first 2 shown]
	ds_read_b128 v[64:67], v62 offset:400
	ds_read_b128 v[68:71], v62 offset:416
	;; [unrolled: 1-line block ×5, first 2 shown]
	v_cmp_lt_u32_e32 vcc, 18, v0
	s_waitcnt vmcnt(20) lgkmcnt(4)
	v_fma_f64 v[62:63], v[84:85], v[64:65], 0
	s_waitcnt vmcnt(18)
	v_fmac_f64_e32 v[62:63], v[86:87], v[66:67]
	s_waitcnt vmcnt(16) lgkmcnt(3)
	v_fmac_f64_e32 v[62:63], v[88:89], v[68:69]
	s_waitcnt vmcnt(14)
	v_fmac_f64_e32 v[62:63], v[90:91], v[70:71]
	s_waitcnt vmcnt(12) lgkmcnt(2)
	v_fmac_f64_e32 v[62:63], v[92:93], v[72:73]
	;; [unrolled: 4-line block ×3, first 2 shown]
	s_waitcnt vmcnt(3)
	v_fmac_f64_e32 v[62:63], v[102:103], v[78:79]
	s_waitcnt lgkmcnt(0)
	v_fmac_f64_e32 v[62:63], v[100:101], v[80:81]
	s_waitcnt vmcnt(2)
	v_fmac_f64_e32 v[62:63], v[98:99], v[82:83]
	s_waitcnt vmcnt(0)
	v_add_f64 v[62:63], v[104:105], -v[62:63]
	buffer_store_dword v62, off, s[0:3], 0 offset:152
	buffer_store_dword v63, off, s[0:3], 0 offset:156
	s_and_saveexec_b64 s[4:5], vcc
	s_cbranch_execz .LBB93_151
; %bb.150:
	buffer_load_dword v62, off, s[0:3], 0 offset:144
	buffer_load_dword v63, off, s[0:3], 0 offset:148
	v_mov_b32_e32 v64, 0
	buffer_store_dword v64, off, s[0:3], 0 offset:144
	buffer_store_dword v64, off, s[0:3], 0 offset:148
	s_waitcnt vmcnt(2)
	ds_write_b64 v1, v[62:63]
.LBB93_151:
	s_or_b64 exec, exec, s[4:5]
	s_waitcnt lgkmcnt(0)
	; wave barrier
	s_waitcnt lgkmcnt(0)
	buffer_load_dword v84, off, s[0:3], 0 offset:152
	buffer_load_dword v85, off, s[0:3], 0 offset:156
	;; [unrolled: 1-line block ×24, first 2 shown]
	v_mov_b32_e32 v62, 0
	ds_read2_b64 v[64:67], v62 offset0:49 offset1:50
	ds_read2_b64 v[68:71], v62 offset0:51 offset1:52
	ds_read2_b64 v[72:75], v62 offset0:53 offset1:54
	ds_read2_b64 v[76:79], v62 offset0:55 offset1:56
	ds_read2_b64 v[80:83], v62 offset0:57 offset1:58
	ds_read_b64 v[108:109], v62 offset:472
	v_cmp_lt_u32_e32 vcc, 17, v0
	s_waitcnt vmcnt(22) lgkmcnt(5)
	v_fma_f64 v[64:65], v[84:85], v[64:65], 0
	s_waitcnt vmcnt(20)
	v_fmac_f64_e32 v[64:65], v[86:87], v[66:67]
	s_waitcnt vmcnt(18) lgkmcnt(4)
	v_fmac_f64_e32 v[64:65], v[88:89], v[68:69]
	s_waitcnt vmcnt(16)
	v_fmac_f64_e32 v[64:65], v[90:91], v[70:71]
	s_waitcnt vmcnt(14) lgkmcnt(3)
	v_fmac_f64_e32 v[64:65], v[92:93], v[72:73]
	;; [unrolled: 4-line block ×3, first 2 shown]
	s_waitcnt vmcnt(4)
	v_fmac_f64_e32 v[64:65], v[104:105], v[78:79]
	s_waitcnt lgkmcnt(1)
	v_fmac_f64_e32 v[64:65], v[102:103], v[80:81]
	s_waitcnt vmcnt(3)
	v_fmac_f64_e32 v[64:65], v[100:101], v[82:83]
	s_waitcnt vmcnt(2) lgkmcnt(0)
	v_fmac_f64_e32 v[64:65], v[98:99], v[108:109]
	s_waitcnt vmcnt(0)
	v_add_f64 v[64:65], v[106:107], -v[64:65]
	buffer_store_dword v65, off, s[0:3], 0 offset:148
	buffer_store_dword v64, off, s[0:3], 0 offset:144
	s_and_saveexec_b64 s[4:5], vcc
	s_cbranch_execz .LBB93_153
; %bb.152:
	buffer_load_dword v64, off, s[0:3], 0 offset:136
	buffer_load_dword v65, off, s[0:3], 0 offset:140
	s_waitcnt vmcnt(0)
	ds_write_b64 v1, v[64:65]
	buffer_store_dword v62, off, s[0:3], 0 offset:136
	buffer_store_dword v62, off, s[0:3], 0 offset:140
.LBB93_153:
	s_or_b64 exec, exec, s[4:5]
	s_waitcnt lgkmcnt(0)
	; wave barrier
	s_waitcnt lgkmcnt(0)
	buffer_load_dword v88, off, s[0:3], 0 offset:144
	buffer_load_dword v89, off, s[0:3], 0 offset:148
	;; [unrolled: 1-line block ×26, first 2 shown]
	ds_read_b128 v[64:67], v62 offset:384
	ds_read_b128 v[68:71], v62 offset:400
	;; [unrolled: 1-line block ×6, first 2 shown]
	v_cmp_lt_u32_e32 vcc, 16, v0
	s_waitcnt vmcnt(24) lgkmcnt(5)
	v_fma_f64 v[62:63], v[88:89], v[64:65], 0
	s_waitcnt vmcnt(22)
	v_fmac_f64_e32 v[62:63], v[90:91], v[66:67]
	s_waitcnt vmcnt(20) lgkmcnt(4)
	v_fmac_f64_e32 v[62:63], v[92:93], v[68:69]
	s_waitcnt vmcnt(18)
	v_fmac_f64_e32 v[62:63], v[94:95], v[70:71]
	s_waitcnt vmcnt(16) lgkmcnt(3)
	v_fmac_f64_e32 v[62:63], v[96:97], v[72:73]
	;; [unrolled: 4-line block ×3, first 2 shown]
	s_waitcnt vmcnt(5)
	v_fmac_f64_e32 v[62:63], v[108:109], v[78:79]
	s_waitcnt lgkmcnt(1)
	v_fmac_f64_e32 v[62:63], v[106:107], v[80:81]
	v_fmac_f64_e32 v[62:63], v[104:105], v[82:83]
	s_waitcnt vmcnt(4) lgkmcnt(0)
	v_fmac_f64_e32 v[62:63], v[102:103], v[84:85]
	s_waitcnt vmcnt(2)
	v_fmac_f64_e32 v[62:63], v[110:111], v[86:87]
	s_waitcnt vmcnt(0)
	v_add_f64 v[62:63], v[112:113], -v[62:63]
	buffer_store_dword v63, off, s[0:3], 0 offset:140
	buffer_store_dword v62, off, s[0:3], 0 offset:136
	s_and_saveexec_b64 s[4:5], vcc
	s_cbranch_execz .LBB93_155
; %bb.154:
	buffer_load_dword v62, off, s[0:3], 0 offset:128
	buffer_load_dword v63, off, s[0:3], 0 offset:132
	v_mov_b32_e32 v64, 0
	buffer_store_dword v64, off, s[0:3], 0 offset:128
	buffer_store_dword v64, off, s[0:3], 0 offset:132
	s_waitcnt vmcnt(2)
	ds_write_b64 v1, v[62:63]
.LBB93_155:
	s_or_b64 exec, exec, s[4:5]
	s_waitcnt lgkmcnt(0)
	; wave barrier
	s_waitcnt lgkmcnt(0)
	buffer_load_dword v88, off, s[0:3], 0 offset:136
	buffer_load_dword v89, off, s[0:3], 0 offset:140
	;; [unrolled: 1-line block ×28, first 2 shown]
	v_mov_b32_e32 v62, 0
	ds_read2_b64 v[64:67], v62 offset0:47 offset1:48
	ds_read2_b64 v[68:71], v62 offset0:49 offset1:50
	;; [unrolled: 1-line block ×6, first 2 shown]
	ds_read_b64 v[116:117], v62 offset:472
	v_cmp_lt_u32_e32 vcc, 15, v0
	s_waitcnt vmcnt(26) lgkmcnt(6)
	v_fma_f64 v[64:65], v[88:89], v[64:65], 0
	s_waitcnt vmcnt(24)
	v_fmac_f64_e32 v[64:65], v[90:91], v[66:67]
	s_waitcnt vmcnt(22) lgkmcnt(5)
	v_fmac_f64_e32 v[64:65], v[92:93], v[68:69]
	s_waitcnt vmcnt(20)
	v_fmac_f64_e32 v[64:65], v[94:95], v[70:71]
	s_waitcnt vmcnt(18) lgkmcnt(4)
	v_fmac_f64_e32 v[64:65], v[96:97], v[72:73]
	;; [unrolled: 4-line block ×3, first 2 shown]
	s_waitcnt vmcnt(6)
	v_fmac_f64_e32 v[64:65], v[108:109], v[78:79]
	s_waitcnt lgkmcnt(2)
	v_fmac_f64_e32 v[64:65], v[106:107], v[80:81]
	v_fmac_f64_e32 v[64:65], v[104:105], v[82:83]
	s_waitcnt lgkmcnt(1)
	v_fmac_f64_e32 v[64:65], v[102:103], v[84:85]
	s_waitcnt vmcnt(2)
	v_fmac_f64_e32 v[64:65], v[112:113], v[86:87]
	s_waitcnt lgkmcnt(0)
	v_fmac_f64_e32 v[64:65], v[110:111], v[116:117]
	s_waitcnt vmcnt(0)
	v_add_f64 v[64:65], v[114:115], -v[64:65]
	buffer_store_dword v65, off, s[0:3], 0 offset:132
	buffer_store_dword v64, off, s[0:3], 0 offset:128
	s_and_saveexec_b64 s[4:5], vcc
	s_cbranch_execz .LBB93_157
; %bb.156:
	buffer_load_dword v64, off, s[0:3], 0 offset:120
	buffer_load_dword v65, off, s[0:3], 0 offset:124
	s_waitcnt vmcnt(0)
	ds_write_b64 v1, v[64:65]
	buffer_store_dword v62, off, s[0:3], 0 offset:120
	buffer_store_dword v62, off, s[0:3], 0 offset:124
.LBB93_157:
	s_or_b64 exec, exec, s[4:5]
	s_waitcnt lgkmcnt(0)
	; wave barrier
	s_waitcnt lgkmcnt(0)
	buffer_load_dword v92, off, s[0:3], 0 offset:128
	buffer_load_dword v93, off, s[0:3], 0 offset:132
	;; [unrolled: 1-line block ×30, first 2 shown]
	ds_read_b128 v[64:67], v62 offset:368
	ds_read_b128 v[68:71], v62 offset:384
	ds_read_b128 v[72:75], v62 offset:400
	ds_read_b128 v[76:79], v62 offset:416
	ds_read_b128 v[80:83], v62 offset:432
	ds_read_b128 v[84:87], v62 offset:448
	ds_read_b128 v[88:91], v62 offset:464
	v_cmp_lt_u32_e32 vcc, 14, v0
	s_waitcnt vmcnt(28) lgkmcnt(6)
	v_fma_f64 v[62:63], v[92:93], v[64:65], 0
	s_waitcnt vmcnt(26)
	v_fmac_f64_e32 v[62:63], v[94:95], v[66:67]
	s_waitcnt vmcnt(24) lgkmcnt(5)
	v_fmac_f64_e32 v[62:63], v[96:97], v[68:69]
	s_waitcnt vmcnt(22)
	v_fmac_f64_e32 v[62:63], v[98:99], v[70:71]
	s_waitcnt vmcnt(20) lgkmcnt(4)
	v_fmac_f64_e32 v[62:63], v[100:101], v[72:73]
	;; [unrolled: 4-line block ×3, first 2 shown]
	s_waitcnt vmcnt(8)
	v_fmac_f64_e32 v[62:63], v[112:113], v[78:79]
	s_waitcnt lgkmcnt(2)
	v_fmac_f64_e32 v[62:63], v[110:111], v[80:81]
	v_fmac_f64_e32 v[62:63], v[108:109], v[82:83]
	s_waitcnt lgkmcnt(1)
	v_fmac_f64_e32 v[62:63], v[106:107], v[84:85]
	s_waitcnt vmcnt(3)
	v_fmac_f64_e32 v[62:63], v[118:119], v[86:87]
	s_waitcnt lgkmcnt(0)
	v_fmac_f64_e32 v[62:63], v[116:117], v[88:89]
	s_waitcnt vmcnt(2)
	v_fmac_f64_e32 v[62:63], v[114:115], v[90:91]
	s_waitcnt vmcnt(0)
	v_add_f64 v[62:63], v[120:121], -v[62:63]
	buffer_store_dword v63, off, s[0:3], 0 offset:124
	buffer_store_dword v62, off, s[0:3], 0 offset:120
	s_and_saveexec_b64 s[4:5], vcc
	s_cbranch_execz .LBB93_159
; %bb.158:
	buffer_load_dword v62, off, s[0:3], 0 offset:112
	buffer_load_dword v63, off, s[0:3], 0 offset:116
	v_mov_b32_e32 v64, 0
	buffer_store_dword v64, off, s[0:3], 0 offset:112
	buffer_store_dword v64, off, s[0:3], 0 offset:116
	s_waitcnt vmcnt(2)
	ds_write_b64 v1, v[62:63]
.LBB93_159:
	s_or_b64 exec, exec, s[4:5]
	s_waitcnt lgkmcnt(0)
	; wave barrier
	s_waitcnt lgkmcnt(0)
	buffer_load_dword v92, off, s[0:3], 0 offset:120
	buffer_load_dword v93, off, s[0:3], 0 offset:124
	;; [unrolled: 1-line block ×32, first 2 shown]
	v_mov_b32_e32 v62, 0
	ds_read2_b64 v[64:67], v62 offset0:45 offset1:46
	ds_read2_b64 v[68:71], v62 offset0:47 offset1:48
	;; [unrolled: 1-line block ×7, first 2 shown]
	ds_read_b64 v[124:125], v62 offset:472
	v_cmp_lt_u32_e32 vcc, 13, v0
	s_waitcnt vmcnt(30) lgkmcnt(7)
	v_fma_f64 v[64:65], v[92:93], v[64:65], 0
	s_waitcnt vmcnt(28)
	v_fmac_f64_e32 v[64:65], v[94:95], v[66:67]
	s_waitcnt vmcnt(26) lgkmcnt(6)
	v_fmac_f64_e32 v[64:65], v[96:97], v[68:69]
	s_waitcnt vmcnt(24)
	v_fmac_f64_e32 v[64:65], v[98:99], v[70:71]
	s_waitcnt vmcnt(22) lgkmcnt(5)
	v_fmac_f64_e32 v[64:65], v[100:101], v[72:73]
	;; [unrolled: 4-line block ×3, first 2 shown]
	s_waitcnt vmcnt(10)
	v_fmac_f64_e32 v[64:65], v[112:113], v[78:79]
	s_waitcnt lgkmcnt(3)
	v_fmac_f64_e32 v[64:65], v[110:111], v[80:81]
	v_fmac_f64_e32 v[64:65], v[108:109], v[82:83]
	s_waitcnt lgkmcnt(2)
	v_fmac_f64_e32 v[64:65], v[106:107], v[84:85]
	s_waitcnt vmcnt(4)
	v_fmac_f64_e32 v[64:65], v[120:121], v[86:87]
	s_waitcnt lgkmcnt(1)
	v_fmac_f64_e32 v[64:65], v[118:119], v[88:89]
	s_waitcnt vmcnt(3)
	v_fmac_f64_e32 v[64:65], v[116:117], v[90:91]
	s_waitcnt vmcnt(2) lgkmcnt(0)
	v_fmac_f64_e32 v[64:65], v[114:115], v[124:125]
	s_waitcnt vmcnt(0)
	v_add_f64 v[64:65], v[122:123], -v[64:65]
	buffer_store_dword v65, off, s[0:3], 0 offset:116
	buffer_store_dword v64, off, s[0:3], 0 offset:112
	s_and_saveexec_b64 s[4:5], vcc
	s_cbranch_execz .LBB93_161
; %bb.160:
	buffer_load_dword v64, off, s[0:3], 0 offset:104
	buffer_load_dword v65, off, s[0:3], 0 offset:108
	s_waitcnt vmcnt(0)
	ds_write_b64 v1, v[64:65]
	buffer_store_dword v62, off, s[0:3], 0 offset:104
	buffer_store_dword v62, off, s[0:3], 0 offset:108
.LBB93_161:
	s_or_b64 exec, exec, s[4:5]
	s_waitcnt lgkmcnt(0)
	; wave barrier
	s_waitcnt lgkmcnt(0)
	buffer_load_dword v80, off, s[0:3], 0 offset:104
	buffer_load_dword v81, off, s[0:3], 0 offset:108
	;; [unrolled: 1-line block ×16, first 2 shown]
	ds_read_b128 v[64:67], v62 offset:352
	ds_read_b128 v[68:71], v62 offset:368
	;; [unrolled: 1-line block ×4, first 2 shown]
	v_cmp_lt_u32_e32 vcc, 12, v0
	s_waitcnt vmcnt(12) lgkmcnt(3)
	v_fma_f64 v[82:83], v[82:83], v[64:65], 0
	buffer_load_dword v65, off, s[0:3], 0 offset:172
	buffer_load_dword v64, off, s[0:3], 0 offset:168
	s_waitcnt vmcnt(12)
	v_fmac_f64_e32 v[82:83], v[84:85], v[66:67]
	s_waitcnt vmcnt(10) lgkmcnt(2)
	v_fmac_f64_e32 v[82:83], v[86:87], v[68:69]
	buffer_load_dword v69, off, s[0:3], 0 offset:180
	buffer_load_dword v68, off, s[0:3], 0 offset:176
	s_waitcnt vmcnt(10)
	v_fmac_f64_e32 v[82:83], v[88:89], v[70:71]
	s_waitcnt vmcnt(8) lgkmcnt(1)
	v_fmac_f64_e32 v[82:83], v[90:91], v[72:73]
	s_waitcnt vmcnt(6)
	v_fmac_f64_e32 v[82:83], v[92:93], v[74:75]
	s_waitcnt vmcnt(4) lgkmcnt(0)
	v_fmac_f64_e32 v[82:83], v[94:95], v[76:77]
	s_waitcnt vmcnt(2)
	v_fmac_f64_e32 v[82:83], v[64:65], v[78:79]
	ds_read_b128 v[64:67], v62 offset:416
	s_waitcnt vmcnt(0) lgkmcnt(0)
	v_fmac_f64_e32 v[82:83], v[68:69], v[64:65]
	buffer_load_dword v65, off, s[0:3], 0 offset:188
	buffer_load_dword v64, off, s[0:3], 0 offset:184
	;; [unrolled: 1-line block ×4, first 2 shown]
	s_waitcnt vmcnt(2)
	v_fmac_f64_e32 v[82:83], v[64:65], v[66:67]
	ds_read_b128 v[64:67], v62 offset:432
	s_waitcnt vmcnt(0) lgkmcnt(0)
	v_fmac_f64_e32 v[82:83], v[68:69], v[64:65]
	buffer_load_dword v65, off, s[0:3], 0 offset:204
	buffer_load_dword v64, off, s[0:3], 0 offset:200
	;; [unrolled: 1-line block ×4, first 2 shown]
	s_waitcnt vmcnt(2)
	v_fmac_f64_e32 v[82:83], v[64:65], v[66:67]
	ds_read_b128 v[64:67], v62 offset:448
	s_waitcnt vmcnt(0) lgkmcnt(0)
	v_fmac_f64_e32 v[82:83], v[68:69], v[64:65]
	buffer_load_dword v65, off, s[0:3], 0 offset:220
	buffer_load_dword v64, off, s[0:3], 0 offset:216
	s_waitcnt vmcnt(0)
	v_fmac_f64_e32 v[82:83], v[64:65], v[66:67]
	buffer_load_dword v67, off, s[0:3], 0 offset:228
	buffer_load_dword v66, off, s[0:3], 0 offset:224
	ds_read_b128 v[62:65], v62 offset:464
	s_waitcnt vmcnt(0) lgkmcnt(0)
	v_fmac_f64_e32 v[82:83], v[66:67], v[62:63]
	buffer_load_dword v63, off, s[0:3], 0 offset:236
	buffer_load_dword v62, off, s[0:3], 0 offset:232
	s_waitcnt vmcnt(0)
	v_fmac_f64_e32 v[82:83], v[62:63], v[64:65]
	v_add_f64 v[62:63], v[80:81], -v[82:83]
	buffer_store_dword v63, off, s[0:3], 0 offset:108
	buffer_store_dword v62, off, s[0:3], 0 offset:104
	s_and_saveexec_b64 s[4:5], vcc
	s_cbranch_execz .LBB93_163
; %bb.162:
	buffer_load_dword v62, off, s[0:3], 0 offset:96
	buffer_load_dword v63, off, s[0:3], 0 offset:100
	v_mov_b32_e32 v64, 0
	buffer_store_dword v64, off, s[0:3], 0 offset:96
	buffer_store_dword v64, off, s[0:3], 0 offset:100
	s_waitcnt vmcnt(2)
	ds_write_b64 v1, v[62:63]
.LBB93_163:
	s_or_b64 exec, exec, s[4:5]
	s_waitcnt lgkmcnt(0)
	; wave barrier
	s_waitcnt lgkmcnt(0)
	buffer_load_dword v62, off, s[0:3], 0 offset:96
	buffer_load_dword v63, off, s[0:3], 0 offset:100
	;; [unrolled: 1-line block ×16, first 2 shown]
	v_mov_b32_e32 v66, 0
	ds_read2_b64 v[68:71], v66 offset0:43 offset1:44
	v_cmp_lt_u32_e32 vcc, 11, v0
	s_waitcnt vmcnt(12) lgkmcnt(0)
	v_fma_f64 v[64:65], v[64:65], v[68:69], 0
	s_waitcnt vmcnt(10)
	v_fmac_f64_e32 v[64:65], v[72:73], v[70:71]
	ds_read2_b64 v[68:71], v66 offset0:45 offset1:46
	s_waitcnt vmcnt(8) lgkmcnt(0)
	v_fmac_f64_e32 v[64:65], v[74:75], v[68:69]
	s_waitcnt vmcnt(6)
	v_fmac_f64_e32 v[64:65], v[76:77], v[70:71]
	ds_read2_b64 v[68:71], v66 offset0:47 offset1:48
	s_waitcnt vmcnt(4) lgkmcnt(0)
	v_fmac_f64_e32 v[64:65], v[78:79], v[68:69]
	;; [unrolled: 5-line block ×3, first 2 shown]
	buffer_load_dword v69, off, s[0:3], 0 offset:164
	buffer_load_dword v68, off, s[0:3], 0 offset:160
	buffer_load_dword v73, off, s[0:3], 0 offset:172
	buffer_load_dword v72, off, s[0:3], 0 offset:168
	s_waitcnt vmcnt(2)
	v_fmac_f64_e32 v[64:65], v[68:69], v[70:71]
	ds_read2_b64 v[68:71], v66 offset0:51 offset1:52
	s_waitcnt vmcnt(0) lgkmcnt(0)
	v_fmac_f64_e32 v[64:65], v[72:73], v[68:69]
	buffer_load_dword v69, off, s[0:3], 0 offset:180
	buffer_load_dword v68, off, s[0:3], 0 offset:176
	buffer_load_dword v73, off, s[0:3], 0 offset:188
	buffer_load_dword v72, off, s[0:3], 0 offset:184
	s_waitcnt vmcnt(2)
	v_fmac_f64_e32 v[64:65], v[68:69], v[70:71]
	ds_read2_b64 v[68:71], v66 offset0:53 offset1:54
	s_waitcnt vmcnt(0) lgkmcnt(0)
	v_fmac_f64_e32 v[64:65], v[72:73], v[68:69]
	;; [unrolled: 9-line block ×4, first 2 shown]
	buffer_load_dword v69, off, s[0:3], 0 offset:228
	buffer_load_dword v68, off, s[0:3], 0 offset:224
	s_waitcnt vmcnt(0)
	v_fmac_f64_e32 v[64:65], v[68:69], v[70:71]
	buffer_load_dword v69, off, s[0:3], 0 offset:236
	buffer_load_dword v68, off, s[0:3], 0 offset:232
	ds_read_b64 v[70:71], v66 offset:472
	s_waitcnt vmcnt(0) lgkmcnt(0)
	v_fmac_f64_e32 v[64:65], v[68:69], v[70:71]
	v_add_f64 v[62:63], v[62:63], -v[64:65]
	buffer_store_dword v63, off, s[0:3], 0 offset:100
	buffer_store_dword v62, off, s[0:3], 0 offset:96
	s_and_saveexec_b64 s[4:5], vcc
	s_cbranch_execz .LBB93_165
; %bb.164:
	buffer_load_dword v62, off, s[0:3], 0 offset:88
	buffer_load_dword v63, off, s[0:3], 0 offset:92
	s_waitcnt vmcnt(0)
	ds_write_b64 v1, v[62:63]
	buffer_store_dword v66, off, s[0:3], 0 offset:88
	buffer_store_dword v66, off, s[0:3], 0 offset:92
.LBB93_165:
	s_or_b64 exec, exec, s[4:5]
	s_waitcnt lgkmcnt(0)
	; wave barrier
	s_waitcnt lgkmcnt(0)
	buffer_load_dword v62, off, s[0:3], 0 offset:88
	buffer_load_dword v63, off, s[0:3], 0 offset:92
	buffer_load_dword v64, off, s[0:3], 0 offset:96
	buffer_load_dword v65, off, s[0:3], 0 offset:100
	buffer_load_dword v84, off, s[0:3], 0 offset:104
	buffer_load_dword v85, off, s[0:3], 0 offset:108
	buffer_load_dword v86, off, s[0:3], 0 offset:112
	buffer_load_dword v87, off, s[0:3], 0 offset:116
	buffer_load_dword v88, off, s[0:3], 0 offset:120
	buffer_load_dword v89, off, s[0:3], 0 offset:124
	buffer_load_dword v90, off, s[0:3], 0 offset:128
	buffer_load_dword v91, off, s[0:3], 0 offset:132
	buffer_load_dword v92, off, s[0:3], 0 offset:136
	buffer_load_dword v93, off, s[0:3], 0 offset:140
	buffer_load_dword v94, off, s[0:3], 0 offset:144
	buffer_load_dword v95, off, s[0:3], 0 offset:148
	ds_read_b128 v[68:71], v66 offset:336
	ds_read_b128 v[72:75], v66 offset:352
	ds_read_b128 v[76:79], v66 offset:368
	ds_read_b128 v[80:83], v66 offset:384
	v_cmp_lt_u32_e32 vcc, 10, v0
	s_waitcnt vmcnt(12) lgkmcnt(3)
	v_fma_f64 v[64:65], v[64:65], v[68:69], 0
	buffer_load_dword v69, off, s[0:3], 0 offset:156
	buffer_load_dword v68, off, s[0:3], 0 offset:152
	s_waitcnt vmcnt(12)
	v_fmac_f64_e32 v[64:65], v[84:85], v[70:71]
	s_waitcnt vmcnt(10) lgkmcnt(2)
	v_fmac_f64_e32 v[64:65], v[86:87], v[72:73]
	buffer_load_dword v73, off, s[0:3], 0 offset:164
	buffer_load_dword v72, off, s[0:3], 0 offset:160
	s_waitcnt vmcnt(10)
	v_fmac_f64_e32 v[64:65], v[88:89], v[74:75]
	s_waitcnt vmcnt(8) lgkmcnt(1)
	v_fmac_f64_e32 v[64:65], v[90:91], v[76:77]
	s_waitcnt vmcnt(6)
	v_fmac_f64_e32 v[64:65], v[92:93], v[78:79]
	s_waitcnt vmcnt(4) lgkmcnt(0)
	v_fmac_f64_e32 v[64:65], v[94:95], v[80:81]
	s_waitcnt vmcnt(2)
	v_fmac_f64_e32 v[64:65], v[68:69], v[82:83]
	ds_read_b128 v[68:71], v66 offset:400
	s_waitcnt vmcnt(0) lgkmcnt(0)
	v_fmac_f64_e32 v[64:65], v[72:73], v[68:69]
	buffer_load_dword v69, off, s[0:3], 0 offset:172
	buffer_load_dword v68, off, s[0:3], 0 offset:168
	buffer_load_dword v73, off, s[0:3], 0 offset:180
	buffer_load_dword v72, off, s[0:3], 0 offset:176
	s_waitcnt vmcnt(2)
	v_fmac_f64_e32 v[64:65], v[68:69], v[70:71]
	ds_read_b128 v[68:71], v66 offset:416
	s_waitcnt vmcnt(0) lgkmcnt(0)
	v_fmac_f64_e32 v[64:65], v[72:73], v[68:69]
	buffer_load_dword v69, off, s[0:3], 0 offset:188
	buffer_load_dword v68, off, s[0:3], 0 offset:184
	buffer_load_dword v73, off, s[0:3], 0 offset:196
	buffer_load_dword v72, off, s[0:3], 0 offset:192
	;; [unrolled: 9-line block ×3, first 2 shown]
	s_waitcnt vmcnt(2)
	v_fmac_f64_e32 v[64:65], v[68:69], v[70:71]
	ds_read_b128 v[68:71], v66 offset:448
	s_waitcnt vmcnt(0) lgkmcnt(0)
	v_fmac_f64_e32 v[64:65], v[72:73], v[68:69]
	buffer_load_dword v69, off, s[0:3], 0 offset:220
	buffer_load_dword v68, off, s[0:3], 0 offset:216
	s_waitcnt vmcnt(0)
	v_fmac_f64_e32 v[64:65], v[68:69], v[70:71]
	buffer_load_dword v71, off, s[0:3], 0 offset:228
	buffer_load_dword v70, off, s[0:3], 0 offset:224
	ds_read_b128 v[66:69], v66 offset:464
	s_waitcnt vmcnt(0) lgkmcnt(0)
	v_fmac_f64_e32 v[64:65], v[70:71], v[66:67]
	buffer_load_dword v67, off, s[0:3], 0 offset:236
	buffer_load_dword v66, off, s[0:3], 0 offset:232
	s_waitcnt vmcnt(0)
	v_fmac_f64_e32 v[64:65], v[66:67], v[68:69]
	v_add_f64 v[62:63], v[62:63], -v[64:65]
	buffer_store_dword v63, off, s[0:3], 0 offset:92
	buffer_store_dword v62, off, s[0:3], 0 offset:88
	s_and_saveexec_b64 s[4:5], vcc
	s_cbranch_execz .LBB93_167
; %bb.166:
	buffer_load_dword v62, off, s[0:3], 0 offset:80
	buffer_load_dword v63, off, s[0:3], 0 offset:84
	v_mov_b32_e32 v64, 0
	buffer_store_dword v64, off, s[0:3], 0 offset:80
	buffer_store_dword v64, off, s[0:3], 0 offset:84
	s_waitcnt vmcnt(2)
	ds_write_b64 v1, v[62:63]
.LBB93_167:
	s_or_b64 exec, exec, s[4:5]
	s_waitcnt lgkmcnt(0)
	; wave barrier
	s_waitcnt lgkmcnt(0)
	buffer_load_dword v62, off, s[0:3], 0 offset:80
	buffer_load_dword v63, off, s[0:3], 0 offset:84
	;; [unrolled: 1-line block ×16, first 2 shown]
	v_mov_b32_e32 v66, 0
	ds_read2_b64 v[68:71], v66 offset0:41 offset1:42
	v_cmp_lt_u32_e32 vcc, 9, v0
	s_waitcnt vmcnt(12) lgkmcnt(0)
	v_fma_f64 v[64:65], v[64:65], v[68:69], 0
	s_waitcnt vmcnt(10)
	v_fmac_f64_e32 v[64:65], v[72:73], v[70:71]
	ds_read2_b64 v[68:71], v66 offset0:43 offset1:44
	s_waitcnt vmcnt(8) lgkmcnt(0)
	v_fmac_f64_e32 v[64:65], v[74:75], v[68:69]
	s_waitcnt vmcnt(6)
	v_fmac_f64_e32 v[64:65], v[76:77], v[70:71]
	ds_read2_b64 v[68:71], v66 offset0:45 offset1:46
	s_waitcnt vmcnt(4) lgkmcnt(0)
	v_fmac_f64_e32 v[64:65], v[78:79], v[68:69]
	s_waitcnt vmcnt(2)
	v_fmac_f64_e32 v[64:65], v[80:81], v[70:71]
	ds_read2_b64 v[68:71], v66 offset0:47 offset1:48
	s_waitcnt vmcnt(0) lgkmcnt(0)
	v_fmac_f64_e32 v[64:65], v[82:83], v[68:69]
	buffer_load_dword v69, off, s[0:3], 0 offset:148
	buffer_load_dword v68, off, s[0:3], 0 offset:144
	buffer_load_dword v73, off, s[0:3], 0 offset:156
	buffer_load_dword v72, off, s[0:3], 0 offset:152
	s_waitcnt vmcnt(2)
	v_fmac_f64_e32 v[64:65], v[68:69], v[70:71]
	ds_read2_b64 v[68:71], v66 offset0:49 offset1:50
	s_waitcnt vmcnt(0) lgkmcnt(0)
	v_fmac_f64_e32 v[64:65], v[72:73], v[68:69]
	buffer_load_dword v69, off, s[0:3], 0 offset:164
	buffer_load_dword v68, off, s[0:3], 0 offset:160
	buffer_load_dword v73, off, s[0:3], 0 offset:172
	buffer_load_dword v72, off, s[0:3], 0 offset:168
	s_waitcnt vmcnt(2)
	v_fmac_f64_e32 v[64:65], v[68:69], v[70:71]
	ds_read2_b64 v[68:71], v66 offset0:51 offset1:52
	s_waitcnt vmcnt(0) lgkmcnt(0)
	v_fmac_f64_e32 v[64:65], v[72:73], v[68:69]
	;; [unrolled: 9-line block ×5, first 2 shown]
	buffer_load_dword v69, off, s[0:3], 0 offset:228
	buffer_load_dword v68, off, s[0:3], 0 offset:224
	s_waitcnt vmcnt(0)
	v_fmac_f64_e32 v[64:65], v[68:69], v[70:71]
	buffer_load_dword v69, off, s[0:3], 0 offset:236
	buffer_load_dword v68, off, s[0:3], 0 offset:232
	ds_read_b64 v[70:71], v66 offset:472
	s_waitcnt vmcnt(0) lgkmcnt(0)
	v_fmac_f64_e32 v[64:65], v[68:69], v[70:71]
	v_add_f64 v[62:63], v[62:63], -v[64:65]
	buffer_store_dword v63, off, s[0:3], 0 offset:84
	buffer_store_dword v62, off, s[0:3], 0 offset:80
	s_and_saveexec_b64 s[4:5], vcc
	s_cbranch_execz .LBB93_169
; %bb.168:
	buffer_load_dword v62, off, s[0:3], 0 offset:72
	buffer_load_dword v63, off, s[0:3], 0 offset:76
	s_waitcnt vmcnt(0)
	ds_write_b64 v1, v[62:63]
	buffer_store_dword v66, off, s[0:3], 0 offset:72
	buffer_store_dword v66, off, s[0:3], 0 offset:76
.LBB93_169:
	s_or_b64 exec, exec, s[4:5]
	s_waitcnt lgkmcnt(0)
	; wave barrier
	s_waitcnt lgkmcnt(0)
	buffer_load_dword v62, off, s[0:3], 0 offset:72
	buffer_load_dword v63, off, s[0:3], 0 offset:76
	;; [unrolled: 1-line block ×16, first 2 shown]
	ds_read_b128 v[68:71], v66 offset:320
	ds_read_b128 v[72:75], v66 offset:336
	ds_read_b128 v[76:79], v66 offset:352
	ds_read_b128 v[80:83], v66 offset:368
	v_cmp_lt_u32_e32 vcc, 8, v0
	s_waitcnt vmcnt(12) lgkmcnt(3)
	v_fma_f64 v[64:65], v[64:65], v[68:69], 0
	buffer_load_dword v69, off, s[0:3], 0 offset:140
	buffer_load_dword v68, off, s[0:3], 0 offset:136
	s_waitcnt vmcnt(12)
	v_fmac_f64_e32 v[64:65], v[84:85], v[70:71]
	s_waitcnt vmcnt(10) lgkmcnt(2)
	v_fmac_f64_e32 v[64:65], v[86:87], v[72:73]
	buffer_load_dword v73, off, s[0:3], 0 offset:148
	buffer_load_dword v72, off, s[0:3], 0 offset:144
	s_waitcnt vmcnt(10)
	v_fmac_f64_e32 v[64:65], v[88:89], v[74:75]
	s_waitcnt vmcnt(8) lgkmcnt(1)
	v_fmac_f64_e32 v[64:65], v[90:91], v[76:77]
	s_waitcnt vmcnt(6)
	v_fmac_f64_e32 v[64:65], v[92:93], v[78:79]
	s_waitcnt vmcnt(4) lgkmcnt(0)
	v_fmac_f64_e32 v[64:65], v[94:95], v[80:81]
	s_waitcnt vmcnt(2)
	v_fmac_f64_e32 v[64:65], v[68:69], v[82:83]
	ds_read_b128 v[68:71], v66 offset:384
	s_waitcnt vmcnt(0) lgkmcnt(0)
	v_fmac_f64_e32 v[64:65], v[72:73], v[68:69]
	buffer_load_dword v69, off, s[0:3], 0 offset:156
	buffer_load_dword v68, off, s[0:3], 0 offset:152
	buffer_load_dword v73, off, s[0:3], 0 offset:164
	buffer_load_dword v72, off, s[0:3], 0 offset:160
	s_waitcnt vmcnt(2)
	v_fmac_f64_e32 v[64:65], v[68:69], v[70:71]
	ds_read_b128 v[68:71], v66 offset:400
	s_waitcnt vmcnt(0) lgkmcnt(0)
	v_fmac_f64_e32 v[64:65], v[72:73], v[68:69]
	buffer_load_dword v69, off, s[0:3], 0 offset:172
	buffer_load_dword v68, off, s[0:3], 0 offset:168
	buffer_load_dword v73, off, s[0:3], 0 offset:180
	buffer_load_dword v72, off, s[0:3], 0 offset:176
	;; [unrolled: 9-line block ×4, first 2 shown]
	s_waitcnt vmcnt(2)
	v_fmac_f64_e32 v[64:65], v[68:69], v[70:71]
	ds_read_b128 v[68:71], v66 offset:448
	s_waitcnt vmcnt(0) lgkmcnt(0)
	v_fmac_f64_e32 v[64:65], v[72:73], v[68:69]
	buffer_load_dword v69, off, s[0:3], 0 offset:220
	buffer_load_dword v68, off, s[0:3], 0 offset:216
	s_waitcnt vmcnt(0)
	v_fmac_f64_e32 v[64:65], v[68:69], v[70:71]
	buffer_load_dword v71, off, s[0:3], 0 offset:228
	buffer_load_dword v70, off, s[0:3], 0 offset:224
	ds_read_b128 v[66:69], v66 offset:464
	s_waitcnt vmcnt(0) lgkmcnt(0)
	v_fmac_f64_e32 v[64:65], v[70:71], v[66:67]
	buffer_load_dword v67, off, s[0:3], 0 offset:236
	buffer_load_dword v66, off, s[0:3], 0 offset:232
	s_waitcnt vmcnt(0)
	v_fmac_f64_e32 v[64:65], v[66:67], v[68:69]
	v_add_f64 v[62:63], v[62:63], -v[64:65]
	buffer_store_dword v63, off, s[0:3], 0 offset:76
	buffer_store_dword v62, off, s[0:3], 0 offset:72
	s_and_saveexec_b64 s[4:5], vcc
	s_cbranch_execz .LBB93_171
; %bb.170:
	buffer_load_dword v62, off, s[0:3], 0 offset:64
	buffer_load_dword v63, off, s[0:3], 0 offset:68
	v_mov_b32_e32 v64, 0
	buffer_store_dword v64, off, s[0:3], 0 offset:64
	buffer_store_dword v64, off, s[0:3], 0 offset:68
	s_waitcnt vmcnt(2)
	ds_write_b64 v1, v[62:63]
.LBB93_171:
	s_or_b64 exec, exec, s[4:5]
	s_waitcnt lgkmcnt(0)
	; wave barrier
	s_waitcnt lgkmcnt(0)
	buffer_load_dword v62, off, s[0:3], 0 offset:64
	buffer_load_dword v63, off, s[0:3], 0 offset:68
	;; [unrolled: 1-line block ×16, first 2 shown]
	v_mov_b32_e32 v66, 0
	ds_read2_b64 v[68:71], v66 offset0:39 offset1:40
	v_cmp_lt_u32_e32 vcc, 7, v0
	s_waitcnt vmcnt(12) lgkmcnt(0)
	v_fma_f64 v[64:65], v[64:65], v[68:69], 0
	s_waitcnt vmcnt(10)
	v_fmac_f64_e32 v[64:65], v[72:73], v[70:71]
	ds_read2_b64 v[68:71], v66 offset0:41 offset1:42
	s_waitcnt vmcnt(8) lgkmcnt(0)
	v_fmac_f64_e32 v[64:65], v[74:75], v[68:69]
	s_waitcnt vmcnt(6)
	v_fmac_f64_e32 v[64:65], v[76:77], v[70:71]
	ds_read2_b64 v[68:71], v66 offset0:43 offset1:44
	s_waitcnt vmcnt(4) lgkmcnt(0)
	v_fmac_f64_e32 v[64:65], v[78:79], v[68:69]
	s_waitcnt vmcnt(2)
	v_fmac_f64_e32 v[64:65], v[80:81], v[70:71]
	ds_read2_b64 v[68:71], v66 offset0:45 offset1:46
	s_waitcnt vmcnt(0) lgkmcnt(0)
	v_fmac_f64_e32 v[64:65], v[82:83], v[68:69]
	buffer_load_dword v69, off, s[0:3], 0 offset:132
	buffer_load_dword v68, off, s[0:3], 0 offset:128
	buffer_load_dword v73, off, s[0:3], 0 offset:140
	buffer_load_dword v72, off, s[0:3], 0 offset:136
	s_waitcnt vmcnt(2)
	v_fmac_f64_e32 v[64:65], v[68:69], v[70:71]
	ds_read2_b64 v[68:71], v66 offset0:47 offset1:48
	s_waitcnt vmcnt(0) lgkmcnt(0)
	v_fmac_f64_e32 v[64:65], v[72:73], v[68:69]
	buffer_load_dword v69, off, s[0:3], 0 offset:148
	buffer_load_dword v68, off, s[0:3], 0 offset:144
	buffer_load_dword v73, off, s[0:3], 0 offset:156
	buffer_load_dword v72, off, s[0:3], 0 offset:152
	s_waitcnt vmcnt(2)
	v_fmac_f64_e32 v[64:65], v[68:69], v[70:71]
	ds_read2_b64 v[68:71], v66 offset0:49 offset1:50
	s_waitcnt vmcnt(0) lgkmcnt(0)
	v_fmac_f64_e32 v[64:65], v[72:73], v[68:69]
	;; [unrolled: 9-line block ×6, first 2 shown]
	buffer_load_dword v69, off, s[0:3], 0 offset:228
	buffer_load_dword v68, off, s[0:3], 0 offset:224
	s_waitcnt vmcnt(0)
	v_fmac_f64_e32 v[64:65], v[68:69], v[70:71]
	buffer_load_dword v69, off, s[0:3], 0 offset:236
	buffer_load_dword v68, off, s[0:3], 0 offset:232
	ds_read_b64 v[70:71], v66 offset:472
	s_waitcnt vmcnt(0) lgkmcnt(0)
	v_fmac_f64_e32 v[64:65], v[68:69], v[70:71]
	v_add_f64 v[62:63], v[62:63], -v[64:65]
	buffer_store_dword v63, off, s[0:3], 0 offset:68
	buffer_store_dword v62, off, s[0:3], 0 offset:64
	s_and_saveexec_b64 s[4:5], vcc
	s_cbranch_execz .LBB93_173
; %bb.172:
	buffer_load_dword v62, off, s[0:3], 0 offset:56
	buffer_load_dword v63, off, s[0:3], 0 offset:60
	s_waitcnt vmcnt(0)
	ds_write_b64 v1, v[62:63]
	buffer_store_dword v66, off, s[0:3], 0 offset:56
	buffer_store_dword v66, off, s[0:3], 0 offset:60
.LBB93_173:
	s_or_b64 exec, exec, s[4:5]
	s_waitcnt lgkmcnt(0)
	; wave barrier
	s_waitcnt lgkmcnt(0)
	buffer_load_dword v62, off, s[0:3], 0 offset:56
	buffer_load_dword v63, off, s[0:3], 0 offset:60
	;; [unrolled: 1-line block ×16, first 2 shown]
	ds_read_b128 v[68:71], v66 offset:304
	ds_read_b128 v[72:75], v66 offset:320
	;; [unrolled: 1-line block ×4, first 2 shown]
	v_cmp_lt_u32_e32 vcc, 6, v0
	s_waitcnt vmcnt(12) lgkmcnt(3)
	v_fma_f64 v[64:65], v[64:65], v[68:69], 0
	buffer_load_dword v69, off, s[0:3], 0 offset:124
	buffer_load_dword v68, off, s[0:3], 0 offset:120
	s_waitcnt vmcnt(12)
	v_fmac_f64_e32 v[64:65], v[84:85], v[70:71]
	s_waitcnt vmcnt(10) lgkmcnt(2)
	v_fmac_f64_e32 v[64:65], v[86:87], v[72:73]
	buffer_load_dword v73, off, s[0:3], 0 offset:132
	buffer_load_dword v72, off, s[0:3], 0 offset:128
	s_waitcnt vmcnt(10)
	v_fmac_f64_e32 v[64:65], v[88:89], v[74:75]
	s_waitcnt vmcnt(8) lgkmcnt(1)
	v_fmac_f64_e32 v[64:65], v[90:91], v[76:77]
	s_waitcnt vmcnt(6)
	v_fmac_f64_e32 v[64:65], v[92:93], v[78:79]
	s_waitcnt vmcnt(4) lgkmcnt(0)
	v_fmac_f64_e32 v[64:65], v[94:95], v[80:81]
	s_waitcnt vmcnt(2)
	v_fmac_f64_e32 v[64:65], v[68:69], v[82:83]
	ds_read_b128 v[68:71], v66 offset:368
	s_waitcnt vmcnt(0) lgkmcnt(0)
	v_fmac_f64_e32 v[64:65], v[72:73], v[68:69]
	buffer_load_dword v69, off, s[0:3], 0 offset:140
	buffer_load_dword v68, off, s[0:3], 0 offset:136
	buffer_load_dword v73, off, s[0:3], 0 offset:148
	buffer_load_dword v72, off, s[0:3], 0 offset:144
	s_waitcnt vmcnt(2)
	v_fmac_f64_e32 v[64:65], v[68:69], v[70:71]
	ds_read_b128 v[68:71], v66 offset:384
	s_waitcnt vmcnt(0) lgkmcnt(0)
	v_fmac_f64_e32 v[64:65], v[72:73], v[68:69]
	buffer_load_dword v69, off, s[0:3], 0 offset:156
	buffer_load_dword v68, off, s[0:3], 0 offset:152
	buffer_load_dword v73, off, s[0:3], 0 offset:164
	buffer_load_dword v72, off, s[0:3], 0 offset:160
	;; [unrolled: 9-line block ×5, first 2 shown]
	s_waitcnt vmcnt(2)
	v_fmac_f64_e32 v[64:65], v[68:69], v[70:71]
	ds_read_b128 v[68:71], v66 offset:448
	s_waitcnt vmcnt(0) lgkmcnt(0)
	v_fmac_f64_e32 v[64:65], v[72:73], v[68:69]
	buffer_load_dword v69, off, s[0:3], 0 offset:220
	buffer_load_dword v68, off, s[0:3], 0 offset:216
	s_waitcnt vmcnt(0)
	v_fmac_f64_e32 v[64:65], v[68:69], v[70:71]
	buffer_load_dword v71, off, s[0:3], 0 offset:228
	buffer_load_dword v70, off, s[0:3], 0 offset:224
	ds_read_b128 v[66:69], v66 offset:464
	s_waitcnt vmcnt(0) lgkmcnt(0)
	v_fmac_f64_e32 v[64:65], v[70:71], v[66:67]
	buffer_load_dword v67, off, s[0:3], 0 offset:236
	buffer_load_dword v66, off, s[0:3], 0 offset:232
	s_waitcnt vmcnt(0)
	v_fmac_f64_e32 v[64:65], v[66:67], v[68:69]
	v_add_f64 v[62:63], v[62:63], -v[64:65]
	buffer_store_dword v63, off, s[0:3], 0 offset:60
	buffer_store_dword v62, off, s[0:3], 0 offset:56
	s_and_saveexec_b64 s[4:5], vcc
	s_cbranch_execz .LBB93_175
; %bb.174:
	buffer_load_dword v62, off, s[0:3], 0 offset:48
	buffer_load_dword v63, off, s[0:3], 0 offset:52
	v_mov_b32_e32 v64, 0
	buffer_store_dword v64, off, s[0:3], 0 offset:48
	buffer_store_dword v64, off, s[0:3], 0 offset:52
	s_waitcnt vmcnt(2)
	ds_write_b64 v1, v[62:63]
.LBB93_175:
	s_or_b64 exec, exec, s[4:5]
	s_waitcnt lgkmcnt(0)
	; wave barrier
	s_waitcnt lgkmcnt(0)
	buffer_load_dword v62, off, s[0:3], 0 offset:48
	buffer_load_dword v63, off, s[0:3], 0 offset:52
	;; [unrolled: 1-line block ×16, first 2 shown]
	v_mov_b32_e32 v66, 0
	ds_read2_b64 v[68:71], v66 offset0:37 offset1:38
	v_cmp_lt_u32_e32 vcc, 5, v0
	s_waitcnt vmcnt(12) lgkmcnt(0)
	v_fma_f64 v[64:65], v[64:65], v[68:69], 0
	s_waitcnt vmcnt(10)
	v_fmac_f64_e32 v[64:65], v[72:73], v[70:71]
	ds_read2_b64 v[68:71], v66 offset0:39 offset1:40
	s_waitcnt vmcnt(8) lgkmcnt(0)
	v_fmac_f64_e32 v[64:65], v[74:75], v[68:69]
	s_waitcnt vmcnt(6)
	v_fmac_f64_e32 v[64:65], v[76:77], v[70:71]
	ds_read2_b64 v[68:71], v66 offset0:41 offset1:42
	s_waitcnt vmcnt(4) lgkmcnt(0)
	v_fmac_f64_e32 v[64:65], v[78:79], v[68:69]
	;; [unrolled: 5-line block ×3, first 2 shown]
	buffer_load_dword v69, off, s[0:3], 0 offset:116
	buffer_load_dword v68, off, s[0:3], 0 offset:112
	buffer_load_dword v73, off, s[0:3], 0 offset:124
	buffer_load_dword v72, off, s[0:3], 0 offset:120
	s_waitcnt vmcnt(2)
	v_fmac_f64_e32 v[64:65], v[68:69], v[70:71]
	ds_read2_b64 v[68:71], v66 offset0:45 offset1:46
	s_waitcnt vmcnt(0) lgkmcnt(0)
	v_fmac_f64_e32 v[64:65], v[72:73], v[68:69]
	buffer_load_dword v69, off, s[0:3], 0 offset:132
	buffer_load_dword v68, off, s[0:3], 0 offset:128
	buffer_load_dword v73, off, s[0:3], 0 offset:140
	buffer_load_dword v72, off, s[0:3], 0 offset:136
	s_waitcnt vmcnt(2)
	v_fmac_f64_e32 v[64:65], v[68:69], v[70:71]
	ds_read2_b64 v[68:71], v66 offset0:47 offset1:48
	s_waitcnt vmcnt(0) lgkmcnt(0)
	v_fmac_f64_e32 v[64:65], v[72:73], v[68:69]
	;; [unrolled: 9-line block ×7, first 2 shown]
	buffer_load_dword v69, off, s[0:3], 0 offset:228
	buffer_load_dword v68, off, s[0:3], 0 offset:224
	s_waitcnt vmcnt(0)
	v_fmac_f64_e32 v[64:65], v[68:69], v[70:71]
	buffer_load_dword v69, off, s[0:3], 0 offset:236
	buffer_load_dword v68, off, s[0:3], 0 offset:232
	ds_read_b64 v[70:71], v66 offset:472
	s_waitcnt vmcnt(0) lgkmcnt(0)
	v_fmac_f64_e32 v[64:65], v[68:69], v[70:71]
	v_add_f64 v[62:63], v[62:63], -v[64:65]
	buffer_store_dword v63, off, s[0:3], 0 offset:52
	buffer_store_dword v62, off, s[0:3], 0 offset:48
	s_and_saveexec_b64 s[4:5], vcc
	s_cbranch_execz .LBB93_177
; %bb.176:
	buffer_load_dword v62, off, s[0:3], 0 offset:40
	buffer_load_dword v63, off, s[0:3], 0 offset:44
	s_waitcnt vmcnt(0)
	ds_write_b64 v1, v[62:63]
	buffer_store_dword v66, off, s[0:3], 0 offset:40
	buffer_store_dword v66, off, s[0:3], 0 offset:44
.LBB93_177:
	s_or_b64 exec, exec, s[4:5]
	s_waitcnt lgkmcnt(0)
	; wave barrier
	s_waitcnt lgkmcnt(0)
	buffer_load_dword v62, off, s[0:3], 0 offset:40
	buffer_load_dword v63, off, s[0:3], 0 offset:44
	;; [unrolled: 1-line block ×16, first 2 shown]
	ds_read_b128 v[68:71], v66 offset:288
	ds_read_b128 v[72:75], v66 offset:304
	;; [unrolled: 1-line block ×4, first 2 shown]
	v_cmp_lt_u32_e32 vcc, 4, v0
	s_waitcnt vmcnt(12) lgkmcnt(3)
	v_fma_f64 v[64:65], v[64:65], v[68:69], 0
	buffer_load_dword v69, off, s[0:3], 0 offset:108
	buffer_load_dword v68, off, s[0:3], 0 offset:104
	s_waitcnt vmcnt(12)
	v_fmac_f64_e32 v[64:65], v[84:85], v[70:71]
	s_waitcnt vmcnt(10) lgkmcnt(2)
	v_fmac_f64_e32 v[64:65], v[86:87], v[72:73]
	buffer_load_dword v73, off, s[0:3], 0 offset:116
	buffer_load_dword v72, off, s[0:3], 0 offset:112
	s_waitcnt vmcnt(10)
	v_fmac_f64_e32 v[64:65], v[88:89], v[74:75]
	s_waitcnt vmcnt(8) lgkmcnt(1)
	v_fmac_f64_e32 v[64:65], v[90:91], v[76:77]
	s_waitcnt vmcnt(6)
	v_fmac_f64_e32 v[64:65], v[92:93], v[78:79]
	s_waitcnt vmcnt(4) lgkmcnt(0)
	v_fmac_f64_e32 v[64:65], v[94:95], v[80:81]
	s_waitcnt vmcnt(2)
	v_fmac_f64_e32 v[64:65], v[68:69], v[82:83]
	ds_read_b128 v[68:71], v66 offset:352
	s_waitcnt vmcnt(0) lgkmcnt(0)
	v_fmac_f64_e32 v[64:65], v[72:73], v[68:69]
	buffer_load_dword v69, off, s[0:3], 0 offset:124
	buffer_load_dword v68, off, s[0:3], 0 offset:120
	buffer_load_dword v73, off, s[0:3], 0 offset:132
	buffer_load_dword v72, off, s[0:3], 0 offset:128
	s_waitcnt vmcnt(2)
	v_fmac_f64_e32 v[64:65], v[68:69], v[70:71]
	ds_read_b128 v[68:71], v66 offset:368
	s_waitcnt vmcnt(0) lgkmcnt(0)
	v_fmac_f64_e32 v[64:65], v[72:73], v[68:69]
	buffer_load_dword v69, off, s[0:3], 0 offset:140
	buffer_load_dword v68, off, s[0:3], 0 offset:136
	buffer_load_dword v73, off, s[0:3], 0 offset:148
	buffer_load_dword v72, off, s[0:3], 0 offset:144
	;; [unrolled: 9-line block ×6, first 2 shown]
	s_waitcnt vmcnt(2)
	v_fmac_f64_e32 v[64:65], v[68:69], v[70:71]
	ds_read_b128 v[68:71], v66 offset:448
	s_waitcnt vmcnt(0) lgkmcnt(0)
	v_fmac_f64_e32 v[64:65], v[72:73], v[68:69]
	buffer_load_dword v69, off, s[0:3], 0 offset:220
	buffer_load_dword v68, off, s[0:3], 0 offset:216
	s_waitcnt vmcnt(0)
	v_fmac_f64_e32 v[64:65], v[68:69], v[70:71]
	buffer_load_dword v71, off, s[0:3], 0 offset:228
	buffer_load_dword v70, off, s[0:3], 0 offset:224
	ds_read_b128 v[66:69], v66 offset:464
	s_waitcnt vmcnt(0) lgkmcnt(0)
	v_fmac_f64_e32 v[64:65], v[70:71], v[66:67]
	buffer_load_dword v67, off, s[0:3], 0 offset:236
	buffer_load_dword v66, off, s[0:3], 0 offset:232
	s_waitcnt vmcnt(0)
	v_fmac_f64_e32 v[64:65], v[66:67], v[68:69]
	v_add_f64 v[62:63], v[62:63], -v[64:65]
	buffer_store_dword v63, off, s[0:3], 0 offset:44
	buffer_store_dword v62, off, s[0:3], 0 offset:40
	s_and_saveexec_b64 s[4:5], vcc
	s_cbranch_execz .LBB93_179
; %bb.178:
	buffer_load_dword v62, off, s[0:3], 0 offset:32
	buffer_load_dword v63, off, s[0:3], 0 offset:36
	v_mov_b32_e32 v64, 0
	buffer_store_dword v64, off, s[0:3], 0 offset:32
	buffer_store_dword v64, off, s[0:3], 0 offset:36
	s_waitcnt vmcnt(2)
	ds_write_b64 v1, v[62:63]
.LBB93_179:
	s_or_b64 exec, exec, s[4:5]
	s_waitcnt lgkmcnt(0)
	; wave barrier
	s_waitcnt lgkmcnt(0)
	buffer_load_dword v62, off, s[0:3], 0 offset:32
	buffer_load_dword v63, off, s[0:3], 0 offset:36
	;; [unrolled: 1-line block ×16, first 2 shown]
	v_mov_b32_e32 v66, 0
	ds_read2_b64 v[68:71], v66 offset0:35 offset1:36
	v_cmp_lt_u32_e32 vcc, 3, v0
	s_waitcnt vmcnt(12) lgkmcnt(0)
	v_fma_f64 v[64:65], v[64:65], v[68:69], 0
	s_waitcnt vmcnt(10)
	v_fmac_f64_e32 v[64:65], v[72:73], v[70:71]
	ds_read2_b64 v[68:71], v66 offset0:37 offset1:38
	s_waitcnt vmcnt(8) lgkmcnt(0)
	v_fmac_f64_e32 v[64:65], v[74:75], v[68:69]
	s_waitcnt vmcnt(6)
	v_fmac_f64_e32 v[64:65], v[76:77], v[70:71]
	ds_read2_b64 v[68:71], v66 offset0:39 offset1:40
	s_waitcnt vmcnt(4) lgkmcnt(0)
	v_fmac_f64_e32 v[64:65], v[78:79], v[68:69]
	;; [unrolled: 5-line block ×3, first 2 shown]
	buffer_load_dword v69, off, s[0:3], 0 offset:100
	buffer_load_dword v68, off, s[0:3], 0 offset:96
	buffer_load_dword v73, off, s[0:3], 0 offset:108
	buffer_load_dword v72, off, s[0:3], 0 offset:104
	s_waitcnt vmcnt(2)
	v_fmac_f64_e32 v[64:65], v[68:69], v[70:71]
	ds_read2_b64 v[68:71], v66 offset0:43 offset1:44
	s_waitcnt vmcnt(0) lgkmcnt(0)
	v_fmac_f64_e32 v[64:65], v[72:73], v[68:69]
	buffer_load_dword v69, off, s[0:3], 0 offset:116
	buffer_load_dword v68, off, s[0:3], 0 offset:112
	buffer_load_dword v73, off, s[0:3], 0 offset:124
	buffer_load_dword v72, off, s[0:3], 0 offset:120
	s_waitcnt vmcnt(2)
	v_fmac_f64_e32 v[64:65], v[68:69], v[70:71]
	ds_read2_b64 v[68:71], v66 offset0:45 offset1:46
	s_waitcnt vmcnt(0) lgkmcnt(0)
	v_fmac_f64_e32 v[64:65], v[72:73], v[68:69]
	;; [unrolled: 9-line block ×8, first 2 shown]
	buffer_load_dword v69, off, s[0:3], 0 offset:228
	buffer_load_dword v68, off, s[0:3], 0 offset:224
	s_waitcnt vmcnt(0)
	v_fmac_f64_e32 v[64:65], v[68:69], v[70:71]
	buffer_load_dword v69, off, s[0:3], 0 offset:236
	buffer_load_dword v68, off, s[0:3], 0 offset:232
	ds_read_b64 v[70:71], v66 offset:472
	s_waitcnt vmcnt(0) lgkmcnt(0)
	v_fmac_f64_e32 v[64:65], v[68:69], v[70:71]
	v_add_f64 v[62:63], v[62:63], -v[64:65]
	buffer_store_dword v63, off, s[0:3], 0 offset:36
	buffer_store_dword v62, off, s[0:3], 0 offset:32
	s_and_saveexec_b64 s[4:5], vcc
	s_cbranch_execz .LBB93_181
; %bb.180:
	buffer_load_dword v62, off, s[0:3], 0 offset:24
	buffer_load_dword v63, off, s[0:3], 0 offset:28
	s_waitcnt vmcnt(0)
	ds_write_b64 v1, v[62:63]
	buffer_store_dword v66, off, s[0:3], 0 offset:24
	buffer_store_dword v66, off, s[0:3], 0 offset:28
.LBB93_181:
	s_or_b64 exec, exec, s[4:5]
	s_waitcnt lgkmcnt(0)
	; wave barrier
	s_waitcnt lgkmcnt(0)
	buffer_load_dword v62, off, s[0:3], 0 offset:24
	buffer_load_dword v63, off, s[0:3], 0 offset:28
	;; [unrolled: 1-line block ×16, first 2 shown]
	ds_read_b128 v[68:71], v66 offset:272
	ds_read_b128 v[72:75], v66 offset:288
	;; [unrolled: 1-line block ×4, first 2 shown]
	v_cmp_lt_u32_e32 vcc, 2, v0
	s_waitcnt vmcnt(12) lgkmcnt(3)
	v_fma_f64 v[64:65], v[64:65], v[68:69], 0
	buffer_load_dword v69, off, s[0:3], 0 offset:92
	buffer_load_dword v68, off, s[0:3], 0 offset:88
	s_waitcnt vmcnt(12)
	v_fmac_f64_e32 v[64:65], v[84:85], v[70:71]
	s_waitcnt vmcnt(10) lgkmcnt(2)
	v_fmac_f64_e32 v[64:65], v[86:87], v[72:73]
	buffer_load_dword v73, off, s[0:3], 0 offset:100
	buffer_load_dword v72, off, s[0:3], 0 offset:96
	s_waitcnt vmcnt(10)
	v_fmac_f64_e32 v[64:65], v[88:89], v[74:75]
	s_waitcnt vmcnt(8) lgkmcnt(1)
	v_fmac_f64_e32 v[64:65], v[90:91], v[76:77]
	s_waitcnt vmcnt(6)
	v_fmac_f64_e32 v[64:65], v[92:93], v[78:79]
	s_waitcnt vmcnt(4) lgkmcnt(0)
	v_fmac_f64_e32 v[64:65], v[94:95], v[80:81]
	s_waitcnt vmcnt(2)
	v_fmac_f64_e32 v[64:65], v[68:69], v[82:83]
	ds_read_b128 v[68:71], v66 offset:336
	s_waitcnt vmcnt(0) lgkmcnt(0)
	v_fmac_f64_e32 v[64:65], v[72:73], v[68:69]
	buffer_load_dword v69, off, s[0:3], 0 offset:108
	buffer_load_dword v68, off, s[0:3], 0 offset:104
	buffer_load_dword v73, off, s[0:3], 0 offset:116
	buffer_load_dword v72, off, s[0:3], 0 offset:112
	s_waitcnt vmcnt(2)
	v_fmac_f64_e32 v[64:65], v[68:69], v[70:71]
	ds_read_b128 v[68:71], v66 offset:352
	s_waitcnt vmcnt(0) lgkmcnt(0)
	v_fmac_f64_e32 v[64:65], v[72:73], v[68:69]
	buffer_load_dword v69, off, s[0:3], 0 offset:124
	buffer_load_dword v68, off, s[0:3], 0 offset:120
	buffer_load_dword v73, off, s[0:3], 0 offset:132
	buffer_load_dword v72, off, s[0:3], 0 offset:128
	;; [unrolled: 9-line block ×7, first 2 shown]
	s_waitcnt vmcnt(2)
	v_fmac_f64_e32 v[64:65], v[68:69], v[70:71]
	ds_read_b128 v[68:71], v66 offset:448
	s_waitcnt vmcnt(0) lgkmcnt(0)
	v_fmac_f64_e32 v[64:65], v[72:73], v[68:69]
	buffer_load_dword v69, off, s[0:3], 0 offset:220
	buffer_load_dword v68, off, s[0:3], 0 offset:216
	s_waitcnt vmcnt(0)
	v_fmac_f64_e32 v[64:65], v[68:69], v[70:71]
	buffer_load_dword v71, off, s[0:3], 0 offset:228
	buffer_load_dword v70, off, s[0:3], 0 offset:224
	ds_read_b128 v[66:69], v66 offset:464
	s_waitcnt vmcnt(0) lgkmcnt(0)
	v_fmac_f64_e32 v[64:65], v[70:71], v[66:67]
	buffer_load_dword v67, off, s[0:3], 0 offset:236
	buffer_load_dword v66, off, s[0:3], 0 offset:232
	s_waitcnt vmcnt(0)
	v_fmac_f64_e32 v[64:65], v[66:67], v[68:69]
	v_add_f64 v[62:63], v[62:63], -v[64:65]
	buffer_store_dword v63, off, s[0:3], 0 offset:28
	buffer_store_dword v62, off, s[0:3], 0 offset:24
	s_and_saveexec_b64 s[4:5], vcc
	s_cbranch_execz .LBB93_183
; %bb.182:
	buffer_load_dword v62, off, s[0:3], 0 offset:16
	buffer_load_dword v63, off, s[0:3], 0 offset:20
	v_mov_b32_e32 v64, 0
	buffer_store_dword v64, off, s[0:3], 0 offset:16
	buffer_store_dword v64, off, s[0:3], 0 offset:20
	s_waitcnt vmcnt(2)
	ds_write_b64 v1, v[62:63]
.LBB93_183:
	s_or_b64 exec, exec, s[4:5]
	s_waitcnt lgkmcnt(0)
	; wave barrier
	s_waitcnt lgkmcnt(0)
	buffer_load_dword v62, off, s[0:3], 0 offset:16
	buffer_load_dword v63, off, s[0:3], 0 offset:20
	buffer_load_dword v64, off, s[0:3], 0 offset:24
	buffer_load_dword v65, off, s[0:3], 0 offset:28
	buffer_load_dword v72, off, s[0:3], 0 offset:32
	buffer_load_dword v73, off, s[0:3], 0 offset:36
	buffer_load_dword v74, off, s[0:3], 0 offset:40
	buffer_load_dword v75, off, s[0:3], 0 offset:44
	buffer_load_dword v76, off, s[0:3], 0 offset:48
	buffer_load_dword v77, off, s[0:3], 0 offset:52
	buffer_load_dword v78, off, s[0:3], 0 offset:56
	buffer_load_dword v79, off, s[0:3], 0 offset:60
	buffer_load_dword v80, off, s[0:3], 0 offset:64
	buffer_load_dword v81, off, s[0:3], 0 offset:68
	buffer_load_dword v82, off, s[0:3], 0 offset:72
	buffer_load_dword v83, off, s[0:3], 0 offset:76
	v_mov_b32_e32 v66, 0
	ds_read2_b64 v[68:71], v66 offset0:33 offset1:34
	v_cmp_lt_u32_e32 vcc, 1, v0
	s_waitcnt vmcnt(12) lgkmcnt(0)
	v_fma_f64 v[64:65], v[64:65], v[68:69], 0
	s_waitcnt vmcnt(10)
	v_fmac_f64_e32 v[64:65], v[72:73], v[70:71]
	ds_read2_b64 v[68:71], v66 offset0:35 offset1:36
	s_waitcnt vmcnt(8) lgkmcnt(0)
	v_fmac_f64_e32 v[64:65], v[74:75], v[68:69]
	s_waitcnt vmcnt(6)
	v_fmac_f64_e32 v[64:65], v[76:77], v[70:71]
	ds_read2_b64 v[68:71], v66 offset0:37 offset1:38
	s_waitcnt vmcnt(4) lgkmcnt(0)
	v_fmac_f64_e32 v[64:65], v[78:79], v[68:69]
	;; [unrolled: 5-line block ×3, first 2 shown]
	buffer_load_dword v69, off, s[0:3], 0 offset:84
	buffer_load_dword v68, off, s[0:3], 0 offset:80
	buffer_load_dword v73, off, s[0:3], 0 offset:92
	buffer_load_dword v72, off, s[0:3], 0 offset:88
	s_waitcnt vmcnt(2)
	v_fmac_f64_e32 v[64:65], v[68:69], v[70:71]
	ds_read2_b64 v[68:71], v66 offset0:41 offset1:42
	s_waitcnt vmcnt(0) lgkmcnt(0)
	v_fmac_f64_e32 v[64:65], v[72:73], v[68:69]
	buffer_load_dword v69, off, s[0:3], 0 offset:100
	buffer_load_dword v68, off, s[0:3], 0 offset:96
	buffer_load_dword v73, off, s[0:3], 0 offset:108
	buffer_load_dword v72, off, s[0:3], 0 offset:104
	s_waitcnt vmcnt(2)
	v_fmac_f64_e32 v[64:65], v[68:69], v[70:71]
	ds_read2_b64 v[68:71], v66 offset0:43 offset1:44
	s_waitcnt vmcnt(0) lgkmcnt(0)
	v_fmac_f64_e32 v[64:65], v[72:73], v[68:69]
	buffer_load_dword v69, off, s[0:3], 0 offset:116
	buffer_load_dword v68, off, s[0:3], 0 offset:112
	buffer_load_dword v73, off, s[0:3], 0 offset:124
	buffer_load_dword v72, off, s[0:3], 0 offset:120
	s_waitcnt vmcnt(2)
	v_fmac_f64_e32 v[64:65], v[68:69], v[70:71]
	ds_read2_b64 v[68:71], v66 offset0:45 offset1:46
	s_waitcnt vmcnt(0) lgkmcnt(0)
	v_fmac_f64_e32 v[64:65], v[72:73], v[68:69]
	buffer_load_dword v69, off, s[0:3], 0 offset:132
	buffer_load_dword v68, off, s[0:3], 0 offset:128
	buffer_load_dword v73, off, s[0:3], 0 offset:140
	buffer_load_dword v72, off, s[0:3], 0 offset:136
	s_waitcnt vmcnt(2)
	v_fmac_f64_e32 v[64:65], v[68:69], v[70:71]
	ds_read2_b64 v[68:71], v66 offset0:47 offset1:48
	s_waitcnt vmcnt(0) lgkmcnt(0)
	v_fmac_f64_e32 v[64:65], v[72:73], v[68:69]
	buffer_load_dword v69, off, s[0:3], 0 offset:148
	buffer_load_dword v68, off, s[0:3], 0 offset:144
	buffer_load_dword v73, off, s[0:3], 0 offset:156
	buffer_load_dword v72, off, s[0:3], 0 offset:152
	s_waitcnt vmcnt(2)
	v_fmac_f64_e32 v[64:65], v[68:69], v[70:71]
	ds_read2_b64 v[68:71], v66 offset0:49 offset1:50
	s_waitcnt vmcnt(0) lgkmcnt(0)
	v_fmac_f64_e32 v[64:65], v[72:73], v[68:69]
	buffer_load_dword v69, off, s[0:3], 0 offset:164
	buffer_load_dword v68, off, s[0:3], 0 offset:160
	buffer_load_dword v73, off, s[0:3], 0 offset:172
	buffer_load_dword v72, off, s[0:3], 0 offset:168
	s_waitcnt vmcnt(2)
	v_fmac_f64_e32 v[64:65], v[68:69], v[70:71]
	ds_read2_b64 v[68:71], v66 offset0:51 offset1:52
	s_waitcnt vmcnt(0) lgkmcnt(0)
	v_fmac_f64_e32 v[64:65], v[72:73], v[68:69]
	buffer_load_dword v69, off, s[0:3], 0 offset:180
	buffer_load_dword v68, off, s[0:3], 0 offset:176
	buffer_load_dword v73, off, s[0:3], 0 offset:188
	buffer_load_dword v72, off, s[0:3], 0 offset:184
	s_waitcnt vmcnt(2)
	v_fmac_f64_e32 v[64:65], v[68:69], v[70:71]
	ds_read2_b64 v[68:71], v66 offset0:53 offset1:54
	s_waitcnt vmcnt(0) lgkmcnt(0)
	v_fmac_f64_e32 v[64:65], v[72:73], v[68:69]
	buffer_load_dword v69, off, s[0:3], 0 offset:196
	buffer_load_dword v68, off, s[0:3], 0 offset:192
	buffer_load_dword v73, off, s[0:3], 0 offset:204
	buffer_load_dword v72, off, s[0:3], 0 offset:200
	s_waitcnt vmcnt(2)
	v_fmac_f64_e32 v[64:65], v[68:69], v[70:71]
	ds_read2_b64 v[68:71], v66 offset0:55 offset1:56
	s_waitcnt vmcnt(0) lgkmcnt(0)
	v_fmac_f64_e32 v[64:65], v[72:73], v[68:69]
	buffer_load_dword v69, off, s[0:3], 0 offset:212
	buffer_load_dword v68, off, s[0:3], 0 offset:208
	buffer_load_dword v73, off, s[0:3], 0 offset:220
	buffer_load_dword v72, off, s[0:3], 0 offset:216
	s_waitcnt vmcnt(2)
	v_fmac_f64_e32 v[64:65], v[68:69], v[70:71]
	ds_read2_b64 v[68:71], v66 offset0:57 offset1:58
	s_waitcnt vmcnt(0) lgkmcnt(0)
	v_fmac_f64_e32 v[64:65], v[72:73], v[68:69]
	buffer_load_dword v69, off, s[0:3], 0 offset:228
	buffer_load_dword v68, off, s[0:3], 0 offset:224
	s_waitcnt vmcnt(0)
	v_fmac_f64_e32 v[64:65], v[68:69], v[70:71]
	buffer_load_dword v69, off, s[0:3], 0 offset:236
	buffer_load_dword v68, off, s[0:3], 0 offset:232
	ds_read_b64 v[70:71], v66 offset:472
	s_waitcnt vmcnt(0) lgkmcnt(0)
	v_fmac_f64_e32 v[64:65], v[68:69], v[70:71]
	v_add_f64 v[62:63], v[62:63], -v[64:65]
	buffer_store_dword v63, off, s[0:3], 0 offset:20
	buffer_store_dword v62, off, s[0:3], 0 offset:16
	s_and_saveexec_b64 s[4:5], vcc
	s_cbranch_execz .LBB93_185
; %bb.184:
	buffer_load_dword v62, off, s[0:3], 0 offset:8
	buffer_load_dword v63, off, s[0:3], 0 offset:12
	s_waitcnt vmcnt(0)
	ds_write_b64 v1, v[62:63]
	buffer_store_dword v66, off, s[0:3], 0 offset:8
	buffer_store_dword v66, off, s[0:3], 0 offset:12
.LBB93_185:
	s_or_b64 exec, exec, s[4:5]
	s_waitcnt lgkmcnt(0)
	; wave barrier
	s_waitcnt lgkmcnt(0)
	buffer_load_dword v62, off, s[0:3], 0 offset:8
	buffer_load_dword v63, off, s[0:3], 0 offset:12
	;; [unrolled: 1-line block ×16, first 2 shown]
	ds_read_b128 v[68:71], v66 offset:256
	ds_read_b128 v[72:75], v66 offset:272
	;; [unrolled: 1-line block ×4, first 2 shown]
	v_cmp_ne_u32_e32 vcc, 0, v0
	s_waitcnt vmcnt(12) lgkmcnt(3)
	v_fma_f64 v[64:65], v[64:65], v[68:69], 0
	buffer_load_dword v69, off, s[0:3], 0 offset:76
	buffer_load_dword v68, off, s[0:3], 0 offset:72
	s_waitcnt vmcnt(12)
	v_fmac_f64_e32 v[64:65], v[84:85], v[70:71]
	s_waitcnt vmcnt(10) lgkmcnt(2)
	v_fmac_f64_e32 v[64:65], v[86:87], v[72:73]
	buffer_load_dword v73, off, s[0:3], 0 offset:84
	buffer_load_dword v72, off, s[0:3], 0 offset:80
	s_waitcnt vmcnt(10)
	v_fmac_f64_e32 v[64:65], v[88:89], v[74:75]
	s_waitcnt vmcnt(8) lgkmcnt(1)
	v_fmac_f64_e32 v[64:65], v[90:91], v[76:77]
	s_waitcnt vmcnt(6)
	v_fmac_f64_e32 v[64:65], v[92:93], v[78:79]
	s_waitcnt vmcnt(4) lgkmcnt(0)
	v_fmac_f64_e32 v[64:65], v[94:95], v[80:81]
	s_waitcnt vmcnt(2)
	v_fmac_f64_e32 v[64:65], v[68:69], v[82:83]
	ds_read_b128 v[68:71], v66 offset:320
	s_waitcnt vmcnt(0) lgkmcnt(0)
	v_fmac_f64_e32 v[64:65], v[72:73], v[68:69]
	buffer_load_dword v69, off, s[0:3], 0 offset:92
	buffer_load_dword v68, off, s[0:3], 0 offset:88
	buffer_load_dword v73, off, s[0:3], 0 offset:100
	buffer_load_dword v72, off, s[0:3], 0 offset:96
	s_waitcnt vmcnt(2)
	v_fmac_f64_e32 v[64:65], v[68:69], v[70:71]
	ds_read_b128 v[68:71], v66 offset:336
	s_waitcnt vmcnt(0) lgkmcnt(0)
	v_fmac_f64_e32 v[64:65], v[72:73], v[68:69]
	buffer_load_dword v69, off, s[0:3], 0 offset:108
	buffer_load_dword v68, off, s[0:3], 0 offset:104
	buffer_load_dword v73, off, s[0:3], 0 offset:116
	buffer_load_dword v72, off, s[0:3], 0 offset:112
	;; [unrolled: 9-line block ×8, first 2 shown]
	s_waitcnt vmcnt(2)
	v_fmac_f64_e32 v[64:65], v[68:69], v[70:71]
	ds_read_b128 v[68:71], v66 offset:448
	s_waitcnt vmcnt(0) lgkmcnt(0)
	v_fmac_f64_e32 v[64:65], v[72:73], v[68:69]
	buffer_load_dword v69, off, s[0:3], 0 offset:220
	buffer_load_dword v68, off, s[0:3], 0 offset:216
	s_waitcnt vmcnt(0)
	v_fmac_f64_e32 v[64:65], v[68:69], v[70:71]
	buffer_load_dword v71, off, s[0:3], 0 offset:228
	buffer_load_dword v70, off, s[0:3], 0 offset:224
	ds_read_b128 v[66:69], v66 offset:464
	s_waitcnt vmcnt(0) lgkmcnt(0)
	v_fmac_f64_e32 v[64:65], v[70:71], v[66:67]
	buffer_load_dword v67, off, s[0:3], 0 offset:236
	buffer_load_dword v66, off, s[0:3], 0 offset:232
	s_waitcnt vmcnt(0)
	v_fmac_f64_e32 v[64:65], v[66:67], v[68:69]
	v_add_f64 v[62:63], v[62:63], -v[64:65]
	buffer_store_dword v63, off, s[0:3], 0 offset:12
	buffer_store_dword v62, off, s[0:3], 0 offset:8
	s_and_saveexec_b64 s[4:5], vcc
	s_cbranch_execz .LBB93_187
; %bb.186:
	buffer_load_dword v62, off, s[0:3], 0
	buffer_load_dword v63, off, s[0:3], 0 offset:4
	v_mov_b32_e32 v0, 0
	buffer_store_dword v0, off, s[0:3], 0
	buffer_store_dword v0, off, s[0:3], 0 offset:4
	s_waitcnt vmcnt(2)
	ds_write_b64 v1, v[62:63]
.LBB93_187:
	s_or_b64 exec, exec, s[4:5]
	s_waitcnt lgkmcnt(0)
	; wave barrier
	s_waitcnt lgkmcnt(0)
	buffer_load_dword v0, off, s[0:3], 0
	buffer_load_dword v1, off, s[0:3], 0 offset:4
	buffer_load_dword v66, off, s[0:3], 0 offset:8
	;; [unrolled: 1-line block ×15, first 2 shown]
	v_mov_b32_e32 v80, 0
	ds_read2_b64 v[62:65], v80 offset0:31 offset1:32
	s_and_b64 vcc, exec, s[16:17]
	s_waitcnt vmcnt(12) lgkmcnt(0)
	v_fma_f64 v[62:63], v[66:67], v[62:63], 0
	s_waitcnt vmcnt(10)
	v_fmac_f64_e32 v[62:63], v[68:69], v[64:65]
	ds_read2_b64 v[64:67], v80 offset0:33 offset1:34
	s_waitcnt vmcnt(8) lgkmcnt(0)
	v_fmac_f64_e32 v[62:63], v[70:71], v[64:65]
	s_waitcnt vmcnt(6)
	v_fmac_f64_e32 v[62:63], v[72:73], v[66:67]
	ds_read2_b64 v[64:67], v80 offset0:35 offset1:36
	s_waitcnt vmcnt(4) lgkmcnt(0)
	v_fmac_f64_e32 v[62:63], v[74:75], v[64:65]
	;; [unrolled: 5-line block ×3, first 2 shown]
	buffer_load_dword v65, off, s[0:3], 0 offset:68
	buffer_load_dword v64, off, s[0:3], 0 offset:64
	buffer_load_dword v69, off, s[0:3], 0 offset:76
	buffer_load_dword v68, off, s[0:3], 0 offset:72
	s_waitcnt vmcnt(2)
	v_fmac_f64_e32 v[62:63], v[64:65], v[66:67]
	ds_read2_b64 v[64:67], v80 offset0:39 offset1:40
	s_waitcnt vmcnt(0) lgkmcnt(0)
	v_fmac_f64_e32 v[62:63], v[68:69], v[64:65]
	buffer_load_dword v65, off, s[0:3], 0 offset:84
	buffer_load_dword v64, off, s[0:3], 0 offset:80
	buffer_load_dword v69, off, s[0:3], 0 offset:92
	buffer_load_dword v68, off, s[0:3], 0 offset:88
	s_waitcnt vmcnt(2)
	v_fmac_f64_e32 v[62:63], v[64:65], v[66:67]
	ds_read2_b64 v[64:67], v80 offset0:41 offset1:42
	s_waitcnt vmcnt(0) lgkmcnt(0)
	v_fmac_f64_e32 v[62:63], v[68:69], v[64:65]
	buffer_load_dword v65, off, s[0:3], 0 offset:100
	buffer_load_dword v64, off, s[0:3], 0 offset:96
	buffer_load_dword v69, off, s[0:3], 0 offset:108
	buffer_load_dword v68, off, s[0:3], 0 offset:104
	s_waitcnt vmcnt(2)
	v_fmac_f64_e32 v[62:63], v[64:65], v[66:67]
	ds_read2_b64 v[64:67], v80 offset0:43 offset1:44
	s_waitcnt vmcnt(0) lgkmcnt(0)
	v_fmac_f64_e32 v[62:63], v[68:69], v[64:65]
	buffer_load_dword v65, off, s[0:3], 0 offset:116
	buffer_load_dword v64, off, s[0:3], 0 offset:112
	buffer_load_dword v69, off, s[0:3], 0 offset:124
	buffer_load_dword v68, off, s[0:3], 0 offset:120
	s_waitcnt vmcnt(2)
	v_fmac_f64_e32 v[62:63], v[64:65], v[66:67]
	ds_read2_b64 v[64:67], v80 offset0:45 offset1:46
	s_waitcnt vmcnt(0) lgkmcnt(0)
	v_fmac_f64_e32 v[62:63], v[68:69], v[64:65]
	buffer_load_dword v65, off, s[0:3], 0 offset:132
	buffer_load_dword v64, off, s[0:3], 0 offset:128
	buffer_load_dword v69, off, s[0:3], 0 offset:140
	buffer_load_dword v68, off, s[0:3], 0 offset:136
	s_waitcnt vmcnt(2)
	v_fmac_f64_e32 v[62:63], v[64:65], v[66:67]
	ds_read2_b64 v[64:67], v80 offset0:47 offset1:48
	s_waitcnt vmcnt(0) lgkmcnt(0)
	v_fmac_f64_e32 v[62:63], v[68:69], v[64:65]
	buffer_load_dword v65, off, s[0:3], 0 offset:148
	buffer_load_dword v64, off, s[0:3], 0 offset:144
	buffer_load_dword v69, off, s[0:3], 0 offset:156
	buffer_load_dword v68, off, s[0:3], 0 offset:152
	s_waitcnt vmcnt(2)
	v_fmac_f64_e32 v[62:63], v[64:65], v[66:67]
	ds_read2_b64 v[64:67], v80 offset0:49 offset1:50
	s_waitcnt vmcnt(0) lgkmcnt(0)
	v_fmac_f64_e32 v[62:63], v[68:69], v[64:65]
	buffer_load_dword v65, off, s[0:3], 0 offset:164
	buffer_load_dword v64, off, s[0:3], 0 offset:160
	buffer_load_dword v69, off, s[0:3], 0 offset:172
	buffer_load_dword v68, off, s[0:3], 0 offset:168
	s_waitcnt vmcnt(2)
	v_fmac_f64_e32 v[62:63], v[64:65], v[66:67]
	ds_read2_b64 v[64:67], v80 offset0:51 offset1:52
	s_waitcnt vmcnt(0) lgkmcnt(0)
	v_fmac_f64_e32 v[62:63], v[68:69], v[64:65]
	buffer_load_dword v65, off, s[0:3], 0 offset:180
	buffer_load_dword v64, off, s[0:3], 0 offset:176
	buffer_load_dword v69, off, s[0:3], 0 offset:188
	buffer_load_dword v68, off, s[0:3], 0 offset:184
	s_waitcnt vmcnt(2)
	v_fmac_f64_e32 v[62:63], v[64:65], v[66:67]
	ds_read2_b64 v[64:67], v80 offset0:53 offset1:54
	s_waitcnt vmcnt(0) lgkmcnt(0)
	v_fmac_f64_e32 v[62:63], v[68:69], v[64:65]
	buffer_load_dword v65, off, s[0:3], 0 offset:196
	buffer_load_dword v64, off, s[0:3], 0 offset:192
	buffer_load_dword v69, off, s[0:3], 0 offset:204
	buffer_load_dword v68, off, s[0:3], 0 offset:200
	s_waitcnt vmcnt(2)
	v_fmac_f64_e32 v[62:63], v[64:65], v[66:67]
	ds_read2_b64 v[64:67], v80 offset0:55 offset1:56
	s_waitcnt vmcnt(0) lgkmcnt(0)
	v_fmac_f64_e32 v[62:63], v[68:69], v[64:65]
	buffer_load_dword v65, off, s[0:3], 0 offset:212
	buffer_load_dword v64, off, s[0:3], 0 offset:208
	buffer_load_dword v69, off, s[0:3], 0 offset:220
	buffer_load_dword v68, off, s[0:3], 0 offset:216
	s_waitcnt vmcnt(2)
	v_fmac_f64_e32 v[62:63], v[64:65], v[66:67]
	ds_read2_b64 v[64:67], v80 offset0:57 offset1:58
	s_waitcnt vmcnt(0) lgkmcnt(0)
	v_fmac_f64_e32 v[62:63], v[68:69], v[64:65]
	buffer_load_dword v65, off, s[0:3], 0 offset:228
	buffer_load_dword v64, off, s[0:3], 0 offset:224
	s_waitcnt vmcnt(0)
	v_fmac_f64_e32 v[62:63], v[64:65], v[66:67]
	buffer_load_dword v67, off, s[0:3], 0 offset:236
	buffer_load_dword v66, off, s[0:3], 0 offset:232
	ds_read_b64 v[68:69], v80 offset:472
	s_waitcnt vmcnt(0) lgkmcnt(0)
	v_fmac_f64_e32 v[62:63], v[66:67], v[68:69]
	v_add_f64 v[0:1], v[0:1], -v[62:63]
	buffer_store_dword v1, off, s[0:3], 0 offset:4
	buffer_store_dword v0, off, s[0:3], 0
	s_cbranch_vccz .LBB93_247
; %bb.188:
	v_pk_mov_b32 v[0:1], s[10:11], s[10:11] op_sel:[0,1]
	flat_load_dword v0, v[0:1] offset:112
	s_waitcnt vmcnt(0) lgkmcnt(0)
	v_add_u32_e32 v0, -1, v0
	v_cmp_ne_u32_e32 vcc, 28, v0
	s_and_saveexec_b64 s[4:5], vcc
	s_cbranch_execz .LBB93_190
; %bb.189:
	v_mov_b32_e32 v1, 0
	v_lshl_add_u32 v0, v0, 3, v1
	buffer_load_dword v1, v0, s[0:3], 0 offen offset:4
	buffer_load_dword v62, v0, s[0:3], 0 offen
	s_waitcnt vmcnt(1)
	buffer_store_dword v1, off, s[0:3], 0 offset:228
	s_waitcnt vmcnt(1)
	buffer_store_dword v62, off, s[0:3], 0 offset:224
	buffer_store_dword v65, v0, s[0:3], 0 offen offset:4
	buffer_store_dword v64, v0, s[0:3], 0 offen
.LBB93_190:
	s_or_b64 exec, exec, s[4:5]
	v_pk_mov_b32 v[0:1], s[10:11], s[10:11] op_sel:[0,1]
	flat_load_dword v0, v[0:1] offset:108
	s_waitcnt vmcnt(0) lgkmcnt(0)
	v_add_u32_e32 v0, -1, v0
	v_cmp_ne_u32_e32 vcc, 27, v0
	s_and_saveexec_b64 s[4:5], vcc
	s_cbranch_execz .LBB93_192
; %bb.191:
	v_mov_b32_e32 v1, 0
	v_lshl_add_u32 v0, v0, 3, v1
	buffer_load_dword v1, v0, s[0:3], 0 offen
	buffer_load_dword v62, v0, s[0:3], 0 offen offset:4
	buffer_load_dword v63, off, s[0:3], 0 offset:216
	buffer_load_dword v64, off, s[0:3], 0 offset:220
	s_waitcnt vmcnt(3)
	buffer_store_dword v1, off, s[0:3], 0 offset:216
	s_waitcnt vmcnt(3)
	buffer_store_dword v62, off, s[0:3], 0 offset:220
	s_waitcnt vmcnt(3)
	buffer_store_dword v63, v0, s[0:3], 0 offen
	s_waitcnt vmcnt(3)
	buffer_store_dword v64, v0, s[0:3], 0 offen offset:4
.LBB93_192:
	s_or_b64 exec, exec, s[4:5]
	v_pk_mov_b32 v[0:1], s[10:11], s[10:11] op_sel:[0,1]
	flat_load_dword v0, v[0:1] offset:104
	s_waitcnt vmcnt(0) lgkmcnt(0)
	v_add_u32_e32 v0, -1, v0
	v_cmp_ne_u32_e32 vcc, 26, v0
	s_and_saveexec_b64 s[4:5], vcc
	s_cbranch_execz .LBB93_194
; %bb.193:
	v_mov_b32_e32 v1, 0
	v_lshl_add_u32 v0, v0, 3, v1
	buffer_load_dword v1, v0, s[0:3], 0 offen
	buffer_load_dword v62, v0, s[0:3], 0 offen offset:4
	buffer_load_dword v63, off, s[0:3], 0 offset:212
	buffer_load_dword v64, off, s[0:3], 0 offset:208
	s_waitcnt vmcnt(3)
	buffer_store_dword v1, off, s[0:3], 0 offset:208
	s_waitcnt vmcnt(3)
	buffer_store_dword v62, off, s[0:3], 0 offset:212
	s_waitcnt vmcnt(3)
	buffer_store_dword v63, v0, s[0:3], 0 offen offset:4
	s_waitcnt vmcnt(3)
	buffer_store_dword v64, v0, s[0:3], 0 offen
.LBB93_194:
	s_or_b64 exec, exec, s[4:5]
	v_pk_mov_b32 v[0:1], s[10:11], s[10:11] op_sel:[0,1]
	flat_load_dword v0, v[0:1] offset:100
	s_waitcnt vmcnt(0) lgkmcnt(0)
	v_add_u32_e32 v0, -1, v0
	v_cmp_ne_u32_e32 vcc, 25, v0
	s_and_saveexec_b64 s[4:5], vcc
	s_cbranch_execz .LBB93_196
; %bb.195:
	v_mov_b32_e32 v1, 0
	v_lshl_add_u32 v0, v0, 3, v1
	buffer_load_dword v1, v0, s[0:3], 0 offen
	buffer_load_dword v62, v0, s[0:3], 0 offen offset:4
	buffer_load_dword v63, off, s[0:3], 0 offset:200
	buffer_load_dword v64, off, s[0:3], 0 offset:204
	s_waitcnt vmcnt(3)
	buffer_store_dword v1, off, s[0:3], 0 offset:200
	s_waitcnt vmcnt(3)
	buffer_store_dword v62, off, s[0:3], 0 offset:204
	s_waitcnt vmcnt(3)
	buffer_store_dword v63, v0, s[0:3], 0 offen
	s_waitcnt vmcnt(3)
	buffer_store_dword v64, v0, s[0:3], 0 offen offset:4
.LBB93_196:
	s_or_b64 exec, exec, s[4:5]
	v_pk_mov_b32 v[0:1], s[10:11], s[10:11] op_sel:[0,1]
	flat_load_dword v0, v[0:1] offset:96
	s_waitcnt vmcnt(0) lgkmcnt(0)
	v_add_u32_e32 v0, -1, v0
	v_cmp_ne_u32_e32 vcc, 24, v0
	s_and_saveexec_b64 s[4:5], vcc
	s_cbranch_execz .LBB93_198
; %bb.197:
	v_mov_b32_e32 v1, 0
	v_lshl_add_u32 v0, v0, 3, v1
	buffer_load_dword v1, v0, s[0:3], 0 offen
	buffer_load_dword v62, v0, s[0:3], 0 offen offset:4
	buffer_load_dword v63, off, s[0:3], 0 offset:196
	buffer_load_dword v64, off, s[0:3], 0 offset:192
	s_waitcnt vmcnt(3)
	buffer_store_dword v1, off, s[0:3], 0 offset:192
	s_waitcnt vmcnt(3)
	buffer_store_dword v62, off, s[0:3], 0 offset:196
	s_waitcnt vmcnt(3)
	buffer_store_dword v63, v0, s[0:3], 0 offen offset:4
	s_waitcnt vmcnt(3)
	buffer_store_dword v64, v0, s[0:3], 0 offen
.LBB93_198:
	;; [unrolled: 48-line block ×13, first 2 shown]
	s_or_b64 exec, exec, s[4:5]
	v_pk_mov_b32 v[0:1], s[10:11], s[10:11] op_sel:[0,1]
	flat_load_dword v0, v[0:1] offset:4
	s_waitcnt vmcnt(0) lgkmcnt(0)
	v_add_u32_e32 v0, -1, v0
	v_cmp_ne_u32_e32 vcc, 1, v0
	s_and_saveexec_b64 s[4:5], vcc
	s_cbranch_execz .LBB93_244
; %bb.243:
	v_mov_b32_e32 v1, 0
	v_lshl_add_u32 v0, v0, 3, v1
	buffer_load_dword v1, v0, s[0:3], 0 offen
	buffer_load_dword v62, v0, s[0:3], 0 offen offset:4
	buffer_load_dword v63, off, s[0:3], 0 offset:8
	buffer_load_dword v64, off, s[0:3], 0 offset:12
	s_waitcnt vmcnt(3)
	buffer_store_dword v1, off, s[0:3], 0 offset:8
	s_waitcnt vmcnt(3)
	buffer_store_dword v62, off, s[0:3], 0 offset:12
	s_waitcnt vmcnt(3)
	buffer_store_dword v63, v0, s[0:3], 0 offen
	s_waitcnt vmcnt(3)
	buffer_store_dword v64, v0, s[0:3], 0 offen offset:4
.LBB93_244:
	s_or_b64 exec, exec, s[4:5]
	v_pk_mov_b32 v[0:1], s[10:11], s[10:11] op_sel:[0,1]
	flat_load_dword v62, v[0:1]
	s_nop 0
	buffer_load_dword v0, off, s[0:3], 0
	buffer_load_dword v1, off, s[0:3], 0 offset:4
	s_waitcnt vmcnt(0) lgkmcnt(0)
	v_add_u32_e32 v62, -1, v62
	v_cmp_ne_u32_e32 vcc, 0, v62
	s_and_saveexec_b64 s[4:5], vcc
	s_cbranch_execz .LBB93_246
; %bb.245:
	v_mov_b32_e32 v63, 0
	v_lshl_add_u32 v62, v62, 3, v63
	buffer_load_dword v63, v62, s[0:3], 0 offen offset:4
	buffer_load_dword v64, v62, s[0:3], 0 offen
	s_waitcnt vmcnt(1)
	buffer_store_dword v63, off, s[0:3], 0 offset:4
	s_waitcnt vmcnt(1)
	buffer_store_dword v64, off, s[0:3], 0
	buffer_store_dword v1, v62, s[0:3], 0 offen offset:4
	buffer_store_dword v0, v62, s[0:3], 0 offen
	buffer_load_dword v0, off, s[0:3], 0
	s_nop 0
	buffer_load_dword v1, off, s[0:3], 0 offset:4
.LBB93_246:
	s_or_b64 exec, exec, s[4:5]
.LBB93_247:
	buffer_load_dword v62, off, s[0:3], 0 offset:8
	buffer_load_dword v63, off, s[0:3], 0 offset:12
	;; [unrolled: 1-line block ×58, first 2 shown]
	s_waitcnt vmcnt(58)
	global_store_dwordx2 v[52:53], v[0:1], off
	s_waitcnt vmcnt(57)
	global_store_dwordx2 v[54:55], v[62:63], off
	;; [unrolled: 2-line block ×30, first 2 shown]
	s_endpgm
	.section	.rodata,"a",@progbits
	.p2align	6, 0x0
	.amdhsa_kernel _ZN9rocsolver6v33100L18getri_kernel_smallILi30EdPKPdEEvT1_iilPiilS6_bb
		.amdhsa_group_segment_fixed_size 488
		.amdhsa_private_segment_fixed_size 256
		.amdhsa_kernarg_size 60
		.amdhsa_user_sgpr_count 8
		.amdhsa_user_sgpr_private_segment_buffer 1
		.amdhsa_user_sgpr_dispatch_ptr 0
		.amdhsa_user_sgpr_queue_ptr 0
		.amdhsa_user_sgpr_kernarg_segment_ptr 1
		.amdhsa_user_sgpr_dispatch_id 0
		.amdhsa_user_sgpr_flat_scratch_init 1
		.amdhsa_user_sgpr_kernarg_preload_length 0
		.amdhsa_user_sgpr_kernarg_preload_offset 0
		.amdhsa_user_sgpr_private_segment_size 0
		.amdhsa_uses_dynamic_stack 0
		.amdhsa_system_sgpr_private_segment_wavefront_offset 1
		.amdhsa_system_sgpr_workgroup_id_x 1
		.amdhsa_system_sgpr_workgroup_id_y 0
		.amdhsa_system_sgpr_workgroup_id_z 0
		.amdhsa_system_sgpr_workgroup_info 0
		.amdhsa_system_vgpr_workitem_id 0
		.amdhsa_next_free_vgpr 126
		.amdhsa_next_free_sgpr 22
		.amdhsa_accum_offset 128
		.amdhsa_reserve_vcc 1
		.amdhsa_reserve_flat_scratch 1
		.amdhsa_float_round_mode_32 0
		.amdhsa_float_round_mode_16_64 0
		.amdhsa_float_denorm_mode_32 3
		.amdhsa_float_denorm_mode_16_64 3
		.amdhsa_dx10_clamp 1
		.amdhsa_ieee_mode 1
		.amdhsa_fp16_overflow 0
		.amdhsa_tg_split 0
		.amdhsa_exception_fp_ieee_invalid_op 0
		.amdhsa_exception_fp_denorm_src 0
		.amdhsa_exception_fp_ieee_div_zero 0
		.amdhsa_exception_fp_ieee_overflow 0
		.amdhsa_exception_fp_ieee_underflow 0
		.amdhsa_exception_fp_ieee_inexact 0
		.amdhsa_exception_int_div_zero 0
	.end_amdhsa_kernel
	.section	.text._ZN9rocsolver6v33100L18getri_kernel_smallILi30EdPKPdEEvT1_iilPiilS6_bb,"axG",@progbits,_ZN9rocsolver6v33100L18getri_kernel_smallILi30EdPKPdEEvT1_iilPiilS6_bb,comdat
.Lfunc_end93:
	.size	_ZN9rocsolver6v33100L18getri_kernel_smallILi30EdPKPdEEvT1_iilPiilS6_bb, .Lfunc_end93-_ZN9rocsolver6v33100L18getri_kernel_smallILi30EdPKPdEEvT1_iilPiilS6_bb
                                        ; -- End function
	.section	.AMDGPU.csdata,"",@progbits
; Kernel info:
; codeLenInByte = 27940
; NumSgprs: 28
; NumVgprs: 126
; NumAgprs: 0
; TotalNumVgprs: 126
; ScratchSize: 256
; MemoryBound: 0
; FloatMode: 240
; IeeeMode: 1
; LDSByteSize: 488 bytes/workgroup (compile time only)
; SGPRBlocks: 3
; VGPRBlocks: 15
; NumSGPRsForWavesPerEU: 28
; NumVGPRsForWavesPerEU: 126
; AccumOffset: 128
; Occupancy: 4
; WaveLimiterHint : 1
; COMPUTE_PGM_RSRC2:SCRATCH_EN: 1
; COMPUTE_PGM_RSRC2:USER_SGPR: 8
; COMPUTE_PGM_RSRC2:TRAP_HANDLER: 0
; COMPUTE_PGM_RSRC2:TGID_X_EN: 1
; COMPUTE_PGM_RSRC2:TGID_Y_EN: 0
; COMPUTE_PGM_RSRC2:TGID_Z_EN: 0
; COMPUTE_PGM_RSRC2:TIDIG_COMP_CNT: 0
; COMPUTE_PGM_RSRC3_GFX90A:ACCUM_OFFSET: 31
; COMPUTE_PGM_RSRC3_GFX90A:TG_SPLIT: 0
	.section	.text._ZN9rocsolver6v33100L18getri_kernel_smallILi31EdPKPdEEvT1_iilPiilS6_bb,"axG",@progbits,_ZN9rocsolver6v33100L18getri_kernel_smallILi31EdPKPdEEvT1_iilPiilS6_bb,comdat
	.globl	_ZN9rocsolver6v33100L18getri_kernel_smallILi31EdPKPdEEvT1_iilPiilS6_bb ; -- Begin function _ZN9rocsolver6v33100L18getri_kernel_smallILi31EdPKPdEEvT1_iilPiilS6_bb
	.p2align	8
	.type	_ZN9rocsolver6v33100L18getri_kernel_smallILi31EdPKPdEEvT1_iilPiilS6_bb,@function
_ZN9rocsolver6v33100L18getri_kernel_smallILi31EdPKPdEEvT1_iilPiilS6_bb: ; @_ZN9rocsolver6v33100L18getri_kernel_smallILi31EdPKPdEEvT1_iilPiilS6_bb
; %bb.0:
	s_add_u32 flat_scratch_lo, s6, s9
	s_addc_u32 flat_scratch_hi, s7, 0
	s_add_u32 s0, s0, s9
	s_addc_u32 s1, s1, 0
	v_cmp_gt_u32_e32 vcc, 31, v0
	s_and_saveexec_b64 s[6:7], vcc
	s_cbranch_execz .LBB94_132
; %bb.1:
	s_load_dword s20, s[4:5], 0x38
	s_load_dwordx2 s[6:7], s[4:5], 0x0
	s_load_dwordx4 s[12:15], s[4:5], 0x28
	s_waitcnt lgkmcnt(0)
	s_bitcmp1_b32 s20, 8
	s_cselect_b64 s[16:17], -1, 0
	s_ashr_i32 s9, s8, 31
	s_lshl_b64 s[10:11], s[8:9], 3
	s_add_u32 s6, s6, s10
	s_addc_u32 s7, s7, s11
	s_load_dwordx2 s[18:19], s[6:7], 0x0
	s_bfe_u32 s6, s20, 0x10008
	s_cmp_eq_u32 s6, 0
                                        ; implicit-def: $sgpr10_sgpr11
	s_cbranch_scc1 .LBB94_3
; %bb.2:
	s_load_dword s6, s[4:5], 0x20
	s_load_dwordx2 s[10:11], s[4:5], 0x18
	s_mul_i32 s7, s8, s13
	s_mul_hi_u32 s13, s8, s12
	s_add_i32 s13, s13, s7
	s_mul_i32 s21, s9, s12
	s_add_i32 s13, s13, s21
	s_mul_i32 s12, s8, s12
	s_waitcnt lgkmcnt(0)
	s_ashr_i32 s7, s6, 31
	s_lshl_b64 s[12:13], s[12:13], 2
	s_add_u32 s10, s10, s12
	s_addc_u32 s11, s11, s13
	s_lshl_b64 s[6:7], s[6:7], 2
	s_add_u32 s10, s10, s6
	s_addc_u32 s11, s11, s7
.LBB94_3:
	s_load_dwordx2 s[6:7], s[4:5], 0x8
	s_waitcnt lgkmcnt(0)
	s_ashr_i32 s5, s6, 31
	s_mov_b32 s4, s6
	s_lshl_b64 s[4:5], s[4:5], 3
	s_add_u32 s4, s18, s4
	s_addc_u32 s5, s19, s5
	s_add_i32 s6, s7, s7
	v_add_u32_e32 v4, s6, v0
	v_ashrrev_i32_e32 v5, 31, v4
	v_lshlrev_b64 v[2:3], 3, v[4:5]
	v_add_u32_e32 v6, s7, v4
	v_mov_b32_e32 v1, s5
	v_add_co_u32_e32 v2, vcc, s4, v2
	v_ashrrev_i32_e32 v7, 31, v6
	v_addc_co_u32_e32 v3, vcc, v1, v3, vcc
	v_lshlrev_b64 v[4:5], 3, v[6:7]
	v_add_u32_e32 v8, s7, v6
	v_add_co_u32_e32 v4, vcc, s4, v4
	v_ashrrev_i32_e32 v9, 31, v8
	v_addc_co_u32_e32 v5, vcc, v1, v5, vcc
	v_lshlrev_b64 v[6:7], 3, v[8:9]
	v_add_u32_e32 v10, s7, v8
	;; [unrolled: 5-line block ×22, first 2 shown]
	v_add_co_u32_e32 v46, vcc, s4, v46
	v_ashrrev_i32_e32 v51, 31, v50
	v_addc_co_u32_e32 v47, vcc, v1, v47, vcc
	v_lshlrev_b64 v[48:49], 3, v[50:51]
	v_add_co_u32_e32 v48, vcc, s4, v48
	v_addc_co_u32_e32 v49, vcc, v1, v49, vcc
	v_lshlrev_b32_e32 v1, 3, v0
	global_load_dwordx2 v[64:65], v1, s[4:5]
	global_load_dwordx2 v[68:69], v[2:3], off
	global_load_dwordx2 v[70:71], v[4:5], off
	;; [unrolled: 1-line block ×3, first 2 shown]
	v_add_u32_e32 v52, s7, v50
	v_ashrrev_i32_e32 v53, 31, v52
	v_lshlrev_b64 v[50:51], 3, v[52:53]
	v_mov_b32_e32 v53, s5
	v_add_co_u32_e32 v50, vcc, s4, v50
	v_addc_co_u32_e32 v51, vcc, v53, v51, vcc
	v_mov_b32_e32 v55, s5
	v_add_co_u32_e32 v54, vcc, s4, v1
	s_ashr_i32 s13, s7, 31
	s_mov_b32 s12, s7
	v_add_u32_e32 v58, s7, v52
	v_addc_co_u32_e32 v55, vcc, 0, v55, vcc
	s_lshl_b64 s[12:13], s[12:13], 3
	v_ashrrev_i32_e32 v59, 31, v58
	v_mov_b32_e32 v57, s13
	v_add_co_u32_e32 v56, vcc, s12, v54
	v_lshlrev_b64 v[52:53], 3, v[58:59]
	v_addc_co_u32_e32 v57, vcc, v55, v57, vcc
	v_add_u32_e32 v60, s7, v58
	v_mov_b32_e32 v59, s5
	v_add_co_u32_e32 v52, vcc, s4, v52
	v_ashrrev_i32_e32 v61, 31, v60
	v_addc_co_u32_e32 v53, vcc, v59, v53, vcc
	v_lshlrev_b64 v[58:59], 3, v[60:61]
	v_add_u32_e32 v62, s7, v60
	v_mov_b32_e32 v61, s5
	v_add_co_u32_e32 v58, vcc, s4, v58
	v_ashrrev_i32_e32 v63, 31, v62
	v_addc_co_u32_e32 v59, vcc, v61, v59, vcc
	v_lshlrev_b64 v[60:61], 3, v[62:63]
	v_mov_b32_e32 v63, s5
	v_add_co_u32_e32 v60, vcc, s4, v60
	v_add_u32_e32 v62, s7, v62
	v_addc_co_u32_e32 v61, vcc, v63, v61, vcc
	v_ashrrev_i32_e32 v63, 31, v62
	v_lshlrev_b64 v[62:63], 3, v[62:63]
	v_mov_b32_e32 v116, s5
	v_add_co_u32_e32 v62, vcc, s4, v62
	global_load_dwordx2 v[66:67], v[56:57], off
	global_load_dwordx2 v[74:75], v[8:9], off
	;; [unrolled: 1-line block ×22, first 2 shown]
	v_addc_co_u32_e32 v63, vcc, v116, v63, vcc
	global_load_dwordx2 v[116:117], v[50:51], off
	global_load_dwordx2 v[118:119], v[62:63], off
	;; [unrolled: 1-line block ×4, first 2 shown]
	s_bitcmp0_b32 s20, 0
	s_mov_b64 s[6:7], -1
	s_waitcnt vmcnt(29)
	buffer_store_dword v65, off, s[0:3], 0 offset:4
	buffer_store_dword v64, off, s[0:3], 0
	global_load_dwordx2 v[64:65], v[60:61], off
	s_waitcnt vmcnt(28)
	buffer_store_dword v67, off, s[0:3], 0 offset:12
	buffer_store_dword v66, off, s[0:3], 0 offset:8
	;; [unrolled: 1-line block ×8, first 2 shown]
	s_waitcnt vmcnt(35)
	buffer_store_dword v75, off, s[0:3], 0 offset:44
	buffer_store_dword v74, off, s[0:3], 0 offset:40
	s_waitcnt vmcnt(36)
	buffer_store_dword v77, off, s[0:3], 0 offset:52
	buffer_store_dword v76, off, s[0:3], 0 offset:48
	;; [unrolled: 3-line block ×25, first 2 shown]
	buffer_store_dword v118, off, s[0:3], 0 offset:240
	buffer_store_dword v119, off, s[0:3], 0 offset:244
	s_cbranch_scc1 .LBB94_130
; %bb.4:
	v_cmp_eq_u32_e64 s[4:5], 0, v0
	s_and_saveexec_b64 s[6:7], s[4:5]
	s_cbranch_execz .LBB94_6
; %bb.5:
	v_mov_b32_e32 v64, 0
	ds_write_b32 v64, v64 offset:248
.LBB94_6:
	s_or_b64 exec, exec, s[6:7]
	v_mov_b32_e32 v64, 0
	v_lshl_add_u32 v64, v0, 3, v64
	s_waitcnt lgkmcnt(0)
	; wave barrier
	s_waitcnt lgkmcnt(0)
	buffer_load_dword v66, v64, s[0:3], 0 offen
	buffer_load_dword v67, v64, s[0:3], 0 offen offset:4
	s_waitcnt vmcnt(0)
	v_cmp_eq_f64_e32 vcc, 0, v[66:67]
	s_and_saveexec_b64 s[12:13], vcc
	s_cbranch_execz .LBB94_10
; %bb.7:
	v_mov_b32_e32 v65, 0
	ds_read_b32 v67, v65 offset:248
	v_add_u32_e32 v66, 1, v0
	s_waitcnt lgkmcnt(0)
	v_readfirstlane_b32 s6, v67
	s_cmp_eq_u32 s6, 0
	s_cselect_b64 s[18:19], -1, 0
	v_cmp_gt_i32_e32 vcc, s6, v66
	s_or_b64 s[18:19], s[18:19], vcc
	s_and_b64 exec, exec, s[18:19]
	s_cbranch_execz .LBB94_10
; %bb.8:
	s_mov_b64 s[18:19], 0
	v_mov_b32_e32 v67, s6
.LBB94_9:                               ; =>This Inner Loop Header: Depth=1
	ds_cmpst_rtn_b32 v67, v65, v67, v66 offset:248
	s_waitcnt lgkmcnt(0)
	v_cmp_ne_u32_e32 vcc, 0, v67
	v_cmp_le_i32_e64 s[6:7], v67, v66
	s_and_b64 s[6:7], vcc, s[6:7]
	s_and_b64 s[6:7], exec, s[6:7]
	s_or_b64 s[18:19], s[6:7], s[18:19]
	s_andn2_b64 exec, exec, s[18:19]
	s_cbranch_execnz .LBB94_9
.LBB94_10:
	s_or_b64 exec, exec, s[12:13]
	v_mov_b32_e32 v66, 0
	s_waitcnt lgkmcnt(0)
	; wave barrier
	ds_read_b32 v65, v66 offset:248
	s_and_saveexec_b64 s[6:7], s[4:5]
	s_cbranch_execz .LBB94_12
; %bb.11:
	s_lshl_b64 s[12:13], s[8:9], 2
	s_add_u32 s12, s14, s12
	s_addc_u32 s13, s15, s13
	s_waitcnt lgkmcnt(0)
	global_store_dword v66, v65, s[12:13]
.LBB94_12:
	s_or_b64 exec, exec, s[6:7]
	s_waitcnt lgkmcnt(0)
	v_cmp_ne_u32_e32 vcc, 0, v65
	s_mov_b64 s[6:7], 0
	s_cbranch_vccnz .LBB94_130
; %bb.13:
	buffer_load_dword v66, v64, s[0:3], 0 offen
	buffer_load_dword v67, v64, s[0:3], 0 offen offset:4
	s_waitcnt vmcnt(0)
	v_div_scale_f64 v[68:69], s[6:7], v[66:67], v[66:67], 1.0
	v_rcp_f64_e32 v[70:71], v[68:69]
	v_div_scale_f64 v[72:73], vcc, 1.0, v[66:67], 1.0
	v_fma_f64 v[74:75], -v[68:69], v[70:71], 1.0
	v_fmac_f64_e32 v[70:71], v[70:71], v[74:75]
	v_fma_f64 v[74:75], -v[68:69], v[70:71], 1.0
	v_fmac_f64_e32 v[70:71], v[70:71], v[74:75]
	v_mul_f64 v[74:75], v[72:73], v[70:71]
	v_fma_f64 v[68:69], -v[68:69], v[74:75], v[72:73]
	v_div_fmas_f64 v[68:69], v[68:69], v[70:71], v[74:75]
	v_div_fixup_f64 v[68:69], v[68:69], v[66:67], 1.0
	buffer_store_dword v69, v64, s[0:3], 0 offen offset:4
	buffer_store_dword v68, v64, s[0:3], 0 offen
	buffer_load_dword v71, off, s[0:3], 0 offset:12
	buffer_load_dword v70, off, s[0:3], 0 offset:8
	v_add_u32_e32 v66, 0x100, v1
	v_xor_b32_e32 v69, 0x80000000, v69
	s_waitcnt vmcnt(0)
	ds_write2_b64 v1, v[68:69], v[70:71] offset1:32
	s_waitcnt lgkmcnt(0)
	; wave barrier
	s_waitcnt lgkmcnt(0)
	s_and_saveexec_b64 s[6:7], s[4:5]
	s_cbranch_execz .LBB94_15
; %bb.14:
	buffer_load_dword v68, v64, s[0:3], 0 offen
	buffer_load_dword v69, v64, s[0:3], 0 offen offset:4
	v_mov_b32_e32 v65, 0
	ds_read_b64 v[70:71], v66
	ds_read_b64 v[72:73], v65 offset:8
	s_waitcnt vmcnt(0) lgkmcnt(1)
	v_fma_f64 v[68:69], v[68:69], v[70:71], 0
	s_waitcnt lgkmcnt(0)
	v_mul_f64 v[68:69], v[68:69], v[72:73]
	buffer_store_dword v68, off, s[0:3], 0 offset:8
	buffer_store_dword v69, off, s[0:3], 0 offset:12
.LBB94_15:
	s_or_b64 exec, exec, s[6:7]
	s_waitcnt lgkmcnt(0)
	; wave barrier
	buffer_load_dword v68, off, s[0:3], 0 offset:16
	buffer_load_dword v69, off, s[0:3], 0 offset:20
	v_cmp_gt_u32_e32 vcc, 2, v0
	s_waitcnt vmcnt(0)
	ds_write_b64 v66, v[68:69]
	s_waitcnt lgkmcnt(0)
	; wave barrier
	s_waitcnt lgkmcnt(0)
	s_and_saveexec_b64 s[6:7], vcc
	s_cbranch_execz .LBB94_17
; %bb.16:
	buffer_load_dword v65, v64, s[0:3], 0 offen offset:4
	buffer_load_dword v72, off, s[0:3], 0 offset:8
	s_nop 0
	buffer_load_dword v64, v64, s[0:3], 0 offen
	s_nop 0
	buffer_load_dword v73, off, s[0:3], 0 offset:12
	ds_read_b64 v[74:75], v66
	v_mov_b32_e32 v67, 0
	ds_read2_b64 v[68:71], v67 offset0:2 offset1:33
	s_waitcnt vmcnt(1) lgkmcnt(1)
	v_fma_f64 v[64:65], v[64:65], v[74:75], 0
	s_waitcnt vmcnt(0) lgkmcnt(0)
	v_fma_f64 v[70:71], v[72:73], v[70:71], v[64:65]
	v_cndmask_b32_e64 v65, v65, v71, s[4:5]
	v_cndmask_b32_e64 v64, v64, v70, s[4:5]
	v_mul_f64 v[64:65], v[64:65], v[68:69]
	buffer_store_dword v65, off, s[0:3], 0 offset:20
	buffer_store_dword v64, off, s[0:3], 0 offset:16
.LBB94_17:
	s_or_b64 exec, exec, s[6:7]
	s_waitcnt lgkmcnt(0)
	; wave barrier
	buffer_load_dword v64, off, s[0:3], 0 offset:24
	buffer_load_dword v65, off, s[0:3], 0 offset:28
	v_cmp_gt_u32_e32 vcc, 3, v0
	v_add_u32_e32 v67, -1, v0
	s_waitcnt vmcnt(0)
	ds_write_b64 v66, v[64:65]
	s_waitcnt lgkmcnt(0)
	; wave barrier
	s_waitcnt lgkmcnt(0)
	s_and_saveexec_b64 s[4:5], vcc
	s_cbranch_execz .LBB94_21
; %bb.18:
	v_add_u32_e32 v68, -1, v0
	v_add_u32_e32 v69, 0x100, v1
	v_add_u32_e32 v70, 0, v1
	s_mov_b64 s[6:7], 0
	v_pk_mov_b32 v[64:65], 0, 0
.LBB94_19:                              ; =>This Inner Loop Header: Depth=1
	buffer_load_dword v72, v70, s[0:3], 0 offen
	buffer_load_dword v73, v70, s[0:3], 0 offen offset:4
	ds_read_b64 v[74:75], v69
	v_add_u32_e32 v68, 1, v68
	v_cmp_lt_u32_e32 vcc, 1, v68
	v_add_u32_e32 v69, 8, v69
	v_add_u32_e32 v70, 8, v70
	s_or_b64 s[6:7], vcc, s[6:7]
	s_waitcnt vmcnt(0) lgkmcnt(0)
	v_fmac_f64_e32 v[64:65], v[72:73], v[74:75]
	s_andn2_b64 exec, exec, s[6:7]
	s_cbranch_execnz .LBB94_19
; %bb.20:
	s_or_b64 exec, exec, s[6:7]
	v_mov_b32_e32 v68, 0
	ds_read_b64 v[68:69], v68 offset:24
	s_waitcnt lgkmcnt(0)
	v_mul_f64 v[64:65], v[64:65], v[68:69]
	buffer_store_dword v65, off, s[0:3], 0 offset:28
	buffer_store_dword v64, off, s[0:3], 0 offset:24
.LBB94_21:
	s_or_b64 exec, exec, s[4:5]
	s_waitcnt lgkmcnt(0)
	; wave barrier
	buffer_load_dword v64, off, s[0:3], 0 offset:32
	buffer_load_dword v65, off, s[0:3], 0 offset:36
	v_cmp_gt_u32_e32 vcc, 4, v0
	s_waitcnt vmcnt(0)
	ds_write_b64 v66, v[64:65]
	s_waitcnt lgkmcnt(0)
	; wave barrier
	s_waitcnt lgkmcnt(0)
	s_and_saveexec_b64 s[4:5], vcc
	s_cbranch_execz .LBB94_25
; %bb.22:
	v_add_u32_e32 v68, -1, v0
	v_add_u32_e32 v69, 0x100, v1
	v_add_u32_e32 v70, 0, v1
	s_mov_b64 s[6:7], 0
	v_pk_mov_b32 v[64:65], 0, 0
.LBB94_23:                              ; =>This Inner Loop Header: Depth=1
	buffer_load_dword v72, v70, s[0:3], 0 offen
	buffer_load_dword v73, v70, s[0:3], 0 offen offset:4
	ds_read_b64 v[74:75], v69
	v_add_u32_e32 v68, 1, v68
	v_cmp_lt_u32_e32 vcc, 2, v68
	v_add_u32_e32 v69, 8, v69
	v_add_u32_e32 v70, 8, v70
	s_or_b64 s[6:7], vcc, s[6:7]
	s_waitcnt vmcnt(0) lgkmcnt(0)
	v_fmac_f64_e32 v[64:65], v[72:73], v[74:75]
	s_andn2_b64 exec, exec, s[6:7]
	s_cbranch_execnz .LBB94_23
; %bb.24:
	s_or_b64 exec, exec, s[6:7]
	v_mov_b32_e32 v68, 0
	ds_read_b64 v[68:69], v68 offset:32
	s_waitcnt lgkmcnt(0)
	v_mul_f64 v[64:65], v[64:65], v[68:69]
	buffer_store_dword v65, off, s[0:3], 0 offset:36
	buffer_store_dword v64, off, s[0:3], 0 offset:32
.LBB94_25:
	s_or_b64 exec, exec, s[4:5]
	s_waitcnt lgkmcnt(0)
	; wave barrier
	buffer_load_dword v64, off, s[0:3], 0 offset:40
	buffer_load_dword v65, off, s[0:3], 0 offset:44
	v_cmp_gt_u32_e32 vcc, 5, v0
	;; [unrolled: 41-line block ×21, first 2 shown]
	s_waitcnt vmcnt(0)
	ds_write_b64 v66, v[64:65]
	s_waitcnt lgkmcnt(0)
	; wave barrier
	s_waitcnt lgkmcnt(0)
	s_and_saveexec_b64 s[4:5], vcc
	s_cbranch_execz .LBB94_105
; %bb.102:
	v_add_u32_e32 v68, -1, v0
	v_add_u32_e32 v69, 0x100, v1
	v_add_u32_e32 v70, 0, v1
	s_mov_b64 s[6:7], 0
	v_pk_mov_b32 v[64:65], 0, 0
.LBB94_103:                             ; =>This Inner Loop Header: Depth=1
	buffer_load_dword v72, v70, s[0:3], 0 offen
	buffer_load_dword v73, v70, s[0:3], 0 offen offset:4
	ds_read_b64 v[74:75], v69
	v_add_u32_e32 v68, 1, v68
	v_cmp_lt_u32_e32 vcc, 22, v68
	v_add_u32_e32 v69, 8, v69
	v_add_u32_e32 v70, 8, v70
	s_or_b64 s[6:7], vcc, s[6:7]
	s_waitcnt vmcnt(0) lgkmcnt(0)
	v_fmac_f64_e32 v[64:65], v[72:73], v[74:75]
	s_andn2_b64 exec, exec, s[6:7]
	s_cbranch_execnz .LBB94_103
; %bb.104:
	s_or_b64 exec, exec, s[6:7]
	v_mov_b32_e32 v68, 0
	ds_read_b64 v[68:69], v68 offset:192
	s_waitcnt lgkmcnt(0)
	v_mul_f64 v[64:65], v[64:65], v[68:69]
	buffer_store_dword v65, off, s[0:3], 0 offset:196
	buffer_store_dword v64, off, s[0:3], 0 offset:192
.LBB94_105:
	s_or_b64 exec, exec, s[4:5]
	s_waitcnt lgkmcnt(0)
	; wave barrier
	buffer_load_dword v64, off, s[0:3], 0 offset:200
	buffer_load_dword v65, off, s[0:3], 0 offset:204
	v_cmp_gt_u32_e32 vcc, 25, v0
	s_waitcnt vmcnt(0)
	ds_write_b64 v66, v[64:65]
	s_waitcnt lgkmcnt(0)
	; wave barrier
	s_waitcnt lgkmcnt(0)
	s_and_saveexec_b64 s[4:5], vcc
	s_cbranch_execz .LBB94_109
; %bb.106:
	v_add_u32_e32 v68, -1, v0
	v_add_u32_e32 v69, 0x100, v1
	v_add_u32_e32 v70, 0, v1
	s_mov_b64 s[6:7], 0
	v_pk_mov_b32 v[64:65], 0, 0
.LBB94_107:                             ; =>This Inner Loop Header: Depth=1
	buffer_load_dword v72, v70, s[0:3], 0 offen
	buffer_load_dword v73, v70, s[0:3], 0 offen offset:4
	ds_read_b64 v[74:75], v69
	v_add_u32_e32 v68, 1, v68
	v_cmp_lt_u32_e32 vcc, 23, v68
	v_add_u32_e32 v69, 8, v69
	v_add_u32_e32 v70, 8, v70
	s_or_b64 s[6:7], vcc, s[6:7]
	s_waitcnt vmcnt(0) lgkmcnt(0)
	v_fmac_f64_e32 v[64:65], v[72:73], v[74:75]
	s_andn2_b64 exec, exec, s[6:7]
	s_cbranch_execnz .LBB94_107
; %bb.108:
	s_or_b64 exec, exec, s[6:7]
	v_mov_b32_e32 v68, 0
	ds_read_b64 v[68:69], v68 offset:200
	s_waitcnt lgkmcnt(0)
	v_mul_f64 v[64:65], v[64:65], v[68:69]
	buffer_store_dword v65, off, s[0:3], 0 offset:204
	buffer_store_dword v64, off, s[0:3], 0 offset:200
.LBB94_109:
	s_or_b64 exec, exec, s[4:5]
	s_waitcnt lgkmcnt(0)
	; wave barrier
	buffer_load_dword v64, off, s[0:3], 0 offset:208
	buffer_load_dword v65, off, s[0:3], 0 offset:212
	v_cmp_gt_u32_e32 vcc, 26, v0
	;; [unrolled: 41-line block ×5, first 2 shown]
	s_waitcnt vmcnt(0)
	ds_write_b64 v66, v[64:65]
	s_waitcnt lgkmcnt(0)
	; wave barrier
	s_waitcnt lgkmcnt(0)
	s_and_saveexec_b64 s[4:5], vcc
	s_cbranch_execz .LBB94_125
; %bb.122:
	v_add_u32_e32 v68, -1, v0
	v_add_u32_e32 v69, 0x100, v1
	v_add_u32_e32 v70, 0, v1
	s_mov_b64 s[6:7], 0
	v_pk_mov_b32 v[64:65], 0, 0
.LBB94_123:                             ; =>This Inner Loop Header: Depth=1
	buffer_load_dword v72, v70, s[0:3], 0 offen
	buffer_load_dword v73, v70, s[0:3], 0 offen offset:4
	ds_read_b64 v[74:75], v69
	v_add_u32_e32 v68, 1, v68
	v_cmp_lt_u32_e32 vcc, 27, v68
	v_add_u32_e32 v69, 8, v69
	v_add_u32_e32 v70, 8, v70
	s_or_b64 s[6:7], vcc, s[6:7]
	s_waitcnt vmcnt(0) lgkmcnt(0)
	v_fmac_f64_e32 v[64:65], v[72:73], v[74:75]
	s_andn2_b64 exec, exec, s[6:7]
	s_cbranch_execnz .LBB94_123
; %bb.124:
	s_or_b64 exec, exec, s[6:7]
	v_mov_b32_e32 v68, 0
	ds_read_b64 v[68:69], v68 offset:232
	s_waitcnt lgkmcnt(0)
	v_mul_f64 v[64:65], v[64:65], v[68:69]
	buffer_store_dword v65, off, s[0:3], 0 offset:236
	buffer_store_dword v64, off, s[0:3], 0 offset:232
.LBB94_125:
	s_or_b64 exec, exec, s[4:5]
	s_waitcnt lgkmcnt(0)
	; wave barrier
	buffer_load_dword v64, off, s[0:3], 0 offset:240
	buffer_load_dword v65, off, s[0:3], 0 offset:244
	v_cmp_ne_u32_e32 vcc, 30, v0
	s_waitcnt vmcnt(0)
	ds_write_b64 v66, v[64:65]
	s_waitcnt lgkmcnt(0)
	; wave barrier
	s_waitcnt lgkmcnt(0)
	s_and_saveexec_b64 s[4:5], vcc
	s_cbranch_execz .LBB94_129
; %bb.126:
	v_add_u32_e32 v66, 0x100, v1
	v_add_u32_e32 v1, 0, v1
	s_mov_b64 s[6:7], 0
	v_pk_mov_b32 v[64:65], 0, 0
.LBB94_127:                             ; =>This Inner Loop Header: Depth=1
	buffer_load_dword v68, v1, s[0:3], 0 offen
	buffer_load_dword v69, v1, s[0:3], 0 offen offset:4
	ds_read_b64 v[70:71], v66
	v_add_u32_e32 v67, 1, v67
	v_cmp_lt_u32_e32 vcc, 28, v67
	v_add_u32_e32 v66, 8, v66
	v_add_u32_e32 v1, 8, v1
	s_or_b64 s[6:7], vcc, s[6:7]
	s_waitcnt vmcnt(0) lgkmcnt(0)
	v_fmac_f64_e32 v[64:65], v[68:69], v[70:71]
	s_andn2_b64 exec, exec, s[6:7]
	s_cbranch_execnz .LBB94_127
; %bb.128:
	s_or_b64 exec, exec, s[6:7]
	v_mov_b32_e32 v1, 0
	ds_read_b64 v[66:67], v1 offset:240
	s_waitcnt lgkmcnt(0)
	v_mul_f64 v[64:65], v[64:65], v[66:67]
	buffer_store_dword v65, off, s[0:3], 0 offset:244
	buffer_store_dword v64, off, s[0:3], 0 offset:240
.LBB94_129:
	s_or_b64 exec, exec, s[4:5]
	s_mov_b64 s[6:7], -1
	s_waitcnt lgkmcnt(0)
	; wave barrier
.LBB94_130:
	s_and_b64 vcc, exec, s[6:7]
	s_cbranch_vccz .LBB94_132
; %bb.131:
	s_lshl_b64 s[4:5], s[8:9], 2
	s_add_u32 s4, s14, s4
	s_addc_u32 s5, s15, s5
	v_mov_b32_e32 v1, 0
	global_load_dword v1, v1, s[4:5]
	s_waitcnt vmcnt(0)
	v_cmp_ne_u32_e32 vcc, 0, v1
	s_cbranch_vccz .LBB94_133
.LBB94_132:
	s_endpgm
.LBB94_133:
	v_mov_b32_e32 v1, 0x100
	v_lshl_add_u32 v1, v0, 3, v1
	v_cmp_eq_u32_e32 vcc, 30, v0
	s_and_saveexec_b64 s[4:5], vcc
	s_cbranch_execz .LBB94_135
; %bb.134:
	buffer_load_dword v64, off, s[0:3], 0 offset:232
	buffer_load_dword v65, off, s[0:3], 0 offset:236
	v_mov_b32_e32 v66, 0
	buffer_store_dword v66, off, s[0:3], 0 offset:232
	buffer_store_dword v66, off, s[0:3], 0 offset:236
	s_waitcnt vmcnt(2)
	ds_write_b64 v1, v[64:65]
.LBB94_135:
	s_or_b64 exec, exec, s[4:5]
	s_waitcnt lgkmcnt(0)
	; wave barrier
	s_waitcnt lgkmcnt(0)
	buffer_load_dword v66, off, s[0:3], 0 offset:240
	buffer_load_dword v67, off, s[0:3], 0 offset:244
	;; [unrolled: 1-line block ×4, first 2 shown]
	v_mov_b32_e32 v64, 0
	ds_read_b64 v[70:71], v64 offset:496
	v_cmp_lt_u32_e32 vcc, 28, v0
	s_waitcnt vmcnt(2) lgkmcnt(0)
	v_fma_f64 v[66:67], v[66:67], v[70:71], 0
	s_waitcnt vmcnt(0)
	v_add_f64 v[66:67], v[68:69], -v[66:67]
	buffer_store_dword v66, off, s[0:3], 0 offset:232
	buffer_store_dword v67, off, s[0:3], 0 offset:236
	s_and_saveexec_b64 s[4:5], vcc
	s_cbranch_execz .LBB94_137
; %bb.136:
	buffer_load_dword v66, off, s[0:3], 0 offset:224
	buffer_load_dword v67, off, s[0:3], 0 offset:228
	s_waitcnt vmcnt(0)
	ds_write_b64 v1, v[66:67]
	buffer_store_dword v64, off, s[0:3], 0 offset:224
	buffer_store_dword v64, off, s[0:3], 0 offset:228
.LBB94_137:
	s_or_b64 exec, exec, s[4:5]
	s_waitcnt lgkmcnt(0)
	; wave barrier
	s_waitcnt lgkmcnt(0)
	buffer_load_dword v68, off, s[0:3], 0 offset:232
	buffer_load_dword v69, off, s[0:3], 0 offset:236
	buffer_load_dword v70, off, s[0:3], 0 offset:240
	buffer_load_dword v71, off, s[0:3], 0 offset:244
	buffer_load_dword v72, off, s[0:3], 0 offset:224
	buffer_load_dword v73, off, s[0:3], 0 offset:228
	ds_read2_b64 v[64:67], v64 offset0:61 offset1:62
	v_cmp_lt_u32_e32 vcc, 27, v0
	s_waitcnt vmcnt(4) lgkmcnt(0)
	v_fma_f64 v[64:65], v[68:69], v[64:65], 0
	s_waitcnt vmcnt(2)
	v_fmac_f64_e32 v[64:65], v[70:71], v[66:67]
	s_waitcnt vmcnt(0)
	v_add_f64 v[64:65], v[72:73], -v[64:65]
	buffer_store_dword v64, off, s[0:3], 0 offset:224
	buffer_store_dword v65, off, s[0:3], 0 offset:228
	s_and_saveexec_b64 s[4:5], vcc
	s_cbranch_execz .LBB94_139
; %bb.138:
	buffer_load_dword v64, off, s[0:3], 0 offset:216
	buffer_load_dword v65, off, s[0:3], 0 offset:220
	v_mov_b32_e32 v66, 0
	buffer_store_dword v66, off, s[0:3], 0 offset:216
	buffer_store_dword v66, off, s[0:3], 0 offset:220
	s_waitcnt vmcnt(2)
	ds_write_b64 v1, v[64:65]
.LBB94_139:
	s_or_b64 exec, exec, s[4:5]
	s_waitcnt lgkmcnt(0)
	; wave barrier
	s_waitcnt lgkmcnt(0)
	buffer_load_dword v70, off, s[0:3], 0 offset:224
	buffer_load_dword v71, off, s[0:3], 0 offset:228
	;; [unrolled: 1-line block ×8, first 2 shown]
	v_mov_b32_e32 v64, 0
	ds_read_b128 v[66:69], v64 offset:480
	ds_read_b64 v[78:79], v64 offset:496
	v_cmp_lt_u32_e32 vcc, 26, v0
	s_waitcnt vmcnt(6) lgkmcnt(1)
	v_fma_f64 v[66:67], v[70:71], v[66:67], 0
	s_waitcnt vmcnt(4)
	v_fmac_f64_e32 v[66:67], v[72:73], v[68:69]
	s_waitcnt vmcnt(2) lgkmcnt(0)
	v_fmac_f64_e32 v[66:67], v[74:75], v[78:79]
	s_waitcnt vmcnt(0)
	v_add_f64 v[66:67], v[76:77], -v[66:67]
	buffer_store_dword v66, off, s[0:3], 0 offset:216
	buffer_store_dword v67, off, s[0:3], 0 offset:220
	s_and_saveexec_b64 s[4:5], vcc
	s_cbranch_execz .LBB94_141
; %bb.140:
	buffer_load_dword v66, off, s[0:3], 0 offset:208
	buffer_load_dword v67, off, s[0:3], 0 offset:212
	s_waitcnt vmcnt(0)
	ds_write_b64 v1, v[66:67]
	buffer_store_dword v64, off, s[0:3], 0 offset:208
	buffer_store_dword v64, off, s[0:3], 0 offset:212
.LBB94_141:
	s_or_b64 exec, exec, s[4:5]
	s_waitcnt lgkmcnt(0)
	; wave barrier
	s_waitcnt lgkmcnt(0)
	buffer_load_dword v74, off, s[0:3], 0 offset:216
	buffer_load_dword v75, off, s[0:3], 0 offset:220
	;; [unrolled: 1-line block ×10, first 2 shown]
	ds_read2_b64 v[66:69], v64 offset0:59 offset1:60
	ds_read2_b64 v[70:73], v64 offset0:61 offset1:62
	v_cmp_lt_u32_e32 vcc, 25, v0
	s_waitcnt vmcnt(8) lgkmcnt(1)
	v_fma_f64 v[64:65], v[74:75], v[66:67], 0
	s_waitcnt vmcnt(6)
	v_fmac_f64_e32 v[64:65], v[76:77], v[68:69]
	s_waitcnt vmcnt(4) lgkmcnt(0)
	v_fmac_f64_e32 v[64:65], v[78:79], v[70:71]
	s_waitcnt vmcnt(2)
	v_fmac_f64_e32 v[64:65], v[80:81], v[72:73]
	s_waitcnt vmcnt(0)
	v_add_f64 v[64:65], v[82:83], -v[64:65]
	buffer_store_dword v64, off, s[0:3], 0 offset:208
	buffer_store_dword v65, off, s[0:3], 0 offset:212
	s_and_saveexec_b64 s[4:5], vcc
	s_cbranch_execz .LBB94_143
; %bb.142:
	buffer_load_dword v64, off, s[0:3], 0 offset:200
	buffer_load_dword v65, off, s[0:3], 0 offset:204
	v_mov_b32_e32 v66, 0
	buffer_store_dword v66, off, s[0:3], 0 offset:200
	buffer_store_dword v66, off, s[0:3], 0 offset:204
	s_waitcnt vmcnt(2)
	ds_write_b64 v1, v[64:65]
.LBB94_143:
	s_or_b64 exec, exec, s[4:5]
	s_waitcnt lgkmcnt(0)
	; wave barrier
	s_waitcnt lgkmcnt(0)
	buffer_load_dword v74, off, s[0:3], 0 offset:208
	buffer_load_dword v75, off, s[0:3], 0 offset:212
	;; [unrolled: 1-line block ×12, first 2 shown]
	v_mov_b32_e32 v64, 0
	ds_read_b128 v[66:69], v64 offset:464
	ds_read_b128 v[70:73], v64 offset:480
	ds_read_b64 v[86:87], v64 offset:496
	v_cmp_lt_u32_e32 vcc, 24, v0
	s_waitcnt vmcnt(10) lgkmcnt(2)
	v_fma_f64 v[66:67], v[74:75], v[66:67], 0
	s_waitcnt vmcnt(8)
	v_fmac_f64_e32 v[66:67], v[76:77], v[68:69]
	s_waitcnt vmcnt(6) lgkmcnt(1)
	v_fmac_f64_e32 v[66:67], v[78:79], v[70:71]
	s_waitcnt vmcnt(4)
	v_fmac_f64_e32 v[66:67], v[80:81], v[72:73]
	s_waitcnt vmcnt(2) lgkmcnt(0)
	v_fmac_f64_e32 v[66:67], v[82:83], v[86:87]
	s_waitcnt vmcnt(0)
	v_add_f64 v[66:67], v[84:85], -v[66:67]
	buffer_store_dword v66, off, s[0:3], 0 offset:200
	buffer_store_dword v67, off, s[0:3], 0 offset:204
	s_and_saveexec_b64 s[4:5], vcc
	s_cbranch_execz .LBB94_145
; %bb.144:
	buffer_load_dword v66, off, s[0:3], 0 offset:192
	buffer_load_dword v67, off, s[0:3], 0 offset:196
	s_waitcnt vmcnt(0)
	ds_write_b64 v1, v[66:67]
	buffer_store_dword v64, off, s[0:3], 0 offset:192
	buffer_store_dword v64, off, s[0:3], 0 offset:196
.LBB94_145:
	s_or_b64 exec, exec, s[4:5]
	s_waitcnt lgkmcnt(0)
	; wave barrier
	s_waitcnt lgkmcnt(0)
	buffer_load_dword v78, off, s[0:3], 0 offset:200
	buffer_load_dword v79, off, s[0:3], 0 offset:204
	buffer_load_dword v80, off, s[0:3], 0 offset:208
	buffer_load_dword v81, off, s[0:3], 0 offset:212
	buffer_load_dword v82, off, s[0:3], 0 offset:216
	buffer_load_dword v83, off, s[0:3], 0 offset:220
	buffer_load_dword v84, off, s[0:3], 0 offset:224
	buffer_load_dword v85, off, s[0:3], 0 offset:228
	buffer_load_dword v86, off, s[0:3], 0 offset:232
	buffer_load_dword v87, off, s[0:3], 0 offset:236
	buffer_load_dword v88, off, s[0:3], 0 offset:240
	buffer_load_dword v89, off, s[0:3], 0 offset:244
	buffer_load_dword v90, off, s[0:3], 0 offset:192
	buffer_load_dword v91, off, s[0:3], 0 offset:196
	ds_read2_b64 v[66:69], v64 offset0:57 offset1:58
	ds_read2_b64 v[70:73], v64 offset0:59 offset1:60
	;; [unrolled: 1-line block ×3, first 2 shown]
	v_cmp_lt_u32_e32 vcc, 23, v0
	s_waitcnt vmcnt(12) lgkmcnt(2)
	v_fma_f64 v[64:65], v[78:79], v[66:67], 0
	s_waitcnt vmcnt(10)
	v_fmac_f64_e32 v[64:65], v[80:81], v[68:69]
	s_waitcnt vmcnt(8) lgkmcnt(1)
	v_fmac_f64_e32 v[64:65], v[82:83], v[70:71]
	s_waitcnt vmcnt(6)
	v_fmac_f64_e32 v[64:65], v[84:85], v[72:73]
	s_waitcnt vmcnt(4) lgkmcnt(0)
	v_fmac_f64_e32 v[64:65], v[86:87], v[74:75]
	s_waitcnt vmcnt(2)
	v_fmac_f64_e32 v[64:65], v[88:89], v[76:77]
	s_waitcnt vmcnt(0)
	v_add_f64 v[64:65], v[90:91], -v[64:65]
	buffer_store_dword v64, off, s[0:3], 0 offset:192
	buffer_store_dword v65, off, s[0:3], 0 offset:196
	s_and_saveexec_b64 s[4:5], vcc
	s_cbranch_execz .LBB94_147
; %bb.146:
	buffer_load_dword v64, off, s[0:3], 0 offset:184
	buffer_load_dword v65, off, s[0:3], 0 offset:188
	v_mov_b32_e32 v66, 0
	buffer_store_dword v66, off, s[0:3], 0 offset:184
	buffer_store_dword v66, off, s[0:3], 0 offset:188
	s_waitcnt vmcnt(2)
	ds_write_b64 v1, v[64:65]
.LBB94_147:
	s_or_b64 exec, exec, s[4:5]
	s_waitcnt lgkmcnt(0)
	; wave barrier
	s_waitcnt lgkmcnt(0)
	buffer_load_dword v78, off, s[0:3], 0 offset:192
	buffer_load_dword v79, off, s[0:3], 0 offset:196
	;; [unrolled: 1-line block ×16, first 2 shown]
	v_mov_b32_e32 v64, 0
	ds_read_b128 v[66:69], v64 offset:448
	ds_read_b128 v[70:73], v64 offset:464
	;; [unrolled: 1-line block ×3, first 2 shown]
	ds_read_b64 v[94:95], v64 offset:496
	v_cmp_lt_u32_e32 vcc, 22, v0
	s_waitcnt vmcnt(14) lgkmcnt(3)
	v_fma_f64 v[66:67], v[78:79], v[66:67], 0
	s_waitcnt vmcnt(12)
	v_fmac_f64_e32 v[66:67], v[80:81], v[68:69]
	s_waitcnt vmcnt(10) lgkmcnt(2)
	v_fmac_f64_e32 v[66:67], v[82:83], v[70:71]
	s_waitcnt vmcnt(8)
	v_fmac_f64_e32 v[66:67], v[84:85], v[72:73]
	s_waitcnt vmcnt(6) lgkmcnt(1)
	v_fmac_f64_e32 v[66:67], v[86:87], v[74:75]
	;; [unrolled: 4-line block ×3, first 2 shown]
	s_waitcnt vmcnt(0)
	v_add_f64 v[66:67], v[92:93], -v[66:67]
	buffer_store_dword v66, off, s[0:3], 0 offset:184
	buffer_store_dword v67, off, s[0:3], 0 offset:188
	s_and_saveexec_b64 s[4:5], vcc
	s_cbranch_execz .LBB94_149
; %bb.148:
	buffer_load_dword v66, off, s[0:3], 0 offset:176
	buffer_load_dword v67, off, s[0:3], 0 offset:180
	s_waitcnt vmcnt(0)
	ds_write_b64 v1, v[66:67]
	buffer_store_dword v64, off, s[0:3], 0 offset:176
	buffer_store_dword v64, off, s[0:3], 0 offset:180
.LBB94_149:
	s_or_b64 exec, exec, s[4:5]
	s_waitcnt lgkmcnt(0)
	; wave barrier
	s_waitcnt lgkmcnt(0)
	buffer_load_dword v82, off, s[0:3], 0 offset:184
	buffer_load_dword v83, off, s[0:3], 0 offset:188
	;; [unrolled: 1-line block ×18, first 2 shown]
	ds_read2_b64 v[66:69], v64 offset0:55 offset1:56
	ds_read2_b64 v[70:73], v64 offset0:57 offset1:58
	;; [unrolled: 1-line block ×4, first 2 shown]
	v_cmp_lt_u32_e32 vcc, 21, v0
	s_waitcnt vmcnt(16) lgkmcnt(3)
	v_fma_f64 v[64:65], v[82:83], v[66:67], 0
	s_waitcnt vmcnt(14)
	v_fmac_f64_e32 v[64:65], v[84:85], v[68:69]
	s_waitcnt vmcnt(12) lgkmcnt(2)
	v_fmac_f64_e32 v[64:65], v[86:87], v[70:71]
	s_waitcnt vmcnt(10)
	v_fmac_f64_e32 v[64:65], v[88:89], v[72:73]
	s_waitcnt vmcnt(8) lgkmcnt(1)
	v_fmac_f64_e32 v[64:65], v[90:91], v[74:75]
	;; [unrolled: 4-line block ×3, first 2 shown]
	s_waitcnt vmcnt(2)
	v_fmac_f64_e32 v[64:65], v[96:97], v[80:81]
	s_waitcnt vmcnt(0)
	v_add_f64 v[64:65], v[98:99], -v[64:65]
	buffer_store_dword v64, off, s[0:3], 0 offset:176
	buffer_store_dword v65, off, s[0:3], 0 offset:180
	s_and_saveexec_b64 s[4:5], vcc
	s_cbranch_execz .LBB94_151
; %bb.150:
	buffer_load_dword v64, off, s[0:3], 0 offset:168
	buffer_load_dword v65, off, s[0:3], 0 offset:172
	v_mov_b32_e32 v66, 0
	buffer_store_dword v66, off, s[0:3], 0 offset:168
	buffer_store_dword v66, off, s[0:3], 0 offset:172
	s_waitcnt vmcnt(2)
	ds_write_b64 v1, v[64:65]
.LBB94_151:
	s_or_b64 exec, exec, s[4:5]
	s_waitcnt lgkmcnt(0)
	; wave barrier
	s_waitcnt lgkmcnt(0)
	buffer_load_dword v82, off, s[0:3], 0 offset:176
	buffer_load_dword v83, off, s[0:3], 0 offset:180
	;; [unrolled: 1-line block ×20, first 2 shown]
	v_mov_b32_e32 v64, 0
	ds_read_b128 v[66:69], v64 offset:432
	ds_read_b128 v[70:73], v64 offset:448
	;; [unrolled: 1-line block ×4, first 2 shown]
	ds_read_b64 v[102:103], v64 offset:496
	v_cmp_lt_u32_e32 vcc, 20, v0
	s_waitcnt vmcnt(18) lgkmcnt(4)
	v_fma_f64 v[66:67], v[82:83], v[66:67], 0
	s_waitcnt vmcnt(16)
	v_fmac_f64_e32 v[66:67], v[84:85], v[68:69]
	s_waitcnt vmcnt(14) lgkmcnt(3)
	v_fmac_f64_e32 v[66:67], v[86:87], v[70:71]
	s_waitcnt vmcnt(12)
	v_fmac_f64_e32 v[66:67], v[88:89], v[72:73]
	s_waitcnt vmcnt(10) lgkmcnt(2)
	v_fmac_f64_e32 v[66:67], v[90:91], v[74:75]
	;; [unrolled: 4-line block ×3, first 2 shown]
	s_waitcnt vmcnt(2)
	v_fmac_f64_e32 v[66:67], v[98:99], v[80:81]
	s_waitcnt lgkmcnt(0)
	v_fmac_f64_e32 v[66:67], v[96:97], v[102:103]
	s_waitcnt vmcnt(0)
	v_add_f64 v[66:67], v[100:101], -v[66:67]
	buffer_store_dword v66, off, s[0:3], 0 offset:168
	buffer_store_dword v67, off, s[0:3], 0 offset:172
	s_and_saveexec_b64 s[4:5], vcc
	s_cbranch_execz .LBB94_153
; %bb.152:
	buffer_load_dword v66, off, s[0:3], 0 offset:160
	buffer_load_dword v67, off, s[0:3], 0 offset:164
	s_waitcnt vmcnt(0)
	ds_write_b64 v1, v[66:67]
	buffer_store_dword v64, off, s[0:3], 0 offset:160
	buffer_store_dword v64, off, s[0:3], 0 offset:164
.LBB94_153:
	s_or_b64 exec, exec, s[4:5]
	s_waitcnt lgkmcnt(0)
	; wave barrier
	s_waitcnt lgkmcnt(0)
	buffer_load_dword v86, off, s[0:3], 0 offset:168
	buffer_load_dword v87, off, s[0:3], 0 offset:172
	;; [unrolled: 1-line block ×22, first 2 shown]
	ds_read2_b64 v[66:69], v64 offset0:53 offset1:54
	ds_read2_b64 v[70:73], v64 offset0:55 offset1:56
	;; [unrolled: 1-line block ×5, first 2 shown]
	v_cmp_lt_u32_e32 vcc, 19, v0
	s_waitcnt vmcnt(20) lgkmcnt(4)
	v_fma_f64 v[64:65], v[86:87], v[66:67], 0
	s_waitcnt vmcnt(18)
	v_fmac_f64_e32 v[64:65], v[88:89], v[68:69]
	s_waitcnt vmcnt(16) lgkmcnt(3)
	v_fmac_f64_e32 v[64:65], v[90:91], v[70:71]
	s_waitcnt vmcnt(14)
	v_fmac_f64_e32 v[64:65], v[92:93], v[72:73]
	s_waitcnt vmcnt(12) lgkmcnt(2)
	v_fmac_f64_e32 v[64:65], v[94:95], v[74:75]
	;; [unrolled: 4-line block ×3, first 2 shown]
	s_waitcnt vmcnt(3)
	v_fmac_f64_e32 v[64:65], v[104:105], v[80:81]
	s_waitcnt lgkmcnt(0)
	v_fmac_f64_e32 v[64:65], v[102:103], v[82:83]
	s_waitcnt vmcnt(2)
	v_fmac_f64_e32 v[64:65], v[100:101], v[84:85]
	s_waitcnt vmcnt(0)
	v_add_f64 v[64:65], v[106:107], -v[64:65]
	buffer_store_dword v64, off, s[0:3], 0 offset:160
	buffer_store_dword v65, off, s[0:3], 0 offset:164
	s_and_saveexec_b64 s[4:5], vcc
	s_cbranch_execz .LBB94_155
; %bb.154:
	buffer_load_dword v64, off, s[0:3], 0 offset:152
	buffer_load_dword v65, off, s[0:3], 0 offset:156
	v_mov_b32_e32 v66, 0
	buffer_store_dword v66, off, s[0:3], 0 offset:152
	buffer_store_dword v66, off, s[0:3], 0 offset:156
	s_waitcnt vmcnt(2)
	ds_write_b64 v1, v[64:65]
.LBB94_155:
	s_or_b64 exec, exec, s[4:5]
	s_waitcnt lgkmcnt(0)
	; wave barrier
	s_waitcnt lgkmcnt(0)
	buffer_load_dword v86, off, s[0:3], 0 offset:160
	buffer_load_dword v87, off, s[0:3], 0 offset:164
	;; [unrolled: 1-line block ×24, first 2 shown]
	v_mov_b32_e32 v64, 0
	ds_read_b128 v[66:69], v64 offset:416
	ds_read_b128 v[70:73], v64 offset:432
	;; [unrolled: 1-line block ×5, first 2 shown]
	ds_read_b64 v[110:111], v64 offset:496
	v_cmp_lt_u32_e32 vcc, 18, v0
	s_waitcnt vmcnt(22) lgkmcnt(5)
	v_fma_f64 v[66:67], v[86:87], v[66:67], 0
	s_waitcnt vmcnt(20)
	v_fmac_f64_e32 v[66:67], v[88:89], v[68:69]
	s_waitcnt vmcnt(18) lgkmcnt(4)
	v_fmac_f64_e32 v[66:67], v[90:91], v[70:71]
	s_waitcnt vmcnt(16)
	v_fmac_f64_e32 v[66:67], v[92:93], v[72:73]
	s_waitcnt vmcnt(14) lgkmcnt(3)
	v_fmac_f64_e32 v[66:67], v[94:95], v[74:75]
	;; [unrolled: 4-line block ×3, first 2 shown]
	s_waitcnt vmcnt(4)
	v_fmac_f64_e32 v[66:67], v[106:107], v[80:81]
	s_waitcnt lgkmcnt(1)
	v_fmac_f64_e32 v[66:67], v[104:105], v[82:83]
	s_waitcnt vmcnt(3)
	v_fmac_f64_e32 v[66:67], v[102:103], v[84:85]
	s_waitcnt vmcnt(2) lgkmcnt(0)
	v_fmac_f64_e32 v[66:67], v[100:101], v[110:111]
	s_waitcnt vmcnt(0)
	v_add_f64 v[66:67], v[108:109], -v[66:67]
	buffer_store_dword v67, off, s[0:3], 0 offset:156
	buffer_store_dword v66, off, s[0:3], 0 offset:152
	s_and_saveexec_b64 s[4:5], vcc
	s_cbranch_execz .LBB94_157
; %bb.156:
	buffer_load_dword v66, off, s[0:3], 0 offset:144
	buffer_load_dword v67, off, s[0:3], 0 offset:148
	s_waitcnt vmcnt(0)
	ds_write_b64 v1, v[66:67]
	buffer_store_dword v64, off, s[0:3], 0 offset:144
	buffer_store_dword v64, off, s[0:3], 0 offset:148
.LBB94_157:
	s_or_b64 exec, exec, s[4:5]
	s_waitcnt lgkmcnt(0)
	; wave barrier
	s_waitcnt lgkmcnt(0)
	buffer_load_dword v90, off, s[0:3], 0 offset:152
	buffer_load_dword v91, off, s[0:3], 0 offset:156
	;; [unrolled: 1-line block ×26, first 2 shown]
	ds_read2_b64 v[66:69], v64 offset0:51 offset1:52
	ds_read2_b64 v[70:73], v64 offset0:53 offset1:54
	;; [unrolled: 1-line block ×6, first 2 shown]
	v_cmp_lt_u32_e32 vcc, 17, v0
	s_waitcnt vmcnt(24) lgkmcnt(5)
	v_fma_f64 v[64:65], v[90:91], v[66:67], 0
	s_waitcnt vmcnt(22)
	v_fmac_f64_e32 v[64:65], v[92:93], v[68:69]
	s_waitcnt vmcnt(20) lgkmcnt(4)
	v_fmac_f64_e32 v[64:65], v[94:95], v[70:71]
	s_waitcnt vmcnt(18)
	v_fmac_f64_e32 v[64:65], v[96:97], v[72:73]
	s_waitcnt vmcnt(16) lgkmcnt(3)
	v_fmac_f64_e32 v[64:65], v[98:99], v[74:75]
	;; [unrolled: 4-line block ×3, first 2 shown]
	s_waitcnt vmcnt(5)
	v_fmac_f64_e32 v[64:65], v[110:111], v[80:81]
	s_waitcnt lgkmcnt(1)
	v_fmac_f64_e32 v[64:65], v[108:109], v[82:83]
	v_fmac_f64_e32 v[64:65], v[106:107], v[84:85]
	s_waitcnt vmcnt(4) lgkmcnt(0)
	v_fmac_f64_e32 v[64:65], v[104:105], v[86:87]
	s_waitcnt vmcnt(2)
	v_fmac_f64_e32 v[64:65], v[112:113], v[88:89]
	s_waitcnt vmcnt(0)
	v_add_f64 v[64:65], v[114:115], -v[64:65]
	buffer_store_dword v65, off, s[0:3], 0 offset:148
	buffer_store_dword v64, off, s[0:3], 0 offset:144
	s_and_saveexec_b64 s[4:5], vcc
	s_cbranch_execz .LBB94_159
; %bb.158:
	buffer_load_dword v64, off, s[0:3], 0 offset:136
	buffer_load_dword v65, off, s[0:3], 0 offset:140
	v_mov_b32_e32 v66, 0
	buffer_store_dword v66, off, s[0:3], 0 offset:136
	buffer_store_dword v66, off, s[0:3], 0 offset:140
	s_waitcnt vmcnt(2)
	ds_write_b64 v1, v[64:65]
.LBB94_159:
	s_or_b64 exec, exec, s[4:5]
	s_waitcnt lgkmcnt(0)
	; wave barrier
	s_waitcnt lgkmcnt(0)
	buffer_load_dword v90, off, s[0:3], 0 offset:144
	buffer_load_dword v91, off, s[0:3], 0 offset:148
	;; [unrolled: 1-line block ×28, first 2 shown]
	v_mov_b32_e32 v64, 0
	ds_read_b128 v[66:69], v64 offset:400
	ds_read_b128 v[70:73], v64 offset:416
	;; [unrolled: 1-line block ×6, first 2 shown]
	ds_read_b64 v[118:119], v64 offset:496
	v_cmp_lt_u32_e32 vcc, 16, v0
	s_waitcnt vmcnt(26) lgkmcnt(6)
	v_fma_f64 v[66:67], v[90:91], v[66:67], 0
	s_waitcnt vmcnt(24)
	v_fmac_f64_e32 v[66:67], v[92:93], v[68:69]
	s_waitcnt vmcnt(22) lgkmcnt(5)
	v_fmac_f64_e32 v[66:67], v[94:95], v[70:71]
	s_waitcnt vmcnt(20)
	v_fmac_f64_e32 v[66:67], v[96:97], v[72:73]
	s_waitcnt vmcnt(18) lgkmcnt(4)
	v_fmac_f64_e32 v[66:67], v[98:99], v[74:75]
	;; [unrolled: 4-line block ×3, first 2 shown]
	s_waitcnt vmcnt(6)
	v_fmac_f64_e32 v[66:67], v[110:111], v[80:81]
	s_waitcnt lgkmcnt(2)
	v_fmac_f64_e32 v[66:67], v[108:109], v[82:83]
	v_fmac_f64_e32 v[66:67], v[106:107], v[84:85]
	s_waitcnt lgkmcnt(1)
	v_fmac_f64_e32 v[66:67], v[104:105], v[86:87]
	s_waitcnt vmcnt(2)
	v_fmac_f64_e32 v[66:67], v[114:115], v[88:89]
	s_waitcnt lgkmcnt(0)
	v_fmac_f64_e32 v[66:67], v[112:113], v[118:119]
	s_waitcnt vmcnt(0)
	v_add_f64 v[66:67], v[116:117], -v[66:67]
	buffer_store_dword v67, off, s[0:3], 0 offset:140
	buffer_store_dword v66, off, s[0:3], 0 offset:136
	s_and_saveexec_b64 s[4:5], vcc
	s_cbranch_execz .LBB94_161
; %bb.160:
	buffer_load_dword v66, off, s[0:3], 0 offset:128
	buffer_load_dword v67, off, s[0:3], 0 offset:132
	s_waitcnt vmcnt(0)
	ds_write_b64 v1, v[66:67]
	buffer_store_dword v64, off, s[0:3], 0 offset:128
	buffer_store_dword v64, off, s[0:3], 0 offset:132
.LBB94_161:
	s_or_b64 exec, exec, s[4:5]
	s_waitcnt lgkmcnt(0)
	; wave barrier
	s_waitcnt lgkmcnt(0)
	buffer_load_dword v94, off, s[0:3], 0 offset:136
	buffer_load_dword v95, off, s[0:3], 0 offset:140
	;; [unrolled: 1-line block ×30, first 2 shown]
	ds_read2_b64 v[66:69], v64 offset0:49 offset1:50
	ds_read2_b64 v[70:73], v64 offset0:51 offset1:52
	;; [unrolled: 1-line block ×7, first 2 shown]
	v_cmp_lt_u32_e32 vcc, 15, v0
	s_waitcnt vmcnt(28) lgkmcnt(6)
	v_fma_f64 v[64:65], v[94:95], v[66:67], 0
	s_waitcnt vmcnt(26)
	v_fmac_f64_e32 v[64:65], v[96:97], v[68:69]
	s_waitcnt vmcnt(24) lgkmcnt(5)
	v_fmac_f64_e32 v[64:65], v[98:99], v[70:71]
	s_waitcnt vmcnt(22)
	v_fmac_f64_e32 v[64:65], v[100:101], v[72:73]
	s_waitcnt vmcnt(20) lgkmcnt(4)
	v_fmac_f64_e32 v[64:65], v[102:103], v[74:75]
	s_waitcnt vmcnt(18)
	v_fmac_f64_e32 v[64:65], v[104:105], v[76:77]
	s_waitcnt vmcnt(16) lgkmcnt(3)
	v_fmac_f64_e32 v[64:65], v[106:107], v[78:79]
	s_waitcnt vmcnt(8)
	v_fmac_f64_e32 v[64:65], v[114:115], v[80:81]
	s_waitcnt lgkmcnt(2)
	v_fmac_f64_e32 v[64:65], v[112:113], v[82:83]
	v_fmac_f64_e32 v[64:65], v[110:111], v[84:85]
	s_waitcnt lgkmcnt(1)
	v_fmac_f64_e32 v[64:65], v[108:109], v[86:87]
	s_waitcnt vmcnt(3)
	v_fmac_f64_e32 v[64:65], v[120:121], v[88:89]
	s_waitcnt lgkmcnt(0)
	v_fmac_f64_e32 v[64:65], v[118:119], v[90:91]
	s_waitcnt vmcnt(2)
	v_fmac_f64_e32 v[64:65], v[116:117], v[92:93]
	s_waitcnt vmcnt(0)
	v_add_f64 v[64:65], v[122:123], -v[64:65]
	buffer_store_dword v65, off, s[0:3], 0 offset:132
	buffer_store_dword v64, off, s[0:3], 0 offset:128
	s_and_saveexec_b64 s[4:5], vcc
	s_cbranch_execz .LBB94_163
; %bb.162:
	buffer_load_dword v64, off, s[0:3], 0 offset:120
	buffer_load_dword v65, off, s[0:3], 0 offset:124
	v_mov_b32_e32 v66, 0
	buffer_store_dword v66, off, s[0:3], 0 offset:120
	buffer_store_dword v66, off, s[0:3], 0 offset:124
	s_waitcnt vmcnt(2)
	ds_write_b64 v1, v[64:65]
.LBB94_163:
	s_or_b64 exec, exec, s[4:5]
	s_waitcnt lgkmcnt(0)
	; wave barrier
	s_waitcnt lgkmcnt(0)
	buffer_load_dword v82, off, s[0:3], 0 offset:120
	buffer_load_dword v83, off, s[0:3], 0 offset:124
	buffer_load_dword v84, off, s[0:3], 0 offset:128
	buffer_load_dword v85, off, s[0:3], 0 offset:132
	buffer_load_dword v86, off, s[0:3], 0 offset:136
	buffer_load_dword v87, off, s[0:3], 0 offset:140
	buffer_load_dword v88, off, s[0:3], 0 offset:144
	buffer_load_dword v89, off, s[0:3], 0 offset:148
	buffer_load_dword v90, off, s[0:3], 0 offset:152
	buffer_load_dword v91, off, s[0:3], 0 offset:156
	buffer_load_dword v92, off, s[0:3], 0 offset:160
	buffer_load_dword v93, off, s[0:3], 0 offset:164
	buffer_load_dword v94, off, s[0:3], 0 offset:168
	buffer_load_dword v95, off, s[0:3], 0 offset:172
	buffer_load_dword v96, off, s[0:3], 0 offset:176
	buffer_load_dword v97, off, s[0:3], 0 offset:180
	v_mov_b32_e32 v64, 0
	ds_read_b128 v[66:69], v64 offset:384
	ds_read_b128 v[70:73], v64 offset:400
	;; [unrolled: 1-line block ×4, first 2 shown]
	v_cmp_lt_u32_e32 vcc, 14, v0
	s_waitcnt vmcnt(12) lgkmcnt(3)
	v_fma_f64 v[84:85], v[84:85], v[66:67], 0
	buffer_load_dword v67, off, s[0:3], 0 offset:188
	buffer_load_dword v66, off, s[0:3], 0 offset:184
	s_waitcnt vmcnt(12)
	v_fmac_f64_e32 v[84:85], v[86:87], v[68:69]
	s_waitcnt vmcnt(10) lgkmcnt(2)
	v_fmac_f64_e32 v[84:85], v[88:89], v[70:71]
	buffer_load_dword v71, off, s[0:3], 0 offset:196
	buffer_load_dword v70, off, s[0:3], 0 offset:192
	s_waitcnt vmcnt(10)
	v_fmac_f64_e32 v[84:85], v[90:91], v[72:73]
	s_waitcnt vmcnt(8) lgkmcnt(1)
	v_fmac_f64_e32 v[84:85], v[92:93], v[74:75]
	s_waitcnt vmcnt(6)
	v_fmac_f64_e32 v[84:85], v[94:95], v[76:77]
	s_waitcnt vmcnt(4) lgkmcnt(0)
	v_fmac_f64_e32 v[84:85], v[96:97], v[78:79]
	s_waitcnt vmcnt(2)
	v_fmac_f64_e32 v[84:85], v[66:67], v[80:81]
	ds_read_b128 v[66:69], v64 offset:448
	s_waitcnt vmcnt(0) lgkmcnt(0)
	v_fmac_f64_e32 v[84:85], v[70:71], v[66:67]
	buffer_load_dword v67, off, s[0:3], 0 offset:204
	buffer_load_dword v66, off, s[0:3], 0 offset:200
	;; [unrolled: 1-line block ×4, first 2 shown]
	s_waitcnt vmcnt(2)
	v_fmac_f64_e32 v[84:85], v[66:67], v[68:69]
	ds_read_b128 v[66:69], v64 offset:464
	s_waitcnt vmcnt(0) lgkmcnt(0)
	v_fmac_f64_e32 v[84:85], v[70:71], v[66:67]
	buffer_load_dword v67, off, s[0:3], 0 offset:220
	buffer_load_dword v66, off, s[0:3], 0 offset:216
	;; [unrolled: 1-line block ×4, first 2 shown]
	s_waitcnt vmcnt(2)
	v_fmac_f64_e32 v[84:85], v[66:67], v[68:69]
	ds_read_b128 v[66:69], v64 offset:480
	s_waitcnt vmcnt(0) lgkmcnt(0)
	v_fmac_f64_e32 v[84:85], v[70:71], v[66:67]
	buffer_load_dword v67, off, s[0:3], 0 offset:236
	buffer_load_dword v66, off, s[0:3], 0 offset:232
	s_waitcnt vmcnt(0)
	v_fmac_f64_e32 v[84:85], v[66:67], v[68:69]
	buffer_load_dword v67, off, s[0:3], 0 offset:244
	buffer_load_dword v66, off, s[0:3], 0 offset:240
	ds_read_b64 v[68:69], v64 offset:496
	s_waitcnt vmcnt(0) lgkmcnt(0)
	v_fmac_f64_e32 v[84:85], v[66:67], v[68:69]
	v_add_f64 v[66:67], v[82:83], -v[84:85]
	buffer_store_dword v67, off, s[0:3], 0 offset:124
	buffer_store_dword v66, off, s[0:3], 0 offset:120
	s_and_saveexec_b64 s[4:5], vcc
	s_cbranch_execz .LBB94_165
; %bb.164:
	buffer_load_dword v66, off, s[0:3], 0 offset:112
	buffer_load_dword v67, off, s[0:3], 0 offset:116
	s_waitcnt vmcnt(0)
	ds_write_b64 v1, v[66:67]
	buffer_store_dword v64, off, s[0:3], 0 offset:112
	buffer_store_dword v64, off, s[0:3], 0 offset:116
.LBB94_165:
	s_or_b64 exec, exec, s[4:5]
	s_waitcnt lgkmcnt(0)
	; wave barrier
	s_waitcnt lgkmcnt(0)
	buffer_load_dword v70, off, s[0:3], 0 offset:112
	buffer_load_dword v71, off, s[0:3], 0 offset:116
	buffer_load_dword v72, off, s[0:3], 0 offset:120
	buffer_load_dword v73, off, s[0:3], 0 offset:124
	buffer_load_dword v74, off, s[0:3], 0 offset:128
	buffer_load_dword v75, off, s[0:3], 0 offset:132
	buffer_load_dword v76, off, s[0:3], 0 offset:136
	buffer_load_dword v77, off, s[0:3], 0 offset:140
	buffer_load_dword v78, off, s[0:3], 0 offset:144
	buffer_load_dword v79, off, s[0:3], 0 offset:148
	buffer_load_dword v80, off, s[0:3], 0 offset:152
	buffer_load_dword v81, off, s[0:3], 0 offset:156
	buffer_load_dword v82, off, s[0:3], 0 offset:160
	buffer_load_dword v83, off, s[0:3], 0 offset:164
	buffer_load_dword v84, off, s[0:3], 0 offset:168
	buffer_load_dword v85, off, s[0:3], 0 offset:172
	ds_read2_b64 v[66:69], v64 offset0:47 offset1:48
	v_cmp_lt_u32_e32 vcc, 13, v0
	s_waitcnt vmcnt(12) lgkmcnt(0)
	v_fma_f64 v[72:73], v[72:73], v[66:67], 0
	s_waitcnt vmcnt(10)
	v_fmac_f64_e32 v[72:73], v[74:75], v[68:69]
	ds_read2_b64 v[66:69], v64 offset0:49 offset1:50
	s_waitcnt vmcnt(8) lgkmcnt(0)
	v_fmac_f64_e32 v[72:73], v[76:77], v[66:67]
	s_waitcnt vmcnt(6)
	v_fmac_f64_e32 v[72:73], v[78:79], v[68:69]
	ds_read2_b64 v[66:69], v64 offset0:51 offset1:52
	s_waitcnt vmcnt(4) lgkmcnt(0)
	v_fmac_f64_e32 v[72:73], v[80:81], v[66:67]
	;; [unrolled: 5-line block ×3, first 2 shown]
	buffer_load_dword v67, off, s[0:3], 0 offset:180
	buffer_load_dword v66, off, s[0:3], 0 offset:176
	buffer_load_dword v75, off, s[0:3], 0 offset:188
	buffer_load_dword v74, off, s[0:3], 0 offset:184
	s_waitcnt vmcnt(2)
	v_fmac_f64_e32 v[72:73], v[66:67], v[68:69]
	ds_read2_b64 v[66:69], v64 offset0:55 offset1:56
	s_waitcnt vmcnt(0) lgkmcnt(0)
	v_fmac_f64_e32 v[72:73], v[74:75], v[66:67]
	buffer_load_dword v67, off, s[0:3], 0 offset:196
	buffer_load_dword v66, off, s[0:3], 0 offset:192
	buffer_load_dword v75, off, s[0:3], 0 offset:204
	buffer_load_dword v74, off, s[0:3], 0 offset:200
	s_waitcnt vmcnt(2)
	v_fmac_f64_e32 v[72:73], v[66:67], v[68:69]
	ds_read2_b64 v[66:69], v64 offset0:57 offset1:58
	s_waitcnt vmcnt(0) lgkmcnt(0)
	v_fmac_f64_e32 v[72:73], v[74:75], v[66:67]
	;; [unrolled: 9-line block ×3, first 2 shown]
	buffer_load_dword v67, off, s[0:3], 0 offset:228
	buffer_load_dword v66, off, s[0:3], 0 offset:224
	s_waitcnt vmcnt(0)
	v_fmac_f64_e32 v[72:73], v[66:67], v[68:69]
	buffer_load_dword v69, off, s[0:3], 0 offset:236
	buffer_load_dword v68, off, s[0:3], 0 offset:232
	ds_read2_b64 v[64:67], v64 offset0:61 offset1:62
	s_waitcnt vmcnt(0) lgkmcnt(0)
	v_fmac_f64_e32 v[72:73], v[68:69], v[64:65]
	buffer_load_dword v65, off, s[0:3], 0 offset:244
	buffer_load_dword v64, off, s[0:3], 0 offset:240
	s_waitcnt vmcnt(0)
	v_fmac_f64_e32 v[72:73], v[64:65], v[66:67]
	v_add_f64 v[64:65], v[70:71], -v[72:73]
	buffer_store_dword v65, off, s[0:3], 0 offset:116
	buffer_store_dword v64, off, s[0:3], 0 offset:112
	s_and_saveexec_b64 s[4:5], vcc
	s_cbranch_execz .LBB94_167
; %bb.166:
	buffer_load_dword v64, off, s[0:3], 0 offset:104
	buffer_load_dword v65, off, s[0:3], 0 offset:108
	v_mov_b32_e32 v66, 0
	buffer_store_dword v66, off, s[0:3], 0 offset:104
	buffer_store_dword v66, off, s[0:3], 0 offset:108
	s_waitcnt vmcnt(2)
	ds_write_b64 v1, v[64:65]
.LBB94_167:
	s_or_b64 exec, exec, s[4:5]
	s_waitcnt lgkmcnt(0)
	; wave barrier
	s_waitcnt lgkmcnt(0)
	buffer_load_dword v64, off, s[0:3], 0 offset:104
	buffer_load_dword v65, off, s[0:3], 0 offset:108
	;; [unrolled: 1-line block ×16, first 2 shown]
	v_mov_b32_e32 v68, 0
	ds_read_b128 v[70:73], v68 offset:368
	ds_read_b128 v[74:77], v68 offset:384
	;; [unrolled: 1-line block ×4, first 2 shown]
	v_cmp_lt_u32_e32 vcc, 12, v0
	s_waitcnt vmcnt(12) lgkmcnt(3)
	v_fma_f64 v[66:67], v[66:67], v[70:71], 0
	buffer_load_dword v71, off, s[0:3], 0 offset:172
	buffer_load_dword v70, off, s[0:3], 0 offset:168
	s_waitcnt vmcnt(12)
	v_fmac_f64_e32 v[66:67], v[86:87], v[72:73]
	s_waitcnt vmcnt(10) lgkmcnt(2)
	v_fmac_f64_e32 v[66:67], v[88:89], v[74:75]
	buffer_load_dword v75, off, s[0:3], 0 offset:180
	buffer_load_dword v74, off, s[0:3], 0 offset:176
	s_waitcnt vmcnt(10)
	v_fmac_f64_e32 v[66:67], v[90:91], v[76:77]
	s_waitcnt vmcnt(8) lgkmcnt(1)
	v_fmac_f64_e32 v[66:67], v[92:93], v[78:79]
	s_waitcnt vmcnt(6)
	v_fmac_f64_e32 v[66:67], v[94:95], v[80:81]
	s_waitcnt vmcnt(4) lgkmcnt(0)
	v_fmac_f64_e32 v[66:67], v[96:97], v[82:83]
	s_waitcnt vmcnt(2)
	v_fmac_f64_e32 v[66:67], v[70:71], v[84:85]
	ds_read_b128 v[70:73], v68 offset:432
	s_waitcnt vmcnt(0) lgkmcnt(0)
	v_fmac_f64_e32 v[66:67], v[74:75], v[70:71]
	buffer_load_dword v71, off, s[0:3], 0 offset:188
	buffer_load_dword v70, off, s[0:3], 0 offset:184
	buffer_load_dword v75, off, s[0:3], 0 offset:196
	buffer_load_dword v74, off, s[0:3], 0 offset:192
	s_waitcnt vmcnt(2)
	v_fmac_f64_e32 v[66:67], v[70:71], v[72:73]
	ds_read_b128 v[70:73], v68 offset:448
	s_waitcnt vmcnt(0) lgkmcnt(0)
	v_fmac_f64_e32 v[66:67], v[74:75], v[70:71]
	buffer_load_dword v71, off, s[0:3], 0 offset:204
	buffer_load_dword v70, off, s[0:3], 0 offset:200
	buffer_load_dword v75, off, s[0:3], 0 offset:212
	buffer_load_dword v74, off, s[0:3], 0 offset:208
	;; [unrolled: 9-line block ×3, first 2 shown]
	s_waitcnt vmcnt(2)
	v_fmac_f64_e32 v[66:67], v[70:71], v[72:73]
	ds_read_b128 v[70:73], v68 offset:480
	s_waitcnt vmcnt(0) lgkmcnt(0)
	v_fmac_f64_e32 v[66:67], v[74:75], v[70:71]
	buffer_load_dword v71, off, s[0:3], 0 offset:236
	buffer_load_dword v70, off, s[0:3], 0 offset:232
	s_waitcnt vmcnt(0)
	v_fmac_f64_e32 v[66:67], v[70:71], v[72:73]
	buffer_load_dword v71, off, s[0:3], 0 offset:244
	buffer_load_dword v70, off, s[0:3], 0 offset:240
	ds_read_b64 v[72:73], v68 offset:496
	s_waitcnt vmcnt(0) lgkmcnt(0)
	v_fmac_f64_e32 v[66:67], v[70:71], v[72:73]
	v_add_f64 v[64:65], v[64:65], -v[66:67]
	buffer_store_dword v65, off, s[0:3], 0 offset:108
	buffer_store_dword v64, off, s[0:3], 0 offset:104
	s_and_saveexec_b64 s[4:5], vcc
	s_cbranch_execz .LBB94_169
; %bb.168:
	buffer_load_dword v64, off, s[0:3], 0 offset:96
	buffer_load_dword v65, off, s[0:3], 0 offset:100
	s_waitcnt vmcnt(0)
	ds_write_b64 v1, v[64:65]
	buffer_store_dword v68, off, s[0:3], 0 offset:96
	buffer_store_dword v68, off, s[0:3], 0 offset:100
.LBB94_169:
	s_or_b64 exec, exec, s[4:5]
	s_waitcnt lgkmcnt(0)
	; wave barrier
	s_waitcnt lgkmcnt(0)
	buffer_load_dword v64, off, s[0:3], 0 offset:96
	buffer_load_dword v65, off, s[0:3], 0 offset:100
	;; [unrolled: 1-line block ×16, first 2 shown]
	ds_read2_b64 v[70:73], v68 offset0:45 offset1:46
	v_cmp_lt_u32_e32 vcc, 11, v0
	s_waitcnt vmcnt(12) lgkmcnt(0)
	v_fma_f64 v[66:67], v[66:67], v[70:71], 0
	s_waitcnt vmcnt(10)
	v_fmac_f64_e32 v[66:67], v[74:75], v[72:73]
	ds_read2_b64 v[70:73], v68 offset0:47 offset1:48
	s_waitcnt vmcnt(8) lgkmcnt(0)
	v_fmac_f64_e32 v[66:67], v[76:77], v[70:71]
	s_waitcnt vmcnt(6)
	v_fmac_f64_e32 v[66:67], v[78:79], v[72:73]
	ds_read2_b64 v[70:73], v68 offset0:49 offset1:50
	s_waitcnt vmcnt(4) lgkmcnt(0)
	v_fmac_f64_e32 v[66:67], v[80:81], v[70:71]
	;; [unrolled: 5-line block ×3, first 2 shown]
	buffer_load_dword v71, off, s[0:3], 0 offset:164
	buffer_load_dword v70, off, s[0:3], 0 offset:160
	buffer_load_dword v75, off, s[0:3], 0 offset:172
	buffer_load_dword v74, off, s[0:3], 0 offset:168
	s_waitcnt vmcnt(2)
	v_fmac_f64_e32 v[66:67], v[70:71], v[72:73]
	ds_read2_b64 v[70:73], v68 offset0:53 offset1:54
	s_waitcnt vmcnt(0) lgkmcnt(0)
	v_fmac_f64_e32 v[66:67], v[74:75], v[70:71]
	buffer_load_dword v71, off, s[0:3], 0 offset:180
	buffer_load_dword v70, off, s[0:3], 0 offset:176
	buffer_load_dword v75, off, s[0:3], 0 offset:188
	buffer_load_dword v74, off, s[0:3], 0 offset:184
	s_waitcnt vmcnt(2)
	v_fmac_f64_e32 v[66:67], v[70:71], v[72:73]
	ds_read2_b64 v[70:73], v68 offset0:55 offset1:56
	s_waitcnt vmcnt(0) lgkmcnt(0)
	v_fmac_f64_e32 v[66:67], v[74:75], v[70:71]
	;; [unrolled: 9-line block ×4, first 2 shown]
	buffer_load_dword v71, off, s[0:3], 0 offset:228
	buffer_load_dword v70, off, s[0:3], 0 offset:224
	s_waitcnt vmcnt(0)
	v_fmac_f64_e32 v[66:67], v[70:71], v[72:73]
	buffer_load_dword v73, off, s[0:3], 0 offset:236
	buffer_load_dword v72, off, s[0:3], 0 offset:232
	ds_read2_b64 v[68:71], v68 offset0:61 offset1:62
	s_waitcnt vmcnt(0) lgkmcnt(0)
	v_fmac_f64_e32 v[66:67], v[72:73], v[68:69]
	buffer_load_dword v69, off, s[0:3], 0 offset:244
	buffer_load_dword v68, off, s[0:3], 0 offset:240
	s_waitcnt vmcnt(0)
	v_fmac_f64_e32 v[66:67], v[68:69], v[70:71]
	v_add_f64 v[64:65], v[64:65], -v[66:67]
	buffer_store_dword v65, off, s[0:3], 0 offset:100
	buffer_store_dword v64, off, s[0:3], 0 offset:96
	s_and_saveexec_b64 s[4:5], vcc
	s_cbranch_execz .LBB94_171
; %bb.170:
	buffer_load_dword v64, off, s[0:3], 0 offset:88
	buffer_load_dword v65, off, s[0:3], 0 offset:92
	v_mov_b32_e32 v66, 0
	buffer_store_dword v66, off, s[0:3], 0 offset:88
	buffer_store_dword v66, off, s[0:3], 0 offset:92
	s_waitcnt vmcnt(2)
	ds_write_b64 v1, v[64:65]
.LBB94_171:
	s_or_b64 exec, exec, s[4:5]
	s_waitcnt lgkmcnt(0)
	; wave barrier
	s_waitcnt lgkmcnt(0)
	buffer_load_dword v64, off, s[0:3], 0 offset:88
	buffer_load_dword v65, off, s[0:3], 0 offset:92
	;; [unrolled: 1-line block ×16, first 2 shown]
	v_mov_b32_e32 v68, 0
	ds_read_b128 v[70:73], v68 offset:352
	ds_read_b128 v[74:77], v68 offset:368
	;; [unrolled: 1-line block ×4, first 2 shown]
	v_cmp_lt_u32_e32 vcc, 10, v0
	s_waitcnt vmcnt(12) lgkmcnt(3)
	v_fma_f64 v[66:67], v[66:67], v[70:71], 0
	buffer_load_dword v71, off, s[0:3], 0 offset:156
	buffer_load_dword v70, off, s[0:3], 0 offset:152
	s_waitcnt vmcnt(12)
	v_fmac_f64_e32 v[66:67], v[86:87], v[72:73]
	s_waitcnt vmcnt(10) lgkmcnt(2)
	v_fmac_f64_e32 v[66:67], v[88:89], v[74:75]
	buffer_load_dword v75, off, s[0:3], 0 offset:164
	buffer_load_dword v74, off, s[0:3], 0 offset:160
	s_waitcnt vmcnt(10)
	v_fmac_f64_e32 v[66:67], v[90:91], v[76:77]
	s_waitcnt vmcnt(8) lgkmcnt(1)
	v_fmac_f64_e32 v[66:67], v[92:93], v[78:79]
	s_waitcnt vmcnt(6)
	v_fmac_f64_e32 v[66:67], v[94:95], v[80:81]
	s_waitcnt vmcnt(4) lgkmcnt(0)
	v_fmac_f64_e32 v[66:67], v[96:97], v[82:83]
	s_waitcnt vmcnt(2)
	v_fmac_f64_e32 v[66:67], v[70:71], v[84:85]
	ds_read_b128 v[70:73], v68 offset:416
	s_waitcnt vmcnt(0) lgkmcnt(0)
	v_fmac_f64_e32 v[66:67], v[74:75], v[70:71]
	buffer_load_dword v71, off, s[0:3], 0 offset:172
	buffer_load_dword v70, off, s[0:3], 0 offset:168
	buffer_load_dword v75, off, s[0:3], 0 offset:180
	buffer_load_dword v74, off, s[0:3], 0 offset:176
	s_waitcnt vmcnt(2)
	v_fmac_f64_e32 v[66:67], v[70:71], v[72:73]
	ds_read_b128 v[70:73], v68 offset:432
	s_waitcnt vmcnt(0) lgkmcnt(0)
	v_fmac_f64_e32 v[66:67], v[74:75], v[70:71]
	buffer_load_dword v71, off, s[0:3], 0 offset:188
	buffer_load_dword v70, off, s[0:3], 0 offset:184
	buffer_load_dword v75, off, s[0:3], 0 offset:196
	buffer_load_dword v74, off, s[0:3], 0 offset:192
	s_waitcnt vmcnt(2)
	v_fmac_f64_e32 v[66:67], v[70:71], v[72:73]
	ds_read_b128 v[70:73], v68 offset:448
	s_waitcnt vmcnt(0) lgkmcnt(0)
	v_fmac_f64_e32 v[66:67], v[74:75], v[70:71]
	buffer_load_dword v71, off, s[0:3], 0 offset:204
	buffer_load_dword v70, off, s[0:3], 0 offset:200
	buffer_load_dword v75, off, s[0:3], 0 offset:212
	buffer_load_dword v74, off, s[0:3], 0 offset:208
	s_waitcnt vmcnt(2)
	v_fmac_f64_e32 v[66:67], v[70:71], v[72:73]
	ds_read_b128 v[70:73], v68 offset:464
	s_waitcnt vmcnt(0) lgkmcnt(0)
	v_fmac_f64_e32 v[66:67], v[74:75], v[70:71]
	buffer_load_dword v71, off, s[0:3], 0 offset:220
	buffer_load_dword v70, off, s[0:3], 0 offset:216
	buffer_load_dword v75, off, s[0:3], 0 offset:228
	buffer_load_dword v74, off, s[0:3], 0 offset:224
	s_waitcnt vmcnt(2)
	v_fmac_f64_e32 v[66:67], v[70:71], v[72:73]
	ds_read_b128 v[70:73], v68 offset:480
	s_waitcnt vmcnt(0) lgkmcnt(0)
	v_fmac_f64_e32 v[66:67], v[74:75], v[70:71]
	buffer_load_dword v71, off, s[0:3], 0 offset:236
	buffer_load_dword v70, off, s[0:3], 0 offset:232
	s_waitcnt vmcnt(0)
	v_fmac_f64_e32 v[66:67], v[70:71], v[72:73]
	buffer_load_dword v71, off, s[0:3], 0 offset:244
	buffer_load_dword v70, off, s[0:3], 0 offset:240
	ds_read_b64 v[72:73], v68 offset:496
	s_waitcnt vmcnt(0) lgkmcnt(0)
	v_fmac_f64_e32 v[66:67], v[70:71], v[72:73]
	v_add_f64 v[64:65], v[64:65], -v[66:67]
	buffer_store_dword v65, off, s[0:3], 0 offset:92
	buffer_store_dword v64, off, s[0:3], 0 offset:88
	s_and_saveexec_b64 s[4:5], vcc
	s_cbranch_execz .LBB94_173
; %bb.172:
	buffer_load_dword v64, off, s[0:3], 0 offset:80
	buffer_load_dword v65, off, s[0:3], 0 offset:84
	s_waitcnt vmcnt(0)
	ds_write_b64 v1, v[64:65]
	buffer_store_dword v68, off, s[0:3], 0 offset:80
	buffer_store_dword v68, off, s[0:3], 0 offset:84
.LBB94_173:
	s_or_b64 exec, exec, s[4:5]
	s_waitcnt lgkmcnt(0)
	; wave barrier
	s_waitcnt lgkmcnt(0)
	buffer_load_dword v64, off, s[0:3], 0 offset:80
	buffer_load_dword v65, off, s[0:3], 0 offset:84
	buffer_load_dword v66, off, s[0:3], 0 offset:88
	buffer_load_dword v67, off, s[0:3], 0 offset:92
	buffer_load_dword v74, off, s[0:3], 0 offset:96
	buffer_load_dword v75, off, s[0:3], 0 offset:100
	buffer_load_dword v76, off, s[0:3], 0 offset:104
	buffer_load_dword v77, off, s[0:3], 0 offset:108
	buffer_load_dword v78, off, s[0:3], 0 offset:112
	buffer_load_dword v79, off, s[0:3], 0 offset:116
	buffer_load_dword v80, off, s[0:3], 0 offset:120
	buffer_load_dword v81, off, s[0:3], 0 offset:124
	buffer_load_dword v82, off, s[0:3], 0 offset:128
	buffer_load_dword v83, off, s[0:3], 0 offset:132
	buffer_load_dword v84, off, s[0:3], 0 offset:136
	buffer_load_dword v85, off, s[0:3], 0 offset:140
	ds_read2_b64 v[70:73], v68 offset0:43 offset1:44
	v_cmp_lt_u32_e32 vcc, 9, v0
	s_waitcnt vmcnt(12) lgkmcnt(0)
	v_fma_f64 v[66:67], v[66:67], v[70:71], 0
	s_waitcnt vmcnt(10)
	v_fmac_f64_e32 v[66:67], v[74:75], v[72:73]
	ds_read2_b64 v[70:73], v68 offset0:45 offset1:46
	s_waitcnt vmcnt(8) lgkmcnt(0)
	v_fmac_f64_e32 v[66:67], v[76:77], v[70:71]
	s_waitcnt vmcnt(6)
	v_fmac_f64_e32 v[66:67], v[78:79], v[72:73]
	ds_read2_b64 v[70:73], v68 offset0:47 offset1:48
	s_waitcnt vmcnt(4) lgkmcnt(0)
	v_fmac_f64_e32 v[66:67], v[80:81], v[70:71]
	;; [unrolled: 5-line block ×3, first 2 shown]
	buffer_load_dword v71, off, s[0:3], 0 offset:148
	buffer_load_dword v70, off, s[0:3], 0 offset:144
	buffer_load_dword v75, off, s[0:3], 0 offset:156
	buffer_load_dword v74, off, s[0:3], 0 offset:152
	s_waitcnt vmcnt(2)
	v_fmac_f64_e32 v[66:67], v[70:71], v[72:73]
	ds_read2_b64 v[70:73], v68 offset0:51 offset1:52
	s_waitcnt vmcnt(0) lgkmcnt(0)
	v_fmac_f64_e32 v[66:67], v[74:75], v[70:71]
	buffer_load_dword v71, off, s[0:3], 0 offset:164
	buffer_load_dword v70, off, s[0:3], 0 offset:160
	buffer_load_dword v75, off, s[0:3], 0 offset:172
	buffer_load_dword v74, off, s[0:3], 0 offset:168
	s_waitcnt vmcnt(2)
	v_fmac_f64_e32 v[66:67], v[70:71], v[72:73]
	ds_read2_b64 v[70:73], v68 offset0:53 offset1:54
	s_waitcnt vmcnt(0) lgkmcnt(0)
	v_fmac_f64_e32 v[66:67], v[74:75], v[70:71]
	;; [unrolled: 9-line block ×5, first 2 shown]
	buffer_load_dword v71, off, s[0:3], 0 offset:228
	buffer_load_dword v70, off, s[0:3], 0 offset:224
	s_waitcnt vmcnt(0)
	v_fmac_f64_e32 v[66:67], v[70:71], v[72:73]
	buffer_load_dword v73, off, s[0:3], 0 offset:236
	buffer_load_dword v72, off, s[0:3], 0 offset:232
	ds_read2_b64 v[68:71], v68 offset0:61 offset1:62
	s_waitcnt vmcnt(0) lgkmcnt(0)
	v_fmac_f64_e32 v[66:67], v[72:73], v[68:69]
	buffer_load_dword v69, off, s[0:3], 0 offset:244
	buffer_load_dword v68, off, s[0:3], 0 offset:240
	s_waitcnt vmcnt(0)
	v_fmac_f64_e32 v[66:67], v[68:69], v[70:71]
	v_add_f64 v[64:65], v[64:65], -v[66:67]
	buffer_store_dword v65, off, s[0:3], 0 offset:84
	buffer_store_dword v64, off, s[0:3], 0 offset:80
	s_and_saveexec_b64 s[4:5], vcc
	s_cbranch_execz .LBB94_175
; %bb.174:
	buffer_load_dword v64, off, s[0:3], 0 offset:72
	buffer_load_dword v65, off, s[0:3], 0 offset:76
	v_mov_b32_e32 v66, 0
	buffer_store_dword v66, off, s[0:3], 0 offset:72
	buffer_store_dword v66, off, s[0:3], 0 offset:76
	s_waitcnt vmcnt(2)
	ds_write_b64 v1, v[64:65]
.LBB94_175:
	s_or_b64 exec, exec, s[4:5]
	s_waitcnt lgkmcnt(0)
	; wave barrier
	s_waitcnt lgkmcnt(0)
	buffer_load_dword v64, off, s[0:3], 0 offset:72
	buffer_load_dword v65, off, s[0:3], 0 offset:76
	;; [unrolled: 1-line block ×16, first 2 shown]
	v_mov_b32_e32 v68, 0
	ds_read_b128 v[70:73], v68 offset:336
	ds_read_b128 v[74:77], v68 offset:352
	;; [unrolled: 1-line block ×4, first 2 shown]
	v_cmp_lt_u32_e32 vcc, 8, v0
	s_waitcnt vmcnt(12) lgkmcnt(3)
	v_fma_f64 v[66:67], v[66:67], v[70:71], 0
	buffer_load_dword v71, off, s[0:3], 0 offset:140
	buffer_load_dword v70, off, s[0:3], 0 offset:136
	s_waitcnt vmcnt(12)
	v_fmac_f64_e32 v[66:67], v[86:87], v[72:73]
	s_waitcnt vmcnt(10) lgkmcnt(2)
	v_fmac_f64_e32 v[66:67], v[88:89], v[74:75]
	buffer_load_dword v75, off, s[0:3], 0 offset:148
	buffer_load_dword v74, off, s[0:3], 0 offset:144
	s_waitcnt vmcnt(10)
	v_fmac_f64_e32 v[66:67], v[90:91], v[76:77]
	s_waitcnt vmcnt(8) lgkmcnt(1)
	v_fmac_f64_e32 v[66:67], v[92:93], v[78:79]
	s_waitcnt vmcnt(6)
	v_fmac_f64_e32 v[66:67], v[94:95], v[80:81]
	s_waitcnt vmcnt(4) lgkmcnt(0)
	v_fmac_f64_e32 v[66:67], v[96:97], v[82:83]
	s_waitcnt vmcnt(2)
	v_fmac_f64_e32 v[66:67], v[70:71], v[84:85]
	ds_read_b128 v[70:73], v68 offset:400
	s_waitcnt vmcnt(0) lgkmcnt(0)
	v_fmac_f64_e32 v[66:67], v[74:75], v[70:71]
	buffer_load_dword v71, off, s[0:3], 0 offset:156
	buffer_load_dword v70, off, s[0:3], 0 offset:152
	buffer_load_dword v75, off, s[0:3], 0 offset:164
	buffer_load_dword v74, off, s[0:3], 0 offset:160
	s_waitcnt vmcnt(2)
	v_fmac_f64_e32 v[66:67], v[70:71], v[72:73]
	ds_read_b128 v[70:73], v68 offset:416
	s_waitcnt vmcnt(0) lgkmcnt(0)
	v_fmac_f64_e32 v[66:67], v[74:75], v[70:71]
	buffer_load_dword v71, off, s[0:3], 0 offset:172
	buffer_load_dword v70, off, s[0:3], 0 offset:168
	buffer_load_dword v75, off, s[0:3], 0 offset:180
	buffer_load_dword v74, off, s[0:3], 0 offset:176
	s_waitcnt vmcnt(2)
	v_fmac_f64_e32 v[66:67], v[70:71], v[72:73]
	ds_read_b128 v[70:73], v68 offset:432
	s_waitcnt vmcnt(0) lgkmcnt(0)
	v_fmac_f64_e32 v[66:67], v[74:75], v[70:71]
	buffer_load_dword v71, off, s[0:3], 0 offset:188
	buffer_load_dword v70, off, s[0:3], 0 offset:184
	buffer_load_dword v75, off, s[0:3], 0 offset:196
	buffer_load_dword v74, off, s[0:3], 0 offset:192
	s_waitcnt vmcnt(2)
	v_fmac_f64_e32 v[66:67], v[70:71], v[72:73]
	ds_read_b128 v[70:73], v68 offset:448
	s_waitcnt vmcnt(0) lgkmcnt(0)
	v_fmac_f64_e32 v[66:67], v[74:75], v[70:71]
	buffer_load_dword v71, off, s[0:3], 0 offset:204
	buffer_load_dword v70, off, s[0:3], 0 offset:200
	buffer_load_dword v75, off, s[0:3], 0 offset:212
	buffer_load_dword v74, off, s[0:3], 0 offset:208
	s_waitcnt vmcnt(2)
	v_fmac_f64_e32 v[66:67], v[70:71], v[72:73]
	ds_read_b128 v[70:73], v68 offset:464
	s_waitcnt vmcnt(0) lgkmcnt(0)
	v_fmac_f64_e32 v[66:67], v[74:75], v[70:71]
	buffer_load_dword v71, off, s[0:3], 0 offset:220
	buffer_load_dword v70, off, s[0:3], 0 offset:216
	buffer_load_dword v75, off, s[0:3], 0 offset:228
	buffer_load_dword v74, off, s[0:3], 0 offset:224
	s_waitcnt vmcnt(2)
	v_fmac_f64_e32 v[66:67], v[70:71], v[72:73]
	ds_read_b128 v[70:73], v68 offset:480
	s_waitcnt vmcnt(0) lgkmcnt(0)
	v_fmac_f64_e32 v[66:67], v[74:75], v[70:71]
	buffer_load_dword v71, off, s[0:3], 0 offset:236
	buffer_load_dword v70, off, s[0:3], 0 offset:232
	s_waitcnt vmcnt(0)
	v_fmac_f64_e32 v[66:67], v[70:71], v[72:73]
	buffer_load_dword v71, off, s[0:3], 0 offset:244
	buffer_load_dword v70, off, s[0:3], 0 offset:240
	ds_read_b64 v[72:73], v68 offset:496
	s_waitcnt vmcnt(0) lgkmcnt(0)
	v_fmac_f64_e32 v[66:67], v[70:71], v[72:73]
	v_add_f64 v[64:65], v[64:65], -v[66:67]
	buffer_store_dword v65, off, s[0:3], 0 offset:76
	buffer_store_dword v64, off, s[0:3], 0 offset:72
	s_and_saveexec_b64 s[4:5], vcc
	s_cbranch_execz .LBB94_177
; %bb.176:
	buffer_load_dword v64, off, s[0:3], 0 offset:64
	buffer_load_dword v65, off, s[0:3], 0 offset:68
	s_waitcnt vmcnt(0)
	ds_write_b64 v1, v[64:65]
	buffer_store_dword v68, off, s[0:3], 0 offset:64
	buffer_store_dword v68, off, s[0:3], 0 offset:68
.LBB94_177:
	s_or_b64 exec, exec, s[4:5]
	s_waitcnt lgkmcnt(0)
	; wave barrier
	s_waitcnt lgkmcnt(0)
	buffer_load_dword v64, off, s[0:3], 0 offset:64
	buffer_load_dword v65, off, s[0:3], 0 offset:68
	buffer_load_dword v66, off, s[0:3], 0 offset:72
	buffer_load_dword v67, off, s[0:3], 0 offset:76
	buffer_load_dword v74, off, s[0:3], 0 offset:80
	buffer_load_dword v75, off, s[0:3], 0 offset:84
	buffer_load_dword v76, off, s[0:3], 0 offset:88
	buffer_load_dword v77, off, s[0:3], 0 offset:92
	buffer_load_dword v78, off, s[0:3], 0 offset:96
	buffer_load_dword v79, off, s[0:3], 0 offset:100
	buffer_load_dword v80, off, s[0:3], 0 offset:104
	buffer_load_dword v81, off, s[0:3], 0 offset:108
	buffer_load_dword v82, off, s[0:3], 0 offset:112
	buffer_load_dword v83, off, s[0:3], 0 offset:116
	buffer_load_dword v84, off, s[0:3], 0 offset:120
	buffer_load_dword v85, off, s[0:3], 0 offset:124
	ds_read2_b64 v[70:73], v68 offset0:41 offset1:42
	v_cmp_lt_u32_e32 vcc, 7, v0
	s_waitcnt vmcnt(12) lgkmcnt(0)
	v_fma_f64 v[66:67], v[66:67], v[70:71], 0
	s_waitcnt vmcnt(10)
	v_fmac_f64_e32 v[66:67], v[74:75], v[72:73]
	ds_read2_b64 v[70:73], v68 offset0:43 offset1:44
	s_waitcnt vmcnt(8) lgkmcnt(0)
	v_fmac_f64_e32 v[66:67], v[76:77], v[70:71]
	s_waitcnt vmcnt(6)
	v_fmac_f64_e32 v[66:67], v[78:79], v[72:73]
	ds_read2_b64 v[70:73], v68 offset0:45 offset1:46
	s_waitcnt vmcnt(4) lgkmcnt(0)
	v_fmac_f64_e32 v[66:67], v[80:81], v[70:71]
	;; [unrolled: 5-line block ×3, first 2 shown]
	buffer_load_dword v71, off, s[0:3], 0 offset:132
	buffer_load_dword v70, off, s[0:3], 0 offset:128
	buffer_load_dword v75, off, s[0:3], 0 offset:140
	buffer_load_dword v74, off, s[0:3], 0 offset:136
	s_waitcnt vmcnt(2)
	v_fmac_f64_e32 v[66:67], v[70:71], v[72:73]
	ds_read2_b64 v[70:73], v68 offset0:49 offset1:50
	s_waitcnt vmcnt(0) lgkmcnt(0)
	v_fmac_f64_e32 v[66:67], v[74:75], v[70:71]
	buffer_load_dword v71, off, s[0:3], 0 offset:148
	buffer_load_dword v70, off, s[0:3], 0 offset:144
	buffer_load_dword v75, off, s[0:3], 0 offset:156
	buffer_load_dword v74, off, s[0:3], 0 offset:152
	s_waitcnt vmcnt(2)
	v_fmac_f64_e32 v[66:67], v[70:71], v[72:73]
	ds_read2_b64 v[70:73], v68 offset0:51 offset1:52
	s_waitcnt vmcnt(0) lgkmcnt(0)
	v_fmac_f64_e32 v[66:67], v[74:75], v[70:71]
	;; [unrolled: 9-line block ×6, first 2 shown]
	buffer_load_dword v71, off, s[0:3], 0 offset:228
	buffer_load_dword v70, off, s[0:3], 0 offset:224
	s_waitcnt vmcnt(0)
	v_fmac_f64_e32 v[66:67], v[70:71], v[72:73]
	buffer_load_dword v73, off, s[0:3], 0 offset:236
	buffer_load_dword v72, off, s[0:3], 0 offset:232
	ds_read2_b64 v[68:71], v68 offset0:61 offset1:62
	s_waitcnt vmcnt(0) lgkmcnt(0)
	v_fmac_f64_e32 v[66:67], v[72:73], v[68:69]
	buffer_load_dword v69, off, s[0:3], 0 offset:244
	buffer_load_dword v68, off, s[0:3], 0 offset:240
	s_waitcnt vmcnt(0)
	v_fmac_f64_e32 v[66:67], v[68:69], v[70:71]
	v_add_f64 v[64:65], v[64:65], -v[66:67]
	buffer_store_dword v65, off, s[0:3], 0 offset:68
	buffer_store_dword v64, off, s[0:3], 0 offset:64
	s_and_saveexec_b64 s[4:5], vcc
	s_cbranch_execz .LBB94_179
; %bb.178:
	buffer_load_dword v64, off, s[0:3], 0 offset:56
	buffer_load_dword v65, off, s[0:3], 0 offset:60
	v_mov_b32_e32 v66, 0
	buffer_store_dword v66, off, s[0:3], 0 offset:56
	buffer_store_dword v66, off, s[0:3], 0 offset:60
	s_waitcnt vmcnt(2)
	ds_write_b64 v1, v[64:65]
.LBB94_179:
	s_or_b64 exec, exec, s[4:5]
	s_waitcnt lgkmcnt(0)
	; wave barrier
	s_waitcnt lgkmcnt(0)
	buffer_load_dword v64, off, s[0:3], 0 offset:56
	buffer_load_dword v65, off, s[0:3], 0 offset:60
	;; [unrolled: 1-line block ×16, first 2 shown]
	v_mov_b32_e32 v68, 0
	ds_read_b128 v[70:73], v68 offset:320
	ds_read_b128 v[74:77], v68 offset:336
	;; [unrolled: 1-line block ×4, first 2 shown]
	v_cmp_lt_u32_e32 vcc, 6, v0
	s_waitcnt vmcnt(12) lgkmcnt(3)
	v_fma_f64 v[66:67], v[66:67], v[70:71], 0
	buffer_load_dword v71, off, s[0:3], 0 offset:124
	buffer_load_dword v70, off, s[0:3], 0 offset:120
	s_waitcnt vmcnt(12)
	v_fmac_f64_e32 v[66:67], v[86:87], v[72:73]
	s_waitcnt vmcnt(10) lgkmcnt(2)
	v_fmac_f64_e32 v[66:67], v[88:89], v[74:75]
	buffer_load_dword v75, off, s[0:3], 0 offset:132
	buffer_load_dword v74, off, s[0:3], 0 offset:128
	s_waitcnt vmcnt(10)
	v_fmac_f64_e32 v[66:67], v[90:91], v[76:77]
	s_waitcnt vmcnt(8) lgkmcnt(1)
	v_fmac_f64_e32 v[66:67], v[92:93], v[78:79]
	s_waitcnt vmcnt(6)
	v_fmac_f64_e32 v[66:67], v[94:95], v[80:81]
	s_waitcnt vmcnt(4) lgkmcnt(0)
	v_fmac_f64_e32 v[66:67], v[96:97], v[82:83]
	s_waitcnt vmcnt(2)
	v_fmac_f64_e32 v[66:67], v[70:71], v[84:85]
	ds_read_b128 v[70:73], v68 offset:384
	s_waitcnt vmcnt(0) lgkmcnt(0)
	v_fmac_f64_e32 v[66:67], v[74:75], v[70:71]
	buffer_load_dword v71, off, s[0:3], 0 offset:140
	buffer_load_dword v70, off, s[0:3], 0 offset:136
	buffer_load_dword v75, off, s[0:3], 0 offset:148
	buffer_load_dword v74, off, s[0:3], 0 offset:144
	s_waitcnt vmcnt(2)
	v_fmac_f64_e32 v[66:67], v[70:71], v[72:73]
	ds_read_b128 v[70:73], v68 offset:400
	s_waitcnt vmcnt(0) lgkmcnt(0)
	v_fmac_f64_e32 v[66:67], v[74:75], v[70:71]
	buffer_load_dword v71, off, s[0:3], 0 offset:156
	buffer_load_dword v70, off, s[0:3], 0 offset:152
	buffer_load_dword v75, off, s[0:3], 0 offset:164
	buffer_load_dword v74, off, s[0:3], 0 offset:160
	;; [unrolled: 9-line block ×6, first 2 shown]
	s_waitcnt vmcnt(2)
	v_fmac_f64_e32 v[66:67], v[70:71], v[72:73]
	ds_read_b128 v[70:73], v68 offset:480
	s_waitcnt vmcnt(0) lgkmcnt(0)
	v_fmac_f64_e32 v[66:67], v[74:75], v[70:71]
	buffer_load_dword v71, off, s[0:3], 0 offset:236
	buffer_load_dword v70, off, s[0:3], 0 offset:232
	s_waitcnt vmcnt(0)
	v_fmac_f64_e32 v[66:67], v[70:71], v[72:73]
	buffer_load_dword v71, off, s[0:3], 0 offset:244
	buffer_load_dword v70, off, s[0:3], 0 offset:240
	ds_read_b64 v[72:73], v68 offset:496
	s_waitcnt vmcnt(0) lgkmcnt(0)
	v_fmac_f64_e32 v[66:67], v[70:71], v[72:73]
	v_add_f64 v[64:65], v[64:65], -v[66:67]
	buffer_store_dword v65, off, s[0:3], 0 offset:60
	buffer_store_dword v64, off, s[0:3], 0 offset:56
	s_and_saveexec_b64 s[4:5], vcc
	s_cbranch_execz .LBB94_181
; %bb.180:
	buffer_load_dword v64, off, s[0:3], 0 offset:48
	buffer_load_dword v65, off, s[0:3], 0 offset:52
	s_waitcnt vmcnt(0)
	ds_write_b64 v1, v[64:65]
	buffer_store_dword v68, off, s[0:3], 0 offset:48
	buffer_store_dword v68, off, s[0:3], 0 offset:52
.LBB94_181:
	s_or_b64 exec, exec, s[4:5]
	s_waitcnt lgkmcnt(0)
	; wave barrier
	s_waitcnt lgkmcnt(0)
	buffer_load_dword v64, off, s[0:3], 0 offset:48
	buffer_load_dword v65, off, s[0:3], 0 offset:52
	buffer_load_dword v66, off, s[0:3], 0 offset:56
	buffer_load_dword v67, off, s[0:3], 0 offset:60
	buffer_load_dword v74, off, s[0:3], 0 offset:64
	buffer_load_dword v75, off, s[0:3], 0 offset:68
	buffer_load_dword v76, off, s[0:3], 0 offset:72
	buffer_load_dword v77, off, s[0:3], 0 offset:76
	buffer_load_dword v78, off, s[0:3], 0 offset:80
	buffer_load_dword v79, off, s[0:3], 0 offset:84
	buffer_load_dword v80, off, s[0:3], 0 offset:88
	buffer_load_dword v81, off, s[0:3], 0 offset:92
	buffer_load_dword v82, off, s[0:3], 0 offset:96
	buffer_load_dword v83, off, s[0:3], 0 offset:100
	buffer_load_dword v84, off, s[0:3], 0 offset:104
	buffer_load_dword v85, off, s[0:3], 0 offset:108
	ds_read2_b64 v[70:73], v68 offset0:39 offset1:40
	v_cmp_lt_u32_e32 vcc, 5, v0
	s_waitcnt vmcnt(12) lgkmcnt(0)
	v_fma_f64 v[66:67], v[66:67], v[70:71], 0
	s_waitcnt vmcnt(10)
	v_fmac_f64_e32 v[66:67], v[74:75], v[72:73]
	ds_read2_b64 v[70:73], v68 offset0:41 offset1:42
	s_waitcnt vmcnt(8) lgkmcnt(0)
	v_fmac_f64_e32 v[66:67], v[76:77], v[70:71]
	s_waitcnt vmcnt(6)
	v_fmac_f64_e32 v[66:67], v[78:79], v[72:73]
	ds_read2_b64 v[70:73], v68 offset0:43 offset1:44
	s_waitcnt vmcnt(4) lgkmcnt(0)
	v_fmac_f64_e32 v[66:67], v[80:81], v[70:71]
	;; [unrolled: 5-line block ×3, first 2 shown]
	buffer_load_dword v71, off, s[0:3], 0 offset:116
	buffer_load_dword v70, off, s[0:3], 0 offset:112
	buffer_load_dword v75, off, s[0:3], 0 offset:124
	buffer_load_dword v74, off, s[0:3], 0 offset:120
	s_waitcnt vmcnt(2)
	v_fmac_f64_e32 v[66:67], v[70:71], v[72:73]
	ds_read2_b64 v[70:73], v68 offset0:47 offset1:48
	s_waitcnt vmcnt(0) lgkmcnt(0)
	v_fmac_f64_e32 v[66:67], v[74:75], v[70:71]
	buffer_load_dword v71, off, s[0:3], 0 offset:132
	buffer_load_dword v70, off, s[0:3], 0 offset:128
	buffer_load_dword v75, off, s[0:3], 0 offset:140
	buffer_load_dword v74, off, s[0:3], 0 offset:136
	s_waitcnt vmcnt(2)
	v_fmac_f64_e32 v[66:67], v[70:71], v[72:73]
	ds_read2_b64 v[70:73], v68 offset0:49 offset1:50
	s_waitcnt vmcnt(0) lgkmcnt(0)
	v_fmac_f64_e32 v[66:67], v[74:75], v[70:71]
	;; [unrolled: 9-line block ×7, first 2 shown]
	buffer_load_dword v71, off, s[0:3], 0 offset:228
	buffer_load_dword v70, off, s[0:3], 0 offset:224
	s_waitcnt vmcnt(0)
	v_fmac_f64_e32 v[66:67], v[70:71], v[72:73]
	buffer_load_dword v73, off, s[0:3], 0 offset:236
	buffer_load_dword v72, off, s[0:3], 0 offset:232
	ds_read2_b64 v[68:71], v68 offset0:61 offset1:62
	s_waitcnt vmcnt(0) lgkmcnt(0)
	v_fmac_f64_e32 v[66:67], v[72:73], v[68:69]
	buffer_load_dword v69, off, s[0:3], 0 offset:244
	buffer_load_dword v68, off, s[0:3], 0 offset:240
	s_waitcnt vmcnt(0)
	v_fmac_f64_e32 v[66:67], v[68:69], v[70:71]
	v_add_f64 v[64:65], v[64:65], -v[66:67]
	buffer_store_dword v65, off, s[0:3], 0 offset:52
	buffer_store_dword v64, off, s[0:3], 0 offset:48
	s_and_saveexec_b64 s[4:5], vcc
	s_cbranch_execz .LBB94_183
; %bb.182:
	buffer_load_dword v64, off, s[0:3], 0 offset:40
	buffer_load_dword v65, off, s[0:3], 0 offset:44
	v_mov_b32_e32 v66, 0
	buffer_store_dword v66, off, s[0:3], 0 offset:40
	buffer_store_dword v66, off, s[0:3], 0 offset:44
	s_waitcnt vmcnt(2)
	ds_write_b64 v1, v[64:65]
.LBB94_183:
	s_or_b64 exec, exec, s[4:5]
	s_waitcnt lgkmcnt(0)
	; wave barrier
	s_waitcnt lgkmcnt(0)
	buffer_load_dword v64, off, s[0:3], 0 offset:40
	buffer_load_dword v65, off, s[0:3], 0 offset:44
	;; [unrolled: 1-line block ×16, first 2 shown]
	v_mov_b32_e32 v68, 0
	ds_read_b128 v[70:73], v68 offset:304
	ds_read_b128 v[74:77], v68 offset:320
	;; [unrolled: 1-line block ×4, first 2 shown]
	v_cmp_lt_u32_e32 vcc, 4, v0
	s_waitcnt vmcnt(12) lgkmcnt(3)
	v_fma_f64 v[66:67], v[66:67], v[70:71], 0
	buffer_load_dword v71, off, s[0:3], 0 offset:108
	buffer_load_dword v70, off, s[0:3], 0 offset:104
	s_waitcnt vmcnt(12)
	v_fmac_f64_e32 v[66:67], v[86:87], v[72:73]
	s_waitcnt vmcnt(10) lgkmcnt(2)
	v_fmac_f64_e32 v[66:67], v[88:89], v[74:75]
	buffer_load_dword v75, off, s[0:3], 0 offset:116
	buffer_load_dword v74, off, s[0:3], 0 offset:112
	s_waitcnt vmcnt(10)
	v_fmac_f64_e32 v[66:67], v[90:91], v[76:77]
	s_waitcnt vmcnt(8) lgkmcnt(1)
	v_fmac_f64_e32 v[66:67], v[92:93], v[78:79]
	s_waitcnt vmcnt(6)
	v_fmac_f64_e32 v[66:67], v[94:95], v[80:81]
	s_waitcnt vmcnt(4) lgkmcnt(0)
	v_fmac_f64_e32 v[66:67], v[96:97], v[82:83]
	s_waitcnt vmcnt(2)
	v_fmac_f64_e32 v[66:67], v[70:71], v[84:85]
	ds_read_b128 v[70:73], v68 offset:368
	s_waitcnt vmcnt(0) lgkmcnt(0)
	v_fmac_f64_e32 v[66:67], v[74:75], v[70:71]
	buffer_load_dword v71, off, s[0:3], 0 offset:124
	buffer_load_dword v70, off, s[0:3], 0 offset:120
	buffer_load_dword v75, off, s[0:3], 0 offset:132
	buffer_load_dword v74, off, s[0:3], 0 offset:128
	s_waitcnt vmcnt(2)
	v_fmac_f64_e32 v[66:67], v[70:71], v[72:73]
	ds_read_b128 v[70:73], v68 offset:384
	s_waitcnt vmcnt(0) lgkmcnt(0)
	v_fmac_f64_e32 v[66:67], v[74:75], v[70:71]
	buffer_load_dword v71, off, s[0:3], 0 offset:140
	buffer_load_dword v70, off, s[0:3], 0 offset:136
	buffer_load_dword v75, off, s[0:3], 0 offset:148
	buffer_load_dword v74, off, s[0:3], 0 offset:144
	;; [unrolled: 9-line block ×7, first 2 shown]
	s_waitcnt vmcnt(2)
	v_fmac_f64_e32 v[66:67], v[70:71], v[72:73]
	ds_read_b128 v[70:73], v68 offset:480
	s_waitcnt vmcnt(0) lgkmcnt(0)
	v_fmac_f64_e32 v[66:67], v[74:75], v[70:71]
	buffer_load_dword v71, off, s[0:3], 0 offset:236
	buffer_load_dword v70, off, s[0:3], 0 offset:232
	s_waitcnt vmcnt(0)
	v_fmac_f64_e32 v[66:67], v[70:71], v[72:73]
	buffer_load_dword v71, off, s[0:3], 0 offset:244
	buffer_load_dword v70, off, s[0:3], 0 offset:240
	ds_read_b64 v[72:73], v68 offset:496
	s_waitcnt vmcnt(0) lgkmcnt(0)
	v_fmac_f64_e32 v[66:67], v[70:71], v[72:73]
	v_add_f64 v[64:65], v[64:65], -v[66:67]
	buffer_store_dword v65, off, s[0:3], 0 offset:44
	buffer_store_dword v64, off, s[0:3], 0 offset:40
	s_and_saveexec_b64 s[4:5], vcc
	s_cbranch_execz .LBB94_185
; %bb.184:
	buffer_load_dword v64, off, s[0:3], 0 offset:32
	buffer_load_dword v65, off, s[0:3], 0 offset:36
	s_waitcnt vmcnt(0)
	ds_write_b64 v1, v[64:65]
	buffer_store_dword v68, off, s[0:3], 0 offset:32
	buffer_store_dword v68, off, s[0:3], 0 offset:36
.LBB94_185:
	s_or_b64 exec, exec, s[4:5]
	s_waitcnt lgkmcnt(0)
	; wave barrier
	s_waitcnt lgkmcnt(0)
	buffer_load_dword v64, off, s[0:3], 0 offset:32
	buffer_load_dword v65, off, s[0:3], 0 offset:36
	;; [unrolled: 1-line block ×16, first 2 shown]
	ds_read2_b64 v[70:73], v68 offset0:37 offset1:38
	v_cmp_lt_u32_e32 vcc, 3, v0
	s_waitcnt vmcnt(12) lgkmcnt(0)
	v_fma_f64 v[66:67], v[66:67], v[70:71], 0
	s_waitcnt vmcnt(10)
	v_fmac_f64_e32 v[66:67], v[74:75], v[72:73]
	ds_read2_b64 v[70:73], v68 offset0:39 offset1:40
	s_waitcnt vmcnt(8) lgkmcnt(0)
	v_fmac_f64_e32 v[66:67], v[76:77], v[70:71]
	s_waitcnt vmcnt(6)
	v_fmac_f64_e32 v[66:67], v[78:79], v[72:73]
	ds_read2_b64 v[70:73], v68 offset0:41 offset1:42
	s_waitcnt vmcnt(4) lgkmcnt(0)
	v_fmac_f64_e32 v[66:67], v[80:81], v[70:71]
	;; [unrolled: 5-line block ×3, first 2 shown]
	buffer_load_dword v71, off, s[0:3], 0 offset:100
	buffer_load_dword v70, off, s[0:3], 0 offset:96
	buffer_load_dword v75, off, s[0:3], 0 offset:108
	buffer_load_dword v74, off, s[0:3], 0 offset:104
	s_waitcnt vmcnt(2)
	v_fmac_f64_e32 v[66:67], v[70:71], v[72:73]
	ds_read2_b64 v[70:73], v68 offset0:45 offset1:46
	s_waitcnt vmcnt(0) lgkmcnt(0)
	v_fmac_f64_e32 v[66:67], v[74:75], v[70:71]
	buffer_load_dword v71, off, s[0:3], 0 offset:116
	buffer_load_dword v70, off, s[0:3], 0 offset:112
	buffer_load_dword v75, off, s[0:3], 0 offset:124
	buffer_load_dword v74, off, s[0:3], 0 offset:120
	s_waitcnt vmcnt(2)
	v_fmac_f64_e32 v[66:67], v[70:71], v[72:73]
	ds_read2_b64 v[70:73], v68 offset0:47 offset1:48
	s_waitcnt vmcnt(0) lgkmcnt(0)
	v_fmac_f64_e32 v[66:67], v[74:75], v[70:71]
	;; [unrolled: 9-line block ×8, first 2 shown]
	buffer_load_dword v71, off, s[0:3], 0 offset:228
	buffer_load_dword v70, off, s[0:3], 0 offset:224
	s_waitcnt vmcnt(0)
	v_fmac_f64_e32 v[66:67], v[70:71], v[72:73]
	buffer_load_dword v73, off, s[0:3], 0 offset:236
	buffer_load_dword v72, off, s[0:3], 0 offset:232
	ds_read2_b64 v[68:71], v68 offset0:61 offset1:62
	s_waitcnt vmcnt(0) lgkmcnt(0)
	v_fmac_f64_e32 v[66:67], v[72:73], v[68:69]
	buffer_load_dword v69, off, s[0:3], 0 offset:244
	buffer_load_dword v68, off, s[0:3], 0 offset:240
	s_waitcnt vmcnt(0)
	v_fmac_f64_e32 v[66:67], v[68:69], v[70:71]
	v_add_f64 v[64:65], v[64:65], -v[66:67]
	buffer_store_dword v65, off, s[0:3], 0 offset:36
	buffer_store_dword v64, off, s[0:3], 0 offset:32
	s_and_saveexec_b64 s[4:5], vcc
	s_cbranch_execz .LBB94_187
; %bb.186:
	buffer_load_dword v64, off, s[0:3], 0 offset:24
	buffer_load_dword v65, off, s[0:3], 0 offset:28
	v_mov_b32_e32 v66, 0
	buffer_store_dword v66, off, s[0:3], 0 offset:24
	buffer_store_dword v66, off, s[0:3], 0 offset:28
	s_waitcnt vmcnt(2)
	ds_write_b64 v1, v[64:65]
.LBB94_187:
	s_or_b64 exec, exec, s[4:5]
	s_waitcnt lgkmcnt(0)
	; wave barrier
	s_waitcnt lgkmcnt(0)
	buffer_load_dword v64, off, s[0:3], 0 offset:24
	buffer_load_dword v65, off, s[0:3], 0 offset:28
	;; [unrolled: 1-line block ×16, first 2 shown]
	v_mov_b32_e32 v68, 0
	ds_read_b128 v[70:73], v68 offset:288
	ds_read_b128 v[74:77], v68 offset:304
	;; [unrolled: 1-line block ×4, first 2 shown]
	v_cmp_lt_u32_e32 vcc, 2, v0
	s_waitcnt vmcnt(12) lgkmcnt(3)
	v_fma_f64 v[66:67], v[66:67], v[70:71], 0
	buffer_load_dword v71, off, s[0:3], 0 offset:92
	buffer_load_dword v70, off, s[0:3], 0 offset:88
	s_waitcnt vmcnt(12)
	v_fmac_f64_e32 v[66:67], v[86:87], v[72:73]
	s_waitcnt vmcnt(10) lgkmcnt(2)
	v_fmac_f64_e32 v[66:67], v[88:89], v[74:75]
	buffer_load_dword v75, off, s[0:3], 0 offset:100
	buffer_load_dword v74, off, s[0:3], 0 offset:96
	s_waitcnt vmcnt(10)
	v_fmac_f64_e32 v[66:67], v[90:91], v[76:77]
	s_waitcnt vmcnt(8) lgkmcnt(1)
	v_fmac_f64_e32 v[66:67], v[92:93], v[78:79]
	s_waitcnt vmcnt(6)
	v_fmac_f64_e32 v[66:67], v[94:95], v[80:81]
	s_waitcnt vmcnt(4) lgkmcnt(0)
	v_fmac_f64_e32 v[66:67], v[96:97], v[82:83]
	s_waitcnt vmcnt(2)
	v_fmac_f64_e32 v[66:67], v[70:71], v[84:85]
	ds_read_b128 v[70:73], v68 offset:352
	s_waitcnt vmcnt(0) lgkmcnt(0)
	v_fmac_f64_e32 v[66:67], v[74:75], v[70:71]
	buffer_load_dword v71, off, s[0:3], 0 offset:108
	buffer_load_dword v70, off, s[0:3], 0 offset:104
	buffer_load_dword v75, off, s[0:3], 0 offset:116
	buffer_load_dword v74, off, s[0:3], 0 offset:112
	s_waitcnt vmcnt(2)
	v_fmac_f64_e32 v[66:67], v[70:71], v[72:73]
	ds_read_b128 v[70:73], v68 offset:368
	s_waitcnt vmcnt(0) lgkmcnt(0)
	v_fmac_f64_e32 v[66:67], v[74:75], v[70:71]
	buffer_load_dword v71, off, s[0:3], 0 offset:124
	buffer_load_dword v70, off, s[0:3], 0 offset:120
	buffer_load_dword v75, off, s[0:3], 0 offset:132
	buffer_load_dword v74, off, s[0:3], 0 offset:128
	;; [unrolled: 9-line block ×8, first 2 shown]
	s_waitcnt vmcnt(2)
	v_fmac_f64_e32 v[66:67], v[70:71], v[72:73]
	ds_read_b128 v[70:73], v68 offset:480
	s_waitcnt vmcnt(0) lgkmcnt(0)
	v_fmac_f64_e32 v[66:67], v[74:75], v[70:71]
	buffer_load_dword v71, off, s[0:3], 0 offset:236
	buffer_load_dword v70, off, s[0:3], 0 offset:232
	s_waitcnt vmcnt(0)
	v_fmac_f64_e32 v[66:67], v[70:71], v[72:73]
	buffer_load_dword v71, off, s[0:3], 0 offset:244
	buffer_load_dword v70, off, s[0:3], 0 offset:240
	ds_read_b64 v[72:73], v68 offset:496
	s_waitcnt vmcnt(0) lgkmcnt(0)
	v_fmac_f64_e32 v[66:67], v[70:71], v[72:73]
	v_add_f64 v[64:65], v[64:65], -v[66:67]
	buffer_store_dword v65, off, s[0:3], 0 offset:28
	buffer_store_dword v64, off, s[0:3], 0 offset:24
	s_and_saveexec_b64 s[4:5], vcc
	s_cbranch_execz .LBB94_189
; %bb.188:
	buffer_load_dword v64, off, s[0:3], 0 offset:16
	buffer_load_dword v65, off, s[0:3], 0 offset:20
	s_waitcnt vmcnt(0)
	ds_write_b64 v1, v[64:65]
	buffer_store_dword v68, off, s[0:3], 0 offset:16
	buffer_store_dword v68, off, s[0:3], 0 offset:20
.LBB94_189:
	s_or_b64 exec, exec, s[4:5]
	s_waitcnt lgkmcnt(0)
	; wave barrier
	s_waitcnt lgkmcnt(0)
	buffer_load_dword v64, off, s[0:3], 0 offset:16
	buffer_load_dword v65, off, s[0:3], 0 offset:20
	;; [unrolled: 1-line block ×16, first 2 shown]
	ds_read2_b64 v[70:73], v68 offset0:35 offset1:36
	v_cmp_lt_u32_e32 vcc, 1, v0
	s_waitcnt vmcnt(12) lgkmcnt(0)
	v_fma_f64 v[66:67], v[66:67], v[70:71], 0
	s_waitcnt vmcnt(10)
	v_fmac_f64_e32 v[66:67], v[74:75], v[72:73]
	ds_read2_b64 v[70:73], v68 offset0:37 offset1:38
	s_waitcnt vmcnt(8) lgkmcnt(0)
	v_fmac_f64_e32 v[66:67], v[76:77], v[70:71]
	s_waitcnt vmcnt(6)
	v_fmac_f64_e32 v[66:67], v[78:79], v[72:73]
	ds_read2_b64 v[70:73], v68 offset0:39 offset1:40
	s_waitcnt vmcnt(4) lgkmcnt(0)
	v_fmac_f64_e32 v[66:67], v[80:81], v[70:71]
	;; [unrolled: 5-line block ×3, first 2 shown]
	buffer_load_dword v71, off, s[0:3], 0 offset:84
	buffer_load_dword v70, off, s[0:3], 0 offset:80
	buffer_load_dword v75, off, s[0:3], 0 offset:92
	buffer_load_dword v74, off, s[0:3], 0 offset:88
	s_waitcnt vmcnt(2)
	v_fmac_f64_e32 v[66:67], v[70:71], v[72:73]
	ds_read2_b64 v[70:73], v68 offset0:43 offset1:44
	s_waitcnt vmcnt(0) lgkmcnt(0)
	v_fmac_f64_e32 v[66:67], v[74:75], v[70:71]
	buffer_load_dword v71, off, s[0:3], 0 offset:100
	buffer_load_dword v70, off, s[0:3], 0 offset:96
	buffer_load_dword v75, off, s[0:3], 0 offset:108
	buffer_load_dword v74, off, s[0:3], 0 offset:104
	s_waitcnt vmcnt(2)
	v_fmac_f64_e32 v[66:67], v[70:71], v[72:73]
	ds_read2_b64 v[70:73], v68 offset0:45 offset1:46
	s_waitcnt vmcnt(0) lgkmcnt(0)
	v_fmac_f64_e32 v[66:67], v[74:75], v[70:71]
	;; [unrolled: 9-line block ×9, first 2 shown]
	buffer_load_dword v71, off, s[0:3], 0 offset:228
	buffer_load_dword v70, off, s[0:3], 0 offset:224
	s_waitcnt vmcnt(0)
	v_fmac_f64_e32 v[66:67], v[70:71], v[72:73]
	buffer_load_dword v73, off, s[0:3], 0 offset:236
	buffer_load_dword v72, off, s[0:3], 0 offset:232
	ds_read2_b64 v[68:71], v68 offset0:61 offset1:62
	s_waitcnt vmcnt(0) lgkmcnt(0)
	v_fmac_f64_e32 v[66:67], v[72:73], v[68:69]
	buffer_load_dword v69, off, s[0:3], 0 offset:244
	buffer_load_dword v68, off, s[0:3], 0 offset:240
	s_waitcnt vmcnt(0)
	v_fmac_f64_e32 v[66:67], v[68:69], v[70:71]
	v_add_f64 v[64:65], v[64:65], -v[66:67]
	buffer_store_dword v65, off, s[0:3], 0 offset:20
	buffer_store_dword v64, off, s[0:3], 0 offset:16
	s_and_saveexec_b64 s[4:5], vcc
	s_cbranch_execz .LBB94_191
; %bb.190:
	buffer_load_dword v64, off, s[0:3], 0 offset:8
	buffer_load_dword v65, off, s[0:3], 0 offset:12
	v_mov_b32_e32 v66, 0
	buffer_store_dword v66, off, s[0:3], 0 offset:8
	buffer_store_dword v66, off, s[0:3], 0 offset:12
	s_waitcnt vmcnt(2)
	ds_write_b64 v1, v[64:65]
.LBB94_191:
	s_or_b64 exec, exec, s[4:5]
	s_waitcnt lgkmcnt(0)
	; wave barrier
	s_waitcnt lgkmcnt(0)
	buffer_load_dword v64, off, s[0:3], 0 offset:8
	buffer_load_dword v65, off, s[0:3], 0 offset:12
	;; [unrolled: 1-line block ×16, first 2 shown]
	v_mov_b32_e32 v68, 0
	ds_read_b128 v[70:73], v68 offset:272
	ds_read_b128 v[74:77], v68 offset:288
	;; [unrolled: 1-line block ×4, first 2 shown]
	v_cmp_ne_u32_e32 vcc, 0, v0
	s_waitcnt vmcnt(12) lgkmcnt(3)
	v_fma_f64 v[66:67], v[66:67], v[70:71], 0
	buffer_load_dword v71, off, s[0:3], 0 offset:76
	buffer_load_dword v70, off, s[0:3], 0 offset:72
	s_waitcnt vmcnt(12)
	v_fmac_f64_e32 v[66:67], v[86:87], v[72:73]
	s_waitcnt vmcnt(10) lgkmcnt(2)
	v_fmac_f64_e32 v[66:67], v[88:89], v[74:75]
	buffer_load_dword v75, off, s[0:3], 0 offset:84
	buffer_load_dword v74, off, s[0:3], 0 offset:80
	s_waitcnt vmcnt(10)
	v_fmac_f64_e32 v[66:67], v[90:91], v[76:77]
	s_waitcnt vmcnt(8) lgkmcnt(1)
	v_fmac_f64_e32 v[66:67], v[92:93], v[78:79]
	s_waitcnt vmcnt(6)
	v_fmac_f64_e32 v[66:67], v[94:95], v[80:81]
	s_waitcnt vmcnt(4) lgkmcnt(0)
	v_fmac_f64_e32 v[66:67], v[96:97], v[82:83]
	s_waitcnt vmcnt(2)
	v_fmac_f64_e32 v[66:67], v[70:71], v[84:85]
	ds_read_b128 v[70:73], v68 offset:336
	s_waitcnt vmcnt(0) lgkmcnt(0)
	v_fmac_f64_e32 v[66:67], v[74:75], v[70:71]
	buffer_load_dword v71, off, s[0:3], 0 offset:92
	buffer_load_dword v70, off, s[0:3], 0 offset:88
	buffer_load_dword v75, off, s[0:3], 0 offset:100
	buffer_load_dword v74, off, s[0:3], 0 offset:96
	s_waitcnt vmcnt(2)
	v_fmac_f64_e32 v[66:67], v[70:71], v[72:73]
	ds_read_b128 v[70:73], v68 offset:352
	s_waitcnt vmcnt(0) lgkmcnt(0)
	v_fmac_f64_e32 v[66:67], v[74:75], v[70:71]
	buffer_load_dword v71, off, s[0:3], 0 offset:108
	buffer_load_dword v70, off, s[0:3], 0 offset:104
	buffer_load_dword v75, off, s[0:3], 0 offset:116
	buffer_load_dword v74, off, s[0:3], 0 offset:112
	;; [unrolled: 9-line block ×9, first 2 shown]
	s_waitcnt vmcnt(2)
	v_fmac_f64_e32 v[66:67], v[70:71], v[72:73]
	ds_read_b128 v[70:73], v68 offset:480
	s_waitcnt vmcnt(0) lgkmcnt(0)
	v_fmac_f64_e32 v[66:67], v[74:75], v[70:71]
	buffer_load_dword v71, off, s[0:3], 0 offset:236
	buffer_load_dword v70, off, s[0:3], 0 offset:232
	s_waitcnt vmcnt(0)
	v_fmac_f64_e32 v[66:67], v[70:71], v[72:73]
	buffer_load_dword v71, off, s[0:3], 0 offset:244
	buffer_load_dword v70, off, s[0:3], 0 offset:240
	ds_read_b64 v[72:73], v68 offset:496
	s_waitcnt vmcnt(0) lgkmcnt(0)
	v_fmac_f64_e32 v[66:67], v[70:71], v[72:73]
	v_add_f64 v[64:65], v[64:65], -v[66:67]
	buffer_store_dword v65, off, s[0:3], 0 offset:12
	buffer_store_dword v64, off, s[0:3], 0 offset:8
	s_and_saveexec_b64 s[4:5], vcc
	s_cbranch_execz .LBB94_193
; %bb.192:
	buffer_load_dword v64, off, s[0:3], 0
	buffer_load_dword v65, off, s[0:3], 0 offset:4
	s_waitcnt vmcnt(0)
	ds_write_b64 v1, v[64:65]
	buffer_store_dword v68, off, s[0:3], 0
	buffer_store_dword v68, off, s[0:3], 0 offset:4
.LBB94_193:
	s_or_b64 exec, exec, s[4:5]
	s_waitcnt lgkmcnt(0)
	; wave barrier
	s_waitcnt lgkmcnt(0)
	buffer_load_dword v0, off, s[0:3], 0
	buffer_load_dword v1, off, s[0:3], 0 offset:4
	buffer_load_dword v70, off, s[0:3], 0 offset:8
	;; [unrolled: 1-line block ×15, first 2 shown]
	ds_read2_b64 v[64:67], v68 offset0:33 offset1:34
	s_and_b64 vcc, exec, s[16:17]
	s_waitcnt vmcnt(12) lgkmcnt(0)
	v_fma_f64 v[64:65], v[70:71], v[64:65], 0
	s_waitcnt vmcnt(10)
	v_fmac_f64_e32 v[64:65], v[72:73], v[66:67]
	ds_read2_b64 v[70:73], v68 offset0:35 offset1:36
	s_waitcnt vmcnt(8) lgkmcnt(0)
	v_fmac_f64_e32 v[64:65], v[74:75], v[70:71]
	s_waitcnt vmcnt(6)
	v_fmac_f64_e32 v[64:65], v[76:77], v[72:73]
	ds_read2_b64 v[70:73], v68 offset0:37 offset1:38
	s_waitcnt vmcnt(4) lgkmcnt(0)
	v_fmac_f64_e32 v[64:65], v[78:79], v[70:71]
	s_waitcnt vmcnt(2)
	v_fmac_f64_e32 v[64:65], v[80:81], v[72:73]
	ds_read2_b64 v[70:73], v68 offset0:39 offset1:40
	buffer_load_dword v67, off, s[0:3], 0 offset:68
	buffer_load_dword v66, off, s[0:3], 0 offset:64
	s_waitcnt vmcnt(2) lgkmcnt(0)
	v_fmac_f64_e32 v[64:65], v[82:83], v[70:71]
	s_waitcnt vmcnt(0)
	v_fmac_f64_e32 v[64:65], v[66:67], v[72:73]
	buffer_load_dword v67, off, s[0:3], 0 offset:76
	buffer_load_dword v66, off, s[0:3], 0 offset:72
	ds_read2_b64 v[70:73], v68 offset0:41 offset1:42
	s_waitcnt vmcnt(0) lgkmcnt(0)
	v_fmac_f64_e32 v[64:65], v[66:67], v[70:71]
	buffer_load_dword v67, off, s[0:3], 0 offset:84
	buffer_load_dword v66, off, s[0:3], 0 offset:80
	s_waitcnt vmcnt(0)
	v_fmac_f64_e32 v[64:65], v[66:67], v[72:73]
	buffer_load_dword v67, off, s[0:3], 0 offset:92
	buffer_load_dword v66, off, s[0:3], 0 offset:88
	ds_read2_b64 v[70:73], v68 offset0:43 offset1:44
	s_waitcnt vmcnt(0) lgkmcnt(0)
	v_fmac_f64_e32 v[64:65], v[66:67], v[70:71]
	buffer_load_dword v67, off, s[0:3], 0 offset:100
	buffer_load_dword v66, off, s[0:3], 0 offset:96
	;; [unrolled: 9-line block ×11, first 2 shown]
	s_waitcnt vmcnt(0)
	v_fmac_f64_e32 v[64:65], v[68:69], v[70:71]
	v_add_f64 v[0:1], v[0:1], -v[64:65]
	buffer_store_dword v1, off, s[0:3], 0 offset:4
	buffer_store_dword v0, off, s[0:3], 0
	s_cbranch_vccz .LBB94_255
; %bb.194:
	v_pk_mov_b32 v[0:1], s[10:11], s[10:11] op_sel:[0,1]
	flat_load_dword v0, v[0:1] offset:116
	s_waitcnt vmcnt(0) lgkmcnt(0)
	v_add_u32_e32 v0, -1, v0
	v_cmp_ne_u32_e32 vcc, 29, v0
	s_and_saveexec_b64 s[4:5], vcc
	s_cbranch_execz .LBB94_196
; %bb.195:
	v_mov_b32_e32 v1, 0
	v_lshl_add_u32 v0, v0, 3, v1
	buffer_load_dword v1, v0, s[0:3], 0 offen
	buffer_load_dword v64, v0, s[0:3], 0 offen offset:4
	s_waitcnt vmcnt(1)
	buffer_store_dword v1, off, s[0:3], 0 offset:232
	s_waitcnt vmcnt(1)
	buffer_store_dword v64, off, s[0:3], 0 offset:236
	buffer_store_dword v66, v0, s[0:3], 0 offen
	buffer_store_dword v67, v0, s[0:3], 0 offen offset:4
.LBB94_196:
	s_or_b64 exec, exec, s[4:5]
	v_pk_mov_b32 v[0:1], s[10:11], s[10:11] op_sel:[0,1]
	flat_load_dword v0, v[0:1] offset:112
	s_waitcnt vmcnt(0) lgkmcnt(0)
	v_add_u32_e32 v0, -1, v0
	v_cmp_ne_u32_e32 vcc, 28, v0
	s_and_saveexec_b64 s[4:5], vcc
	s_cbranch_execz .LBB94_198
; %bb.197:
	v_mov_b32_e32 v1, 0
	v_lshl_add_u32 v0, v0, 3, v1
	buffer_load_dword v1, v0, s[0:3], 0 offen
	buffer_load_dword v64, v0, s[0:3], 0 offen offset:4
	buffer_load_dword v65, off, s[0:3], 0 offset:228
	buffer_load_dword v66, off, s[0:3], 0 offset:224
	s_waitcnt vmcnt(3)
	buffer_store_dword v1, off, s[0:3], 0 offset:224
	s_waitcnt vmcnt(3)
	buffer_store_dword v64, off, s[0:3], 0 offset:228
	s_waitcnt vmcnt(3)
	buffer_store_dword v65, v0, s[0:3], 0 offen offset:4
	s_waitcnt vmcnt(3)
	buffer_store_dword v66, v0, s[0:3], 0 offen
.LBB94_198:
	s_or_b64 exec, exec, s[4:5]
	v_pk_mov_b32 v[0:1], s[10:11], s[10:11] op_sel:[0,1]
	flat_load_dword v0, v[0:1] offset:108
	s_waitcnt vmcnt(0) lgkmcnt(0)
	v_add_u32_e32 v0, -1, v0
	v_cmp_ne_u32_e32 vcc, 27, v0
	s_and_saveexec_b64 s[4:5], vcc
	s_cbranch_execz .LBB94_200
; %bb.199:
	v_mov_b32_e32 v1, 0
	v_lshl_add_u32 v0, v0, 3, v1
	buffer_load_dword v1, v0, s[0:3], 0 offen
	buffer_load_dword v64, v0, s[0:3], 0 offen offset:4
	buffer_load_dword v65, off, s[0:3], 0 offset:216
	buffer_load_dword v66, off, s[0:3], 0 offset:220
	s_waitcnt vmcnt(3)
	buffer_store_dword v1, off, s[0:3], 0 offset:216
	s_waitcnt vmcnt(3)
	buffer_store_dword v64, off, s[0:3], 0 offset:220
	s_waitcnt vmcnt(3)
	buffer_store_dword v65, v0, s[0:3], 0 offen
	s_waitcnt vmcnt(3)
	buffer_store_dword v66, v0, s[0:3], 0 offen offset:4
.LBB94_200:
	s_or_b64 exec, exec, s[4:5]
	v_pk_mov_b32 v[0:1], s[10:11], s[10:11] op_sel:[0,1]
	flat_load_dword v0, v[0:1] offset:104
	s_waitcnt vmcnt(0) lgkmcnt(0)
	v_add_u32_e32 v0, -1, v0
	v_cmp_ne_u32_e32 vcc, 26, v0
	s_and_saveexec_b64 s[4:5], vcc
	s_cbranch_execz .LBB94_202
; %bb.201:
	v_mov_b32_e32 v1, 0
	v_lshl_add_u32 v0, v0, 3, v1
	buffer_load_dword v1, v0, s[0:3], 0 offen
	buffer_load_dword v64, v0, s[0:3], 0 offen offset:4
	buffer_load_dword v65, off, s[0:3], 0 offset:212
	buffer_load_dword v66, off, s[0:3], 0 offset:208
	s_waitcnt vmcnt(3)
	buffer_store_dword v1, off, s[0:3], 0 offset:208
	s_waitcnt vmcnt(3)
	buffer_store_dword v64, off, s[0:3], 0 offset:212
	s_waitcnt vmcnt(3)
	buffer_store_dword v65, v0, s[0:3], 0 offen offset:4
	s_waitcnt vmcnt(3)
	buffer_store_dword v66, v0, s[0:3], 0 offen
.LBB94_202:
	s_or_b64 exec, exec, s[4:5]
	v_pk_mov_b32 v[0:1], s[10:11], s[10:11] op_sel:[0,1]
	flat_load_dword v0, v[0:1] offset:100
	s_waitcnt vmcnt(0) lgkmcnt(0)
	v_add_u32_e32 v0, -1, v0
	v_cmp_ne_u32_e32 vcc, 25, v0
	s_and_saveexec_b64 s[4:5], vcc
	s_cbranch_execz .LBB94_204
; %bb.203:
	v_mov_b32_e32 v1, 0
	v_lshl_add_u32 v0, v0, 3, v1
	buffer_load_dword v1, v0, s[0:3], 0 offen
	buffer_load_dword v64, v0, s[0:3], 0 offen offset:4
	buffer_load_dword v65, off, s[0:3], 0 offset:200
	buffer_load_dword v66, off, s[0:3], 0 offset:204
	s_waitcnt vmcnt(3)
	buffer_store_dword v1, off, s[0:3], 0 offset:200
	s_waitcnt vmcnt(3)
	buffer_store_dword v64, off, s[0:3], 0 offset:204
	s_waitcnt vmcnt(3)
	buffer_store_dword v65, v0, s[0:3], 0 offen
	s_waitcnt vmcnt(3)
	buffer_store_dword v66, v0, s[0:3], 0 offen offset:4
.LBB94_204:
	;; [unrolled: 48-line block ×14, first 2 shown]
	s_or_b64 exec, exec, s[4:5]
	v_pk_mov_b32 v[0:1], s[10:11], s[10:11] op_sel:[0,1]
	flat_load_dword v64, v[0:1]
	s_nop 0
	buffer_load_dword v0, off, s[0:3], 0
	buffer_load_dword v1, off, s[0:3], 0 offset:4
	s_waitcnt vmcnt(0) lgkmcnt(0)
	v_add_u32_e32 v64, -1, v64
	v_cmp_ne_u32_e32 vcc, 0, v64
	s_and_saveexec_b64 s[4:5], vcc
	s_cbranch_execz .LBB94_254
; %bb.253:
	v_mov_b32_e32 v65, 0
	v_lshl_add_u32 v64, v64, 3, v65
	buffer_load_dword v65, v64, s[0:3], 0 offen offset:4
	buffer_load_dword v66, v64, s[0:3], 0 offen
	s_waitcnt vmcnt(1)
	buffer_store_dword v65, off, s[0:3], 0 offset:4
	s_waitcnt vmcnt(1)
	buffer_store_dword v66, off, s[0:3], 0
	buffer_store_dword v1, v64, s[0:3], 0 offen offset:4
	buffer_store_dword v0, v64, s[0:3], 0 offen
	buffer_load_dword v0, off, s[0:3], 0
	s_nop 0
	buffer_load_dword v1, off, s[0:3], 0 offset:4
.LBB94_254:
	s_or_b64 exec, exec, s[4:5]
.LBB94_255:
	buffer_load_dword v64, off, s[0:3], 0 offset:8
	buffer_load_dword v65, off, s[0:3], 0 offset:12
	buffer_load_dword v66, off, s[0:3], 0 offset:16
	buffer_load_dword v67, off, s[0:3], 0 offset:20
	buffer_load_dword v68, off, s[0:3], 0 offset:24
	buffer_load_dword v69, off, s[0:3], 0 offset:28
	buffer_load_dword v70, off, s[0:3], 0 offset:32
	buffer_load_dword v71, off, s[0:3], 0 offset:36
	buffer_load_dword v72, off, s[0:3], 0 offset:40
	buffer_load_dword v73, off, s[0:3], 0 offset:44
	buffer_load_dword v74, off, s[0:3], 0 offset:48
	buffer_load_dword v75, off, s[0:3], 0 offset:52
	buffer_load_dword v76, off, s[0:3], 0 offset:56
	buffer_load_dword v77, off, s[0:3], 0 offset:60
	buffer_load_dword v78, off, s[0:3], 0 offset:64
	buffer_load_dword v79, off, s[0:3], 0 offset:68
	buffer_load_dword v80, off, s[0:3], 0 offset:72
	buffer_load_dword v81, off, s[0:3], 0 offset:76
	buffer_load_dword v82, off, s[0:3], 0 offset:80
	buffer_load_dword v83, off, s[0:3], 0 offset:84
	buffer_load_dword v84, off, s[0:3], 0 offset:88
	buffer_load_dword v85, off, s[0:3], 0 offset:92
	buffer_load_dword v86, off, s[0:3], 0 offset:96
	buffer_load_dword v87, off, s[0:3], 0 offset:100
	buffer_load_dword v88, off, s[0:3], 0 offset:104
	buffer_load_dword v89, off, s[0:3], 0 offset:108
	buffer_load_dword v90, off, s[0:3], 0 offset:112
	buffer_load_dword v91, off, s[0:3], 0 offset:116
	buffer_load_dword v92, off, s[0:3], 0 offset:120
	buffer_load_dword v93, off, s[0:3], 0 offset:124
	buffer_load_dword v94, off, s[0:3], 0 offset:128
	buffer_load_dword v95, off, s[0:3], 0 offset:132
	buffer_load_dword v96, off, s[0:3], 0 offset:136
	buffer_load_dword v97, off, s[0:3], 0 offset:140
	buffer_load_dword v98, off, s[0:3], 0 offset:144
	buffer_load_dword v99, off, s[0:3], 0 offset:148
	buffer_load_dword v100, off, s[0:3], 0 offset:152
	buffer_load_dword v101, off, s[0:3], 0 offset:156
	buffer_load_dword v102, off, s[0:3], 0 offset:160
	buffer_load_dword v103, off, s[0:3], 0 offset:164
	buffer_load_dword v104, off, s[0:3], 0 offset:168
	buffer_load_dword v105, off, s[0:3], 0 offset:172
	buffer_load_dword v106, off, s[0:3], 0 offset:176
	buffer_load_dword v107, off, s[0:3], 0 offset:180
	buffer_load_dword v108, off, s[0:3], 0 offset:184
	buffer_load_dword v109, off, s[0:3], 0 offset:188
	buffer_load_dword v110, off, s[0:3], 0 offset:192
	buffer_load_dword v111, off, s[0:3], 0 offset:196
	buffer_load_dword v112, off, s[0:3], 0 offset:200
	buffer_load_dword v113, off, s[0:3], 0 offset:204
	buffer_load_dword v114, off, s[0:3], 0 offset:208
	buffer_load_dword v115, off, s[0:3], 0 offset:212
	buffer_load_dword v116, off, s[0:3], 0 offset:216
	buffer_load_dword v117, off, s[0:3], 0 offset:220
	buffer_load_dword v118, off, s[0:3], 0 offset:224
	buffer_load_dword v119, off, s[0:3], 0 offset:228
	buffer_load_dword v120, off, s[0:3], 0 offset:232
	buffer_load_dword v121, off, s[0:3], 0 offset:236
	buffer_load_dword v122, off, s[0:3], 0 offset:240
	buffer_load_dword v123, off, s[0:3], 0 offset:244
	s_waitcnt vmcnt(60)
	global_store_dwordx2 v[54:55], v[0:1], off
	s_waitcnt vmcnt(59)
	global_store_dwordx2 v[56:57], v[64:65], off
	;; [unrolled: 2-line block ×31, first 2 shown]
	s_endpgm
	.section	.rodata,"a",@progbits
	.p2align	6, 0x0
	.amdhsa_kernel _ZN9rocsolver6v33100L18getri_kernel_smallILi31EdPKPdEEvT1_iilPiilS6_bb
		.amdhsa_group_segment_fixed_size 504
		.amdhsa_private_segment_fixed_size 256
		.amdhsa_kernarg_size 60
		.amdhsa_user_sgpr_count 8
		.amdhsa_user_sgpr_private_segment_buffer 1
		.amdhsa_user_sgpr_dispatch_ptr 0
		.amdhsa_user_sgpr_queue_ptr 0
		.amdhsa_user_sgpr_kernarg_segment_ptr 1
		.amdhsa_user_sgpr_dispatch_id 0
		.amdhsa_user_sgpr_flat_scratch_init 1
		.amdhsa_user_sgpr_kernarg_preload_length 0
		.amdhsa_user_sgpr_kernarg_preload_offset 0
		.amdhsa_user_sgpr_private_segment_size 0
		.amdhsa_uses_dynamic_stack 0
		.amdhsa_system_sgpr_private_segment_wavefront_offset 1
		.amdhsa_system_sgpr_workgroup_id_x 1
		.amdhsa_system_sgpr_workgroup_id_y 0
		.amdhsa_system_sgpr_workgroup_id_z 0
		.amdhsa_system_sgpr_workgroup_info 0
		.amdhsa_system_vgpr_workitem_id 0
		.amdhsa_next_free_vgpr 124
		.amdhsa_next_free_sgpr 22
		.amdhsa_accum_offset 124
		.amdhsa_reserve_vcc 1
		.amdhsa_reserve_flat_scratch 1
		.amdhsa_float_round_mode_32 0
		.amdhsa_float_round_mode_16_64 0
		.amdhsa_float_denorm_mode_32 3
		.amdhsa_float_denorm_mode_16_64 3
		.amdhsa_dx10_clamp 1
		.amdhsa_ieee_mode 1
		.amdhsa_fp16_overflow 0
		.amdhsa_tg_split 0
		.amdhsa_exception_fp_ieee_invalid_op 0
		.amdhsa_exception_fp_denorm_src 0
		.amdhsa_exception_fp_ieee_div_zero 0
		.amdhsa_exception_fp_ieee_overflow 0
		.amdhsa_exception_fp_ieee_underflow 0
		.amdhsa_exception_fp_ieee_inexact 0
		.amdhsa_exception_int_div_zero 0
	.end_amdhsa_kernel
	.section	.text._ZN9rocsolver6v33100L18getri_kernel_smallILi31EdPKPdEEvT1_iilPiilS6_bb,"axG",@progbits,_ZN9rocsolver6v33100L18getri_kernel_smallILi31EdPKPdEEvT1_iilPiilS6_bb,comdat
.Lfunc_end94:
	.size	_ZN9rocsolver6v33100L18getri_kernel_smallILi31EdPKPdEEvT1_iilPiilS6_bb, .Lfunc_end94-_ZN9rocsolver6v33100L18getri_kernel_smallILi31EdPKPdEEvT1_iilPiilS6_bb
                                        ; -- End function
	.section	.AMDGPU.csdata,"",@progbits
; Kernel info:
; codeLenInByte = 29280
; NumSgprs: 28
; NumVgprs: 124
; NumAgprs: 0
; TotalNumVgprs: 124
; ScratchSize: 256
; MemoryBound: 0
; FloatMode: 240
; IeeeMode: 1
; LDSByteSize: 504 bytes/workgroup (compile time only)
; SGPRBlocks: 3
; VGPRBlocks: 15
; NumSGPRsForWavesPerEU: 28
; NumVGPRsForWavesPerEU: 124
; AccumOffset: 124
; Occupancy: 4
; WaveLimiterHint : 1
; COMPUTE_PGM_RSRC2:SCRATCH_EN: 1
; COMPUTE_PGM_RSRC2:USER_SGPR: 8
; COMPUTE_PGM_RSRC2:TRAP_HANDLER: 0
; COMPUTE_PGM_RSRC2:TGID_X_EN: 1
; COMPUTE_PGM_RSRC2:TGID_Y_EN: 0
; COMPUTE_PGM_RSRC2:TGID_Z_EN: 0
; COMPUTE_PGM_RSRC2:TIDIG_COMP_CNT: 0
; COMPUTE_PGM_RSRC3_GFX90A:ACCUM_OFFSET: 30
; COMPUTE_PGM_RSRC3_GFX90A:TG_SPLIT: 0
	.section	.text._ZN9rocsolver6v33100L18getri_kernel_smallILi32EdPKPdEEvT1_iilPiilS6_bb,"axG",@progbits,_ZN9rocsolver6v33100L18getri_kernel_smallILi32EdPKPdEEvT1_iilPiilS6_bb,comdat
	.globl	_ZN9rocsolver6v33100L18getri_kernel_smallILi32EdPKPdEEvT1_iilPiilS6_bb ; -- Begin function _ZN9rocsolver6v33100L18getri_kernel_smallILi32EdPKPdEEvT1_iilPiilS6_bb
	.p2align	8
	.type	_ZN9rocsolver6v33100L18getri_kernel_smallILi32EdPKPdEEvT1_iilPiilS6_bb,@function
_ZN9rocsolver6v33100L18getri_kernel_smallILi32EdPKPdEEvT1_iilPiilS6_bb: ; @_ZN9rocsolver6v33100L18getri_kernel_smallILi32EdPKPdEEvT1_iilPiilS6_bb
; %bb.0:
	s_add_u32 flat_scratch_lo, s6, s9
	s_addc_u32 flat_scratch_hi, s7, 0
	s_add_u32 s0, s0, s9
	s_addc_u32 s1, s1, 0
	v_cmp_gt_u32_e32 vcc, 32, v0
	s_and_saveexec_b64 s[6:7], vcc
	s_cbranch_execz .LBB95_136
; %bb.1:
	s_load_dword s20, s[4:5], 0x38
	s_load_dwordx2 s[6:7], s[4:5], 0x0
	s_load_dwordx4 s[12:15], s[4:5], 0x28
	s_waitcnt lgkmcnt(0)
	s_bitcmp1_b32 s20, 8
	s_cselect_b64 s[16:17], -1, 0
	s_ashr_i32 s9, s8, 31
	s_lshl_b64 s[10:11], s[8:9], 3
	s_add_u32 s6, s6, s10
	s_addc_u32 s7, s7, s11
	s_load_dwordx2 s[18:19], s[6:7], 0x0
	s_bfe_u32 s6, s20, 0x10008
	s_cmp_eq_u32 s6, 0
                                        ; implicit-def: $sgpr10_sgpr11
	s_cbranch_scc1 .LBB95_3
; %bb.2:
	s_load_dword s6, s[4:5], 0x20
	s_load_dwordx2 s[10:11], s[4:5], 0x18
	s_mul_i32 s7, s8, s13
	s_mul_hi_u32 s13, s8, s12
	s_add_i32 s13, s13, s7
	s_mul_i32 s21, s9, s12
	s_add_i32 s13, s13, s21
	s_mul_i32 s12, s8, s12
	s_waitcnt lgkmcnt(0)
	s_ashr_i32 s7, s6, 31
	s_lshl_b64 s[12:13], s[12:13], 2
	s_add_u32 s10, s10, s12
	s_addc_u32 s11, s11, s13
	s_lshl_b64 s[6:7], s[6:7], 2
	s_add_u32 s10, s10, s6
	s_addc_u32 s11, s11, s7
.LBB95_3:
	s_load_dwordx2 s[6:7], s[4:5], 0x8
	s_waitcnt lgkmcnt(0)
	s_ashr_i32 s5, s6, 31
	s_mov_b32 s4, s6
	s_lshl_b64 s[4:5], s[4:5], 3
	s_add_u32 s4, s18, s4
	s_addc_u32 s5, s19, s5
	s_add_i32 s6, s7, s7
	v_add_u32_e32 v4, s6, v0
	v_ashrrev_i32_e32 v5, 31, v4
	v_lshlrev_b64 v[2:3], 3, v[4:5]
	v_add_u32_e32 v6, s7, v4
	v_mov_b32_e32 v1, s5
	v_add_co_u32_e32 v2, vcc, s4, v2
	v_ashrrev_i32_e32 v7, 31, v6
	v_addc_co_u32_e32 v3, vcc, v1, v3, vcc
	v_lshlrev_b64 v[4:5], 3, v[6:7]
	v_add_u32_e32 v8, s7, v6
	v_add_co_u32_e32 v4, vcc, s4, v4
	v_ashrrev_i32_e32 v9, 31, v8
	v_addc_co_u32_e32 v5, vcc, v1, v5, vcc
	v_lshlrev_b64 v[6:7], 3, v[8:9]
	v_add_u32_e32 v10, s7, v8
	;; [unrolled: 5-line block ×21, first 2 shown]
	v_add_co_u32_e32 v44, vcc, s4, v44
	v_ashrrev_i32_e32 v49, 31, v48
	v_addc_co_u32_e32 v45, vcc, v1, v45, vcc
	v_lshlrev_b64 v[46:47], 3, v[48:49]
	v_add_co_u32_e32 v46, vcc, s4, v46
	v_addc_co_u32_e32 v47, vcc, v1, v47, vcc
	v_lshlrev_b32_e32 v1, 3, v0
	global_load_dwordx2 v[66:67], v1, s[4:5]
	global_load_dwordx2 v[70:71], v[2:3], off
	v_mov_b32_e32 v52, s5
	v_add_co_u32_e32 v54, vcc, s4, v1
	s_ashr_i32 s13, s7, 31
	s_mov_b32 s12, s7
	v_addc_co_u32_e32 v55, vcc, 0, v52, vcc
	s_lshl_b64 s[12:13], s[12:13], 3
	v_mov_b32_e32 v52, s13
	v_add_co_u32_e32 v58, vcc, s12, v54
	v_addc_co_u32_e32 v59, vcc, v55, v52, vcc
	global_load_dwordx2 v[68:69], v[58:59], off
	v_add_u32_e32 v50, s7, v48
	v_ashrrev_i32_e32 v51, 31, v50
	v_lshlrev_b64 v[48:49], 3, v[50:51]
	v_add_u32_e32 v52, s7, v50
	v_mov_b32_e32 v51, s5
	v_add_co_u32_e32 v48, vcc, s4, v48
	v_ashrrev_i32_e32 v53, 31, v52
	v_addc_co_u32_e32 v49, vcc, v51, v49, vcc
	v_lshlrev_b64 v[50:51], 3, v[52:53]
	v_add_u32_e32 v56, s7, v52
	v_mov_b32_e32 v53, s5
	v_add_co_u32_e32 v50, vcc, s4, v50
	v_ashrrev_i32_e32 v57, 31, v56
	v_addc_co_u32_e32 v51, vcc, v53, v51, vcc
	v_lshlrev_b64 v[52:53], 3, v[56:57]
	v_add_u32_e32 v60, s7, v56
	v_mov_b32_e32 v57, s5
	v_add_co_u32_e32 v52, vcc, s4, v52
	v_ashrrev_i32_e32 v61, 31, v60
	v_addc_co_u32_e32 v53, vcc, v57, v53, vcc
	v_lshlrev_b64 v[56:57], 3, v[60:61]
	v_add_u32_e32 v62, s7, v60
	v_mov_b32_e32 v61, s5
	v_add_co_u32_e32 v56, vcc, s4, v56
	v_ashrrev_i32_e32 v63, 31, v62
	v_addc_co_u32_e32 v57, vcc, v61, v57, vcc
	v_lshlrev_b64 v[60:61], 3, v[62:63]
	v_add_u32_e32 v64, s7, v62
	v_mov_b32_e32 v63, s5
	v_add_co_u32_e32 v60, vcc, s4, v60
	v_ashrrev_i32_e32 v65, 31, v64
	v_addc_co_u32_e32 v61, vcc, v63, v61, vcc
	v_lshlrev_b64 v[62:63], 3, v[64:65]
	v_add_u32_e32 v64, s7, v64
	v_mov_b32_e32 v96, s5
	v_add_co_u32_e32 v62, vcc, s4, v62
	v_ashrrev_i32_e32 v65, 31, v64
	v_addc_co_u32_e32 v63, vcc, v96, v63, vcc
	v_lshlrev_b64 v[64:65], 3, v[64:65]
	v_mov_b32_e32 v112, s5
	v_add_co_u32_e32 v64, vcc, s4, v64
	global_load_dwordx2 v[72:73], v[4:5], off
	global_load_dwordx2 v[74:75], v[6:7], off
	;; [unrolled: 1-line block ×20, first 2 shown]
	v_addc_co_u32_e32 v65, vcc, v112, v65, vcc
	global_load_dwordx2 v[112:113], v[44:45], off
	global_load_dwordx2 v[114:115], v[64:65], off
	;; [unrolled: 1-line block ×6, first 2 shown]
	s_bitcmp0_b32 s20, 0
	s_waitcnt vmcnt(28)
	buffer_store_dword v67, off, s[0:3], 0 offset:4
	buffer_store_dword v66, off, s[0:3], 0
	global_load_dwordx2 v[66:67], v[50:51], off
	s_mov_b64 s[6:7], -1
	s_waitcnt vmcnt(30)
	buffer_store_dword v71, off, s[0:3], 0 offset:20
	buffer_store_dword v70, off, s[0:3], 0 offset:16
	global_load_dwordx2 v[70:71], v[62:63], off
	s_waitcnt vmcnt(32)
	buffer_store_dword v69, off, s[0:3], 0 offset:12
	buffer_store_dword v68, off, s[0:3], 0 offset:8
	global_load_dwordx2 v[68:69], v[56:57], off
	s_waitcnt vmcnt(34)
	buffer_store_dword v73, off, s[0:3], 0 offset:28
	buffer_store_dword v72, off, s[0:3], 0 offset:24
	s_waitcnt vmcnt(35)
	buffer_store_dword v75, off, s[0:3], 0 offset:36
	buffer_store_dword v74, off, s[0:3], 0 offset:32
	;; [unrolled: 3-line block ×24, first 2 shown]
	buffer_store_dword v120, off, s[0:3], 0 offset:216
	buffer_store_dword v121, off, s[0:3], 0 offset:220
	s_waitcnt vmcnt(50)
	buffer_store_dword v68, off, s[0:3], 0 offset:224
	buffer_store_dword v69, off, s[0:3], 0 offset:228
	;; [unrolled: 1-line block ×8, first 2 shown]
	s_cbranch_scc1 .LBB95_134
; %bb.4:
	v_cmp_eq_u32_e64 s[4:5], 0, v0
	s_and_saveexec_b64 s[6:7], s[4:5]
	s_cbranch_execz .LBB95_6
; %bb.5:
	v_mov_b32_e32 v66, 0
	ds_write_b32 v66, v66 offset:512
.LBB95_6:
	s_or_b64 exec, exec, s[6:7]
	v_mov_b32_e32 v66, 0
	v_lshl_add_u32 v66, v0, 3, v66
	s_waitcnt lgkmcnt(0)
	; wave barrier
	s_waitcnt lgkmcnt(0)
	buffer_load_dword v68, v66, s[0:3], 0 offen
	buffer_load_dword v69, v66, s[0:3], 0 offen offset:4
	s_waitcnt vmcnt(0)
	v_cmp_eq_f64_e32 vcc, 0, v[68:69]
	s_and_saveexec_b64 s[12:13], vcc
	s_cbranch_execz .LBB95_10
; %bb.7:
	v_mov_b32_e32 v67, 0
	ds_read_b32 v69, v67 offset:512
	v_add_u32_e32 v68, 1, v0
	s_waitcnt lgkmcnt(0)
	v_readfirstlane_b32 s6, v69
	s_cmp_eq_u32 s6, 0
	s_cselect_b64 s[18:19], -1, 0
	v_cmp_gt_i32_e32 vcc, s6, v68
	s_or_b64 s[18:19], s[18:19], vcc
	s_and_b64 exec, exec, s[18:19]
	s_cbranch_execz .LBB95_10
; %bb.8:
	s_mov_b64 s[18:19], 0
	v_mov_b32_e32 v69, s6
.LBB95_9:                               ; =>This Inner Loop Header: Depth=1
	ds_cmpst_rtn_b32 v69, v67, v69, v68 offset:512
	s_waitcnt lgkmcnt(0)
	v_cmp_ne_u32_e32 vcc, 0, v69
	v_cmp_le_i32_e64 s[6:7], v69, v68
	s_and_b64 s[6:7], vcc, s[6:7]
	s_and_b64 s[6:7], exec, s[6:7]
	s_or_b64 s[18:19], s[6:7], s[18:19]
	s_andn2_b64 exec, exec, s[18:19]
	s_cbranch_execnz .LBB95_9
.LBB95_10:
	s_or_b64 exec, exec, s[12:13]
	v_mov_b32_e32 v68, 0
	s_waitcnt lgkmcnt(0)
	; wave barrier
	ds_read_b32 v67, v68 offset:512
	s_and_saveexec_b64 s[6:7], s[4:5]
	s_cbranch_execz .LBB95_12
; %bb.11:
	s_lshl_b64 s[12:13], s[8:9], 2
	s_add_u32 s12, s14, s12
	s_addc_u32 s13, s15, s13
	s_waitcnt lgkmcnt(0)
	global_store_dword v68, v67, s[12:13]
.LBB95_12:
	s_or_b64 exec, exec, s[6:7]
	s_waitcnt lgkmcnt(0)
	v_cmp_ne_u32_e32 vcc, 0, v67
	s_mov_b64 s[6:7], 0
	s_cbranch_vccnz .LBB95_134
; %bb.13:
	buffer_load_dword v68, v66, s[0:3], 0 offen
	buffer_load_dword v69, v66, s[0:3], 0 offen offset:4
	s_waitcnt vmcnt(0)
	v_div_scale_f64 v[70:71], s[6:7], v[68:69], v[68:69], 1.0
	v_rcp_f64_e32 v[72:73], v[70:71]
	v_div_scale_f64 v[74:75], vcc, 1.0, v[68:69], 1.0
	v_fma_f64 v[76:77], -v[70:71], v[72:73], 1.0
	v_fmac_f64_e32 v[72:73], v[72:73], v[76:77]
	v_fma_f64 v[76:77], -v[70:71], v[72:73], 1.0
	v_fmac_f64_e32 v[72:73], v[72:73], v[76:77]
	v_mul_f64 v[76:77], v[74:75], v[72:73]
	v_fma_f64 v[70:71], -v[70:71], v[76:77], v[74:75]
	v_div_fmas_f64 v[70:71], v[70:71], v[72:73], v[76:77]
	v_div_fixup_f64 v[70:71], v[70:71], v[68:69], 1.0
	buffer_store_dword v71, v66, s[0:3], 0 offen offset:4
	buffer_store_dword v70, v66, s[0:3], 0 offen
	buffer_load_dword v73, off, s[0:3], 0 offset:12
	buffer_load_dword v72, off, s[0:3], 0 offset:8
	v_add_u32_e32 v68, 0x100, v1
	v_xor_b32_e32 v71, 0x80000000, v71
	s_waitcnt vmcnt(0)
	ds_write2_b64 v1, v[70:71], v[72:73] offset1:32
	s_waitcnt lgkmcnt(0)
	; wave barrier
	s_waitcnt lgkmcnt(0)
	s_and_saveexec_b64 s[6:7], s[4:5]
	s_cbranch_execz .LBB95_15
; %bb.14:
	buffer_load_dword v70, v66, s[0:3], 0 offen
	buffer_load_dword v71, v66, s[0:3], 0 offen offset:4
	v_mov_b32_e32 v67, 0
	ds_read_b64 v[72:73], v68
	ds_read_b64 v[74:75], v67 offset:8
	s_waitcnt vmcnt(0) lgkmcnt(1)
	v_fma_f64 v[70:71], v[70:71], v[72:73], 0
	s_waitcnt lgkmcnt(0)
	v_mul_f64 v[70:71], v[70:71], v[74:75]
	buffer_store_dword v70, off, s[0:3], 0 offset:8
	buffer_store_dword v71, off, s[0:3], 0 offset:12
.LBB95_15:
	s_or_b64 exec, exec, s[6:7]
	s_waitcnt lgkmcnt(0)
	; wave barrier
	buffer_load_dword v70, off, s[0:3], 0 offset:16
	buffer_load_dword v71, off, s[0:3], 0 offset:20
	v_cmp_gt_u32_e32 vcc, 2, v0
	s_waitcnt vmcnt(0)
	ds_write_b64 v68, v[70:71]
	s_waitcnt lgkmcnt(0)
	; wave barrier
	s_waitcnt lgkmcnt(0)
	s_and_saveexec_b64 s[6:7], vcc
	s_cbranch_execz .LBB95_17
; %bb.16:
	buffer_load_dword v67, v66, s[0:3], 0 offen offset:4
	buffer_load_dword v74, off, s[0:3], 0 offset:8
	s_nop 0
	buffer_load_dword v66, v66, s[0:3], 0 offen
	s_nop 0
	buffer_load_dword v75, off, s[0:3], 0 offset:12
	ds_read_b64 v[76:77], v68
	v_mov_b32_e32 v69, 0
	ds_read2_b64 v[70:73], v69 offset0:2 offset1:33
	s_waitcnt vmcnt(1) lgkmcnt(1)
	v_fma_f64 v[66:67], v[66:67], v[76:77], 0
	s_waitcnt vmcnt(0) lgkmcnt(0)
	v_fma_f64 v[72:73], v[74:75], v[72:73], v[66:67]
	v_cndmask_b32_e64 v67, v67, v73, s[4:5]
	v_cndmask_b32_e64 v66, v66, v72, s[4:5]
	v_mul_f64 v[66:67], v[66:67], v[70:71]
	buffer_store_dword v67, off, s[0:3], 0 offset:20
	buffer_store_dword v66, off, s[0:3], 0 offset:16
.LBB95_17:
	s_or_b64 exec, exec, s[6:7]
	s_waitcnt lgkmcnt(0)
	; wave barrier
	buffer_load_dword v66, off, s[0:3], 0 offset:24
	buffer_load_dword v67, off, s[0:3], 0 offset:28
	v_cmp_gt_u32_e32 vcc, 3, v0
	v_add_u32_e32 v69, -1, v0
	s_waitcnt vmcnt(0)
	ds_write_b64 v68, v[66:67]
	s_waitcnt lgkmcnt(0)
	; wave barrier
	s_waitcnt lgkmcnt(0)
	s_and_saveexec_b64 s[4:5], vcc
	s_cbranch_execz .LBB95_21
; %bb.18:
	v_add_u32_e32 v70, -1, v0
	v_add_u32_e32 v71, 0x100, v1
	v_add_u32_e32 v72, 0, v1
	s_mov_b64 s[6:7], 0
	v_pk_mov_b32 v[66:67], 0, 0
.LBB95_19:                              ; =>This Inner Loop Header: Depth=1
	buffer_load_dword v74, v72, s[0:3], 0 offen
	buffer_load_dword v75, v72, s[0:3], 0 offen offset:4
	ds_read_b64 v[76:77], v71
	v_add_u32_e32 v70, 1, v70
	v_cmp_lt_u32_e32 vcc, 1, v70
	v_add_u32_e32 v71, 8, v71
	v_add_u32_e32 v72, 8, v72
	s_or_b64 s[6:7], vcc, s[6:7]
	s_waitcnt vmcnt(0) lgkmcnt(0)
	v_fmac_f64_e32 v[66:67], v[74:75], v[76:77]
	s_andn2_b64 exec, exec, s[6:7]
	s_cbranch_execnz .LBB95_19
; %bb.20:
	s_or_b64 exec, exec, s[6:7]
	v_mov_b32_e32 v70, 0
	ds_read_b64 v[70:71], v70 offset:24
	s_waitcnt lgkmcnt(0)
	v_mul_f64 v[66:67], v[66:67], v[70:71]
	buffer_store_dword v67, off, s[0:3], 0 offset:28
	buffer_store_dword v66, off, s[0:3], 0 offset:24
.LBB95_21:
	s_or_b64 exec, exec, s[4:5]
	s_waitcnt lgkmcnt(0)
	; wave barrier
	buffer_load_dword v66, off, s[0:3], 0 offset:32
	buffer_load_dword v67, off, s[0:3], 0 offset:36
	v_cmp_gt_u32_e32 vcc, 4, v0
	s_waitcnt vmcnt(0)
	ds_write_b64 v68, v[66:67]
	s_waitcnt lgkmcnt(0)
	; wave barrier
	s_waitcnt lgkmcnt(0)
	s_and_saveexec_b64 s[4:5], vcc
	s_cbranch_execz .LBB95_25
; %bb.22:
	v_add_u32_e32 v70, -1, v0
	v_add_u32_e32 v71, 0x100, v1
	v_add_u32_e32 v72, 0, v1
	s_mov_b64 s[6:7], 0
	v_pk_mov_b32 v[66:67], 0, 0
.LBB95_23:                              ; =>This Inner Loop Header: Depth=1
	buffer_load_dword v74, v72, s[0:3], 0 offen
	buffer_load_dword v75, v72, s[0:3], 0 offen offset:4
	ds_read_b64 v[76:77], v71
	v_add_u32_e32 v70, 1, v70
	v_cmp_lt_u32_e32 vcc, 2, v70
	v_add_u32_e32 v71, 8, v71
	v_add_u32_e32 v72, 8, v72
	s_or_b64 s[6:7], vcc, s[6:7]
	s_waitcnt vmcnt(0) lgkmcnt(0)
	v_fmac_f64_e32 v[66:67], v[74:75], v[76:77]
	s_andn2_b64 exec, exec, s[6:7]
	s_cbranch_execnz .LBB95_23
; %bb.24:
	s_or_b64 exec, exec, s[6:7]
	v_mov_b32_e32 v70, 0
	ds_read_b64 v[70:71], v70 offset:32
	s_waitcnt lgkmcnt(0)
	v_mul_f64 v[66:67], v[66:67], v[70:71]
	buffer_store_dword v67, off, s[0:3], 0 offset:36
	buffer_store_dword v66, off, s[0:3], 0 offset:32
.LBB95_25:
	s_or_b64 exec, exec, s[4:5]
	s_waitcnt lgkmcnt(0)
	; wave barrier
	buffer_load_dword v66, off, s[0:3], 0 offset:40
	buffer_load_dword v67, off, s[0:3], 0 offset:44
	v_cmp_gt_u32_e32 vcc, 5, v0
	s_waitcnt vmcnt(0)
	ds_write_b64 v68, v[66:67]
	s_waitcnt lgkmcnt(0)
	; wave barrier
	s_waitcnt lgkmcnt(0)
	s_and_saveexec_b64 s[4:5], vcc
	s_cbranch_execz .LBB95_29
; %bb.26:
	v_add_u32_e32 v70, -1, v0
	v_add_u32_e32 v71, 0x100, v1
	v_add_u32_e32 v72, 0, v1
	s_mov_b64 s[6:7], 0
	v_pk_mov_b32 v[66:67], 0, 0
.LBB95_27:                              ; =>This Inner Loop Header: Depth=1
	buffer_load_dword v74, v72, s[0:3], 0 offen
	buffer_load_dword v75, v72, s[0:3], 0 offen offset:4
	ds_read_b64 v[76:77], v71
	v_add_u32_e32 v70, 1, v70
	v_cmp_lt_u32_e32 vcc, 3, v70
	v_add_u32_e32 v71, 8, v71
	v_add_u32_e32 v72, 8, v72
	s_or_b64 s[6:7], vcc, s[6:7]
	s_waitcnt vmcnt(0) lgkmcnt(0)
	v_fmac_f64_e32 v[66:67], v[74:75], v[76:77]
	s_andn2_b64 exec, exec, s[6:7]
	s_cbranch_execnz .LBB95_27
; %bb.28:
	s_or_b64 exec, exec, s[6:7]
	v_mov_b32_e32 v70, 0
	ds_read_b64 v[70:71], v70 offset:40
	s_waitcnt lgkmcnt(0)
	v_mul_f64 v[66:67], v[66:67], v[70:71]
	buffer_store_dword v67, off, s[0:3], 0 offset:44
	buffer_store_dword v66, off, s[0:3], 0 offset:40
.LBB95_29:
	s_or_b64 exec, exec, s[4:5]
	s_waitcnt lgkmcnt(0)
	; wave barrier
	buffer_load_dword v66, off, s[0:3], 0 offset:48
	buffer_load_dword v67, off, s[0:3], 0 offset:52
	v_cmp_gt_u32_e32 vcc, 6, v0
	s_waitcnt vmcnt(0)
	ds_write_b64 v68, v[66:67]
	s_waitcnt lgkmcnt(0)
	; wave barrier
	s_waitcnt lgkmcnt(0)
	s_and_saveexec_b64 s[4:5], vcc
	s_cbranch_execz .LBB95_33
; %bb.30:
	v_add_u32_e32 v70, -1, v0
	v_add_u32_e32 v71, 0x100, v1
	v_add_u32_e32 v72, 0, v1
	s_mov_b64 s[6:7], 0
	v_pk_mov_b32 v[66:67], 0, 0
.LBB95_31:                              ; =>This Inner Loop Header: Depth=1
	buffer_load_dword v74, v72, s[0:3], 0 offen
	buffer_load_dword v75, v72, s[0:3], 0 offen offset:4
	ds_read_b64 v[76:77], v71
	v_add_u32_e32 v70, 1, v70
	v_cmp_lt_u32_e32 vcc, 4, v70
	v_add_u32_e32 v71, 8, v71
	v_add_u32_e32 v72, 8, v72
	s_or_b64 s[6:7], vcc, s[6:7]
	s_waitcnt vmcnt(0) lgkmcnt(0)
	v_fmac_f64_e32 v[66:67], v[74:75], v[76:77]
	s_andn2_b64 exec, exec, s[6:7]
	s_cbranch_execnz .LBB95_31
; %bb.32:
	s_or_b64 exec, exec, s[6:7]
	v_mov_b32_e32 v70, 0
	ds_read_b64 v[70:71], v70 offset:48
	s_waitcnt lgkmcnt(0)
	v_mul_f64 v[66:67], v[66:67], v[70:71]
	buffer_store_dword v67, off, s[0:3], 0 offset:52
	buffer_store_dword v66, off, s[0:3], 0 offset:48
.LBB95_33:
	s_or_b64 exec, exec, s[4:5]
	s_waitcnt lgkmcnt(0)
	; wave barrier
	buffer_load_dword v66, off, s[0:3], 0 offset:56
	buffer_load_dword v67, off, s[0:3], 0 offset:60
	v_cmp_gt_u32_e32 vcc, 7, v0
	s_waitcnt vmcnt(0)
	ds_write_b64 v68, v[66:67]
	s_waitcnt lgkmcnt(0)
	; wave barrier
	s_waitcnt lgkmcnt(0)
	s_and_saveexec_b64 s[4:5], vcc
	s_cbranch_execz .LBB95_37
; %bb.34:
	v_add_u32_e32 v70, -1, v0
	v_add_u32_e32 v71, 0x100, v1
	v_add_u32_e32 v72, 0, v1
	s_mov_b64 s[6:7], 0
	v_pk_mov_b32 v[66:67], 0, 0
.LBB95_35:                              ; =>This Inner Loop Header: Depth=1
	buffer_load_dword v74, v72, s[0:3], 0 offen
	buffer_load_dword v75, v72, s[0:3], 0 offen offset:4
	ds_read_b64 v[76:77], v71
	v_add_u32_e32 v70, 1, v70
	v_cmp_lt_u32_e32 vcc, 5, v70
	v_add_u32_e32 v71, 8, v71
	v_add_u32_e32 v72, 8, v72
	s_or_b64 s[6:7], vcc, s[6:7]
	s_waitcnt vmcnt(0) lgkmcnt(0)
	v_fmac_f64_e32 v[66:67], v[74:75], v[76:77]
	s_andn2_b64 exec, exec, s[6:7]
	s_cbranch_execnz .LBB95_35
; %bb.36:
	s_or_b64 exec, exec, s[6:7]
	v_mov_b32_e32 v70, 0
	ds_read_b64 v[70:71], v70 offset:56
	s_waitcnt lgkmcnt(0)
	v_mul_f64 v[66:67], v[66:67], v[70:71]
	buffer_store_dword v67, off, s[0:3], 0 offset:60
	buffer_store_dword v66, off, s[0:3], 0 offset:56
.LBB95_37:
	s_or_b64 exec, exec, s[4:5]
	s_waitcnt lgkmcnt(0)
	; wave barrier
	buffer_load_dword v66, off, s[0:3], 0 offset:64
	buffer_load_dword v67, off, s[0:3], 0 offset:68
	v_cmp_gt_u32_e32 vcc, 8, v0
	s_waitcnt vmcnt(0)
	ds_write_b64 v68, v[66:67]
	s_waitcnt lgkmcnt(0)
	; wave barrier
	s_waitcnt lgkmcnt(0)
	s_and_saveexec_b64 s[4:5], vcc
	s_cbranch_execz .LBB95_41
; %bb.38:
	v_add_u32_e32 v70, -1, v0
	v_add_u32_e32 v71, 0x100, v1
	v_add_u32_e32 v72, 0, v1
	s_mov_b64 s[6:7], 0
	v_pk_mov_b32 v[66:67], 0, 0
.LBB95_39:                              ; =>This Inner Loop Header: Depth=1
	buffer_load_dword v74, v72, s[0:3], 0 offen
	buffer_load_dword v75, v72, s[0:3], 0 offen offset:4
	ds_read_b64 v[76:77], v71
	v_add_u32_e32 v70, 1, v70
	v_cmp_lt_u32_e32 vcc, 6, v70
	v_add_u32_e32 v71, 8, v71
	v_add_u32_e32 v72, 8, v72
	s_or_b64 s[6:7], vcc, s[6:7]
	s_waitcnt vmcnt(0) lgkmcnt(0)
	v_fmac_f64_e32 v[66:67], v[74:75], v[76:77]
	s_andn2_b64 exec, exec, s[6:7]
	s_cbranch_execnz .LBB95_39
; %bb.40:
	s_or_b64 exec, exec, s[6:7]
	v_mov_b32_e32 v70, 0
	ds_read_b64 v[70:71], v70 offset:64
	s_waitcnt lgkmcnt(0)
	v_mul_f64 v[66:67], v[66:67], v[70:71]
	buffer_store_dword v67, off, s[0:3], 0 offset:68
	buffer_store_dword v66, off, s[0:3], 0 offset:64
.LBB95_41:
	s_or_b64 exec, exec, s[4:5]
	s_waitcnt lgkmcnt(0)
	; wave barrier
	buffer_load_dword v66, off, s[0:3], 0 offset:72
	buffer_load_dword v67, off, s[0:3], 0 offset:76
	v_cmp_gt_u32_e32 vcc, 9, v0
	s_waitcnt vmcnt(0)
	ds_write_b64 v68, v[66:67]
	s_waitcnt lgkmcnt(0)
	; wave barrier
	s_waitcnt lgkmcnt(0)
	s_and_saveexec_b64 s[4:5], vcc
	s_cbranch_execz .LBB95_45
; %bb.42:
	v_add_u32_e32 v70, -1, v0
	v_add_u32_e32 v71, 0x100, v1
	v_add_u32_e32 v72, 0, v1
	s_mov_b64 s[6:7], 0
	v_pk_mov_b32 v[66:67], 0, 0
.LBB95_43:                              ; =>This Inner Loop Header: Depth=1
	buffer_load_dword v74, v72, s[0:3], 0 offen
	buffer_load_dword v75, v72, s[0:3], 0 offen offset:4
	ds_read_b64 v[76:77], v71
	v_add_u32_e32 v70, 1, v70
	v_cmp_lt_u32_e32 vcc, 7, v70
	v_add_u32_e32 v71, 8, v71
	v_add_u32_e32 v72, 8, v72
	s_or_b64 s[6:7], vcc, s[6:7]
	s_waitcnt vmcnt(0) lgkmcnt(0)
	v_fmac_f64_e32 v[66:67], v[74:75], v[76:77]
	s_andn2_b64 exec, exec, s[6:7]
	s_cbranch_execnz .LBB95_43
; %bb.44:
	s_or_b64 exec, exec, s[6:7]
	v_mov_b32_e32 v70, 0
	ds_read_b64 v[70:71], v70 offset:72
	s_waitcnt lgkmcnt(0)
	v_mul_f64 v[66:67], v[66:67], v[70:71]
	buffer_store_dword v67, off, s[0:3], 0 offset:76
	buffer_store_dword v66, off, s[0:3], 0 offset:72
.LBB95_45:
	s_or_b64 exec, exec, s[4:5]
	s_waitcnt lgkmcnt(0)
	; wave barrier
	buffer_load_dword v66, off, s[0:3], 0 offset:80
	buffer_load_dword v67, off, s[0:3], 0 offset:84
	v_cmp_gt_u32_e32 vcc, 10, v0
	s_waitcnt vmcnt(0)
	ds_write_b64 v68, v[66:67]
	s_waitcnt lgkmcnt(0)
	; wave barrier
	s_waitcnt lgkmcnt(0)
	s_and_saveexec_b64 s[4:5], vcc
	s_cbranch_execz .LBB95_49
; %bb.46:
	v_add_u32_e32 v70, -1, v0
	v_add_u32_e32 v71, 0x100, v1
	v_add_u32_e32 v72, 0, v1
	s_mov_b64 s[6:7], 0
	v_pk_mov_b32 v[66:67], 0, 0
.LBB95_47:                              ; =>This Inner Loop Header: Depth=1
	buffer_load_dword v74, v72, s[0:3], 0 offen
	buffer_load_dword v75, v72, s[0:3], 0 offen offset:4
	ds_read_b64 v[76:77], v71
	v_add_u32_e32 v70, 1, v70
	v_cmp_lt_u32_e32 vcc, 8, v70
	v_add_u32_e32 v71, 8, v71
	v_add_u32_e32 v72, 8, v72
	s_or_b64 s[6:7], vcc, s[6:7]
	s_waitcnt vmcnt(0) lgkmcnt(0)
	v_fmac_f64_e32 v[66:67], v[74:75], v[76:77]
	s_andn2_b64 exec, exec, s[6:7]
	s_cbranch_execnz .LBB95_47
; %bb.48:
	s_or_b64 exec, exec, s[6:7]
	v_mov_b32_e32 v70, 0
	ds_read_b64 v[70:71], v70 offset:80
	s_waitcnt lgkmcnt(0)
	v_mul_f64 v[66:67], v[66:67], v[70:71]
	buffer_store_dword v67, off, s[0:3], 0 offset:84
	buffer_store_dword v66, off, s[0:3], 0 offset:80
.LBB95_49:
	s_or_b64 exec, exec, s[4:5]
	s_waitcnt lgkmcnt(0)
	; wave barrier
	buffer_load_dword v66, off, s[0:3], 0 offset:88
	buffer_load_dword v67, off, s[0:3], 0 offset:92
	v_cmp_gt_u32_e32 vcc, 11, v0
	s_waitcnt vmcnt(0)
	ds_write_b64 v68, v[66:67]
	s_waitcnt lgkmcnt(0)
	; wave barrier
	s_waitcnt lgkmcnt(0)
	s_and_saveexec_b64 s[4:5], vcc
	s_cbranch_execz .LBB95_53
; %bb.50:
	v_add_u32_e32 v70, -1, v0
	v_add_u32_e32 v71, 0x100, v1
	v_add_u32_e32 v72, 0, v1
	s_mov_b64 s[6:7], 0
	v_pk_mov_b32 v[66:67], 0, 0
.LBB95_51:                              ; =>This Inner Loop Header: Depth=1
	buffer_load_dword v74, v72, s[0:3], 0 offen
	buffer_load_dword v75, v72, s[0:3], 0 offen offset:4
	ds_read_b64 v[76:77], v71
	v_add_u32_e32 v70, 1, v70
	v_cmp_lt_u32_e32 vcc, 9, v70
	v_add_u32_e32 v71, 8, v71
	v_add_u32_e32 v72, 8, v72
	s_or_b64 s[6:7], vcc, s[6:7]
	s_waitcnt vmcnt(0) lgkmcnt(0)
	v_fmac_f64_e32 v[66:67], v[74:75], v[76:77]
	s_andn2_b64 exec, exec, s[6:7]
	s_cbranch_execnz .LBB95_51
; %bb.52:
	s_or_b64 exec, exec, s[6:7]
	v_mov_b32_e32 v70, 0
	ds_read_b64 v[70:71], v70 offset:88
	s_waitcnt lgkmcnt(0)
	v_mul_f64 v[66:67], v[66:67], v[70:71]
	buffer_store_dword v67, off, s[0:3], 0 offset:92
	buffer_store_dword v66, off, s[0:3], 0 offset:88
.LBB95_53:
	s_or_b64 exec, exec, s[4:5]
	s_waitcnt lgkmcnt(0)
	; wave barrier
	buffer_load_dword v66, off, s[0:3], 0 offset:96
	buffer_load_dword v67, off, s[0:3], 0 offset:100
	v_cmp_gt_u32_e32 vcc, 12, v0
	s_waitcnt vmcnt(0)
	ds_write_b64 v68, v[66:67]
	s_waitcnt lgkmcnt(0)
	; wave barrier
	s_waitcnt lgkmcnt(0)
	s_and_saveexec_b64 s[4:5], vcc
	s_cbranch_execz .LBB95_57
; %bb.54:
	v_add_u32_e32 v70, -1, v0
	v_add_u32_e32 v71, 0x100, v1
	v_add_u32_e32 v72, 0, v1
	s_mov_b64 s[6:7], 0
	v_pk_mov_b32 v[66:67], 0, 0
.LBB95_55:                              ; =>This Inner Loop Header: Depth=1
	buffer_load_dword v74, v72, s[0:3], 0 offen
	buffer_load_dword v75, v72, s[0:3], 0 offen offset:4
	ds_read_b64 v[76:77], v71
	v_add_u32_e32 v70, 1, v70
	v_cmp_lt_u32_e32 vcc, 10, v70
	v_add_u32_e32 v71, 8, v71
	v_add_u32_e32 v72, 8, v72
	s_or_b64 s[6:7], vcc, s[6:7]
	s_waitcnt vmcnt(0) lgkmcnt(0)
	v_fmac_f64_e32 v[66:67], v[74:75], v[76:77]
	s_andn2_b64 exec, exec, s[6:7]
	s_cbranch_execnz .LBB95_55
; %bb.56:
	s_or_b64 exec, exec, s[6:7]
	v_mov_b32_e32 v70, 0
	ds_read_b64 v[70:71], v70 offset:96
	s_waitcnt lgkmcnt(0)
	v_mul_f64 v[66:67], v[66:67], v[70:71]
	buffer_store_dword v67, off, s[0:3], 0 offset:100
	buffer_store_dword v66, off, s[0:3], 0 offset:96
.LBB95_57:
	s_or_b64 exec, exec, s[4:5]
	s_waitcnt lgkmcnt(0)
	; wave barrier
	buffer_load_dword v66, off, s[0:3], 0 offset:104
	buffer_load_dword v67, off, s[0:3], 0 offset:108
	v_cmp_gt_u32_e32 vcc, 13, v0
	s_waitcnt vmcnt(0)
	ds_write_b64 v68, v[66:67]
	s_waitcnt lgkmcnt(0)
	; wave barrier
	s_waitcnt lgkmcnt(0)
	s_and_saveexec_b64 s[4:5], vcc
	s_cbranch_execz .LBB95_61
; %bb.58:
	v_add_u32_e32 v70, -1, v0
	v_add_u32_e32 v71, 0x100, v1
	v_add_u32_e32 v72, 0, v1
	s_mov_b64 s[6:7], 0
	v_pk_mov_b32 v[66:67], 0, 0
.LBB95_59:                              ; =>This Inner Loop Header: Depth=1
	buffer_load_dword v74, v72, s[0:3], 0 offen
	buffer_load_dword v75, v72, s[0:3], 0 offen offset:4
	ds_read_b64 v[76:77], v71
	v_add_u32_e32 v70, 1, v70
	v_cmp_lt_u32_e32 vcc, 11, v70
	v_add_u32_e32 v71, 8, v71
	v_add_u32_e32 v72, 8, v72
	s_or_b64 s[6:7], vcc, s[6:7]
	s_waitcnt vmcnt(0) lgkmcnt(0)
	v_fmac_f64_e32 v[66:67], v[74:75], v[76:77]
	s_andn2_b64 exec, exec, s[6:7]
	s_cbranch_execnz .LBB95_59
; %bb.60:
	s_or_b64 exec, exec, s[6:7]
	v_mov_b32_e32 v70, 0
	ds_read_b64 v[70:71], v70 offset:104
	s_waitcnt lgkmcnt(0)
	v_mul_f64 v[66:67], v[66:67], v[70:71]
	buffer_store_dword v67, off, s[0:3], 0 offset:108
	buffer_store_dword v66, off, s[0:3], 0 offset:104
.LBB95_61:
	s_or_b64 exec, exec, s[4:5]
	s_waitcnt lgkmcnt(0)
	; wave barrier
	buffer_load_dword v66, off, s[0:3], 0 offset:112
	buffer_load_dword v67, off, s[0:3], 0 offset:116
	v_cmp_gt_u32_e32 vcc, 14, v0
	s_waitcnt vmcnt(0)
	ds_write_b64 v68, v[66:67]
	s_waitcnt lgkmcnt(0)
	; wave barrier
	s_waitcnt lgkmcnt(0)
	s_and_saveexec_b64 s[4:5], vcc
	s_cbranch_execz .LBB95_65
; %bb.62:
	v_add_u32_e32 v70, -1, v0
	v_add_u32_e32 v71, 0x100, v1
	v_add_u32_e32 v72, 0, v1
	s_mov_b64 s[6:7], 0
	v_pk_mov_b32 v[66:67], 0, 0
.LBB95_63:                              ; =>This Inner Loop Header: Depth=1
	buffer_load_dword v74, v72, s[0:3], 0 offen
	buffer_load_dword v75, v72, s[0:3], 0 offen offset:4
	ds_read_b64 v[76:77], v71
	v_add_u32_e32 v70, 1, v70
	v_cmp_lt_u32_e32 vcc, 12, v70
	v_add_u32_e32 v71, 8, v71
	v_add_u32_e32 v72, 8, v72
	s_or_b64 s[6:7], vcc, s[6:7]
	s_waitcnt vmcnt(0) lgkmcnt(0)
	v_fmac_f64_e32 v[66:67], v[74:75], v[76:77]
	s_andn2_b64 exec, exec, s[6:7]
	s_cbranch_execnz .LBB95_63
; %bb.64:
	s_or_b64 exec, exec, s[6:7]
	v_mov_b32_e32 v70, 0
	ds_read_b64 v[70:71], v70 offset:112
	s_waitcnt lgkmcnt(0)
	v_mul_f64 v[66:67], v[66:67], v[70:71]
	buffer_store_dword v67, off, s[0:3], 0 offset:116
	buffer_store_dword v66, off, s[0:3], 0 offset:112
.LBB95_65:
	s_or_b64 exec, exec, s[4:5]
	s_waitcnt lgkmcnt(0)
	; wave barrier
	buffer_load_dword v66, off, s[0:3], 0 offset:120
	buffer_load_dword v67, off, s[0:3], 0 offset:124
	v_cmp_gt_u32_e32 vcc, 15, v0
	s_waitcnt vmcnt(0)
	ds_write_b64 v68, v[66:67]
	s_waitcnt lgkmcnt(0)
	; wave barrier
	s_waitcnt lgkmcnt(0)
	s_and_saveexec_b64 s[4:5], vcc
	s_cbranch_execz .LBB95_69
; %bb.66:
	v_add_u32_e32 v70, -1, v0
	v_add_u32_e32 v71, 0x100, v1
	v_add_u32_e32 v72, 0, v1
	s_mov_b64 s[6:7], 0
	v_pk_mov_b32 v[66:67], 0, 0
.LBB95_67:                              ; =>This Inner Loop Header: Depth=1
	buffer_load_dword v74, v72, s[0:3], 0 offen
	buffer_load_dword v75, v72, s[0:3], 0 offen offset:4
	ds_read_b64 v[76:77], v71
	v_add_u32_e32 v70, 1, v70
	v_cmp_lt_u32_e32 vcc, 13, v70
	v_add_u32_e32 v71, 8, v71
	v_add_u32_e32 v72, 8, v72
	s_or_b64 s[6:7], vcc, s[6:7]
	s_waitcnt vmcnt(0) lgkmcnt(0)
	v_fmac_f64_e32 v[66:67], v[74:75], v[76:77]
	s_andn2_b64 exec, exec, s[6:7]
	s_cbranch_execnz .LBB95_67
; %bb.68:
	s_or_b64 exec, exec, s[6:7]
	v_mov_b32_e32 v70, 0
	ds_read_b64 v[70:71], v70 offset:120
	s_waitcnt lgkmcnt(0)
	v_mul_f64 v[66:67], v[66:67], v[70:71]
	buffer_store_dword v67, off, s[0:3], 0 offset:124
	buffer_store_dword v66, off, s[0:3], 0 offset:120
.LBB95_69:
	s_or_b64 exec, exec, s[4:5]
	s_waitcnt lgkmcnt(0)
	; wave barrier
	buffer_load_dword v66, off, s[0:3], 0 offset:128
	buffer_load_dword v67, off, s[0:3], 0 offset:132
	v_cmp_gt_u32_e32 vcc, 16, v0
	s_waitcnt vmcnt(0)
	ds_write_b64 v68, v[66:67]
	s_waitcnt lgkmcnt(0)
	; wave barrier
	s_waitcnt lgkmcnt(0)
	s_and_saveexec_b64 s[4:5], vcc
	s_cbranch_execz .LBB95_73
; %bb.70:
	v_add_u32_e32 v70, -1, v0
	v_add_u32_e32 v71, 0x100, v1
	v_add_u32_e32 v72, 0, v1
	s_mov_b64 s[6:7], 0
	v_pk_mov_b32 v[66:67], 0, 0
.LBB95_71:                              ; =>This Inner Loop Header: Depth=1
	buffer_load_dword v74, v72, s[0:3], 0 offen
	buffer_load_dword v75, v72, s[0:3], 0 offen offset:4
	ds_read_b64 v[76:77], v71
	v_add_u32_e32 v70, 1, v70
	v_cmp_lt_u32_e32 vcc, 14, v70
	v_add_u32_e32 v71, 8, v71
	v_add_u32_e32 v72, 8, v72
	s_or_b64 s[6:7], vcc, s[6:7]
	s_waitcnt vmcnt(0) lgkmcnt(0)
	v_fmac_f64_e32 v[66:67], v[74:75], v[76:77]
	s_andn2_b64 exec, exec, s[6:7]
	s_cbranch_execnz .LBB95_71
; %bb.72:
	s_or_b64 exec, exec, s[6:7]
	v_mov_b32_e32 v70, 0
	ds_read_b64 v[70:71], v70 offset:128
	s_waitcnt lgkmcnt(0)
	v_mul_f64 v[66:67], v[66:67], v[70:71]
	buffer_store_dword v67, off, s[0:3], 0 offset:132
	buffer_store_dword v66, off, s[0:3], 0 offset:128
.LBB95_73:
	s_or_b64 exec, exec, s[4:5]
	s_waitcnt lgkmcnt(0)
	; wave barrier
	buffer_load_dword v66, off, s[0:3], 0 offset:136
	buffer_load_dword v67, off, s[0:3], 0 offset:140
	v_cmp_gt_u32_e32 vcc, 17, v0
	s_waitcnt vmcnt(0)
	ds_write_b64 v68, v[66:67]
	s_waitcnt lgkmcnt(0)
	; wave barrier
	s_waitcnt lgkmcnt(0)
	s_and_saveexec_b64 s[4:5], vcc
	s_cbranch_execz .LBB95_77
; %bb.74:
	v_add_u32_e32 v70, -1, v0
	v_add_u32_e32 v71, 0x100, v1
	v_add_u32_e32 v72, 0, v1
	s_mov_b64 s[6:7], 0
	v_pk_mov_b32 v[66:67], 0, 0
.LBB95_75:                              ; =>This Inner Loop Header: Depth=1
	buffer_load_dword v74, v72, s[0:3], 0 offen
	buffer_load_dword v75, v72, s[0:3], 0 offen offset:4
	ds_read_b64 v[76:77], v71
	v_add_u32_e32 v70, 1, v70
	v_cmp_lt_u32_e32 vcc, 15, v70
	v_add_u32_e32 v71, 8, v71
	v_add_u32_e32 v72, 8, v72
	s_or_b64 s[6:7], vcc, s[6:7]
	s_waitcnt vmcnt(0) lgkmcnt(0)
	v_fmac_f64_e32 v[66:67], v[74:75], v[76:77]
	s_andn2_b64 exec, exec, s[6:7]
	s_cbranch_execnz .LBB95_75
; %bb.76:
	s_or_b64 exec, exec, s[6:7]
	v_mov_b32_e32 v70, 0
	ds_read_b64 v[70:71], v70 offset:136
	s_waitcnt lgkmcnt(0)
	v_mul_f64 v[66:67], v[66:67], v[70:71]
	buffer_store_dword v67, off, s[0:3], 0 offset:140
	buffer_store_dword v66, off, s[0:3], 0 offset:136
.LBB95_77:
	s_or_b64 exec, exec, s[4:5]
	s_waitcnt lgkmcnt(0)
	; wave barrier
	buffer_load_dword v66, off, s[0:3], 0 offset:144
	buffer_load_dword v67, off, s[0:3], 0 offset:148
	v_cmp_gt_u32_e32 vcc, 18, v0
	s_waitcnt vmcnt(0)
	ds_write_b64 v68, v[66:67]
	s_waitcnt lgkmcnt(0)
	; wave barrier
	s_waitcnt lgkmcnt(0)
	s_and_saveexec_b64 s[4:5], vcc
	s_cbranch_execz .LBB95_81
; %bb.78:
	v_add_u32_e32 v70, -1, v0
	v_add_u32_e32 v71, 0x100, v1
	v_add_u32_e32 v72, 0, v1
	s_mov_b64 s[6:7], 0
	v_pk_mov_b32 v[66:67], 0, 0
.LBB95_79:                              ; =>This Inner Loop Header: Depth=1
	buffer_load_dword v74, v72, s[0:3], 0 offen
	buffer_load_dword v75, v72, s[0:3], 0 offen offset:4
	ds_read_b64 v[76:77], v71
	v_add_u32_e32 v70, 1, v70
	v_cmp_lt_u32_e32 vcc, 16, v70
	v_add_u32_e32 v71, 8, v71
	v_add_u32_e32 v72, 8, v72
	s_or_b64 s[6:7], vcc, s[6:7]
	s_waitcnt vmcnt(0) lgkmcnt(0)
	v_fmac_f64_e32 v[66:67], v[74:75], v[76:77]
	s_andn2_b64 exec, exec, s[6:7]
	s_cbranch_execnz .LBB95_79
; %bb.80:
	s_or_b64 exec, exec, s[6:7]
	v_mov_b32_e32 v70, 0
	ds_read_b64 v[70:71], v70 offset:144
	s_waitcnt lgkmcnt(0)
	v_mul_f64 v[66:67], v[66:67], v[70:71]
	buffer_store_dword v67, off, s[0:3], 0 offset:148
	buffer_store_dword v66, off, s[0:3], 0 offset:144
.LBB95_81:
	s_or_b64 exec, exec, s[4:5]
	s_waitcnt lgkmcnt(0)
	; wave barrier
	buffer_load_dword v66, off, s[0:3], 0 offset:152
	buffer_load_dword v67, off, s[0:3], 0 offset:156
	v_cmp_gt_u32_e32 vcc, 19, v0
	s_waitcnt vmcnt(0)
	ds_write_b64 v68, v[66:67]
	s_waitcnt lgkmcnt(0)
	; wave barrier
	s_waitcnt lgkmcnt(0)
	s_and_saveexec_b64 s[4:5], vcc
	s_cbranch_execz .LBB95_85
; %bb.82:
	v_add_u32_e32 v70, -1, v0
	v_add_u32_e32 v71, 0x100, v1
	v_add_u32_e32 v72, 0, v1
	s_mov_b64 s[6:7], 0
	v_pk_mov_b32 v[66:67], 0, 0
.LBB95_83:                              ; =>This Inner Loop Header: Depth=1
	buffer_load_dword v74, v72, s[0:3], 0 offen
	buffer_load_dword v75, v72, s[0:3], 0 offen offset:4
	ds_read_b64 v[76:77], v71
	v_add_u32_e32 v70, 1, v70
	v_cmp_lt_u32_e32 vcc, 17, v70
	v_add_u32_e32 v71, 8, v71
	v_add_u32_e32 v72, 8, v72
	s_or_b64 s[6:7], vcc, s[6:7]
	s_waitcnt vmcnt(0) lgkmcnt(0)
	v_fmac_f64_e32 v[66:67], v[74:75], v[76:77]
	s_andn2_b64 exec, exec, s[6:7]
	s_cbranch_execnz .LBB95_83
; %bb.84:
	s_or_b64 exec, exec, s[6:7]
	v_mov_b32_e32 v70, 0
	ds_read_b64 v[70:71], v70 offset:152
	s_waitcnt lgkmcnt(0)
	v_mul_f64 v[66:67], v[66:67], v[70:71]
	buffer_store_dword v67, off, s[0:3], 0 offset:156
	buffer_store_dword v66, off, s[0:3], 0 offset:152
.LBB95_85:
	s_or_b64 exec, exec, s[4:5]
	s_waitcnt lgkmcnt(0)
	; wave barrier
	buffer_load_dword v66, off, s[0:3], 0 offset:160
	buffer_load_dword v67, off, s[0:3], 0 offset:164
	v_cmp_gt_u32_e32 vcc, 20, v0
	s_waitcnt vmcnt(0)
	ds_write_b64 v68, v[66:67]
	s_waitcnt lgkmcnt(0)
	; wave barrier
	s_waitcnt lgkmcnt(0)
	s_and_saveexec_b64 s[4:5], vcc
	s_cbranch_execz .LBB95_89
; %bb.86:
	v_add_u32_e32 v70, -1, v0
	v_add_u32_e32 v71, 0x100, v1
	v_add_u32_e32 v72, 0, v1
	s_mov_b64 s[6:7], 0
	v_pk_mov_b32 v[66:67], 0, 0
.LBB95_87:                              ; =>This Inner Loop Header: Depth=1
	buffer_load_dword v74, v72, s[0:3], 0 offen
	buffer_load_dword v75, v72, s[0:3], 0 offen offset:4
	ds_read_b64 v[76:77], v71
	v_add_u32_e32 v70, 1, v70
	v_cmp_lt_u32_e32 vcc, 18, v70
	v_add_u32_e32 v71, 8, v71
	v_add_u32_e32 v72, 8, v72
	s_or_b64 s[6:7], vcc, s[6:7]
	s_waitcnt vmcnt(0) lgkmcnt(0)
	v_fmac_f64_e32 v[66:67], v[74:75], v[76:77]
	s_andn2_b64 exec, exec, s[6:7]
	s_cbranch_execnz .LBB95_87
; %bb.88:
	s_or_b64 exec, exec, s[6:7]
	v_mov_b32_e32 v70, 0
	ds_read_b64 v[70:71], v70 offset:160
	s_waitcnt lgkmcnt(0)
	v_mul_f64 v[66:67], v[66:67], v[70:71]
	buffer_store_dword v67, off, s[0:3], 0 offset:164
	buffer_store_dword v66, off, s[0:3], 0 offset:160
.LBB95_89:
	s_or_b64 exec, exec, s[4:5]
	s_waitcnt lgkmcnt(0)
	; wave barrier
	buffer_load_dword v66, off, s[0:3], 0 offset:168
	buffer_load_dword v67, off, s[0:3], 0 offset:172
	v_cmp_gt_u32_e32 vcc, 21, v0
	s_waitcnt vmcnt(0)
	ds_write_b64 v68, v[66:67]
	s_waitcnt lgkmcnt(0)
	; wave barrier
	s_waitcnt lgkmcnt(0)
	s_and_saveexec_b64 s[4:5], vcc
	s_cbranch_execz .LBB95_93
; %bb.90:
	v_add_u32_e32 v70, -1, v0
	v_add_u32_e32 v71, 0x100, v1
	v_add_u32_e32 v72, 0, v1
	s_mov_b64 s[6:7], 0
	v_pk_mov_b32 v[66:67], 0, 0
.LBB95_91:                              ; =>This Inner Loop Header: Depth=1
	buffer_load_dword v74, v72, s[0:3], 0 offen
	buffer_load_dword v75, v72, s[0:3], 0 offen offset:4
	ds_read_b64 v[76:77], v71
	v_add_u32_e32 v70, 1, v70
	v_cmp_lt_u32_e32 vcc, 19, v70
	v_add_u32_e32 v71, 8, v71
	v_add_u32_e32 v72, 8, v72
	s_or_b64 s[6:7], vcc, s[6:7]
	s_waitcnt vmcnt(0) lgkmcnt(0)
	v_fmac_f64_e32 v[66:67], v[74:75], v[76:77]
	s_andn2_b64 exec, exec, s[6:7]
	s_cbranch_execnz .LBB95_91
; %bb.92:
	s_or_b64 exec, exec, s[6:7]
	v_mov_b32_e32 v70, 0
	ds_read_b64 v[70:71], v70 offset:168
	s_waitcnt lgkmcnt(0)
	v_mul_f64 v[66:67], v[66:67], v[70:71]
	buffer_store_dword v67, off, s[0:3], 0 offset:172
	buffer_store_dword v66, off, s[0:3], 0 offset:168
.LBB95_93:
	s_or_b64 exec, exec, s[4:5]
	s_waitcnt lgkmcnt(0)
	; wave barrier
	buffer_load_dword v66, off, s[0:3], 0 offset:176
	buffer_load_dword v67, off, s[0:3], 0 offset:180
	v_cmp_gt_u32_e32 vcc, 22, v0
	s_waitcnt vmcnt(0)
	ds_write_b64 v68, v[66:67]
	s_waitcnt lgkmcnt(0)
	; wave barrier
	s_waitcnt lgkmcnt(0)
	s_and_saveexec_b64 s[4:5], vcc
	s_cbranch_execz .LBB95_97
; %bb.94:
	v_add_u32_e32 v70, -1, v0
	v_add_u32_e32 v71, 0x100, v1
	v_add_u32_e32 v72, 0, v1
	s_mov_b64 s[6:7], 0
	v_pk_mov_b32 v[66:67], 0, 0
.LBB95_95:                              ; =>This Inner Loop Header: Depth=1
	buffer_load_dword v74, v72, s[0:3], 0 offen
	buffer_load_dword v75, v72, s[0:3], 0 offen offset:4
	ds_read_b64 v[76:77], v71
	v_add_u32_e32 v70, 1, v70
	v_cmp_lt_u32_e32 vcc, 20, v70
	v_add_u32_e32 v71, 8, v71
	v_add_u32_e32 v72, 8, v72
	s_or_b64 s[6:7], vcc, s[6:7]
	s_waitcnt vmcnt(0) lgkmcnt(0)
	v_fmac_f64_e32 v[66:67], v[74:75], v[76:77]
	s_andn2_b64 exec, exec, s[6:7]
	s_cbranch_execnz .LBB95_95
; %bb.96:
	s_or_b64 exec, exec, s[6:7]
	v_mov_b32_e32 v70, 0
	ds_read_b64 v[70:71], v70 offset:176
	s_waitcnt lgkmcnt(0)
	v_mul_f64 v[66:67], v[66:67], v[70:71]
	buffer_store_dword v67, off, s[0:3], 0 offset:180
	buffer_store_dword v66, off, s[0:3], 0 offset:176
.LBB95_97:
	s_or_b64 exec, exec, s[4:5]
	s_waitcnt lgkmcnt(0)
	; wave barrier
	buffer_load_dword v66, off, s[0:3], 0 offset:184
	buffer_load_dword v67, off, s[0:3], 0 offset:188
	v_cmp_gt_u32_e32 vcc, 23, v0
	s_waitcnt vmcnt(0)
	ds_write_b64 v68, v[66:67]
	s_waitcnt lgkmcnt(0)
	; wave barrier
	s_waitcnt lgkmcnt(0)
	s_and_saveexec_b64 s[4:5], vcc
	s_cbranch_execz .LBB95_101
; %bb.98:
	v_add_u32_e32 v70, -1, v0
	v_add_u32_e32 v71, 0x100, v1
	v_add_u32_e32 v72, 0, v1
	s_mov_b64 s[6:7], 0
	v_pk_mov_b32 v[66:67], 0, 0
.LBB95_99:                              ; =>This Inner Loop Header: Depth=1
	buffer_load_dword v74, v72, s[0:3], 0 offen
	buffer_load_dword v75, v72, s[0:3], 0 offen offset:4
	ds_read_b64 v[76:77], v71
	v_add_u32_e32 v70, 1, v70
	v_cmp_lt_u32_e32 vcc, 21, v70
	v_add_u32_e32 v71, 8, v71
	v_add_u32_e32 v72, 8, v72
	s_or_b64 s[6:7], vcc, s[6:7]
	s_waitcnt vmcnt(0) lgkmcnt(0)
	v_fmac_f64_e32 v[66:67], v[74:75], v[76:77]
	s_andn2_b64 exec, exec, s[6:7]
	s_cbranch_execnz .LBB95_99
; %bb.100:
	s_or_b64 exec, exec, s[6:7]
	v_mov_b32_e32 v70, 0
	ds_read_b64 v[70:71], v70 offset:184
	s_waitcnt lgkmcnt(0)
	v_mul_f64 v[66:67], v[66:67], v[70:71]
	buffer_store_dword v67, off, s[0:3], 0 offset:188
	buffer_store_dword v66, off, s[0:3], 0 offset:184
.LBB95_101:
	s_or_b64 exec, exec, s[4:5]
	s_waitcnt lgkmcnt(0)
	; wave barrier
	buffer_load_dword v66, off, s[0:3], 0 offset:192
	buffer_load_dword v67, off, s[0:3], 0 offset:196
	v_cmp_gt_u32_e32 vcc, 24, v0
	s_waitcnt vmcnt(0)
	ds_write_b64 v68, v[66:67]
	s_waitcnt lgkmcnt(0)
	; wave barrier
	s_waitcnt lgkmcnt(0)
	s_and_saveexec_b64 s[4:5], vcc
	s_cbranch_execz .LBB95_105
; %bb.102:
	v_add_u32_e32 v70, -1, v0
	v_add_u32_e32 v71, 0x100, v1
	v_add_u32_e32 v72, 0, v1
	s_mov_b64 s[6:7], 0
	v_pk_mov_b32 v[66:67], 0, 0
.LBB95_103:                             ; =>This Inner Loop Header: Depth=1
	buffer_load_dword v74, v72, s[0:3], 0 offen
	buffer_load_dword v75, v72, s[0:3], 0 offen offset:4
	ds_read_b64 v[76:77], v71
	v_add_u32_e32 v70, 1, v70
	v_cmp_lt_u32_e32 vcc, 22, v70
	v_add_u32_e32 v71, 8, v71
	v_add_u32_e32 v72, 8, v72
	s_or_b64 s[6:7], vcc, s[6:7]
	s_waitcnt vmcnt(0) lgkmcnt(0)
	v_fmac_f64_e32 v[66:67], v[74:75], v[76:77]
	s_andn2_b64 exec, exec, s[6:7]
	s_cbranch_execnz .LBB95_103
; %bb.104:
	s_or_b64 exec, exec, s[6:7]
	v_mov_b32_e32 v70, 0
	ds_read_b64 v[70:71], v70 offset:192
	s_waitcnt lgkmcnt(0)
	v_mul_f64 v[66:67], v[66:67], v[70:71]
	buffer_store_dword v67, off, s[0:3], 0 offset:196
	buffer_store_dword v66, off, s[0:3], 0 offset:192
.LBB95_105:
	s_or_b64 exec, exec, s[4:5]
	s_waitcnt lgkmcnt(0)
	; wave barrier
	buffer_load_dword v66, off, s[0:3], 0 offset:200
	buffer_load_dword v67, off, s[0:3], 0 offset:204
	v_cmp_gt_u32_e32 vcc, 25, v0
	s_waitcnt vmcnt(0)
	ds_write_b64 v68, v[66:67]
	s_waitcnt lgkmcnt(0)
	; wave barrier
	s_waitcnt lgkmcnt(0)
	s_and_saveexec_b64 s[4:5], vcc
	s_cbranch_execz .LBB95_109
; %bb.106:
	v_add_u32_e32 v70, -1, v0
	v_add_u32_e32 v71, 0x100, v1
	v_add_u32_e32 v72, 0, v1
	s_mov_b64 s[6:7], 0
	v_pk_mov_b32 v[66:67], 0, 0
.LBB95_107:                             ; =>This Inner Loop Header: Depth=1
	buffer_load_dword v74, v72, s[0:3], 0 offen
	buffer_load_dword v75, v72, s[0:3], 0 offen offset:4
	ds_read_b64 v[76:77], v71
	v_add_u32_e32 v70, 1, v70
	v_cmp_lt_u32_e32 vcc, 23, v70
	v_add_u32_e32 v71, 8, v71
	v_add_u32_e32 v72, 8, v72
	s_or_b64 s[6:7], vcc, s[6:7]
	s_waitcnt vmcnt(0) lgkmcnt(0)
	v_fmac_f64_e32 v[66:67], v[74:75], v[76:77]
	s_andn2_b64 exec, exec, s[6:7]
	s_cbranch_execnz .LBB95_107
; %bb.108:
	s_or_b64 exec, exec, s[6:7]
	v_mov_b32_e32 v70, 0
	ds_read_b64 v[70:71], v70 offset:200
	s_waitcnt lgkmcnt(0)
	v_mul_f64 v[66:67], v[66:67], v[70:71]
	buffer_store_dword v67, off, s[0:3], 0 offset:204
	buffer_store_dword v66, off, s[0:3], 0 offset:200
.LBB95_109:
	s_or_b64 exec, exec, s[4:5]
	s_waitcnt lgkmcnt(0)
	; wave barrier
	buffer_load_dword v66, off, s[0:3], 0 offset:208
	buffer_load_dword v67, off, s[0:3], 0 offset:212
	v_cmp_gt_u32_e32 vcc, 26, v0
	;; [unrolled: 41-line block ×6, first 2 shown]
	s_waitcnt vmcnt(0)
	ds_write_b64 v68, v[66:67]
	s_waitcnt lgkmcnt(0)
	; wave barrier
	s_waitcnt lgkmcnt(0)
	s_and_saveexec_b64 s[4:5], vcc
	s_cbranch_execz .LBB95_129
; %bb.126:
	v_add_u32_e32 v70, -1, v0
	v_add_u32_e32 v71, 0x100, v1
	v_add_u32_e32 v72, 0, v1
	s_mov_b64 s[6:7], 0
	v_pk_mov_b32 v[66:67], 0, 0
.LBB95_127:                             ; =>This Inner Loop Header: Depth=1
	buffer_load_dword v74, v72, s[0:3], 0 offen
	buffer_load_dword v75, v72, s[0:3], 0 offen offset:4
	ds_read_b64 v[76:77], v71
	v_add_u32_e32 v70, 1, v70
	v_cmp_lt_u32_e32 vcc, 28, v70
	v_add_u32_e32 v71, 8, v71
	v_add_u32_e32 v72, 8, v72
	s_or_b64 s[6:7], vcc, s[6:7]
	s_waitcnt vmcnt(0) lgkmcnt(0)
	v_fmac_f64_e32 v[66:67], v[74:75], v[76:77]
	s_andn2_b64 exec, exec, s[6:7]
	s_cbranch_execnz .LBB95_127
; %bb.128:
	s_or_b64 exec, exec, s[6:7]
	v_mov_b32_e32 v70, 0
	ds_read_b64 v[70:71], v70 offset:240
	s_waitcnt lgkmcnt(0)
	v_mul_f64 v[66:67], v[66:67], v[70:71]
	buffer_store_dword v67, off, s[0:3], 0 offset:244
	buffer_store_dword v66, off, s[0:3], 0 offset:240
.LBB95_129:
	s_or_b64 exec, exec, s[4:5]
	s_waitcnt lgkmcnt(0)
	; wave barrier
	buffer_load_dword v66, off, s[0:3], 0 offset:248
	buffer_load_dword v67, off, s[0:3], 0 offset:252
	v_cmp_ne_u32_e32 vcc, 31, v0
	s_waitcnt vmcnt(0)
	ds_write_b64 v68, v[66:67]
	s_waitcnt lgkmcnt(0)
	; wave barrier
	s_waitcnt lgkmcnt(0)
	s_and_saveexec_b64 s[4:5], vcc
	s_cbranch_execz .LBB95_133
; %bb.130:
	v_add_u32_e32 v68, 0x100, v1
	v_add_u32_e32 v1, 0, v1
	s_mov_b64 s[6:7], 0
	v_pk_mov_b32 v[66:67], 0, 0
.LBB95_131:                             ; =>This Inner Loop Header: Depth=1
	buffer_load_dword v70, v1, s[0:3], 0 offen
	buffer_load_dword v71, v1, s[0:3], 0 offen offset:4
	ds_read_b64 v[72:73], v68
	v_add_u32_e32 v69, 1, v69
	v_cmp_lt_u32_e32 vcc, 29, v69
	v_add_u32_e32 v68, 8, v68
	v_add_u32_e32 v1, 8, v1
	s_or_b64 s[6:7], vcc, s[6:7]
	s_waitcnt vmcnt(0) lgkmcnt(0)
	v_fmac_f64_e32 v[66:67], v[70:71], v[72:73]
	s_andn2_b64 exec, exec, s[6:7]
	s_cbranch_execnz .LBB95_131
; %bb.132:
	s_or_b64 exec, exec, s[6:7]
	v_mov_b32_e32 v1, 0
	ds_read_b64 v[68:69], v1 offset:248
	s_waitcnt lgkmcnt(0)
	v_mul_f64 v[66:67], v[66:67], v[68:69]
	buffer_store_dword v67, off, s[0:3], 0 offset:252
	buffer_store_dword v66, off, s[0:3], 0 offset:248
.LBB95_133:
	s_or_b64 exec, exec, s[4:5]
	s_mov_b64 s[6:7], -1
	s_waitcnt lgkmcnt(0)
	; wave barrier
.LBB95_134:
	s_and_b64 vcc, exec, s[6:7]
	s_cbranch_vccz .LBB95_136
; %bb.135:
	s_lshl_b64 s[4:5], s[8:9], 2
	s_add_u32 s4, s14, s4
	s_addc_u32 s5, s15, s5
	v_mov_b32_e32 v1, 0
	global_load_dword v1, v1, s[4:5]
	s_waitcnt vmcnt(0)
	v_cmp_ne_u32_e32 vcc, 0, v1
	s_cbranch_vccz .LBB95_137
.LBB95_136:
	s_endpgm
.LBB95_137:
	v_mov_b32_e32 v1, 0x100
	v_lshl_add_u32 v1, v0, 3, v1
	v_cmp_eq_u32_e32 vcc, 31, v0
	s_and_saveexec_b64 s[4:5], vcc
	s_cbranch_execz .LBB95_139
; %bb.138:
	buffer_load_dword v66, off, s[0:3], 0 offset:240
	buffer_load_dword v67, off, s[0:3], 0 offset:244
	v_mov_b32_e32 v68, 0
	buffer_store_dword v68, off, s[0:3], 0 offset:240
	buffer_store_dword v68, off, s[0:3], 0 offset:244
	s_waitcnt vmcnt(2)
	ds_write_b64 v1, v[66:67]
.LBB95_139:
	s_or_b64 exec, exec, s[4:5]
	s_waitcnt lgkmcnt(0)
	; wave barrier
	s_waitcnt lgkmcnt(0)
	buffer_load_dword v68, off, s[0:3], 0 offset:248
	buffer_load_dword v69, off, s[0:3], 0 offset:252
	;; [unrolled: 1-line block ×4, first 2 shown]
	v_mov_b32_e32 v66, 0
	ds_read_b64 v[72:73], v66 offset:504
	v_cmp_lt_u32_e32 vcc, 29, v0
	s_waitcnt vmcnt(2) lgkmcnt(0)
	v_fma_f64 v[68:69], v[68:69], v[72:73], 0
	s_waitcnt vmcnt(0)
	v_add_f64 v[68:69], v[70:71], -v[68:69]
	buffer_store_dword v68, off, s[0:3], 0 offset:240
	buffer_store_dword v69, off, s[0:3], 0 offset:244
	s_and_saveexec_b64 s[4:5], vcc
	s_cbranch_execz .LBB95_141
; %bb.140:
	buffer_load_dword v68, off, s[0:3], 0 offset:232
	buffer_load_dword v69, off, s[0:3], 0 offset:236
	s_waitcnt vmcnt(0)
	ds_write_b64 v1, v[68:69]
	buffer_store_dword v66, off, s[0:3], 0 offset:232
	buffer_store_dword v66, off, s[0:3], 0 offset:236
.LBB95_141:
	s_or_b64 exec, exec, s[4:5]
	s_waitcnt lgkmcnt(0)
	; wave barrier
	s_waitcnt lgkmcnt(0)
	buffer_load_dword v70, off, s[0:3], 0 offset:240
	buffer_load_dword v71, off, s[0:3], 0 offset:244
	;; [unrolled: 1-line block ×6, first 2 shown]
	ds_read_b128 v[66:69], v66 offset:496
	v_cmp_lt_u32_e32 vcc, 28, v0
	s_waitcnt vmcnt(4) lgkmcnt(0)
	v_fma_f64 v[66:67], v[70:71], v[66:67], 0
	s_waitcnt vmcnt(2)
	v_fmac_f64_e32 v[66:67], v[72:73], v[68:69]
	s_waitcnt vmcnt(0)
	v_add_f64 v[66:67], v[74:75], -v[66:67]
	buffer_store_dword v66, off, s[0:3], 0 offset:232
	buffer_store_dword v67, off, s[0:3], 0 offset:236
	s_and_saveexec_b64 s[4:5], vcc
	s_cbranch_execz .LBB95_143
; %bb.142:
	buffer_load_dword v66, off, s[0:3], 0 offset:224
	buffer_load_dword v67, off, s[0:3], 0 offset:228
	v_mov_b32_e32 v68, 0
	buffer_store_dword v68, off, s[0:3], 0 offset:224
	buffer_store_dword v68, off, s[0:3], 0 offset:228
	s_waitcnt vmcnt(2)
	ds_write_b64 v1, v[66:67]
.LBB95_143:
	s_or_b64 exec, exec, s[4:5]
	s_waitcnt lgkmcnt(0)
	; wave barrier
	s_waitcnt lgkmcnt(0)
	buffer_load_dword v72, off, s[0:3], 0 offset:232
	buffer_load_dword v73, off, s[0:3], 0 offset:236
	;; [unrolled: 1-line block ×8, first 2 shown]
	v_mov_b32_e32 v66, 0
	ds_read2_b64 v[68:71], v66 offset0:61 offset1:62
	ds_read_b64 v[80:81], v66 offset:504
	v_cmp_lt_u32_e32 vcc, 27, v0
	s_waitcnt vmcnt(6) lgkmcnt(1)
	v_fma_f64 v[68:69], v[72:73], v[68:69], 0
	s_waitcnt vmcnt(4)
	v_fmac_f64_e32 v[68:69], v[74:75], v[70:71]
	s_waitcnt vmcnt(2) lgkmcnt(0)
	v_fmac_f64_e32 v[68:69], v[76:77], v[80:81]
	s_waitcnt vmcnt(0)
	v_add_f64 v[68:69], v[78:79], -v[68:69]
	buffer_store_dword v68, off, s[0:3], 0 offset:224
	buffer_store_dword v69, off, s[0:3], 0 offset:228
	s_and_saveexec_b64 s[4:5], vcc
	s_cbranch_execz .LBB95_145
; %bb.144:
	buffer_load_dword v68, off, s[0:3], 0 offset:216
	buffer_load_dword v69, off, s[0:3], 0 offset:220
	s_waitcnt vmcnt(0)
	ds_write_b64 v1, v[68:69]
	buffer_store_dword v66, off, s[0:3], 0 offset:216
	buffer_store_dword v66, off, s[0:3], 0 offset:220
.LBB95_145:
	s_or_b64 exec, exec, s[4:5]
	s_waitcnt lgkmcnt(0)
	; wave barrier
	s_waitcnt lgkmcnt(0)
	buffer_load_dword v76, off, s[0:3], 0 offset:224
	buffer_load_dword v77, off, s[0:3], 0 offset:228
	;; [unrolled: 1-line block ×10, first 2 shown]
	ds_read_b128 v[68:71], v66 offset:480
	ds_read_b128 v[72:75], v66 offset:496
	v_cmp_lt_u32_e32 vcc, 26, v0
	s_waitcnt vmcnt(8) lgkmcnt(1)
	v_fma_f64 v[66:67], v[76:77], v[68:69], 0
	s_waitcnt vmcnt(6)
	v_fmac_f64_e32 v[66:67], v[78:79], v[70:71]
	s_waitcnt vmcnt(4) lgkmcnt(0)
	v_fmac_f64_e32 v[66:67], v[80:81], v[72:73]
	s_waitcnt vmcnt(2)
	v_fmac_f64_e32 v[66:67], v[82:83], v[74:75]
	s_waitcnt vmcnt(0)
	v_add_f64 v[66:67], v[84:85], -v[66:67]
	buffer_store_dword v66, off, s[0:3], 0 offset:216
	buffer_store_dword v67, off, s[0:3], 0 offset:220
	s_and_saveexec_b64 s[4:5], vcc
	s_cbranch_execz .LBB95_147
; %bb.146:
	buffer_load_dword v66, off, s[0:3], 0 offset:208
	buffer_load_dword v67, off, s[0:3], 0 offset:212
	v_mov_b32_e32 v68, 0
	buffer_store_dword v68, off, s[0:3], 0 offset:208
	buffer_store_dword v68, off, s[0:3], 0 offset:212
	s_waitcnt vmcnt(2)
	ds_write_b64 v1, v[66:67]
.LBB95_147:
	s_or_b64 exec, exec, s[4:5]
	s_waitcnt lgkmcnt(0)
	; wave barrier
	s_waitcnt lgkmcnt(0)
	buffer_load_dword v76, off, s[0:3], 0 offset:216
	buffer_load_dword v77, off, s[0:3], 0 offset:220
	;; [unrolled: 1-line block ×12, first 2 shown]
	v_mov_b32_e32 v66, 0
	ds_read2_b64 v[68:71], v66 offset0:59 offset1:60
	ds_read2_b64 v[72:75], v66 offset0:61 offset1:62
	ds_read_b64 v[88:89], v66 offset:504
	v_cmp_lt_u32_e32 vcc, 25, v0
	s_waitcnt vmcnt(10) lgkmcnt(2)
	v_fma_f64 v[68:69], v[76:77], v[68:69], 0
	s_waitcnt vmcnt(8)
	v_fmac_f64_e32 v[68:69], v[78:79], v[70:71]
	s_waitcnt vmcnt(6) lgkmcnt(1)
	v_fmac_f64_e32 v[68:69], v[80:81], v[72:73]
	s_waitcnt vmcnt(4)
	v_fmac_f64_e32 v[68:69], v[82:83], v[74:75]
	s_waitcnt vmcnt(2) lgkmcnt(0)
	v_fmac_f64_e32 v[68:69], v[84:85], v[88:89]
	s_waitcnt vmcnt(0)
	v_add_f64 v[68:69], v[86:87], -v[68:69]
	buffer_store_dword v68, off, s[0:3], 0 offset:208
	buffer_store_dword v69, off, s[0:3], 0 offset:212
	s_and_saveexec_b64 s[4:5], vcc
	s_cbranch_execz .LBB95_149
; %bb.148:
	buffer_load_dword v68, off, s[0:3], 0 offset:200
	buffer_load_dword v69, off, s[0:3], 0 offset:204
	s_waitcnt vmcnt(0)
	ds_write_b64 v1, v[68:69]
	buffer_store_dword v66, off, s[0:3], 0 offset:200
	buffer_store_dword v66, off, s[0:3], 0 offset:204
.LBB95_149:
	s_or_b64 exec, exec, s[4:5]
	s_waitcnt lgkmcnt(0)
	; wave barrier
	s_waitcnt lgkmcnt(0)
	buffer_load_dword v80, off, s[0:3], 0 offset:208
	buffer_load_dword v81, off, s[0:3], 0 offset:212
	;; [unrolled: 1-line block ×14, first 2 shown]
	ds_read_b128 v[68:71], v66 offset:464
	ds_read_b128 v[72:75], v66 offset:480
	;; [unrolled: 1-line block ×3, first 2 shown]
	v_cmp_lt_u32_e32 vcc, 24, v0
	s_waitcnt vmcnt(12) lgkmcnt(2)
	v_fma_f64 v[66:67], v[80:81], v[68:69], 0
	s_waitcnt vmcnt(10)
	v_fmac_f64_e32 v[66:67], v[82:83], v[70:71]
	s_waitcnt vmcnt(8) lgkmcnt(1)
	v_fmac_f64_e32 v[66:67], v[84:85], v[72:73]
	s_waitcnt vmcnt(6)
	v_fmac_f64_e32 v[66:67], v[86:87], v[74:75]
	s_waitcnt vmcnt(4) lgkmcnt(0)
	v_fmac_f64_e32 v[66:67], v[88:89], v[76:77]
	s_waitcnt vmcnt(2)
	v_fmac_f64_e32 v[66:67], v[90:91], v[78:79]
	s_waitcnt vmcnt(0)
	v_add_f64 v[66:67], v[92:93], -v[66:67]
	buffer_store_dword v66, off, s[0:3], 0 offset:200
	buffer_store_dword v67, off, s[0:3], 0 offset:204
	s_and_saveexec_b64 s[4:5], vcc
	s_cbranch_execz .LBB95_151
; %bb.150:
	buffer_load_dword v66, off, s[0:3], 0 offset:192
	buffer_load_dword v67, off, s[0:3], 0 offset:196
	v_mov_b32_e32 v68, 0
	buffer_store_dword v68, off, s[0:3], 0 offset:192
	buffer_store_dword v68, off, s[0:3], 0 offset:196
	s_waitcnt vmcnt(2)
	ds_write_b64 v1, v[66:67]
.LBB95_151:
	s_or_b64 exec, exec, s[4:5]
	s_waitcnt lgkmcnt(0)
	; wave barrier
	s_waitcnt lgkmcnt(0)
	buffer_load_dword v80, off, s[0:3], 0 offset:200
	buffer_load_dword v81, off, s[0:3], 0 offset:204
	;; [unrolled: 1-line block ×16, first 2 shown]
	v_mov_b32_e32 v66, 0
	ds_read2_b64 v[68:71], v66 offset0:57 offset1:58
	ds_read2_b64 v[72:75], v66 offset0:59 offset1:60
	;; [unrolled: 1-line block ×3, first 2 shown]
	ds_read_b64 v[96:97], v66 offset:504
	v_cmp_lt_u32_e32 vcc, 23, v0
	s_waitcnt vmcnt(14) lgkmcnt(3)
	v_fma_f64 v[68:69], v[80:81], v[68:69], 0
	s_waitcnt vmcnt(12)
	v_fmac_f64_e32 v[68:69], v[82:83], v[70:71]
	s_waitcnt vmcnt(10) lgkmcnt(2)
	v_fmac_f64_e32 v[68:69], v[84:85], v[72:73]
	s_waitcnt vmcnt(8)
	v_fmac_f64_e32 v[68:69], v[86:87], v[74:75]
	s_waitcnt vmcnt(6) lgkmcnt(1)
	v_fmac_f64_e32 v[68:69], v[88:89], v[76:77]
	;; [unrolled: 4-line block ×3, first 2 shown]
	s_waitcnt vmcnt(0)
	v_add_f64 v[68:69], v[94:95], -v[68:69]
	buffer_store_dword v68, off, s[0:3], 0 offset:192
	buffer_store_dword v69, off, s[0:3], 0 offset:196
	s_and_saveexec_b64 s[4:5], vcc
	s_cbranch_execz .LBB95_153
; %bb.152:
	buffer_load_dword v68, off, s[0:3], 0 offset:184
	buffer_load_dword v69, off, s[0:3], 0 offset:188
	s_waitcnt vmcnt(0)
	ds_write_b64 v1, v[68:69]
	buffer_store_dword v66, off, s[0:3], 0 offset:184
	buffer_store_dword v66, off, s[0:3], 0 offset:188
.LBB95_153:
	s_or_b64 exec, exec, s[4:5]
	s_waitcnt lgkmcnt(0)
	; wave barrier
	s_waitcnt lgkmcnt(0)
	buffer_load_dword v84, off, s[0:3], 0 offset:192
	buffer_load_dword v85, off, s[0:3], 0 offset:196
	;; [unrolled: 1-line block ×18, first 2 shown]
	ds_read_b128 v[68:71], v66 offset:448
	ds_read_b128 v[72:75], v66 offset:464
	;; [unrolled: 1-line block ×4, first 2 shown]
	v_cmp_lt_u32_e32 vcc, 22, v0
	s_waitcnt vmcnt(16) lgkmcnt(3)
	v_fma_f64 v[66:67], v[84:85], v[68:69], 0
	s_waitcnt vmcnt(14)
	v_fmac_f64_e32 v[66:67], v[86:87], v[70:71]
	s_waitcnt vmcnt(12) lgkmcnt(2)
	v_fmac_f64_e32 v[66:67], v[88:89], v[72:73]
	s_waitcnt vmcnt(10)
	v_fmac_f64_e32 v[66:67], v[90:91], v[74:75]
	s_waitcnt vmcnt(8) lgkmcnt(1)
	v_fmac_f64_e32 v[66:67], v[92:93], v[76:77]
	;; [unrolled: 4-line block ×3, first 2 shown]
	s_waitcnt vmcnt(2)
	v_fmac_f64_e32 v[66:67], v[98:99], v[82:83]
	s_waitcnt vmcnt(0)
	v_add_f64 v[66:67], v[100:101], -v[66:67]
	buffer_store_dword v66, off, s[0:3], 0 offset:184
	buffer_store_dword v67, off, s[0:3], 0 offset:188
	s_and_saveexec_b64 s[4:5], vcc
	s_cbranch_execz .LBB95_155
; %bb.154:
	buffer_load_dword v66, off, s[0:3], 0 offset:176
	buffer_load_dword v67, off, s[0:3], 0 offset:180
	v_mov_b32_e32 v68, 0
	buffer_store_dword v68, off, s[0:3], 0 offset:176
	buffer_store_dword v68, off, s[0:3], 0 offset:180
	s_waitcnt vmcnt(2)
	ds_write_b64 v1, v[66:67]
.LBB95_155:
	s_or_b64 exec, exec, s[4:5]
	s_waitcnt lgkmcnt(0)
	; wave barrier
	s_waitcnt lgkmcnt(0)
	buffer_load_dword v84, off, s[0:3], 0 offset:184
	buffer_load_dword v85, off, s[0:3], 0 offset:188
	buffer_load_dword v86, off, s[0:3], 0 offset:192
	buffer_load_dword v87, off, s[0:3], 0 offset:196
	buffer_load_dword v88, off, s[0:3], 0 offset:200
	buffer_load_dword v89, off, s[0:3], 0 offset:204
	buffer_load_dword v90, off, s[0:3], 0 offset:208
	buffer_load_dword v91, off, s[0:3], 0 offset:212
	buffer_load_dword v92, off, s[0:3], 0 offset:216
	buffer_load_dword v93, off, s[0:3], 0 offset:220
	buffer_load_dword v94, off, s[0:3], 0 offset:224
	buffer_load_dword v95, off, s[0:3], 0 offset:228
	buffer_load_dword v96, off, s[0:3], 0 offset:232
	buffer_load_dword v97, off, s[0:3], 0 offset:236
	buffer_load_dword v99, off, s[0:3], 0 offset:252
	buffer_load_dword v98, off, s[0:3], 0 offset:248
	buffer_load_dword v101, off, s[0:3], 0 offset:244
	buffer_load_dword v100, off, s[0:3], 0 offset:240
	buffer_load_dword v102, off, s[0:3], 0 offset:176
	buffer_load_dword v103, off, s[0:3], 0 offset:180
	v_mov_b32_e32 v66, 0
	ds_read2_b64 v[68:71], v66 offset0:55 offset1:56
	ds_read2_b64 v[72:75], v66 offset0:57 offset1:58
	;; [unrolled: 1-line block ×4, first 2 shown]
	ds_read_b64 v[104:105], v66 offset:504
	v_cmp_lt_u32_e32 vcc, 21, v0
	s_waitcnt vmcnt(18) lgkmcnt(4)
	v_fma_f64 v[68:69], v[84:85], v[68:69], 0
	s_waitcnt vmcnt(16)
	v_fmac_f64_e32 v[68:69], v[86:87], v[70:71]
	s_waitcnt vmcnt(14) lgkmcnt(3)
	v_fmac_f64_e32 v[68:69], v[88:89], v[72:73]
	s_waitcnt vmcnt(12)
	v_fmac_f64_e32 v[68:69], v[90:91], v[74:75]
	s_waitcnt vmcnt(10) lgkmcnt(2)
	v_fmac_f64_e32 v[68:69], v[92:93], v[76:77]
	;; [unrolled: 4-line block ×3, first 2 shown]
	s_waitcnt vmcnt(2)
	v_fmac_f64_e32 v[68:69], v[100:101], v[82:83]
	s_waitcnt lgkmcnt(0)
	v_fmac_f64_e32 v[68:69], v[98:99], v[104:105]
	s_waitcnt vmcnt(0)
	v_add_f64 v[68:69], v[102:103], -v[68:69]
	buffer_store_dword v68, off, s[0:3], 0 offset:176
	buffer_store_dword v69, off, s[0:3], 0 offset:180
	s_and_saveexec_b64 s[4:5], vcc
	s_cbranch_execz .LBB95_157
; %bb.156:
	buffer_load_dword v68, off, s[0:3], 0 offset:168
	buffer_load_dword v69, off, s[0:3], 0 offset:172
	s_waitcnt vmcnt(0)
	ds_write_b64 v1, v[68:69]
	buffer_store_dword v66, off, s[0:3], 0 offset:168
	buffer_store_dword v66, off, s[0:3], 0 offset:172
.LBB95_157:
	s_or_b64 exec, exec, s[4:5]
	s_waitcnt lgkmcnt(0)
	; wave barrier
	s_waitcnt lgkmcnt(0)
	buffer_load_dword v88, off, s[0:3], 0 offset:176
	buffer_load_dword v89, off, s[0:3], 0 offset:180
	;; [unrolled: 1-line block ×22, first 2 shown]
	ds_read_b128 v[68:71], v66 offset:432
	ds_read_b128 v[72:75], v66 offset:448
	;; [unrolled: 1-line block ×5, first 2 shown]
	v_cmp_lt_u32_e32 vcc, 20, v0
	s_waitcnt vmcnt(20) lgkmcnt(4)
	v_fma_f64 v[66:67], v[88:89], v[68:69], 0
	s_waitcnt vmcnt(18)
	v_fmac_f64_e32 v[66:67], v[90:91], v[70:71]
	s_waitcnt vmcnt(16) lgkmcnt(3)
	v_fmac_f64_e32 v[66:67], v[92:93], v[72:73]
	s_waitcnt vmcnt(14)
	v_fmac_f64_e32 v[66:67], v[94:95], v[74:75]
	s_waitcnt vmcnt(12) lgkmcnt(2)
	v_fmac_f64_e32 v[66:67], v[96:97], v[76:77]
	;; [unrolled: 4-line block ×3, first 2 shown]
	s_waitcnt vmcnt(3)
	v_fmac_f64_e32 v[66:67], v[106:107], v[82:83]
	s_waitcnt lgkmcnt(0)
	v_fmac_f64_e32 v[66:67], v[104:105], v[84:85]
	s_waitcnt vmcnt(2)
	v_fmac_f64_e32 v[66:67], v[102:103], v[86:87]
	s_waitcnt vmcnt(0)
	v_add_f64 v[66:67], v[108:109], -v[66:67]
	buffer_store_dword v66, off, s[0:3], 0 offset:168
	buffer_store_dword v67, off, s[0:3], 0 offset:172
	s_and_saveexec_b64 s[4:5], vcc
	s_cbranch_execz .LBB95_159
; %bb.158:
	buffer_load_dword v66, off, s[0:3], 0 offset:160
	buffer_load_dword v67, off, s[0:3], 0 offset:164
	v_mov_b32_e32 v68, 0
	buffer_store_dword v68, off, s[0:3], 0 offset:160
	buffer_store_dword v68, off, s[0:3], 0 offset:164
	s_waitcnt vmcnt(2)
	ds_write_b64 v1, v[66:67]
.LBB95_159:
	s_or_b64 exec, exec, s[4:5]
	s_waitcnt lgkmcnt(0)
	; wave barrier
	s_waitcnt lgkmcnt(0)
	buffer_load_dword v88, off, s[0:3], 0 offset:168
	buffer_load_dword v89, off, s[0:3], 0 offset:172
	;; [unrolled: 1-line block ×24, first 2 shown]
	v_mov_b32_e32 v66, 0
	ds_read2_b64 v[68:71], v66 offset0:53 offset1:54
	ds_read2_b64 v[72:75], v66 offset0:55 offset1:56
	;; [unrolled: 1-line block ×5, first 2 shown]
	ds_read_b64 v[112:113], v66 offset:504
	v_cmp_lt_u32_e32 vcc, 19, v0
	s_waitcnt vmcnt(22) lgkmcnt(5)
	v_fma_f64 v[68:69], v[88:89], v[68:69], 0
	s_waitcnt vmcnt(20)
	v_fmac_f64_e32 v[68:69], v[90:91], v[70:71]
	s_waitcnt vmcnt(18) lgkmcnt(4)
	v_fmac_f64_e32 v[68:69], v[92:93], v[72:73]
	s_waitcnt vmcnt(16)
	v_fmac_f64_e32 v[68:69], v[94:95], v[74:75]
	s_waitcnt vmcnt(14) lgkmcnt(3)
	v_fmac_f64_e32 v[68:69], v[96:97], v[76:77]
	s_waitcnt vmcnt(12)
	v_fmac_f64_e32 v[68:69], v[98:99], v[78:79]
	s_waitcnt vmcnt(10) lgkmcnt(2)
	v_fmac_f64_e32 v[68:69], v[100:101], v[80:81]
	s_waitcnt vmcnt(4)
	v_fmac_f64_e32 v[68:69], v[108:109], v[82:83]
	s_waitcnt lgkmcnt(1)
	v_fmac_f64_e32 v[68:69], v[106:107], v[84:85]
	s_waitcnt vmcnt(3)
	v_fmac_f64_e32 v[68:69], v[104:105], v[86:87]
	s_waitcnt vmcnt(2) lgkmcnt(0)
	v_fmac_f64_e32 v[68:69], v[102:103], v[112:113]
	s_waitcnt vmcnt(0)
	v_add_f64 v[68:69], v[110:111], -v[68:69]
	buffer_store_dword v69, off, s[0:3], 0 offset:164
	buffer_store_dword v68, off, s[0:3], 0 offset:160
	s_and_saveexec_b64 s[4:5], vcc
	s_cbranch_execz .LBB95_161
; %bb.160:
	buffer_load_dword v68, off, s[0:3], 0 offset:152
	buffer_load_dword v69, off, s[0:3], 0 offset:156
	s_waitcnt vmcnt(0)
	ds_write_b64 v1, v[68:69]
	buffer_store_dword v66, off, s[0:3], 0 offset:152
	buffer_store_dword v66, off, s[0:3], 0 offset:156
.LBB95_161:
	s_or_b64 exec, exec, s[4:5]
	s_waitcnt lgkmcnt(0)
	; wave barrier
	s_waitcnt lgkmcnt(0)
	buffer_load_dword v92, off, s[0:3], 0 offset:160
	buffer_load_dword v93, off, s[0:3], 0 offset:164
	;; [unrolled: 1-line block ×26, first 2 shown]
	ds_read_b128 v[68:71], v66 offset:416
	ds_read_b128 v[72:75], v66 offset:432
	;; [unrolled: 1-line block ×6, first 2 shown]
	v_cmp_lt_u32_e32 vcc, 18, v0
	s_waitcnt vmcnt(24) lgkmcnt(5)
	v_fma_f64 v[66:67], v[92:93], v[68:69], 0
	s_waitcnt vmcnt(22)
	v_fmac_f64_e32 v[66:67], v[94:95], v[70:71]
	s_waitcnt vmcnt(20) lgkmcnt(4)
	v_fmac_f64_e32 v[66:67], v[96:97], v[72:73]
	s_waitcnt vmcnt(18)
	v_fmac_f64_e32 v[66:67], v[98:99], v[74:75]
	s_waitcnt vmcnt(16) lgkmcnt(3)
	v_fmac_f64_e32 v[66:67], v[100:101], v[76:77]
	;; [unrolled: 4-line block ×3, first 2 shown]
	s_waitcnt vmcnt(5)
	v_fmac_f64_e32 v[66:67], v[112:113], v[82:83]
	s_waitcnt lgkmcnt(1)
	v_fmac_f64_e32 v[66:67], v[110:111], v[84:85]
	v_fmac_f64_e32 v[66:67], v[108:109], v[86:87]
	s_waitcnt vmcnt(4) lgkmcnt(0)
	v_fmac_f64_e32 v[66:67], v[106:107], v[88:89]
	s_waitcnt vmcnt(2)
	v_fmac_f64_e32 v[66:67], v[114:115], v[90:91]
	s_waitcnt vmcnt(0)
	v_add_f64 v[66:67], v[116:117], -v[66:67]
	buffer_store_dword v67, off, s[0:3], 0 offset:156
	buffer_store_dword v66, off, s[0:3], 0 offset:152
	s_and_saveexec_b64 s[4:5], vcc
	s_cbranch_execz .LBB95_163
; %bb.162:
	buffer_load_dword v66, off, s[0:3], 0 offset:144
	buffer_load_dword v67, off, s[0:3], 0 offset:148
	v_mov_b32_e32 v68, 0
	buffer_store_dword v68, off, s[0:3], 0 offset:144
	buffer_store_dword v68, off, s[0:3], 0 offset:148
	s_waitcnt vmcnt(2)
	ds_write_b64 v1, v[66:67]
.LBB95_163:
	s_or_b64 exec, exec, s[4:5]
	s_waitcnt lgkmcnt(0)
	; wave barrier
	s_waitcnt lgkmcnt(0)
	buffer_load_dword v92, off, s[0:3], 0 offset:152
	buffer_load_dword v93, off, s[0:3], 0 offset:156
	;; [unrolled: 1-line block ×28, first 2 shown]
	v_mov_b32_e32 v66, 0
	ds_read2_b64 v[68:71], v66 offset0:51 offset1:52
	ds_read2_b64 v[72:75], v66 offset0:53 offset1:54
	;; [unrolled: 1-line block ×6, first 2 shown]
	ds_read_b64 v[120:121], v66 offset:504
	v_cmp_lt_u32_e32 vcc, 17, v0
	s_waitcnt vmcnt(26) lgkmcnt(6)
	v_fma_f64 v[68:69], v[92:93], v[68:69], 0
	s_waitcnt vmcnt(24)
	v_fmac_f64_e32 v[68:69], v[94:95], v[70:71]
	s_waitcnt vmcnt(22) lgkmcnt(5)
	v_fmac_f64_e32 v[68:69], v[96:97], v[72:73]
	s_waitcnt vmcnt(20)
	v_fmac_f64_e32 v[68:69], v[98:99], v[74:75]
	s_waitcnt vmcnt(18) lgkmcnt(4)
	v_fmac_f64_e32 v[68:69], v[100:101], v[76:77]
	;; [unrolled: 4-line block ×3, first 2 shown]
	s_waitcnt vmcnt(6)
	v_fmac_f64_e32 v[68:69], v[112:113], v[82:83]
	s_waitcnt lgkmcnt(2)
	v_fmac_f64_e32 v[68:69], v[110:111], v[84:85]
	v_fmac_f64_e32 v[68:69], v[108:109], v[86:87]
	s_waitcnt lgkmcnt(1)
	v_fmac_f64_e32 v[68:69], v[106:107], v[88:89]
	s_waitcnt vmcnt(2)
	v_fmac_f64_e32 v[68:69], v[116:117], v[90:91]
	s_waitcnt lgkmcnt(0)
	v_fmac_f64_e32 v[68:69], v[114:115], v[120:121]
	s_waitcnt vmcnt(0)
	v_add_f64 v[68:69], v[118:119], -v[68:69]
	buffer_store_dword v69, off, s[0:3], 0 offset:148
	buffer_store_dword v68, off, s[0:3], 0 offset:144
	s_and_saveexec_b64 s[4:5], vcc
	s_cbranch_execz .LBB95_165
; %bb.164:
	buffer_load_dword v68, off, s[0:3], 0 offset:136
	buffer_load_dword v69, off, s[0:3], 0 offset:140
	s_waitcnt vmcnt(0)
	ds_write_b64 v1, v[68:69]
	buffer_store_dword v66, off, s[0:3], 0 offset:136
	buffer_store_dword v66, off, s[0:3], 0 offset:140
.LBB95_165:
	s_or_b64 exec, exec, s[4:5]
	s_waitcnt lgkmcnt(0)
	; wave barrier
	s_waitcnt lgkmcnt(0)
	buffer_load_dword v96, off, s[0:3], 0 offset:144
	buffer_load_dword v97, off, s[0:3], 0 offset:148
	;; [unrolled: 1-line block ×30, first 2 shown]
	ds_read_b128 v[68:71], v66 offset:400
	ds_read_b128 v[72:75], v66 offset:416
	;; [unrolled: 1-line block ×7, first 2 shown]
	v_cmp_lt_u32_e32 vcc, 16, v0
	s_waitcnt vmcnt(28) lgkmcnt(6)
	v_fma_f64 v[66:67], v[96:97], v[68:69], 0
	s_waitcnt vmcnt(26)
	v_fmac_f64_e32 v[66:67], v[98:99], v[70:71]
	s_waitcnt vmcnt(24) lgkmcnt(5)
	v_fmac_f64_e32 v[66:67], v[100:101], v[72:73]
	s_waitcnt vmcnt(22)
	v_fmac_f64_e32 v[66:67], v[102:103], v[74:75]
	s_waitcnt vmcnt(20) lgkmcnt(4)
	v_fmac_f64_e32 v[66:67], v[104:105], v[76:77]
	;; [unrolled: 4-line block ×3, first 2 shown]
	s_waitcnt vmcnt(8)
	v_fmac_f64_e32 v[66:67], v[116:117], v[82:83]
	s_waitcnt lgkmcnt(2)
	v_fmac_f64_e32 v[66:67], v[114:115], v[84:85]
	v_fmac_f64_e32 v[66:67], v[112:113], v[86:87]
	s_waitcnt lgkmcnt(1)
	v_fmac_f64_e32 v[66:67], v[110:111], v[88:89]
	s_waitcnt vmcnt(3)
	v_fmac_f64_e32 v[66:67], v[122:123], v[90:91]
	s_waitcnt lgkmcnt(0)
	v_fmac_f64_e32 v[66:67], v[120:121], v[92:93]
	s_waitcnt vmcnt(2)
	v_fmac_f64_e32 v[66:67], v[118:119], v[94:95]
	s_waitcnt vmcnt(0)
	v_add_f64 v[66:67], v[124:125], -v[66:67]
	buffer_store_dword v67, off, s[0:3], 0 offset:140
	buffer_store_dword v66, off, s[0:3], 0 offset:136
	s_and_saveexec_b64 s[4:5], vcc
	s_cbranch_execz .LBB95_167
; %bb.166:
	buffer_load_dword v66, off, s[0:3], 0 offset:128
	buffer_load_dword v67, off, s[0:3], 0 offset:132
	v_mov_b32_e32 v68, 0
	buffer_store_dword v68, off, s[0:3], 0 offset:128
	buffer_store_dword v68, off, s[0:3], 0 offset:132
	s_waitcnt vmcnt(2)
	ds_write_b64 v1, v[66:67]
.LBB95_167:
	s_or_b64 exec, exec, s[4:5]
	s_waitcnt lgkmcnt(0)
	; wave barrier
	s_waitcnt lgkmcnt(0)
	buffer_load_dword v72, off, s[0:3], 0 offset:128
	buffer_load_dword v73, off, s[0:3], 0 offset:132
	;; [unrolled: 1-line block ×16, first 2 shown]
	v_mov_b32_e32 v66, 0
	ds_read2_b64 v[68:71], v66 offset0:49 offset1:50
	v_cmp_lt_u32_e32 vcc, 15, v0
	s_waitcnt vmcnt(12) lgkmcnt(0)
	v_fma_f64 v[74:75], v[74:75], v[68:69], 0
	s_waitcnt vmcnt(10)
	v_fmac_f64_e32 v[74:75], v[76:77], v[70:71]
	ds_read2_b64 v[68:71], v66 offset0:51 offset1:52
	s_waitcnt vmcnt(8) lgkmcnt(0)
	v_fmac_f64_e32 v[74:75], v[78:79], v[68:69]
	s_waitcnt vmcnt(6)
	v_fmac_f64_e32 v[74:75], v[80:81], v[70:71]
	ds_read2_b64 v[68:71], v66 offset0:53 offset1:54
	s_waitcnt vmcnt(4) lgkmcnt(0)
	v_fmac_f64_e32 v[74:75], v[82:83], v[68:69]
	;; [unrolled: 5-line block ×3, first 2 shown]
	buffer_load_dword v69, off, s[0:3], 0 offset:196
	buffer_load_dword v68, off, s[0:3], 0 offset:192
	buffer_load_dword v77, off, s[0:3], 0 offset:204
	buffer_load_dword v76, off, s[0:3], 0 offset:200
	s_waitcnt vmcnt(2)
	v_fmac_f64_e32 v[74:75], v[68:69], v[70:71]
	ds_read2_b64 v[68:71], v66 offset0:57 offset1:58
	s_waitcnt vmcnt(0) lgkmcnt(0)
	v_fmac_f64_e32 v[74:75], v[76:77], v[68:69]
	buffer_load_dword v69, off, s[0:3], 0 offset:212
	buffer_load_dword v68, off, s[0:3], 0 offset:208
	buffer_load_dword v77, off, s[0:3], 0 offset:220
	buffer_load_dword v76, off, s[0:3], 0 offset:216
	s_waitcnt vmcnt(2)
	v_fmac_f64_e32 v[74:75], v[68:69], v[70:71]
	ds_read2_b64 v[68:71], v66 offset0:59 offset1:60
	s_waitcnt vmcnt(0) lgkmcnt(0)
	v_fmac_f64_e32 v[74:75], v[76:77], v[68:69]
	;; [unrolled: 9-line block ×3, first 2 shown]
	buffer_load_dword v69, off, s[0:3], 0 offset:244
	buffer_load_dword v68, off, s[0:3], 0 offset:240
	s_waitcnt vmcnt(0)
	v_fmac_f64_e32 v[74:75], v[68:69], v[70:71]
	buffer_load_dword v69, off, s[0:3], 0 offset:252
	buffer_load_dword v68, off, s[0:3], 0 offset:248
	ds_read_b64 v[70:71], v66 offset:504
	s_waitcnt vmcnt(0) lgkmcnt(0)
	v_fmac_f64_e32 v[74:75], v[68:69], v[70:71]
	v_add_f64 v[68:69], v[72:73], -v[74:75]
	buffer_store_dword v69, off, s[0:3], 0 offset:132
	buffer_store_dword v68, off, s[0:3], 0 offset:128
	s_and_saveexec_b64 s[4:5], vcc
	s_cbranch_execz .LBB95_169
; %bb.168:
	buffer_load_dword v68, off, s[0:3], 0 offset:120
	buffer_load_dword v69, off, s[0:3], 0 offset:124
	s_waitcnt vmcnt(0)
	ds_write_b64 v1, v[68:69]
	buffer_store_dword v66, off, s[0:3], 0 offset:120
	buffer_store_dword v66, off, s[0:3], 0 offset:124
.LBB95_169:
	s_or_b64 exec, exec, s[4:5]
	s_waitcnt lgkmcnt(0)
	; wave barrier
	s_waitcnt lgkmcnt(0)
	buffer_load_dword v84, off, s[0:3], 0 offset:120
	buffer_load_dword v85, off, s[0:3], 0 offset:124
	;; [unrolled: 1-line block ×16, first 2 shown]
	ds_read_b128 v[68:71], v66 offset:384
	ds_read_b128 v[72:75], v66 offset:400
	;; [unrolled: 1-line block ×4, first 2 shown]
	v_cmp_lt_u32_e32 vcc, 14, v0
	s_waitcnt vmcnt(12) lgkmcnt(3)
	v_fma_f64 v[86:87], v[86:87], v[68:69], 0
	buffer_load_dword v69, off, s[0:3], 0 offset:188
	buffer_load_dword v68, off, s[0:3], 0 offset:184
	s_waitcnt vmcnt(12)
	v_fmac_f64_e32 v[86:87], v[88:89], v[70:71]
	s_waitcnt vmcnt(10) lgkmcnt(2)
	v_fmac_f64_e32 v[86:87], v[90:91], v[72:73]
	buffer_load_dword v73, off, s[0:3], 0 offset:196
	buffer_load_dword v72, off, s[0:3], 0 offset:192
	s_waitcnt vmcnt(10)
	v_fmac_f64_e32 v[86:87], v[92:93], v[74:75]
	s_waitcnt vmcnt(8) lgkmcnt(1)
	v_fmac_f64_e32 v[86:87], v[94:95], v[76:77]
	s_waitcnt vmcnt(6)
	v_fmac_f64_e32 v[86:87], v[96:97], v[78:79]
	s_waitcnt vmcnt(4) lgkmcnt(0)
	v_fmac_f64_e32 v[86:87], v[98:99], v[80:81]
	s_waitcnt vmcnt(2)
	v_fmac_f64_e32 v[86:87], v[68:69], v[82:83]
	ds_read_b128 v[68:71], v66 offset:448
	s_waitcnt vmcnt(0) lgkmcnt(0)
	v_fmac_f64_e32 v[86:87], v[72:73], v[68:69]
	buffer_load_dword v69, off, s[0:3], 0 offset:204
	buffer_load_dword v68, off, s[0:3], 0 offset:200
	;; [unrolled: 1-line block ×4, first 2 shown]
	s_waitcnt vmcnt(2)
	v_fmac_f64_e32 v[86:87], v[68:69], v[70:71]
	ds_read_b128 v[68:71], v66 offset:464
	s_waitcnt vmcnt(0) lgkmcnt(0)
	v_fmac_f64_e32 v[86:87], v[72:73], v[68:69]
	buffer_load_dword v69, off, s[0:3], 0 offset:220
	buffer_load_dword v68, off, s[0:3], 0 offset:216
	;; [unrolled: 1-line block ×4, first 2 shown]
	s_waitcnt vmcnt(2)
	v_fmac_f64_e32 v[86:87], v[68:69], v[70:71]
	ds_read_b128 v[68:71], v66 offset:480
	s_waitcnt vmcnt(0) lgkmcnt(0)
	v_fmac_f64_e32 v[86:87], v[72:73], v[68:69]
	buffer_load_dword v69, off, s[0:3], 0 offset:236
	buffer_load_dword v68, off, s[0:3], 0 offset:232
	s_waitcnt vmcnt(0)
	v_fmac_f64_e32 v[86:87], v[68:69], v[70:71]
	buffer_load_dword v71, off, s[0:3], 0 offset:244
	buffer_load_dword v70, off, s[0:3], 0 offset:240
	ds_read_b128 v[66:69], v66 offset:496
	s_waitcnt vmcnt(0) lgkmcnt(0)
	v_fmac_f64_e32 v[86:87], v[70:71], v[66:67]
	buffer_load_dword v67, off, s[0:3], 0 offset:252
	buffer_load_dword v66, off, s[0:3], 0 offset:248
	s_waitcnt vmcnt(0)
	v_fmac_f64_e32 v[86:87], v[66:67], v[68:69]
	v_add_f64 v[66:67], v[84:85], -v[86:87]
	buffer_store_dword v67, off, s[0:3], 0 offset:124
	buffer_store_dword v66, off, s[0:3], 0 offset:120
	s_and_saveexec_b64 s[4:5], vcc
	s_cbranch_execz .LBB95_171
; %bb.170:
	buffer_load_dword v66, off, s[0:3], 0 offset:112
	buffer_load_dword v67, off, s[0:3], 0 offset:116
	v_mov_b32_e32 v68, 0
	buffer_store_dword v68, off, s[0:3], 0 offset:112
	buffer_store_dword v68, off, s[0:3], 0 offset:116
	s_waitcnt vmcnt(2)
	ds_write_b64 v1, v[66:67]
.LBB95_171:
	s_or_b64 exec, exec, s[4:5]
	s_waitcnt lgkmcnt(0)
	; wave barrier
	s_waitcnt lgkmcnt(0)
	buffer_load_dword v66, off, s[0:3], 0 offset:112
	buffer_load_dword v67, off, s[0:3], 0 offset:116
	;; [unrolled: 1-line block ×16, first 2 shown]
	v_mov_b32_e32 v70, 0
	ds_read2_b64 v[72:75], v70 offset0:47 offset1:48
	v_cmp_lt_u32_e32 vcc, 13, v0
	s_waitcnt vmcnt(12) lgkmcnt(0)
	v_fma_f64 v[68:69], v[68:69], v[72:73], 0
	s_waitcnt vmcnt(10)
	v_fmac_f64_e32 v[68:69], v[76:77], v[74:75]
	ds_read2_b64 v[72:75], v70 offset0:49 offset1:50
	s_waitcnt vmcnt(8) lgkmcnt(0)
	v_fmac_f64_e32 v[68:69], v[78:79], v[72:73]
	s_waitcnt vmcnt(6)
	v_fmac_f64_e32 v[68:69], v[80:81], v[74:75]
	ds_read2_b64 v[72:75], v70 offset0:51 offset1:52
	s_waitcnt vmcnt(4) lgkmcnt(0)
	v_fmac_f64_e32 v[68:69], v[82:83], v[72:73]
	;; [unrolled: 5-line block ×3, first 2 shown]
	buffer_load_dword v73, off, s[0:3], 0 offset:180
	buffer_load_dword v72, off, s[0:3], 0 offset:176
	buffer_load_dword v77, off, s[0:3], 0 offset:188
	buffer_load_dword v76, off, s[0:3], 0 offset:184
	s_waitcnt vmcnt(2)
	v_fmac_f64_e32 v[68:69], v[72:73], v[74:75]
	ds_read2_b64 v[72:75], v70 offset0:55 offset1:56
	s_waitcnt vmcnt(0) lgkmcnt(0)
	v_fmac_f64_e32 v[68:69], v[76:77], v[72:73]
	buffer_load_dword v73, off, s[0:3], 0 offset:196
	buffer_load_dword v72, off, s[0:3], 0 offset:192
	buffer_load_dword v77, off, s[0:3], 0 offset:204
	buffer_load_dword v76, off, s[0:3], 0 offset:200
	s_waitcnt vmcnt(2)
	v_fmac_f64_e32 v[68:69], v[72:73], v[74:75]
	ds_read2_b64 v[72:75], v70 offset0:57 offset1:58
	s_waitcnt vmcnt(0) lgkmcnt(0)
	v_fmac_f64_e32 v[68:69], v[76:77], v[72:73]
	;; [unrolled: 9-line block ×4, first 2 shown]
	buffer_load_dword v73, off, s[0:3], 0 offset:244
	buffer_load_dword v72, off, s[0:3], 0 offset:240
	s_waitcnt vmcnt(0)
	v_fmac_f64_e32 v[68:69], v[72:73], v[74:75]
	buffer_load_dword v73, off, s[0:3], 0 offset:252
	buffer_load_dword v72, off, s[0:3], 0 offset:248
	ds_read_b64 v[74:75], v70 offset:504
	s_waitcnt vmcnt(0) lgkmcnt(0)
	v_fmac_f64_e32 v[68:69], v[72:73], v[74:75]
	v_add_f64 v[66:67], v[66:67], -v[68:69]
	buffer_store_dword v67, off, s[0:3], 0 offset:116
	buffer_store_dword v66, off, s[0:3], 0 offset:112
	s_and_saveexec_b64 s[4:5], vcc
	s_cbranch_execz .LBB95_173
; %bb.172:
	buffer_load_dword v66, off, s[0:3], 0 offset:104
	buffer_load_dword v67, off, s[0:3], 0 offset:108
	s_waitcnt vmcnt(0)
	ds_write_b64 v1, v[66:67]
	buffer_store_dword v70, off, s[0:3], 0 offset:104
	buffer_store_dword v70, off, s[0:3], 0 offset:108
.LBB95_173:
	s_or_b64 exec, exec, s[4:5]
	s_waitcnt lgkmcnt(0)
	; wave barrier
	s_waitcnt lgkmcnt(0)
	buffer_load_dword v66, off, s[0:3], 0 offset:104
	buffer_load_dword v67, off, s[0:3], 0 offset:108
	;; [unrolled: 1-line block ×16, first 2 shown]
	ds_read_b128 v[72:75], v70 offset:368
	ds_read_b128 v[76:79], v70 offset:384
	;; [unrolled: 1-line block ×4, first 2 shown]
	v_cmp_lt_u32_e32 vcc, 12, v0
	s_waitcnt vmcnt(12) lgkmcnt(3)
	v_fma_f64 v[68:69], v[68:69], v[72:73], 0
	buffer_load_dword v73, off, s[0:3], 0 offset:172
	buffer_load_dword v72, off, s[0:3], 0 offset:168
	s_waitcnt vmcnt(12)
	v_fmac_f64_e32 v[68:69], v[88:89], v[74:75]
	s_waitcnt vmcnt(10) lgkmcnt(2)
	v_fmac_f64_e32 v[68:69], v[90:91], v[76:77]
	buffer_load_dword v77, off, s[0:3], 0 offset:180
	buffer_load_dword v76, off, s[0:3], 0 offset:176
	s_waitcnt vmcnt(10)
	v_fmac_f64_e32 v[68:69], v[92:93], v[78:79]
	s_waitcnt vmcnt(8) lgkmcnt(1)
	v_fmac_f64_e32 v[68:69], v[94:95], v[80:81]
	s_waitcnt vmcnt(6)
	v_fmac_f64_e32 v[68:69], v[96:97], v[82:83]
	s_waitcnt vmcnt(4) lgkmcnt(0)
	v_fmac_f64_e32 v[68:69], v[98:99], v[84:85]
	s_waitcnt vmcnt(2)
	v_fmac_f64_e32 v[68:69], v[72:73], v[86:87]
	ds_read_b128 v[72:75], v70 offset:432
	s_waitcnt vmcnt(0) lgkmcnt(0)
	v_fmac_f64_e32 v[68:69], v[76:77], v[72:73]
	buffer_load_dword v73, off, s[0:3], 0 offset:188
	buffer_load_dword v72, off, s[0:3], 0 offset:184
	buffer_load_dword v77, off, s[0:3], 0 offset:196
	buffer_load_dword v76, off, s[0:3], 0 offset:192
	s_waitcnt vmcnt(2)
	v_fmac_f64_e32 v[68:69], v[72:73], v[74:75]
	ds_read_b128 v[72:75], v70 offset:448
	s_waitcnt vmcnt(0) lgkmcnt(0)
	v_fmac_f64_e32 v[68:69], v[76:77], v[72:73]
	buffer_load_dword v73, off, s[0:3], 0 offset:204
	buffer_load_dword v72, off, s[0:3], 0 offset:200
	buffer_load_dword v77, off, s[0:3], 0 offset:212
	buffer_load_dword v76, off, s[0:3], 0 offset:208
	;; [unrolled: 9-line block ×3, first 2 shown]
	s_waitcnt vmcnt(2)
	v_fmac_f64_e32 v[68:69], v[72:73], v[74:75]
	ds_read_b128 v[72:75], v70 offset:480
	s_waitcnt vmcnt(0) lgkmcnt(0)
	v_fmac_f64_e32 v[68:69], v[76:77], v[72:73]
	buffer_load_dword v73, off, s[0:3], 0 offset:236
	buffer_load_dword v72, off, s[0:3], 0 offset:232
	s_waitcnt vmcnt(0)
	v_fmac_f64_e32 v[68:69], v[72:73], v[74:75]
	buffer_load_dword v75, off, s[0:3], 0 offset:244
	buffer_load_dword v74, off, s[0:3], 0 offset:240
	ds_read_b128 v[70:73], v70 offset:496
	s_waitcnt vmcnt(0) lgkmcnt(0)
	v_fmac_f64_e32 v[68:69], v[74:75], v[70:71]
	buffer_load_dword v71, off, s[0:3], 0 offset:252
	buffer_load_dword v70, off, s[0:3], 0 offset:248
	s_waitcnt vmcnt(0)
	v_fmac_f64_e32 v[68:69], v[70:71], v[72:73]
	v_add_f64 v[66:67], v[66:67], -v[68:69]
	buffer_store_dword v67, off, s[0:3], 0 offset:108
	buffer_store_dword v66, off, s[0:3], 0 offset:104
	s_and_saveexec_b64 s[4:5], vcc
	s_cbranch_execz .LBB95_175
; %bb.174:
	buffer_load_dword v66, off, s[0:3], 0 offset:96
	buffer_load_dword v67, off, s[0:3], 0 offset:100
	v_mov_b32_e32 v68, 0
	buffer_store_dword v68, off, s[0:3], 0 offset:96
	buffer_store_dword v68, off, s[0:3], 0 offset:100
	s_waitcnt vmcnt(2)
	ds_write_b64 v1, v[66:67]
.LBB95_175:
	s_or_b64 exec, exec, s[4:5]
	s_waitcnt lgkmcnt(0)
	; wave barrier
	s_waitcnt lgkmcnt(0)
	buffer_load_dword v66, off, s[0:3], 0 offset:96
	buffer_load_dword v67, off, s[0:3], 0 offset:100
	;; [unrolled: 1-line block ×16, first 2 shown]
	v_mov_b32_e32 v70, 0
	ds_read2_b64 v[72:75], v70 offset0:45 offset1:46
	v_cmp_lt_u32_e32 vcc, 11, v0
	s_waitcnt vmcnt(12) lgkmcnt(0)
	v_fma_f64 v[68:69], v[68:69], v[72:73], 0
	s_waitcnt vmcnt(10)
	v_fmac_f64_e32 v[68:69], v[76:77], v[74:75]
	ds_read2_b64 v[72:75], v70 offset0:47 offset1:48
	s_waitcnt vmcnt(8) lgkmcnt(0)
	v_fmac_f64_e32 v[68:69], v[78:79], v[72:73]
	s_waitcnt vmcnt(6)
	v_fmac_f64_e32 v[68:69], v[80:81], v[74:75]
	ds_read2_b64 v[72:75], v70 offset0:49 offset1:50
	s_waitcnt vmcnt(4) lgkmcnt(0)
	v_fmac_f64_e32 v[68:69], v[82:83], v[72:73]
	;; [unrolled: 5-line block ×3, first 2 shown]
	buffer_load_dword v73, off, s[0:3], 0 offset:164
	buffer_load_dword v72, off, s[0:3], 0 offset:160
	buffer_load_dword v77, off, s[0:3], 0 offset:172
	buffer_load_dword v76, off, s[0:3], 0 offset:168
	s_waitcnt vmcnt(2)
	v_fmac_f64_e32 v[68:69], v[72:73], v[74:75]
	ds_read2_b64 v[72:75], v70 offset0:53 offset1:54
	s_waitcnt vmcnt(0) lgkmcnt(0)
	v_fmac_f64_e32 v[68:69], v[76:77], v[72:73]
	buffer_load_dword v73, off, s[0:3], 0 offset:180
	buffer_load_dword v72, off, s[0:3], 0 offset:176
	buffer_load_dword v77, off, s[0:3], 0 offset:188
	buffer_load_dword v76, off, s[0:3], 0 offset:184
	s_waitcnt vmcnt(2)
	v_fmac_f64_e32 v[68:69], v[72:73], v[74:75]
	ds_read2_b64 v[72:75], v70 offset0:55 offset1:56
	s_waitcnt vmcnt(0) lgkmcnt(0)
	v_fmac_f64_e32 v[68:69], v[76:77], v[72:73]
	;; [unrolled: 9-line block ×5, first 2 shown]
	buffer_load_dword v73, off, s[0:3], 0 offset:244
	buffer_load_dword v72, off, s[0:3], 0 offset:240
	s_waitcnt vmcnt(0)
	v_fmac_f64_e32 v[68:69], v[72:73], v[74:75]
	buffer_load_dword v73, off, s[0:3], 0 offset:252
	buffer_load_dword v72, off, s[0:3], 0 offset:248
	ds_read_b64 v[74:75], v70 offset:504
	s_waitcnt vmcnt(0) lgkmcnt(0)
	v_fmac_f64_e32 v[68:69], v[72:73], v[74:75]
	v_add_f64 v[66:67], v[66:67], -v[68:69]
	buffer_store_dword v67, off, s[0:3], 0 offset:100
	buffer_store_dword v66, off, s[0:3], 0 offset:96
	s_and_saveexec_b64 s[4:5], vcc
	s_cbranch_execz .LBB95_177
; %bb.176:
	buffer_load_dword v66, off, s[0:3], 0 offset:88
	buffer_load_dword v67, off, s[0:3], 0 offset:92
	s_waitcnt vmcnt(0)
	ds_write_b64 v1, v[66:67]
	buffer_store_dword v70, off, s[0:3], 0 offset:88
	buffer_store_dword v70, off, s[0:3], 0 offset:92
.LBB95_177:
	s_or_b64 exec, exec, s[4:5]
	s_waitcnt lgkmcnt(0)
	; wave barrier
	s_waitcnt lgkmcnt(0)
	buffer_load_dword v66, off, s[0:3], 0 offset:88
	buffer_load_dword v67, off, s[0:3], 0 offset:92
	buffer_load_dword v68, off, s[0:3], 0 offset:96
	buffer_load_dword v69, off, s[0:3], 0 offset:100
	buffer_load_dword v88, off, s[0:3], 0 offset:104
	buffer_load_dword v89, off, s[0:3], 0 offset:108
	buffer_load_dword v90, off, s[0:3], 0 offset:112
	buffer_load_dword v91, off, s[0:3], 0 offset:116
	buffer_load_dword v92, off, s[0:3], 0 offset:120
	buffer_load_dword v93, off, s[0:3], 0 offset:124
	buffer_load_dword v94, off, s[0:3], 0 offset:128
	buffer_load_dword v95, off, s[0:3], 0 offset:132
	buffer_load_dword v96, off, s[0:3], 0 offset:136
	buffer_load_dword v97, off, s[0:3], 0 offset:140
	buffer_load_dword v98, off, s[0:3], 0 offset:144
	buffer_load_dword v99, off, s[0:3], 0 offset:148
	ds_read_b128 v[72:75], v70 offset:352
	ds_read_b128 v[76:79], v70 offset:368
	;; [unrolled: 1-line block ×4, first 2 shown]
	v_cmp_lt_u32_e32 vcc, 10, v0
	s_waitcnt vmcnt(12) lgkmcnt(3)
	v_fma_f64 v[68:69], v[68:69], v[72:73], 0
	buffer_load_dword v73, off, s[0:3], 0 offset:156
	buffer_load_dword v72, off, s[0:3], 0 offset:152
	s_waitcnt vmcnt(12)
	v_fmac_f64_e32 v[68:69], v[88:89], v[74:75]
	s_waitcnt vmcnt(10) lgkmcnt(2)
	v_fmac_f64_e32 v[68:69], v[90:91], v[76:77]
	buffer_load_dword v77, off, s[0:3], 0 offset:164
	buffer_load_dword v76, off, s[0:3], 0 offset:160
	s_waitcnt vmcnt(10)
	v_fmac_f64_e32 v[68:69], v[92:93], v[78:79]
	s_waitcnt vmcnt(8) lgkmcnt(1)
	v_fmac_f64_e32 v[68:69], v[94:95], v[80:81]
	s_waitcnt vmcnt(6)
	v_fmac_f64_e32 v[68:69], v[96:97], v[82:83]
	s_waitcnt vmcnt(4) lgkmcnt(0)
	v_fmac_f64_e32 v[68:69], v[98:99], v[84:85]
	s_waitcnt vmcnt(2)
	v_fmac_f64_e32 v[68:69], v[72:73], v[86:87]
	ds_read_b128 v[72:75], v70 offset:416
	s_waitcnt vmcnt(0) lgkmcnt(0)
	v_fmac_f64_e32 v[68:69], v[76:77], v[72:73]
	buffer_load_dword v73, off, s[0:3], 0 offset:172
	buffer_load_dword v72, off, s[0:3], 0 offset:168
	buffer_load_dword v77, off, s[0:3], 0 offset:180
	buffer_load_dword v76, off, s[0:3], 0 offset:176
	s_waitcnt vmcnt(2)
	v_fmac_f64_e32 v[68:69], v[72:73], v[74:75]
	ds_read_b128 v[72:75], v70 offset:432
	s_waitcnt vmcnt(0) lgkmcnt(0)
	v_fmac_f64_e32 v[68:69], v[76:77], v[72:73]
	buffer_load_dword v73, off, s[0:3], 0 offset:188
	buffer_load_dword v72, off, s[0:3], 0 offset:184
	buffer_load_dword v77, off, s[0:3], 0 offset:196
	buffer_load_dword v76, off, s[0:3], 0 offset:192
	;; [unrolled: 9-line block ×4, first 2 shown]
	s_waitcnt vmcnt(2)
	v_fmac_f64_e32 v[68:69], v[72:73], v[74:75]
	ds_read_b128 v[72:75], v70 offset:480
	s_waitcnt vmcnt(0) lgkmcnt(0)
	v_fmac_f64_e32 v[68:69], v[76:77], v[72:73]
	buffer_load_dword v73, off, s[0:3], 0 offset:236
	buffer_load_dword v72, off, s[0:3], 0 offset:232
	s_waitcnt vmcnt(0)
	v_fmac_f64_e32 v[68:69], v[72:73], v[74:75]
	buffer_load_dword v75, off, s[0:3], 0 offset:244
	buffer_load_dword v74, off, s[0:3], 0 offset:240
	ds_read_b128 v[70:73], v70 offset:496
	s_waitcnt vmcnt(0) lgkmcnt(0)
	v_fmac_f64_e32 v[68:69], v[74:75], v[70:71]
	buffer_load_dword v71, off, s[0:3], 0 offset:252
	buffer_load_dword v70, off, s[0:3], 0 offset:248
	s_waitcnt vmcnt(0)
	v_fmac_f64_e32 v[68:69], v[70:71], v[72:73]
	v_add_f64 v[66:67], v[66:67], -v[68:69]
	buffer_store_dword v67, off, s[0:3], 0 offset:92
	buffer_store_dword v66, off, s[0:3], 0 offset:88
	s_and_saveexec_b64 s[4:5], vcc
	s_cbranch_execz .LBB95_179
; %bb.178:
	buffer_load_dword v66, off, s[0:3], 0 offset:80
	buffer_load_dword v67, off, s[0:3], 0 offset:84
	v_mov_b32_e32 v68, 0
	buffer_store_dword v68, off, s[0:3], 0 offset:80
	buffer_store_dword v68, off, s[0:3], 0 offset:84
	s_waitcnt vmcnt(2)
	ds_write_b64 v1, v[66:67]
.LBB95_179:
	s_or_b64 exec, exec, s[4:5]
	s_waitcnt lgkmcnt(0)
	; wave barrier
	s_waitcnt lgkmcnt(0)
	buffer_load_dword v66, off, s[0:3], 0 offset:80
	buffer_load_dword v67, off, s[0:3], 0 offset:84
	buffer_load_dword v68, off, s[0:3], 0 offset:88
	buffer_load_dword v69, off, s[0:3], 0 offset:92
	buffer_load_dword v76, off, s[0:3], 0 offset:96
	buffer_load_dword v77, off, s[0:3], 0 offset:100
	buffer_load_dword v78, off, s[0:3], 0 offset:104
	buffer_load_dword v79, off, s[0:3], 0 offset:108
	buffer_load_dword v80, off, s[0:3], 0 offset:112
	buffer_load_dword v81, off, s[0:3], 0 offset:116
	buffer_load_dword v82, off, s[0:3], 0 offset:120
	buffer_load_dword v83, off, s[0:3], 0 offset:124
	buffer_load_dword v84, off, s[0:3], 0 offset:128
	buffer_load_dword v85, off, s[0:3], 0 offset:132
	buffer_load_dword v86, off, s[0:3], 0 offset:136
	buffer_load_dword v87, off, s[0:3], 0 offset:140
	v_mov_b32_e32 v70, 0
	ds_read2_b64 v[72:75], v70 offset0:43 offset1:44
	v_cmp_lt_u32_e32 vcc, 9, v0
	s_waitcnt vmcnt(12) lgkmcnt(0)
	v_fma_f64 v[68:69], v[68:69], v[72:73], 0
	s_waitcnt vmcnt(10)
	v_fmac_f64_e32 v[68:69], v[76:77], v[74:75]
	ds_read2_b64 v[72:75], v70 offset0:45 offset1:46
	s_waitcnt vmcnt(8) lgkmcnt(0)
	v_fmac_f64_e32 v[68:69], v[78:79], v[72:73]
	s_waitcnt vmcnt(6)
	v_fmac_f64_e32 v[68:69], v[80:81], v[74:75]
	ds_read2_b64 v[72:75], v70 offset0:47 offset1:48
	s_waitcnt vmcnt(4) lgkmcnt(0)
	v_fmac_f64_e32 v[68:69], v[82:83], v[72:73]
	s_waitcnt vmcnt(2)
	v_fmac_f64_e32 v[68:69], v[84:85], v[74:75]
	ds_read2_b64 v[72:75], v70 offset0:49 offset1:50
	s_waitcnt vmcnt(0) lgkmcnt(0)
	v_fmac_f64_e32 v[68:69], v[86:87], v[72:73]
	buffer_load_dword v73, off, s[0:3], 0 offset:148
	buffer_load_dword v72, off, s[0:3], 0 offset:144
	buffer_load_dword v77, off, s[0:3], 0 offset:156
	buffer_load_dword v76, off, s[0:3], 0 offset:152
	s_waitcnt vmcnt(2)
	v_fmac_f64_e32 v[68:69], v[72:73], v[74:75]
	ds_read2_b64 v[72:75], v70 offset0:51 offset1:52
	s_waitcnt vmcnt(0) lgkmcnt(0)
	v_fmac_f64_e32 v[68:69], v[76:77], v[72:73]
	buffer_load_dword v73, off, s[0:3], 0 offset:164
	buffer_load_dword v72, off, s[0:3], 0 offset:160
	buffer_load_dword v77, off, s[0:3], 0 offset:172
	buffer_load_dword v76, off, s[0:3], 0 offset:168
	s_waitcnt vmcnt(2)
	v_fmac_f64_e32 v[68:69], v[72:73], v[74:75]
	ds_read2_b64 v[72:75], v70 offset0:53 offset1:54
	s_waitcnt vmcnt(0) lgkmcnt(0)
	v_fmac_f64_e32 v[68:69], v[76:77], v[72:73]
	buffer_load_dword v73, off, s[0:3], 0 offset:180
	buffer_load_dword v72, off, s[0:3], 0 offset:176
	buffer_load_dword v77, off, s[0:3], 0 offset:188
	buffer_load_dword v76, off, s[0:3], 0 offset:184
	s_waitcnt vmcnt(2)
	v_fmac_f64_e32 v[68:69], v[72:73], v[74:75]
	ds_read2_b64 v[72:75], v70 offset0:55 offset1:56
	s_waitcnt vmcnt(0) lgkmcnt(0)
	v_fmac_f64_e32 v[68:69], v[76:77], v[72:73]
	buffer_load_dword v73, off, s[0:3], 0 offset:196
	buffer_load_dword v72, off, s[0:3], 0 offset:192
	buffer_load_dword v77, off, s[0:3], 0 offset:204
	buffer_load_dword v76, off, s[0:3], 0 offset:200
	s_waitcnt vmcnt(2)
	v_fmac_f64_e32 v[68:69], v[72:73], v[74:75]
	ds_read2_b64 v[72:75], v70 offset0:57 offset1:58
	s_waitcnt vmcnt(0) lgkmcnt(0)
	v_fmac_f64_e32 v[68:69], v[76:77], v[72:73]
	buffer_load_dword v73, off, s[0:3], 0 offset:212
	buffer_load_dword v72, off, s[0:3], 0 offset:208
	buffer_load_dword v77, off, s[0:3], 0 offset:220
	buffer_load_dword v76, off, s[0:3], 0 offset:216
	s_waitcnt vmcnt(2)
	v_fmac_f64_e32 v[68:69], v[72:73], v[74:75]
	ds_read2_b64 v[72:75], v70 offset0:59 offset1:60
	s_waitcnt vmcnt(0) lgkmcnt(0)
	v_fmac_f64_e32 v[68:69], v[76:77], v[72:73]
	buffer_load_dword v73, off, s[0:3], 0 offset:228
	buffer_load_dword v72, off, s[0:3], 0 offset:224
	buffer_load_dword v77, off, s[0:3], 0 offset:236
	buffer_load_dword v76, off, s[0:3], 0 offset:232
	s_waitcnt vmcnt(2)
	v_fmac_f64_e32 v[68:69], v[72:73], v[74:75]
	ds_read2_b64 v[72:75], v70 offset0:61 offset1:62
	s_waitcnt vmcnt(0) lgkmcnt(0)
	v_fmac_f64_e32 v[68:69], v[76:77], v[72:73]
	buffer_load_dword v73, off, s[0:3], 0 offset:244
	buffer_load_dword v72, off, s[0:3], 0 offset:240
	s_waitcnt vmcnt(0)
	v_fmac_f64_e32 v[68:69], v[72:73], v[74:75]
	buffer_load_dword v73, off, s[0:3], 0 offset:252
	buffer_load_dword v72, off, s[0:3], 0 offset:248
	ds_read_b64 v[74:75], v70 offset:504
	s_waitcnt vmcnt(0) lgkmcnt(0)
	v_fmac_f64_e32 v[68:69], v[72:73], v[74:75]
	v_add_f64 v[66:67], v[66:67], -v[68:69]
	buffer_store_dword v67, off, s[0:3], 0 offset:84
	buffer_store_dword v66, off, s[0:3], 0 offset:80
	s_and_saveexec_b64 s[4:5], vcc
	s_cbranch_execz .LBB95_181
; %bb.180:
	buffer_load_dword v66, off, s[0:3], 0 offset:72
	buffer_load_dword v67, off, s[0:3], 0 offset:76
	s_waitcnt vmcnt(0)
	ds_write_b64 v1, v[66:67]
	buffer_store_dword v70, off, s[0:3], 0 offset:72
	buffer_store_dword v70, off, s[0:3], 0 offset:76
.LBB95_181:
	s_or_b64 exec, exec, s[4:5]
	s_waitcnt lgkmcnt(0)
	; wave barrier
	s_waitcnt lgkmcnt(0)
	buffer_load_dword v66, off, s[0:3], 0 offset:72
	buffer_load_dword v67, off, s[0:3], 0 offset:76
	buffer_load_dword v68, off, s[0:3], 0 offset:80
	buffer_load_dword v69, off, s[0:3], 0 offset:84
	buffer_load_dword v88, off, s[0:3], 0 offset:88
	buffer_load_dword v89, off, s[0:3], 0 offset:92
	buffer_load_dword v90, off, s[0:3], 0 offset:96
	buffer_load_dword v91, off, s[0:3], 0 offset:100
	buffer_load_dword v92, off, s[0:3], 0 offset:104
	buffer_load_dword v93, off, s[0:3], 0 offset:108
	buffer_load_dword v94, off, s[0:3], 0 offset:112
	buffer_load_dword v95, off, s[0:3], 0 offset:116
	buffer_load_dword v96, off, s[0:3], 0 offset:120
	buffer_load_dword v97, off, s[0:3], 0 offset:124
	buffer_load_dword v98, off, s[0:3], 0 offset:128
	buffer_load_dword v99, off, s[0:3], 0 offset:132
	ds_read_b128 v[72:75], v70 offset:336
	ds_read_b128 v[76:79], v70 offset:352
	;; [unrolled: 1-line block ×4, first 2 shown]
	v_cmp_lt_u32_e32 vcc, 8, v0
	s_waitcnt vmcnt(12) lgkmcnt(3)
	v_fma_f64 v[68:69], v[68:69], v[72:73], 0
	buffer_load_dword v73, off, s[0:3], 0 offset:140
	buffer_load_dword v72, off, s[0:3], 0 offset:136
	s_waitcnt vmcnt(12)
	v_fmac_f64_e32 v[68:69], v[88:89], v[74:75]
	s_waitcnt vmcnt(10) lgkmcnt(2)
	v_fmac_f64_e32 v[68:69], v[90:91], v[76:77]
	buffer_load_dword v77, off, s[0:3], 0 offset:148
	buffer_load_dword v76, off, s[0:3], 0 offset:144
	s_waitcnt vmcnt(10)
	v_fmac_f64_e32 v[68:69], v[92:93], v[78:79]
	s_waitcnt vmcnt(8) lgkmcnt(1)
	v_fmac_f64_e32 v[68:69], v[94:95], v[80:81]
	s_waitcnt vmcnt(6)
	v_fmac_f64_e32 v[68:69], v[96:97], v[82:83]
	s_waitcnt vmcnt(4) lgkmcnt(0)
	v_fmac_f64_e32 v[68:69], v[98:99], v[84:85]
	s_waitcnt vmcnt(2)
	v_fmac_f64_e32 v[68:69], v[72:73], v[86:87]
	ds_read_b128 v[72:75], v70 offset:400
	s_waitcnt vmcnt(0) lgkmcnt(0)
	v_fmac_f64_e32 v[68:69], v[76:77], v[72:73]
	buffer_load_dword v73, off, s[0:3], 0 offset:156
	buffer_load_dword v72, off, s[0:3], 0 offset:152
	buffer_load_dword v77, off, s[0:3], 0 offset:164
	buffer_load_dword v76, off, s[0:3], 0 offset:160
	s_waitcnt vmcnt(2)
	v_fmac_f64_e32 v[68:69], v[72:73], v[74:75]
	ds_read_b128 v[72:75], v70 offset:416
	s_waitcnt vmcnt(0) lgkmcnt(0)
	v_fmac_f64_e32 v[68:69], v[76:77], v[72:73]
	buffer_load_dword v73, off, s[0:3], 0 offset:172
	buffer_load_dword v72, off, s[0:3], 0 offset:168
	buffer_load_dword v77, off, s[0:3], 0 offset:180
	buffer_load_dword v76, off, s[0:3], 0 offset:176
	;; [unrolled: 9-line block ×5, first 2 shown]
	s_waitcnt vmcnt(2)
	v_fmac_f64_e32 v[68:69], v[72:73], v[74:75]
	ds_read_b128 v[72:75], v70 offset:480
	s_waitcnt vmcnt(0) lgkmcnt(0)
	v_fmac_f64_e32 v[68:69], v[76:77], v[72:73]
	buffer_load_dword v73, off, s[0:3], 0 offset:236
	buffer_load_dword v72, off, s[0:3], 0 offset:232
	s_waitcnt vmcnt(0)
	v_fmac_f64_e32 v[68:69], v[72:73], v[74:75]
	buffer_load_dword v75, off, s[0:3], 0 offset:244
	buffer_load_dword v74, off, s[0:3], 0 offset:240
	ds_read_b128 v[70:73], v70 offset:496
	s_waitcnt vmcnt(0) lgkmcnt(0)
	v_fmac_f64_e32 v[68:69], v[74:75], v[70:71]
	buffer_load_dword v71, off, s[0:3], 0 offset:252
	buffer_load_dword v70, off, s[0:3], 0 offset:248
	s_waitcnt vmcnt(0)
	v_fmac_f64_e32 v[68:69], v[70:71], v[72:73]
	v_add_f64 v[66:67], v[66:67], -v[68:69]
	buffer_store_dword v67, off, s[0:3], 0 offset:76
	buffer_store_dword v66, off, s[0:3], 0 offset:72
	s_and_saveexec_b64 s[4:5], vcc
	s_cbranch_execz .LBB95_183
; %bb.182:
	buffer_load_dword v66, off, s[0:3], 0 offset:64
	buffer_load_dword v67, off, s[0:3], 0 offset:68
	v_mov_b32_e32 v68, 0
	buffer_store_dword v68, off, s[0:3], 0 offset:64
	buffer_store_dword v68, off, s[0:3], 0 offset:68
	s_waitcnt vmcnt(2)
	ds_write_b64 v1, v[66:67]
.LBB95_183:
	s_or_b64 exec, exec, s[4:5]
	s_waitcnt lgkmcnt(0)
	; wave barrier
	s_waitcnt lgkmcnt(0)
	buffer_load_dword v66, off, s[0:3], 0 offset:64
	buffer_load_dword v67, off, s[0:3], 0 offset:68
	;; [unrolled: 1-line block ×16, first 2 shown]
	v_mov_b32_e32 v70, 0
	ds_read2_b64 v[72:75], v70 offset0:41 offset1:42
	v_cmp_lt_u32_e32 vcc, 7, v0
	s_waitcnt vmcnt(12) lgkmcnt(0)
	v_fma_f64 v[68:69], v[68:69], v[72:73], 0
	s_waitcnt vmcnt(10)
	v_fmac_f64_e32 v[68:69], v[76:77], v[74:75]
	ds_read2_b64 v[72:75], v70 offset0:43 offset1:44
	s_waitcnt vmcnt(8) lgkmcnt(0)
	v_fmac_f64_e32 v[68:69], v[78:79], v[72:73]
	s_waitcnt vmcnt(6)
	v_fmac_f64_e32 v[68:69], v[80:81], v[74:75]
	ds_read2_b64 v[72:75], v70 offset0:45 offset1:46
	s_waitcnt vmcnt(4) lgkmcnt(0)
	v_fmac_f64_e32 v[68:69], v[82:83], v[72:73]
	;; [unrolled: 5-line block ×3, first 2 shown]
	buffer_load_dword v73, off, s[0:3], 0 offset:132
	buffer_load_dword v72, off, s[0:3], 0 offset:128
	buffer_load_dword v77, off, s[0:3], 0 offset:140
	buffer_load_dword v76, off, s[0:3], 0 offset:136
	s_waitcnt vmcnt(2)
	v_fmac_f64_e32 v[68:69], v[72:73], v[74:75]
	ds_read2_b64 v[72:75], v70 offset0:49 offset1:50
	s_waitcnt vmcnt(0) lgkmcnt(0)
	v_fmac_f64_e32 v[68:69], v[76:77], v[72:73]
	buffer_load_dword v73, off, s[0:3], 0 offset:148
	buffer_load_dword v72, off, s[0:3], 0 offset:144
	buffer_load_dword v77, off, s[0:3], 0 offset:156
	buffer_load_dword v76, off, s[0:3], 0 offset:152
	s_waitcnt vmcnt(2)
	v_fmac_f64_e32 v[68:69], v[72:73], v[74:75]
	ds_read2_b64 v[72:75], v70 offset0:51 offset1:52
	s_waitcnt vmcnt(0) lgkmcnt(0)
	v_fmac_f64_e32 v[68:69], v[76:77], v[72:73]
	;; [unrolled: 9-line block ×7, first 2 shown]
	buffer_load_dword v73, off, s[0:3], 0 offset:244
	buffer_load_dword v72, off, s[0:3], 0 offset:240
	s_waitcnt vmcnt(0)
	v_fmac_f64_e32 v[68:69], v[72:73], v[74:75]
	buffer_load_dword v73, off, s[0:3], 0 offset:252
	buffer_load_dword v72, off, s[0:3], 0 offset:248
	ds_read_b64 v[74:75], v70 offset:504
	s_waitcnt vmcnt(0) lgkmcnt(0)
	v_fmac_f64_e32 v[68:69], v[72:73], v[74:75]
	v_add_f64 v[66:67], v[66:67], -v[68:69]
	buffer_store_dword v67, off, s[0:3], 0 offset:68
	buffer_store_dword v66, off, s[0:3], 0 offset:64
	s_and_saveexec_b64 s[4:5], vcc
	s_cbranch_execz .LBB95_185
; %bb.184:
	buffer_load_dword v66, off, s[0:3], 0 offset:56
	buffer_load_dword v67, off, s[0:3], 0 offset:60
	s_waitcnt vmcnt(0)
	ds_write_b64 v1, v[66:67]
	buffer_store_dword v70, off, s[0:3], 0 offset:56
	buffer_store_dword v70, off, s[0:3], 0 offset:60
.LBB95_185:
	s_or_b64 exec, exec, s[4:5]
	s_waitcnt lgkmcnt(0)
	; wave barrier
	s_waitcnt lgkmcnt(0)
	buffer_load_dword v66, off, s[0:3], 0 offset:56
	buffer_load_dword v67, off, s[0:3], 0 offset:60
	;; [unrolled: 1-line block ×16, first 2 shown]
	ds_read_b128 v[72:75], v70 offset:320
	ds_read_b128 v[76:79], v70 offset:336
	ds_read_b128 v[80:83], v70 offset:352
	ds_read_b128 v[84:87], v70 offset:368
	v_cmp_lt_u32_e32 vcc, 6, v0
	s_waitcnt vmcnt(12) lgkmcnt(3)
	v_fma_f64 v[68:69], v[68:69], v[72:73], 0
	buffer_load_dword v73, off, s[0:3], 0 offset:124
	buffer_load_dword v72, off, s[0:3], 0 offset:120
	s_waitcnt vmcnt(12)
	v_fmac_f64_e32 v[68:69], v[88:89], v[74:75]
	s_waitcnt vmcnt(10) lgkmcnt(2)
	v_fmac_f64_e32 v[68:69], v[90:91], v[76:77]
	buffer_load_dword v77, off, s[0:3], 0 offset:132
	buffer_load_dword v76, off, s[0:3], 0 offset:128
	s_waitcnt vmcnt(10)
	v_fmac_f64_e32 v[68:69], v[92:93], v[78:79]
	s_waitcnt vmcnt(8) lgkmcnt(1)
	v_fmac_f64_e32 v[68:69], v[94:95], v[80:81]
	s_waitcnt vmcnt(6)
	v_fmac_f64_e32 v[68:69], v[96:97], v[82:83]
	s_waitcnt vmcnt(4) lgkmcnt(0)
	v_fmac_f64_e32 v[68:69], v[98:99], v[84:85]
	s_waitcnt vmcnt(2)
	v_fmac_f64_e32 v[68:69], v[72:73], v[86:87]
	ds_read_b128 v[72:75], v70 offset:384
	s_waitcnt vmcnt(0) lgkmcnt(0)
	v_fmac_f64_e32 v[68:69], v[76:77], v[72:73]
	buffer_load_dword v73, off, s[0:3], 0 offset:140
	buffer_load_dword v72, off, s[0:3], 0 offset:136
	buffer_load_dword v77, off, s[0:3], 0 offset:148
	buffer_load_dword v76, off, s[0:3], 0 offset:144
	s_waitcnt vmcnt(2)
	v_fmac_f64_e32 v[68:69], v[72:73], v[74:75]
	ds_read_b128 v[72:75], v70 offset:400
	s_waitcnt vmcnt(0) lgkmcnt(0)
	v_fmac_f64_e32 v[68:69], v[76:77], v[72:73]
	buffer_load_dword v73, off, s[0:3], 0 offset:156
	buffer_load_dword v72, off, s[0:3], 0 offset:152
	buffer_load_dword v77, off, s[0:3], 0 offset:164
	buffer_load_dword v76, off, s[0:3], 0 offset:160
	s_waitcnt vmcnt(2)
	v_fmac_f64_e32 v[68:69], v[72:73], v[74:75]
	ds_read_b128 v[72:75], v70 offset:416
	s_waitcnt vmcnt(0) lgkmcnt(0)
	v_fmac_f64_e32 v[68:69], v[76:77], v[72:73]
	buffer_load_dword v73, off, s[0:3], 0 offset:172
	buffer_load_dword v72, off, s[0:3], 0 offset:168
	buffer_load_dword v77, off, s[0:3], 0 offset:180
	buffer_load_dword v76, off, s[0:3], 0 offset:176
	s_waitcnt vmcnt(2)
	v_fmac_f64_e32 v[68:69], v[72:73], v[74:75]
	ds_read_b128 v[72:75], v70 offset:432
	s_waitcnt vmcnt(0) lgkmcnt(0)
	v_fmac_f64_e32 v[68:69], v[76:77], v[72:73]
	buffer_load_dword v73, off, s[0:3], 0 offset:188
	buffer_load_dword v72, off, s[0:3], 0 offset:184
	buffer_load_dword v77, off, s[0:3], 0 offset:196
	buffer_load_dword v76, off, s[0:3], 0 offset:192
	s_waitcnt vmcnt(2)
	v_fmac_f64_e32 v[68:69], v[72:73], v[74:75]
	ds_read_b128 v[72:75], v70 offset:448
	s_waitcnt vmcnt(0) lgkmcnt(0)
	v_fmac_f64_e32 v[68:69], v[76:77], v[72:73]
	buffer_load_dword v73, off, s[0:3], 0 offset:204
	buffer_load_dword v72, off, s[0:3], 0 offset:200
	buffer_load_dword v77, off, s[0:3], 0 offset:212
	buffer_load_dword v76, off, s[0:3], 0 offset:208
	s_waitcnt vmcnt(2)
	v_fmac_f64_e32 v[68:69], v[72:73], v[74:75]
	ds_read_b128 v[72:75], v70 offset:464
	s_waitcnt vmcnt(0) lgkmcnt(0)
	v_fmac_f64_e32 v[68:69], v[76:77], v[72:73]
	buffer_load_dword v73, off, s[0:3], 0 offset:220
	buffer_load_dword v72, off, s[0:3], 0 offset:216
	buffer_load_dword v77, off, s[0:3], 0 offset:228
	buffer_load_dword v76, off, s[0:3], 0 offset:224
	s_waitcnt vmcnt(2)
	v_fmac_f64_e32 v[68:69], v[72:73], v[74:75]
	ds_read_b128 v[72:75], v70 offset:480
	s_waitcnt vmcnt(0) lgkmcnt(0)
	v_fmac_f64_e32 v[68:69], v[76:77], v[72:73]
	buffer_load_dword v73, off, s[0:3], 0 offset:236
	buffer_load_dword v72, off, s[0:3], 0 offset:232
	s_waitcnt vmcnt(0)
	v_fmac_f64_e32 v[68:69], v[72:73], v[74:75]
	buffer_load_dword v75, off, s[0:3], 0 offset:244
	buffer_load_dword v74, off, s[0:3], 0 offset:240
	ds_read_b128 v[70:73], v70 offset:496
	s_waitcnt vmcnt(0) lgkmcnt(0)
	v_fmac_f64_e32 v[68:69], v[74:75], v[70:71]
	buffer_load_dword v71, off, s[0:3], 0 offset:252
	buffer_load_dword v70, off, s[0:3], 0 offset:248
	s_waitcnt vmcnt(0)
	v_fmac_f64_e32 v[68:69], v[70:71], v[72:73]
	v_add_f64 v[66:67], v[66:67], -v[68:69]
	buffer_store_dword v67, off, s[0:3], 0 offset:60
	buffer_store_dword v66, off, s[0:3], 0 offset:56
	s_and_saveexec_b64 s[4:5], vcc
	s_cbranch_execz .LBB95_187
; %bb.186:
	buffer_load_dword v66, off, s[0:3], 0 offset:48
	buffer_load_dword v67, off, s[0:3], 0 offset:52
	v_mov_b32_e32 v68, 0
	buffer_store_dword v68, off, s[0:3], 0 offset:48
	buffer_store_dword v68, off, s[0:3], 0 offset:52
	s_waitcnt vmcnt(2)
	ds_write_b64 v1, v[66:67]
.LBB95_187:
	s_or_b64 exec, exec, s[4:5]
	s_waitcnt lgkmcnt(0)
	; wave barrier
	s_waitcnt lgkmcnt(0)
	buffer_load_dword v66, off, s[0:3], 0 offset:48
	buffer_load_dword v67, off, s[0:3], 0 offset:52
	;; [unrolled: 1-line block ×16, first 2 shown]
	v_mov_b32_e32 v70, 0
	ds_read2_b64 v[72:75], v70 offset0:39 offset1:40
	v_cmp_lt_u32_e32 vcc, 5, v0
	s_waitcnt vmcnt(12) lgkmcnt(0)
	v_fma_f64 v[68:69], v[68:69], v[72:73], 0
	s_waitcnt vmcnt(10)
	v_fmac_f64_e32 v[68:69], v[76:77], v[74:75]
	ds_read2_b64 v[72:75], v70 offset0:41 offset1:42
	s_waitcnt vmcnt(8) lgkmcnt(0)
	v_fmac_f64_e32 v[68:69], v[78:79], v[72:73]
	s_waitcnt vmcnt(6)
	v_fmac_f64_e32 v[68:69], v[80:81], v[74:75]
	ds_read2_b64 v[72:75], v70 offset0:43 offset1:44
	s_waitcnt vmcnt(4) lgkmcnt(0)
	v_fmac_f64_e32 v[68:69], v[82:83], v[72:73]
	;; [unrolled: 5-line block ×3, first 2 shown]
	buffer_load_dword v73, off, s[0:3], 0 offset:116
	buffer_load_dword v72, off, s[0:3], 0 offset:112
	buffer_load_dword v77, off, s[0:3], 0 offset:124
	buffer_load_dword v76, off, s[0:3], 0 offset:120
	s_waitcnt vmcnt(2)
	v_fmac_f64_e32 v[68:69], v[72:73], v[74:75]
	ds_read2_b64 v[72:75], v70 offset0:47 offset1:48
	s_waitcnt vmcnt(0) lgkmcnt(0)
	v_fmac_f64_e32 v[68:69], v[76:77], v[72:73]
	buffer_load_dword v73, off, s[0:3], 0 offset:132
	buffer_load_dword v72, off, s[0:3], 0 offset:128
	buffer_load_dword v77, off, s[0:3], 0 offset:140
	buffer_load_dword v76, off, s[0:3], 0 offset:136
	s_waitcnt vmcnt(2)
	v_fmac_f64_e32 v[68:69], v[72:73], v[74:75]
	ds_read2_b64 v[72:75], v70 offset0:49 offset1:50
	s_waitcnt vmcnt(0) lgkmcnt(0)
	v_fmac_f64_e32 v[68:69], v[76:77], v[72:73]
	;; [unrolled: 9-line block ×8, first 2 shown]
	buffer_load_dword v73, off, s[0:3], 0 offset:244
	buffer_load_dword v72, off, s[0:3], 0 offset:240
	s_waitcnt vmcnt(0)
	v_fmac_f64_e32 v[68:69], v[72:73], v[74:75]
	buffer_load_dword v73, off, s[0:3], 0 offset:252
	buffer_load_dword v72, off, s[0:3], 0 offset:248
	ds_read_b64 v[74:75], v70 offset:504
	s_waitcnt vmcnt(0) lgkmcnt(0)
	v_fmac_f64_e32 v[68:69], v[72:73], v[74:75]
	v_add_f64 v[66:67], v[66:67], -v[68:69]
	buffer_store_dword v67, off, s[0:3], 0 offset:52
	buffer_store_dword v66, off, s[0:3], 0 offset:48
	s_and_saveexec_b64 s[4:5], vcc
	s_cbranch_execz .LBB95_189
; %bb.188:
	buffer_load_dword v66, off, s[0:3], 0 offset:40
	buffer_load_dword v67, off, s[0:3], 0 offset:44
	s_waitcnt vmcnt(0)
	ds_write_b64 v1, v[66:67]
	buffer_store_dword v70, off, s[0:3], 0 offset:40
	buffer_store_dword v70, off, s[0:3], 0 offset:44
.LBB95_189:
	s_or_b64 exec, exec, s[4:5]
	s_waitcnt lgkmcnt(0)
	; wave barrier
	s_waitcnt lgkmcnt(0)
	buffer_load_dword v66, off, s[0:3], 0 offset:40
	buffer_load_dword v67, off, s[0:3], 0 offset:44
	;; [unrolled: 1-line block ×16, first 2 shown]
	ds_read_b128 v[72:75], v70 offset:304
	ds_read_b128 v[76:79], v70 offset:320
	;; [unrolled: 1-line block ×4, first 2 shown]
	v_cmp_lt_u32_e32 vcc, 4, v0
	s_waitcnt vmcnt(12) lgkmcnt(3)
	v_fma_f64 v[68:69], v[68:69], v[72:73], 0
	buffer_load_dword v73, off, s[0:3], 0 offset:108
	buffer_load_dword v72, off, s[0:3], 0 offset:104
	s_waitcnt vmcnt(12)
	v_fmac_f64_e32 v[68:69], v[88:89], v[74:75]
	s_waitcnt vmcnt(10) lgkmcnt(2)
	v_fmac_f64_e32 v[68:69], v[90:91], v[76:77]
	buffer_load_dword v77, off, s[0:3], 0 offset:116
	buffer_load_dword v76, off, s[0:3], 0 offset:112
	s_waitcnt vmcnt(10)
	v_fmac_f64_e32 v[68:69], v[92:93], v[78:79]
	s_waitcnt vmcnt(8) lgkmcnt(1)
	v_fmac_f64_e32 v[68:69], v[94:95], v[80:81]
	s_waitcnt vmcnt(6)
	v_fmac_f64_e32 v[68:69], v[96:97], v[82:83]
	s_waitcnt vmcnt(4) lgkmcnt(0)
	v_fmac_f64_e32 v[68:69], v[98:99], v[84:85]
	s_waitcnt vmcnt(2)
	v_fmac_f64_e32 v[68:69], v[72:73], v[86:87]
	ds_read_b128 v[72:75], v70 offset:368
	s_waitcnt vmcnt(0) lgkmcnt(0)
	v_fmac_f64_e32 v[68:69], v[76:77], v[72:73]
	buffer_load_dword v73, off, s[0:3], 0 offset:124
	buffer_load_dword v72, off, s[0:3], 0 offset:120
	buffer_load_dword v77, off, s[0:3], 0 offset:132
	buffer_load_dword v76, off, s[0:3], 0 offset:128
	s_waitcnt vmcnt(2)
	v_fmac_f64_e32 v[68:69], v[72:73], v[74:75]
	ds_read_b128 v[72:75], v70 offset:384
	s_waitcnt vmcnt(0) lgkmcnt(0)
	v_fmac_f64_e32 v[68:69], v[76:77], v[72:73]
	buffer_load_dword v73, off, s[0:3], 0 offset:140
	buffer_load_dword v72, off, s[0:3], 0 offset:136
	buffer_load_dword v77, off, s[0:3], 0 offset:148
	buffer_load_dword v76, off, s[0:3], 0 offset:144
	;; [unrolled: 9-line block ×7, first 2 shown]
	s_waitcnt vmcnt(2)
	v_fmac_f64_e32 v[68:69], v[72:73], v[74:75]
	ds_read_b128 v[72:75], v70 offset:480
	s_waitcnt vmcnt(0) lgkmcnt(0)
	v_fmac_f64_e32 v[68:69], v[76:77], v[72:73]
	buffer_load_dword v73, off, s[0:3], 0 offset:236
	buffer_load_dword v72, off, s[0:3], 0 offset:232
	s_waitcnt vmcnt(0)
	v_fmac_f64_e32 v[68:69], v[72:73], v[74:75]
	buffer_load_dword v75, off, s[0:3], 0 offset:244
	buffer_load_dword v74, off, s[0:3], 0 offset:240
	ds_read_b128 v[70:73], v70 offset:496
	s_waitcnt vmcnt(0) lgkmcnt(0)
	v_fmac_f64_e32 v[68:69], v[74:75], v[70:71]
	buffer_load_dword v71, off, s[0:3], 0 offset:252
	buffer_load_dword v70, off, s[0:3], 0 offset:248
	s_waitcnt vmcnt(0)
	v_fmac_f64_e32 v[68:69], v[70:71], v[72:73]
	v_add_f64 v[66:67], v[66:67], -v[68:69]
	buffer_store_dword v67, off, s[0:3], 0 offset:44
	buffer_store_dword v66, off, s[0:3], 0 offset:40
	s_and_saveexec_b64 s[4:5], vcc
	s_cbranch_execz .LBB95_191
; %bb.190:
	buffer_load_dword v66, off, s[0:3], 0 offset:32
	buffer_load_dword v67, off, s[0:3], 0 offset:36
	v_mov_b32_e32 v68, 0
	buffer_store_dword v68, off, s[0:3], 0 offset:32
	buffer_store_dword v68, off, s[0:3], 0 offset:36
	s_waitcnt vmcnt(2)
	ds_write_b64 v1, v[66:67]
.LBB95_191:
	s_or_b64 exec, exec, s[4:5]
	s_waitcnt lgkmcnt(0)
	; wave barrier
	s_waitcnt lgkmcnt(0)
	buffer_load_dword v66, off, s[0:3], 0 offset:32
	buffer_load_dword v67, off, s[0:3], 0 offset:36
	;; [unrolled: 1-line block ×16, first 2 shown]
	v_mov_b32_e32 v70, 0
	ds_read2_b64 v[72:75], v70 offset0:37 offset1:38
	v_cmp_lt_u32_e32 vcc, 3, v0
	s_waitcnt vmcnt(12) lgkmcnt(0)
	v_fma_f64 v[68:69], v[68:69], v[72:73], 0
	s_waitcnt vmcnt(10)
	v_fmac_f64_e32 v[68:69], v[76:77], v[74:75]
	ds_read2_b64 v[72:75], v70 offset0:39 offset1:40
	s_waitcnt vmcnt(8) lgkmcnt(0)
	v_fmac_f64_e32 v[68:69], v[78:79], v[72:73]
	s_waitcnt vmcnt(6)
	v_fmac_f64_e32 v[68:69], v[80:81], v[74:75]
	ds_read2_b64 v[72:75], v70 offset0:41 offset1:42
	s_waitcnt vmcnt(4) lgkmcnt(0)
	v_fmac_f64_e32 v[68:69], v[82:83], v[72:73]
	;; [unrolled: 5-line block ×3, first 2 shown]
	buffer_load_dword v73, off, s[0:3], 0 offset:100
	buffer_load_dword v72, off, s[0:3], 0 offset:96
	buffer_load_dword v77, off, s[0:3], 0 offset:108
	buffer_load_dword v76, off, s[0:3], 0 offset:104
	s_waitcnt vmcnt(2)
	v_fmac_f64_e32 v[68:69], v[72:73], v[74:75]
	ds_read2_b64 v[72:75], v70 offset0:45 offset1:46
	s_waitcnt vmcnt(0) lgkmcnt(0)
	v_fmac_f64_e32 v[68:69], v[76:77], v[72:73]
	buffer_load_dword v73, off, s[0:3], 0 offset:116
	buffer_load_dword v72, off, s[0:3], 0 offset:112
	buffer_load_dword v77, off, s[0:3], 0 offset:124
	buffer_load_dword v76, off, s[0:3], 0 offset:120
	s_waitcnt vmcnt(2)
	v_fmac_f64_e32 v[68:69], v[72:73], v[74:75]
	ds_read2_b64 v[72:75], v70 offset0:47 offset1:48
	s_waitcnt vmcnt(0) lgkmcnt(0)
	v_fmac_f64_e32 v[68:69], v[76:77], v[72:73]
	;; [unrolled: 9-line block ×9, first 2 shown]
	buffer_load_dword v73, off, s[0:3], 0 offset:244
	buffer_load_dword v72, off, s[0:3], 0 offset:240
	s_waitcnt vmcnt(0)
	v_fmac_f64_e32 v[68:69], v[72:73], v[74:75]
	buffer_load_dword v73, off, s[0:3], 0 offset:252
	buffer_load_dword v72, off, s[0:3], 0 offset:248
	ds_read_b64 v[74:75], v70 offset:504
	s_waitcnt vmcnt(0) lgkmcnt(0)
	v_fmac_f64_e32 v[68:69], v[72:73], v[74:75]
	v_add_f64 v[66:67], v[66:67], -v[68:69]
	buffer_store_dword v67, off, s[0:3], 0 offset:36
	buffer_store_dword v66, off, s[0:3], 0 offset:32
	s_and_saveexec_b64 s[4:5], vcc
	s_cbranch_execz .LBB95_193
; %bb.192:
	buffer_load_dword v66, off, s[0:3], 0 offset:24
	buffer_load_dword v67, off, s[0:3], 0 offset:28
	s_waitcnt vmcnt(0)
	ds_write_b64 v1, v[66:67]
	buffer_store_dword v70, off, s[0:3], 0 offset:24
	buffer_store_dword v70, off, s[0:3], 0 offset:28
.LBB95_193:
	s_or_b64 exec, exec, s[4:5]
	s_waitcnt lgkmcnt(0)
	; wave barrier
	s_waitcnt lgkmcnt(0)
	buffer_load_dword v66, off, s[0:3], 0 offset:24
	buffer_load_dword v67, off, s[0:3], 0 offset:28
	;; [unrolled: 1-line block ×16, first 2 shown]
	ds_read_b128 v[72:75], v70 offset:288
	ds_read_b128 v[76:79], v70 offset:304
	;; [unrolled: 1-line block ×4, first 2 shown]
	v_cmp_lt_u32_e32 vcc, 2, v0
	s_waitcnt vmcnt(12) lgkmcnt(3)
	v_fma_f64 v[68:69], v[68:69], v[72:73], 0
	buffer_load_dword v73, off, s[0:3], 0 offset:92
	buffer_load_dword v72, off, s[0:3], 0 offset:88
	s_waitcnt vmcnt(12)
	v_fmac_f64_e32 v[68:69], v[88:89], v[74:75]
	s_waitcnt vmcnt(10) lgkmcnt(2)
	v_fmac_f64_e32 v[68:69], v[90:91], v[76:77]
	buffer_load_dword v77, off, s[0:3], 0 offset:100
	buffer_load_dword v76, off, s[0:3], 0 offset:96
	s_waitcnt vmcnt(10)
	v_fmac_f64_e32 v[68:69], v[92:93], v[78:79]
	s_waitcnt vmcnt(8) lgkmcnt(1)
	v_fmac_f64_e32 v[68:69], v[94:95], v[80:81]
	s_waitcnt vmcnt(6)
	v_fmac_f64_e32 v[68:69], v[96:97], v[82:83]
	s_waitcnt vmcnt(4) lgkmcnt(0)
	v_fmac_f64_e32 v[68:69], v[98:99], v[84:85]
	s_waitcnt vmcnt(2)
	v_fmac_f64_e32 v[68:69], v[72:73], v[86:87]
	ds_read_b128 v[72:75], v70 offset:352
	s_waitcnt vmcnt(0) lgkmcnt(0)
	v_fmac_f64_e32 v[68:69], v[76:77], v[72:73]
	buffer_load_dword v73, off, s[0:3], 0 offset:108
	buffer_load_dword v72, off, s[0:3], 0 offset:104
	buffer_load_dword v77, off, s[0:3], 0 offset:116
	buffer_load_dword v76, off, s[0:3], 0 offset:112
	s_waitcnt vmcnt(2)
	v_fmac_f64_e32 v[68:69], v[72:73], v[74:75]
	ds_read_b128 v[72:75], v70 offset:368
	s_waitcnt vmcnt(0) lgkmcnt(0)
	v_fmac_f64_e32 v[68:69], v[76:77], v[72:73]
	buffer_load_dword v73, off, s[0:3], 0 offset:124
	buffer_load_dword v72, off, s[0:3], 0 offset:120
	buffer_load_dword v77, off, s[0:3], 0 offset:132
	buffer_load_dword v76, off, s[0:3], 0 offset:128
	;; [unrolled: 9-line block ×8, first 2 shown]
	s_waitcnt vmcnt(2)
	v_fmac_f64_e32 v[68:69], v[72:73], v[74:75]
	ds_read_b128 v[72:75], v70 offset:480
	s_waitcnt vmcnt(0) lgkmcnt(0)
	v_fmac_f64_e32 v[68:69], v[76:77], v[72:73]
	buffer_load_dword v73, off, s[0:3], 0 offset:236
	buffer_load_dword v72, off, s[0:3], 0 offset:232
	s_waitcnt vmcnt(0)
	v_fmac_f64_e32 v[68:69], v[72:73], v[74:75]
	buffer_load_dword v75, off, s[0:3], 0 offset:244
	buffer_load_dword v74, off, s[0:3], 0 offset:240
	ds_read_b128 v[70:73], v70 offset:496
	s_waitcnt vmcnt(0) lgkmcnt(0)
	v_fmac_f64_e32 v[68:69], v[74:75], v[70:71]
	buffer_load_dword v71, off, s[0:3], 0 offset:252
	buffer_load_dword v70, off, s[0:3], 0 offset:248
	s_waitcnt vmcnt(0)
	v_fmac_f64_e32 v[68:69], v[70:71], v[72:73]
	v_add_f64 v[66:67], v[66:67], -v[68:69]
	buffer_store_dword v67, off, s[0:3], 0 offset:28
	buffer_store_dword v66, off, s[0:3], 0 offset:24
	s_and_saveexec_b64 s[4:5], vcc
	s_cbranch_execz .LBB95_195
; %bb.194:
	buffer_load_dword v66, off, s[0:3], 0 offset:16
	buffer_load_dword v67, off, s[0:3], 0 offset:20
	v_mov_b32_e32 v68, 0
	buffer_store_dword v68, off, s[0:3], 0 offset:16
	buffer_store_dword v68, off, s[0:3], 0 offset:20
	s_waitcnt vmcnt(2)
	ds_write_b64 v1, v[66:67]
.LBB95_195:
	s_or_b64 exec, exec, s[4:5]
	s_waitcnt lgkmcnt(0)
	; wave barrier
	s_waitcnt lgkmcnt(0)
	buffer_load_dword v66, off, s[0:3], 0 offset:16
	buffer_load_dword v67, off, s[0:3], 0 offset:20
	buffer_load_dword v68, off, s[0:3], 0 offset:24
	buffer_load_dword v69, off, s[0:3], 0 offset:28
	buffer_load_dword v76, off, s[0:3], 0 offset:32
	buffer_load_dword v77, off, s[0:3], 0 offset:36
	buffer_load_dword v78, off, s[0:3], 0 offset:40
	buffer_load_dword v79, off, s[0:3], 0 offset:44
	buffer_load_dword v80, off, s[0:3], 0 offset:48
	buffer_load_dword v81, off, s[0:3], 0 offset:52
	buffer_load_dword v82, off, s[0:3], 0 offset:56
	buffer_load_dword v83, off, s[0:3], 0 offset:60
	buffer_load_dword v84, off, s[0:3], 0 offset:64
	buffer_load_dword v85, off, s[0:3], 0 offset:68
	buffer_load_dword v86, off, s[0:3], 0 offset:72
	buffer_load_dword v87, off, s[0:3], 0 offset:76
	v_mov_b32_e32 v70, 0
	ds_read2_b64 v[72:75], v70 offset0:35 offset1:36
	v_cmp_lt_u32_e32 vcc, 1, v0
	s_waitcnt vmcnt(12) lgkmcnt(0)
	v_fma_f64 v[68:69], v[68:69], v[72:73], 0
	s_waitcnt vmcnt(10)
	v_fmac_f64_e32 v[68:69], v[76:77], v[74:75]
	ds_read2_b64 v[72:75], v70 offset0:37 offset1:38
	s_waitcnt vmcnt(8) lgkmcnt(0)
	v_fmac_f64_e32 v[68:69], v[78:79], v[72:73]
	s_waitcnt vmcnt(6)
	v_fmac_f64_e32 v[68:69], v[80:81], v[74:75]
	ds_read2_b64 v[72:75], v70 offset0:39 offset1:40
	s_waitcnt vmcnt(4) lgkmcnt(0)
	v_fmac_f64_e32 v[68:69], v[82:83], v[72:73]
	;; [unrolled: 5-line block ×3, first 2 shown]
	buffer_load_dword v73, off, s[0:3], 0 offset:84
	buffer_load_dword v72, off, s[0:3], 0 offset:80
	buffer_load_dword v77, off, s[0:3], 0 offset:92
	buffer_load_dword v76, off, s[0:3], 0 offset:88
	s_waitcnt vmcnt(2)
	v_fmac_f64_e32 v[68:69], v[72:73], v[74:75]
	ds_read2_b64 v[72:75], v70 offset0:43 offset1:44
	s_waitcnt vmcnt(0) lgkmcnt(0)
	v_fmac_f64_e32 v[68:69], v[76:77], v[72:73]
	buffer_load_dword v73, off, s[0:3], 0 offset:100
	buffer_load_dword v72, off, s[0:3], 0 offset:96
	buffer_load_dword v77, off, s[0:3], 0 offset:108
	buffer_load_dword v76, off, s[0:3], 0 offset:104
	s_waitcnt vmcnt(2)
	v_fmac_f64_e32 v[68:69], v[72:73], v[74:75]
	ds_read2_b64 v[72:75], v70 offset0:45 offset1:46
	s_waitcnt vmcnt(0) lgkmcnt(0)
	v_fmac_f64_e32 v[68:69], v[76:77], v[72:73]
	;; [unrolled: 9-line block ×10, first 2 shown]
	buffer_load_dword v73, off, s[0:3], 0 offset:244
	buffer_load_dword v72, off, s[0:3], 0 offset:240
	s_waitcnt vmcnt(0)
	v_fmac_f64_e32 v[68:69], v[72:73], v[74:75]
	buffer_load_dword v73, off, s[0:3], 0 offset:252
	buffer_load_dword v72, off, s[0:3], 0 offset:248
	ds_read_b64 v[74:75], v70 offset:504
	s_waitcnt vmcnt(0) lgkmcnt(0)
	v_fmac_f64_e32 v[68:69], v[72:73], v[74:75]
	v_add_f64 v[66:67], v[66:67], -v[68:69]
	buffer_store_dword v67, off, s[0:3], 0 offset:20
	buffer_store_dword v66, off, s[0:3], 0 offset:16
	s_and_saveexec_b64 s[4:5], vcc
	s_cbranch_execz .LBB95_197
; %bb.196:
	buffer_load_dword v66, off, s[0:3], 0 offset:8
	buffer_load_dword v67, off, s[0:3], 0 offset:12
	s_waitcnt vmcnt(0)
	ds_write_b64 v1, v[66:67]
	buffer_store_dword v70, off, s[0:3], 0 offset:8
	buffer_store_dword v70, off, s[0:3], 0 offset:12
.LBB95_197:
	s_or_b64 exec, exec, s[4:5]
	s_waitcnt lgkmcnt(0)
	; wave barrier
	s_waitcnt lgkmcnt(0)
	buffer_load_dword v66, off, s[0:3], 0 offset:8
	buffer_load_dword v67, off, s[0:3], 0 offset:12
	buffer_load_dword v68, off, s[0:3], 0 offset:16
	buffer_load_dword v69, off, s[0:3], 0 offset:20
	buffer_load_dword v88, off, s[0:3], 0 offset:24
	buffer_load_dword v89, off, s[0:3], 0 offset:28
	buffer_load_dword v90, off, s[0:3], 0 offset:32
	buffer_load_dword v91, off, s[0:3], 0 offset:36
	buffer_load_dword v92, off, s[0:3], 0 offset:40
	buffer_load_dword v93, off, s[0:3], 0 offset:44
	buffer_load_dword v94, off, s[0:3], 0 offset:48
	buffer_load_dword v95, off, s[0:3], 0 offset:52
	buffer_load_dword v96, off, s[0:3], 0 offset:56
	buffer_load_dword v97, off, s[0:3], 0 offset:60
	buffer_load_dword v98, off, s[0:3], 0 offset:64
	buffer_load_dword v99, off, s[0:3], 0 offset:68
	ds_read_b128 v[72:75], v70 offset:272
	ds_read_b128 v[76:79], v70 offset:288
	;; [unrolled: 1-line block ×4, first 2 shown]
	v_cmp_ne_u32_e32 vcc, 0, v0
	s_waitcnt vmcnt(12) lgkmcnt(3)
	v_fma_f64 v[68:69], v[68:69], v[72:73], 0
	buffer_load_dword v73, off, s[0:3], 0 offset:76
	buffer_load_dword v72, off, s[0:3], 0 offset:72
	s_waitcnt vmcnt(12)
	v_fmac_f64_e32 v[68:69], v[88:89], v[74:75]
	s_waitcnt vmcnt(10) lgkmcnt(2)
	v_fmac_f64_e32 v[68:69], v[90:91], v[76:77]
	buffer_load_dword v77, off, s[0:3], 0 offset:84
	buffer_load_dword v76, off, s[0:3], 0 offset:80
	s_waitcnt vmcnt(10)
	v_fmac_f64_e32 v[68:69], v[92:93], v[78:79]
	s_waitcnt vmcnt(8) lgkmcnt(1)
	v_fmac_f64_e32 v[68:69], v[94:95], v[80:81]
	s_waitcnt vmcnt(6)
	v_fmac_f64_e32 v[68:69], v[96:97], v[82:83]
	s_waitcnt vmcnt(4) lgkmcnt(0)
	v_fmac_f64_e32 v[68:69], v[98:99], v[84:85]
	s_waitcnt vmcnt(2)
	v_fmac_f64_e32 v[68:69], v[72:73], v[86:87]
	ds_read_b128 v[72:75], v70 offset:336
	s_waitcnt vmcnt(0) lgkmcnt(0)
	v_fmac_f64_e32 v[68:69], v[76:77], v[72:73]
	buffer_load_dword v73, off, s[0:3], 0 offset:92
	buffer_load_dword v72, off, s[0:3], 0 offset:88
	buffer_load_dword v77, off, s[0:3], 0 offset:100
	buffer_load_dword v76, off, s[0:3], 0 offset:96
	s_waitcnt vmcnt(2)
	v_fmac_f64_e32 v[68:69], v[72:73], v[74:75]
	ds_read_b128 v[72:75], v70 offset:352
	s_waitcnt vmcnt(0) lgkmcnt(0)
	v_fmac_f64_e32 v[68:69], v[76:77], v[72:73]
	buffer_load_dword v73, off, s[0:3], 0 offset:108
	buffer_load_dword v72, off, s[0:3], 0 offset:104
	buffer_load_dword v77, off, s[0:3], 0 offset:116
	buffer_load_dword v76, off, s[0:3], 0 offset:112
	;; [unrolled: 9-line block ×9, first 2 shown]
	s_waitcnt vmcnt(2)
	v_fmac_f64_e32 v[68:69], v[72:73], v[74:75]
	ds_read_b128 v[72:75], v70 offset:480
	s_waitcnt vmcnt(0) lgkmcnt(0)
	v_fmac_f64_e32 v[68:69], v[76:77], v[72:73]
	buffer_load_dword v73, off, s[0:3], 0 offset:236
	buffer_load_dword v72, off, s[0:3], 0 offset:232
	s_waitcnt vmcnt(0)
	v_fmac_f64_e32 v[68:69], v[72:73], v[74:75]
	buffer_load_dword v75, off, s[0:3], 0 offset:244
	buffer_load_dword v74, off, s[0:3], 0 offset:240
	ds_read_b128 v[70:73], v70 offset:496
	s_waitcnt vmcnt(0) lgkmcnt(0)
	v_fmac_f64_e32 v[68:69], v[74:75], v[70:71]
	buffer_load_dword v71, off, s[0:3], 0 offset:252
	buffer_load_dword v70, off, s[0:3], 0 offset:248
	s_waitcnt vmcnt(0)
	v_fmac_f64_e32 v[68:69], v[70:71], v[72:73]
	v_add_f64 v[66:67], v[66:67], -v[68:69]
	buffer_store_dword v67, off, s[0:3], 0 offset:12
	buffer_store_dword v66, off, s[0:3], 0 offset:8
	s_and_saveexec_b64 s[4:5], vcc
	s_cbranch_execz .LBB95_199
; %bb.198:
	buffer_load_dword v66, off, s[0:3], 0
	buffer_load_dword v67, off, s[0:3], 0 offset:4
	v_mov_b32_e32 v0, 0
	buffer_store_dword v0, off, s[0:3], 0
	buffer_store_dword v0, off, s[0:3], 0 offset:4
	s_waitcnt vmcnt(2)
	ds_write_b64 v1, v[66:67]
.LBB95_199:
	s_or_b64 exec, exec, s[4:5]
	s_waitcnt lgkmcnt(0)
	; wave barrier
	s_waitcnt lgkmcnt(0)
	buffer_load_dword v0, off, s[0:3], 0
	buffer_load_dword v1, off, s[0:3], 0 offset:4
	buffer_load_dword v70, off, s[0:3], 0 offset:8
	;; [unrolled: 1-line block ×15, first 2 shown]
	v_mov_b32_e32 v84, 0
	ds_read2_b64 v[66:69], v84 offset0:33 offset1:34
	s_and_b64 vcc, exec, s[16:17]
	s_waitcnt vmcnt(12) lgkmcnt(0)
	v_fma_f64 v[66:67], v[70:71], v[66:67], 0
	s_waitcnt vmcnt(10)
	v_fmac_f64_e32 v[66:67], v[72:73], v[68:69]
	ds_read2_b64 v[68:71], v84 offset0:35 offset1:36
	s_waitcnt vmcnt(8) lgkmcnt(0)
	v_fmac_f64_e32 v[66:67], v[74:75], v[68:69]
	s_waitcnt vmcnt(6)
	v_fmac_f64_e32 v[66:67], v[76:77], v[70:71]
	ds_read2_b64 v[68:71], v84 offset0:37 offset1:38
	s_waitcnt vmcnt(4) lgkmcnt(0)
	v_fmac_f64_e32 v[66:67], v[78:79], v[68:69]
	;; [unrolled: 5-line block ×3, first 2 shown]
	buffer_load_dword v69, off, s[0:3], 0 offset:68
	buffer_load_dword v68, off, s[0:3], 0 offset:64
	buffer_load_dword v73, off, s[0:3], 0 offset:76
	buffer_load_dword v72, off, s[0:3], 0 offset:72
	s_waitcnt vmcnt(2)
	v_fmac_f64_e32 v[66:67], v[68:69], v[70:71]
	ds_read2_b64 v[68:71], v84 offset0:41 offset1:42
	s_waitcnt vmcnt(0) lgkmcnt(0)
	v_fmac_f64_e32 v[66:67], v[72:73], v[68:69]
	buffer_load_dword v69, off, s[0:3], 0 offset:84
	buffer_load_dword v68, off, s[0:3], 0 offset:80
	buffer_load_dword v73, off, s[0:3], 0 offset:92
	buffer_load_dword v72, off, s[0:3], 0 offset:88
	s_waitcnt vmcnt(2)
	v_fmac_f64_e32 v[66:67], v[68:69], v[70:71]
	ds_read2_b64 v[68:71], v84 offset0:43 offset1:44
	s_waitcnt vmcnt(0) lgkmcnt(0)
	v_fmac_f64_e32 v[66:67], v[72:73], v[68:69]
	;; [unrolled: 9-line block ×11, first 2 shown]
	buffer_load_dword v69, off, s[0:3], 0 offset:244
	buffer_load_dword v68, off, s[0:3], 0 offset:240
	s_waitcnt vmcnt(0)
	v_fmac_f64_e32 v[66:67], v[68:69], v[70:71]
	buffer_load_dword v71, off, s[0:3], 0 offset:252
	buffer_load_dword v70, off, s[0:3], 0 offset:248
	ds_read_b64 v[72:73], v84 offset:504
	s_waitcnt vmcnt(0) lgkmcnt(0)
	v_fmac_f64_e32 v[66:67], v[70:71], v[72:73]
	v_add_f64 v[0:1], v[0:1], -v[66:67]
	buffer_store_dword v1, off, s[0:3], 0 offset:4
	buffer_store_dword v0, off, s[0:3], 0
	s_cbranch_vccz .LBB95_263
; %bb.200:
	v_pk_mov_b32 v[0:1], s[10:11], s[10:11] op_sel:[0,1]
	flat_load_dword v0, v[0:1] offset:120
	s_waitcnt vmcnt(0) lgkmcnt(0)
	v_add_u32_e32 v0, -1, v0
	v_cmp_ne_u32_e32 vcc, 30, v0
	s_and_saveexec_b64 s[4:5], vcc
	s_cbranch_execz .LBB95_202
; %bb.201:
	v_mov_b32_e32 v1, 0
	v_lshl_add_u32 v0, v0, 3, v1
	buffer_load_dword v1, v0, s[0:3], 0 offen offset:4
	buffer_load_dword v66, v0, s[0:3], 0 offen
	s_waitcnt vmcnt(1)
	buffer_store_dword v1, off, s[0:3], 0 offset:244
	s_waitcnt vmcnt(1)
	buffer_store_dword v66, off, s[0:3], 0 offset:240
	buffer_store_dword v69, v0, s[0:3], 0 offen offset:4
	buffer_store_dword v68, v0, s[0:3], 0 offen
.LBB95_202:
	s_or_b64 exec, exec, s[4:5]
	v_pk_mov_b32 v[0:1], s[10:11], s[10:11] op_sel:[0,1]
	flat_load_dword v0, v[0:1] offset:116
	s_waitcnt vmcnt(0) lgkmcnt(0)
	v_add_u32_e32 v0, -1, v0
	v_cmp_ne_u32_e32 vcc, 29, v0
	s_and_saveexec_b64 s[4:5], vcc
	s_cbranch_execz .LBB95_204
; %bb.203:
	v_mov_b32_e32 v1, 0
	v_lshl_add_u32 v0, v0, 3, v1
	buffer_load_dword v1, v0, s[0:3], 0 offen
	buffer_load_dword v66, v0, s[0:3], 0 offen offset:4
	buffer_load_dword v67, off, s[0:3], 0 offset:232
	buffer_load_dword v68, off, s[0:3], 0 offset:236
	s_waitcnt vmcnt(3)
	buffer_store_dword v1, off, s[0:3], 0 offset:232
	s_waitcnt vmcnt(3)
	buffer_store_dword v66, off, s[0:3], 0 offset:236
	s_waitcnt vmcnt(3)
	buffer_store_dword v67, v0, s[0:3], 0 offen
	s_waitcnt vmcnt(3)
	buffer_store_dword v68, v0, s[0:3], 0 offen offset:4
.LBB95_204:
	s_or_b64 exec, exec, s[4:5]
	v_pk_mov_b32 v[0:1], s[10:11], s[10:11] op_sel:[0,1]
	flat_load_dword v0, v[0:1] offset:112
	s_waitcnt vmcnt(0) lgkmcnt(0)
	v_add_u32_e32 v0, -1, v0
	v_cmp_ne_u32_e32 vcc, 28, v0
	s_and_saveexec_b64 s[4:5], vcc
	s_cbranch_execz .LBB95_206
; %bb.205:
	v_mov_b32_e32 v1, 0
	v_lshl_add_u32 v0, v0, 3, v1
	buffer_load_dword v1, v0, s[0:3], 0 offen
	buffer_load_dword v66, v0, s[0:3], 0 offen offset:4
	buffer_load_dword v67, off, s[0:3], 0 offset:228
	buffer_load_dword v68, off, s[0:3], 0 offset:224
	s_waitcnt vmcnt(3)
	buffer_store_dword v1, off, s[0:3], 0 offset:224
	s_waitcnt vmcnt(3)
	buffer_store_dword v66, off, s[0:3], 0 offset:228
	s_waitcnt vmcnt(3)
	buffer_store_dword v67, v0, s[0:3], 0 offen offset:4
	s_waitcnt vmcnt(3)
	buffer_store_dword v68, v0, s[0:3], 0 offen
.LBB95_206:
	s_or_b64 exec, exec, s[4:5]
	v_pk_mov_b32 v[0:1], s[10:11], s[10:11] op_sel:[0,1]
	flat_load_dword v0, v[0:1] offset:108
	s_waitcnt vmcnt(0) lgkmcnt(0)
	v_add_u32_e32 v0, -1, v0
	v_cmp_ne_u32_e32 vcc, 27, v0
	s_and_saveexec_b64 s[4:5], vcc
	s_cbranch_execz .LBB95_208
; %bb.207:
	v_mov_b32_e32 v1, 0
	v_lshl_add_u32 v0, v0, 3, v1
	buffer_load_dword v1, v0, s[0:3], 0 offen
	buffer_load_dword v66, v0, s[0:3], 0 offen offset:4
	buffer_load_dword v67, off, s[0:3], 0 offset:216
	buffer_load_dword v68, off, s[0:3], 0 offset:220
	s_waitcnt vmcnt(3)
	buffer_store_dword v1, off, s[0:3], 0 offset:216
	s_waitcnt vmcnt(3)
	buffer_store_dword v66, off, s[0:3], 0 offset:220
	s_waitcnt vmcnt(3)
	buffer_store_dword v67, v0, s[0:3], 0 offen
	s_waitcnt vmcnt(3)
	buffer_store_dword v68, v0, s[0:3], 0 offen offset:4
.LBB95_208:
	s_or_b64 exec, exec, s[4:5]
	v_pk_mov_b32 v[0:1], s[10:11], s[10:11] op_sel:[0,1]
	flat_load_dword v0, v[0:1] offset:104
	s_waitcnt vmcnt(0) lgkmcnt(0)
	v_add_u32_e32 v0, -1, v0
	v_cmp_ne_u32_e32 vcc, 26, v0
	s_and_saveexec_b64 s[4:5], vcc
	s_cbranch_execz .LBB95_210
; %bb.209:
	v_mov_b32_e32 v1, 0
	v_lshl_add_u32 v0, v0, 3, v1
	buffer_load_dword v1, v0, s[0:3], 0 offen
	buffer_load_dword v66, v0, s[0:3], 0 offen offset:4
	buffer_load_dword v67, off, s[0:3], 0 offset:212
	buffer_load_dword v68, off, s[0:3], 0 offset:208
	s_waitcnt vmcnt(3)
	buffer_store_dword v1, off, s[0:3], 0 offset:208
	s_waitcnt vmcnt(3)
	buffer_store_dword v66, off, s[0:3], 0 offset:212
	s_waitcnt vmcnt(3)
	buffer_store_dword v67, v0, s[0:3], 0 offen offset:4
	s_waitcnt vmcnt(3)
	buffer_store_dword v68, v0, s[0:3], 0 offen
.LBB95_210:
	s_or_b64 exec, exec, s[4:5]
	v_pk_mov_b32 v[0:1], s[10:11], s[10:11] op_sel:[0,1]
	flat_load_dword v0, v[0:1] offset:100
	s_waitcnt vmcnt(0) lgkmcnt(0)
	v_add_u32_e32 v0, -1, v0
	v_cmp_ne_u32_e32 vcc, 25, v0
	s_and_saveexec_b64 s[4:5], vcc
	s_cbranch_execz .LBB95_212
; %bb.211:
	v_mov_b32_e32 v1, 0
	v_lshl_add_u32 v0, v0, 3, v1
	buffer_load_dword v1, v0, s[0:3], 0 offen
	buffer_load_dword v66, v0, s[0:3], 0 offen offset:4
	buffer_load_dword v67, off, s[0:3], 0 offset:200
	buffer_load_dword v68, off, s[0:3], 0 offset:204
	s_waitcnt vmcnt(3)
	buffer_store_dword v1, off, s[0:3], 0 offset:200
	s_waitcnt vmcnt(3)
	buffer_store_dword v66, off, s[0:3], 0 offset:204
	s_waitcnt vmcnt(3)
	buffer_store_dword v67, v0, s[0:3], 0 offen
	s_waitcnt vmcnt(3)
	buffer_store_dword v68, v0, s[0:3], 0 offen offset:4
.LBB95_212:
	s_or_b64 exec, exec, s[4:5]
	v_pk_mov_b32 v[0:1], s[10:11], s[10:11] op_sel:[0,1]
	flat_load_dword v0, v[0:1] offset:96
	s_waitcnt vmcnt(0) lgkmcnt(0)
	v_add_u32_e32 v0, -1, v0
	v_cmp_ne_u32_e32 vcc, 24, v0
	s_and_saveexec_b64 s[4:5], vcc
	s_cbranch_execz .LBB95_214
; %bb.213:
	v_mov_b32_e32 v1, 0
	v_lshl_add_u32 v0, v0, 3, v1
	buffer_load_dword v1, v0, s[0:3], 0 offen
	buffer_load_dword v66, v0, s[0:3], 0 offen offset:4
	buffer_load_dword v67, off, s[0:3], 0 offset:196
	buffer_load_dword v68, off, s[0:3], 0 offset:192
	s_waitcnt vmcnt(3)
	buffer_store_dword v1, off, s[0:3], 0 offset:192
	s_waitcnt vmcnt(3)
	buffer_store_dword v66, off, s[0:3], 0 offset:196
	s_waitcnt vmcnt(3)
	buffer_store_dword v67, v0, s[0:3], 0 offen offset:4
	s_waitcnt vmcnt(3)
	buffer_store_dword v68, v0, s[0:3], 0 offen
.LBB95_214:
	s_or_b64 exec, exec, s[4:5]
	v_pk_mov_b32 v[0:1], s[10:11], s[10:11] op_sel:[0,1]
	flat_load_dword v0, v[0:1] offset:92
	s_waitcnt vmcnt(0) lgkmcnt(0)
	v_add_u32_e32 v0, -1, v0
	v_cmp_ne_u32_e32 vcc, 23, v0
	s_and_saveexec_b64 s[4:5], vcc
	s_cbranch_execz .LBB95_216
; %bb.215:
	v_mov_b32_e32 v1, 0
	v_lshl_add_u32 v0, v0, 3, v1
	buffer_load_dword v1, v0, s[0:3], 0 offen
	buffer_load_dword v66, v0, s[0:3], 0 offen offset:4
	buffer_load_dword v67, off, s[0:3], 0 offset:184
	buffer_load_dword v68, off, s[0:3], 0 offset:188
	s_waitcnt vmcnt(3)
	buffer_store_dword v1, off, s[0:3], 0 offset:184
	s_waitcnt vmcnt(3)
	buffer_store_dword v66, off, s[0:3], 0 offset:188
	s_waitcnt vmcnt(3)
	buffer_store_dword v67, v0, s[0:3], 0 offen
	s_waitcnt vmcnt(3)
	buffer_store_dword v68, v0, s[0:3], 0 offen offset:4
.LBB95_216:
	s_or_b64 exec, exec, s[4:5]
	v_pk_mov_b32 v[0:1], s[10:11], s[10:11] op_sel:[0,1]
	flat_load_dword v0, v[0:1] offset:88
	s_waitcnt vmcnt(0) lgkmcnt(0)
	v_add_u32_e32 v0, -1, v0
	v_cmp_ne_u32_e32 vcc, 22, v0
	s_and_saveexec_b64 s[4:5], vcc
	s_cbranch_execz .LBB95_218
; %bb.217:
	v_mov_b32_e32 v1, 0
	v_lshl_add_u32 v0, v0, 3, v1
	buffer_load_dword v1, v0, s[0:3], 0 offen
	buffer_load_dword v66, v0, s[0:3], 0 offen offset:4
	buffer_load_dword v67, off, s[0:3], 0 offset:180
	buffer_load_dword v68, off, s[0:3], 0 offset:176
	s_waitcnt vmcnt(3)
	buffer_store_dword v1, off, s[0:3], 0 offset:176
	s_waitcnt vmcnt(3)
	buffer_store_dword v66, off, s[0:3], 0 offset:180
	s_waitcnt vmcnt(3)
	buffer_store_dword v67, v0, s[0:3], 0 offen offset:4
	s_waitcnt vmcnt(3)
	buffer_store_dword v68, v0, s[0:3], 0 offen
.LBB95_218:
	s_or_b64 exec, exec, s[4:5]
	v_pk_mov_b32 v[0:1], s[10:11], s[10:11] op_sel:[0,1]
	flat_load_dword v0, v[0:1] offset:84
	s_waitcnt vmcnt(0) lgkmcnt(0)
	v_add_u32_e32 v0, -1, v0
	v_cmp_ne_u32_e32 vcc, 21, v0
	s_and_saveexec_b64 s[4:5], vcc
	s_cbranch_execz .LBB95_220
; %bb.219:
	v_mov_b32_e32 v1, 0
	v_lshl_add_u32 v0, v0, 3, v1
	buffer_load_dword v1, v0, s[0:3], 0 offen
	buffer_load_dword v66, v0, s[0:3], 0 offen offset:4
	buffer_load_dword v67, off, s[0:3], 0 offset:168
	buffer_load_dword v68, off, s[0:3], 0 offset:172
	s_waitcnt vmcnt(3)
	buffer_store_dword v1, off, s[0:3], 0 offset:168
	s_waitcnt vmcnt(3)
	buffer_store_dword v66, off, s[0:3], 0 offset:172
	s_waitcnt vmcnt(3)
	buffer_store_dword v67, v0, s[0:3], 0 offen
	s_waitcnt vmcnt(3)
	buffer_store_dword v68, v0, s[0:3], 0 offen offset:4
.LBB95_220:
	s_or_b64 exec, exec, s[4:5]
	v_pk_mov_b32 v[0:1], s[10:11], s[10:11] op_sel:[0,1]
	flat_load_dword v0, v[0:1] offset:80
	s_waitcnt vmcnt(0) lgkmcnt(0)
	v_add_u32_e32 v0, -1, v0
	v_cmp_ne_u32_e32 vcc, 20, v0
	s_and_saveexec_b64 s[4:5], vcc
	s_cbranch_execz .LBB95_222
; %bb.221:
	v_mov_b32_e32 v1, 0
	v_lshl_add_u32 v0, v0, 3, v1
	buffer_load_dword v1, v0, s[0:3], 0 offen
	buffer_load_dword v66, v0, s[0:3], 0 offen offset:4
	buffer_load_dword v67, off, s[0:3], 0 offset:164
	buffer_load_dword v68, off, s[0:3], 0 offset:160
	s_waitcnt vmcnt(3)
	buffer_store_dword v1, off, s[0:3], 0 offset:160
	s_waitcnt vmcnt(3)
	buffer_store_dword v66, off, s[0:3], 0 offset:164
	s_waitcnt vmcnt(3)
	buffer_store_dword v67, v0, s[0:3], 0 offen offset:4
	s_waitcnt vmcnt(3)
	buffer_store_dword v68, v0, s[0:3], 0 offen
.LBB95_222:
	s_or_b64 exec, exec, s[4:5]
	v_pk_mov_b32 v[0:1], s[10:11], s[10:11] op_sel:[0,1]
	flat_load_dword v0, v[0:1] offset:76
	s_waitcnt vmcnt(0) lgkmcnt(0)
	v_add_u32_e32 v0, -1, v0
	v_cmp_ne_u32_e32 vcc, 19, v0
	s_and_saveexec_b64 s[4:5], vcc
	s_cbranch_execz .LBB95_224
; %bb.223:
	v_mov_b32_e32 v1, 0
	v_lshl_add_u32 v0, v0, 3, v1
	buffer_load_dword v1, v0, s[0:3], 0 offen
	buffer_load_dword v66, v0, s[0:3], 0 offen offset:4
	buffer_load_dword v67, off, s[0:3], 0 offset:152
	buffer_load_dword v68, off, s[0:3], 0 offset:156
	s_waitcnt vmcnt(3)
	buffer_store_dword v1, off, s[0:3], 0 offset:152
	s_waitcnt vmcnt(3)
	buffer_store_dword v66, off, s[0:3], 0 offset:156
	s_waitcnt vmcnt(3)
	buffer_store_dword v67, v0, s[0:3], 0 offen
	s_waitcnt vmcnt(3)
	buffer_store_dword v68, v0, s[0:3], 0 offen offset:4
.LBB95_224:
	s_or_b64 exec, exec, s[4:5]
	v_pk_mov_b32 v[0:1], s[10:11], s[10:11] op_sel:[0,1]
	flat_load_dword v0, v[0:1] offset:72
	s_waitcnt vmcnt(0) lgkmcnt(0)
	v_add_u32_e32 v0, -1, v0
	v_cmp_ne_u32_e32 vcc, 18, v0
	s_and_saveexec_b64 s[4:5], vcc
	s_cbranch_execz .LBB95_226
; %bb.225:
	v_mov_b32_e32 v1, 0
	v_lshl_add_u32 v0, v0, 3, v1
	buffer_load_dword v1, v0, s[0:3], 0 offen
	buffer_load_dword v66, v0, s[0:3], 0 offen offset:4
	buffer_load_dword v67, off, s[0:3], 0 offset:148
	buffer_load_dword v68, off, s[0:3], 0 offset:144
	s_waitcnt vmcnt(3)
	buffer_store_dword v1, off, s[0:3], 0 offset:144
	s_waitcnt vmcnt(3)
	buffer_store_dword v66, off, s[0:3], 0 offset:148
	s_waitcnt vmcnt(3)
	buffer_store_dword v67, v0, s[0:3], 0 offen offset:4
	s_waitcnt vmcnt(3)
	buffer_store_dword v68, v0, s[0:3], 0 offen
.LBB95_226:
	s_or_b64 exec, exec, s[4:5]
	v_pk_mov_b32 v[0:1], s[10:11], s[10:11] op_sel:[0,1]
	flat_load_dword v0, v[0:1] offset:68
	s_waitcnt vmcnt(0) lgkmcnt(0)
	v_add_u32_e32 v0, -1, v0
	v_cmp_ne_u32_e32 vcc, 17, v0
	s_and_saveexec_b64 s[4:5], vcc
	s_cbranch_execz .LBB95_228
; %bb.227:
	v_mov_b32_e32 v1, 0
	v_lshl_add_u32 v0, v0, 3, v1
	buffer_load_dword v1, v0, s[0:3], 0 offen
	buffer_load_dword v66, v0, s[0:3], 0 offen offset:4
	buffer_load_dword v67, off, s[0:3], 0 offset:136
	buffer_load_dword v68, off, s[0:3], 0 offset:140
	s_waitcnt vmcnt(3)
	buffer_store_dword v1, off, s[0:3], 0 offset:136
	s_waitcnt vmcnt(3)
	buffer_store_dword v66, off, s[0:3], 0 offset:140
	s_waitcnt vmcnt(3)
	buffer_store_dword v67, v0, s[0:3], 0 offen
	s_waitcnt vmcnt(3)
	buffer_store_dword v68, v0, s[0:3], 0 offen offset:4
.LBB95_228:
	s_or_b64 exec, exec, s[4:5]
	v_pk_mov_b32 v[0:1], s[10:11], s[10:11] op_sel:[0,1]
	flat_load_dword v0, v[0:1] offset:64
	s_waitcnt vmcnt(0) lgkmcnt(0)
	v_add_u32_e32 v0, -1, v0
	v_cmp_ne_u32_e32 vcc, 16, v0
	s_and_saveexec_b64 s[4:5], vcc
	s_cbranch_execz .LBB95_230
; %bb.229:
	v_mov_b32_e32 v1, 0
	v_lshl_add_u32 v0, v0, 3, v1
	buffer_load_dword v1, v0, s[0:3], 0 offen
	buffer_load_dword v66, v0, s[0:3], 0 offen offset:4
	buffer_load_dword v67, off, s[0:3], 0 offset:132
	buffer_load_dword v68, off, s[0:3], 0 offset:128
	s_waitcnt vmcnt(3)
	buffer_store_dword v1, off, s[0:3], 0 offset:128
	s_waitcnt vmcnt(3)
	buffer_store_dword v66, off, s[0:3], 0 offset:132
	s_waitcnt vmcnt(3)
	buffer_store_dword v67, v0, s[0:3], 0 offen offset:4
	s_waitcnt vmcnt(3)
	buffer_store_dword v68, v0, s[0:3], 0 offen
.LBB95_230:
	s_or_b64 exec, exec, s[4:5]
	v_pk_mov_b32 v[0:1], s[10:11], s[10:11] op_sel:[0,1]
	flat_load_dword v0, v[0:1] offset:60
	s_waitcnt vmcnt(0) lgkmcnt(0)
	v_add_u32_e32 v0, -1, v0
	v_cmp_ne_u32_e32 vcc, 15, v0
	s_and_saveexec_b64 s[4:5], vcc
	s_cbranch_execz .LBB95_232
; %bb.231:
	v_mov_b32_e32 v1, 0
	v_lshl_add_u32 v0, v0, 3, v1
	buffer_load_dword v1, v0, s[0:3], 0 offen
	buffer_load_dword v66, v0, s[0:3], 0 offen offset:4
	buffer_load_dword v67, off, s[0:3], 0 offset:120
	buffer_load_dword v68, off, s[0:3], 0 offset:124
	s_waitcnt vmcnt(3)
	buffer_store_dword v1, off, s[0:3], 0 offset:120
	s_waitcnt vmcnt(3)
	buffer_store_dword v66, off, s[0:3], 0 offset:124
	s_waitcnt vmcnt(3)
	buffer_store_dword v67, v0, s[0:3], 0 offen
	s_waitcnt vmcnt(3)
	buffer_store_dword v68, v0, s[0:3], 0 offen offset:4
.LBB95_232:
	s_or_b64 exec, exec, s[4:5]
	v_pk_mov_b32 v[0:1], s[10:11], s[10:11] op_sel:[0,1]
	flat_load_dword v0, v[0:1] offset:56
	s_waitcnt vmcnt(0) lgkmcnt(0)
	v_add_u32_e32 v0, -1, v0
	v_cmp_ne_u32_e32 vcc, 14, v0
	s_and_saveexec_b64 s[4:5], vcc
	s_cbranch_execz .LBB95_234
; %bb.233:
	v_mov_b32_e32 v1, 0
	v_lshl_add_u32 v0, v0, 3, v1
	buffer_load_dword v1, v0, s[0:3], 0 offen
	buffer_load_dword v66, v0, s[0:3], 0 offen offset:4
	buffer_load_dword v67, off, s[0:3], 0 offset:116
	buffer_load_dword v68, off, s[0:3], 0 offset:112
	s_waitcnt vmcnt(3)
	buffer_store_dword v1, off, s[0:3], 0 offset:112
	s_waitcnt vmcnt(3)
	buffer_store_dword v66, off, s[0:3], 0 offset:116
	s_waitcnt vmcnt(3)
	buffer_store_dword v67, v0, s[0:3], 0 offen offset:4
	s_waitcnt vmcnt(3)
	buffer_store_dword v68, v0, s[0:3], 0 offen
.LBB95_234:
	s_or_b64 exec, exec, s[4:5]
	v_pk_mov_b32 v[0:1], s[10:11], s[10:11] op_sel:[0,1]
	flat_load_dword v0, v[0:1] offset:52
	s_waitcnt vmcnt(0) lgkmcnt(0)
	v_add_u32_e32 v0, -1, v0
	v_cmp_ne_u32_e32 vcc, 13, v0
	s_and_saveexec_b64 s[4:5], vcc
	s_cbranch_execz .LBB95_236
; %bb.235:
	v_mov_b32_e32 v1, 0
	v_lshl_add_u32 v0, v0, 3, v1
	buffer_load_dword v1, v0, s[0:3], 0 offen
	buffer_load_dword v66, v0, s[0:3], 0 offen offset:4
	buffer_load_dword v67, off, s[0:3], 0 offset:104
	buffer_load_dword v68, off, s[0:3], 0 offset:108
	s_waitcnt vmcnt(3)
	buffer_store_dword v1, off, s[0:3], 0 offset:104
	s_waitcnt vmcnt(3)
	buffer_store_dword v66, off, s[0:3], 0 offset:108
	s_waitcnt vmcnt(3)
	buffer_store_dword v67, v0, s[0:3], 0 offen
	s_waitcnt vmcnt(3)
	buffer_store_dword v68, v0, s[0:3], 0 offen offset:4
.LBB95_236:
	s_or_b64 exec, exec, s[4:5]
	v_pk_mov_b32 v[0:1], s[10:11], s[10:11] op_sel:[0,1]
	flat_load_dword v0, v[0:1] offset:48
	s_waitcnt vmcnt(0) lgkmcnt(0)
	v_add_u32_e32 v0, -1, v0
	v_cmp_ne_u32_e32 vcc, 12, v0
	s_and_saveexec_b64 s[4:5], vcc
	s_cbranch_execz .LBB95_238
; %bb.237:
	v_mov_b32_e32 v1, 0
	v_lshl_add_u32 v0, v0, 3, v1
	buffer_load_dword v1, v0, s[0:3], 0 offen
	buffer_load_dword v66, v0, s[0:3], 0 offen offset:4
	buffer_load_dword v67, off, s[0:3], 0 offset:100
	buffer_load_dword v68, off, s[0:3], 0 offset:96
	s_waitcnt vmcnt(3)
	buffer_store_dword v1, off, s[0:3], 0 offset:96
	s_waitcnt vmcnt(3)
	buffer_store_dword v66, off, s[0:3], 0 offset:100
	s_waitcnt vmcnt(3)
	buffer_store_dword v67, v0, s[0:3], 0 offen offset:4
	s_waitcnt vmcnt(3)
	buffer_store_dword v68, v0, s[0:3], 0 offen
.LBB95_238:
	s_or_b64 exec, exec, s[4:5]
	v_pk_mov_b32 v[0:1], s[10:11], s[10:11] op_sel:[0,1]
	flat_load_dword v0, v[0:1] offset:44
	s_waitcnt vmcnt(0) lgkmcnt(0)
	v_add_u32_e32 v0, -1, v0
	v_cmp_ne_u32_e32 vcc, 11, v0
	s_and_saveexec_b64 s[4:5], vcc
	s_cbranch_execz .LBB95_240
; %bb.239:
	v_mov_b32_e32 v1, 0
	v_lshl_add_u32 v0, v0, 3, v1
	buffer_load_dword v1, v0, s[0:3], 0 offen
	buffer_load_dword v66, v0, s[0:3], 0 offen offset:4
	buffer_load_dword v67, off, s[0:3], 0 offset:88
	buffer_load_dword v68, off, s[0:3], 0 offset:92
	s_waitcnt vmcnt(3)
	buffer_store_dword v1, off, s[0:3], 0 offset:88
	s_waitcnt vmcnt(3)
	buffer_store_dword v66, off, s[0:3], 0 offset:92
	s_waitcnt vmcnt(3)
	buffer_store_dword v67, v0, s[0:3], 0 offen
	s_waitcnt vmcnt(3)
	buffer_store_dword v68, v0, s[0:3], 0 offen offset:4
.LBB95_240:
	s_or_b64 exec, exec, s[4:5]
	v_pk_mov_b32 v[0:1], s[10:11], s[10:11] op_sel:[0,1]
	flat_load_dword v0, v[0:1] offset:40
	s_waitcnt vmcnt(0) lgkmcnt(0)
	v_add_u32_e32 v0, -1, v0
	v_cmp_ne_u32_e32 vcc, 10, v0
	s_and_saveexec_b64 s[4:5], vcc
	s_cbranch_execz .LBB95_242
; %bb.241:
	v_mov_b32_e32 v1, 0
	v_lshl_add_u32 v0, v0, 3, v1
	buffer_load_dword v1, v0, s[0:3], 0 offen
	buffer_load_dword v66, v0, s[0:3], 0 offen offset:4
	buffer_load_dword v67, off, s[0:3], 0 offset:84
	buffer_load_dword v68, off, s[0:3], 0 offset:80
	s_waitcnt vmcnt(3)
	buffer_store_dword v1, off, s[0:3], 0 offset:80
	s_waitcnt vmcnt(3)
	buffer_store_dword v66, off, s[0:3], 0 offset:84
	s_waitcnt vmcnt(3)
	buffer_store_dword v67, v0, s[0:3], 0 offen offset:4
	s_waitcnt vmcnt(3)
	buffer_store_dword v68, v0, s[0:3], 0 offen
.LBB95_242:
	s_or_b64 exec, exec, s[4:5]
	v_pk_mov_b32 v[0:1], s[10:11], s[10:11] op_sel:[0,1]
	flat_load_dword v0, v[0:1] offset:36
	s_waitcnt vmcnt(0) lgkmcnt(0)
	v_add_u32_e32 v0, -1, v0
	v_cmp_ne_u32_e32 vcc, 9, v0
	s_and_saveexec_b64 s[4:5], vcc
	s_cbranch_execz .LBB95_244
; %bb.243:
	v_mov_b32_e32 v1, 0
	v_lshl_add_u32 v0, v0, 3, v1
	buffer_load_dword v1, v0, s[0:3], 0 offen
	buffer_load_dword v66, v0, s[0:3], 0 offen offset:4
	buffer_load_dword v67, off, s[0:3], 0 offset:72
	buffer_load_dword v68, off, s[0:3], 0 offset:76
	s_waitcnt vmcnt(3)
	buffer_store_dword v1, off, s[0:3], 0 offset:72
	s_waitcnt vmcnt(3)
	buffer_store_dword v66, off, s[0:3], 0 offset:76
	s_waitcnt vmcnt(3)
	buffer_store_dword v67, v0, s[0:3], 0 offen
	s_waitcnt vmcnt(3)
	buffer_store_dword v68, v0, s[0:3], 0 offen offset:4
.LBB95_244:
	s_or_b64 exec, exec, s[4:5]
	v_pk_mov_b32 v[0:1], s[10:11], s[10:11] op_sel:[0,1]
	flat_load_dword v0, v[0:1] offset:32
	s_waitcnt vmcnt(0) lgkmcnt(0)
	v_add_u32_e32 v0, -1, v0
	v_cmp_ne_u32_e32 vcc, 8, v0
	s_and_saveexec_b64 s[4:5], vcc
	s_cbranch_execz .LBB95_246
; %bb.245:
	v_mov_b32_e32 v1, 0
	v_lshl_add_u32 v0, v0, 3, v1
	buffer_load_dword v1, v0, s[0:3], 0 offen
	buffer_load_dword v66, v0, s[0:3], 0 offen offset:4
	buffer_load_dword v67, off, s[0:3], 0 offset:68
	buffer_load_dword v68, off, s[0:3], 0 offset:64
	s_waitcnt vmcnt(3)
	buffer_store_dword v1, off, s[0:3], 0 offset:64
	s_waitcnt vmcnt(3)
	buffer_store_dword v66, off, s[0:3], 0 offset:68
	s_waitcnt vmcnt(3)
	buffer_store_dword v67, v0, s[0:3], 0 offen offset:4
	s_waitcnt vmcnt(3)
	buffer_store_dword v68, v0, s[0:3], 0 offen
.LBB95_246:
	s_or_b64 exec, exec, s[4:5]
	v_pk_mov_b32 v[0:1], s[10:11], s[10:11] op_sel:[0,1]
	flat_load_dword v0, v[0:1] offset:28
	s_waitcnt vmcnt(0) lgkmcnt(0)
	v_add_u32_e32 v0, -1, v0
	v_cmp_ne_u32_e32 vcc, 7, v0
	s_and_saveexec_b64 s[4:5], vcc
	s_cbranch_execz .LBB95_248
; %bb.247:
	v_mov_b32_e32 v1, 0
	v_lshl_add_u32 v0, v0, 3, v1
	buffer_load_dword v1, v0, s[0:3], 0 offen
	buffer_load_dword v66, v0, s[0:3], 0 offen offset:4
	buffer_load_dword v67, off, s[0:3], 0 offset:56
	buffer_load_dword v68, off, s[0:3], 0 offset:60
	s_waitcnt vmcnt(3)
	buffer_store_dword v1, off, s[0:3], 0 offset:56
	s_waitcnt vmcnt(3)
	buffer_store_dword v66, off, s[0:3], 0 offset:60
	s_waitcnt vmcnt(3)
	buffer_store_dword v67, v0, s[0:3], 0 offen
	s_waitcnt vmcnt(3)
	buffer_store_dword v68, v0, s[0:3], 0 offen offset:4
.LBB95_248:
	s_or_b64 exec, exec, s[4:5]
	v_pk_mov_b32 v[0:1], s[10:11], s[10:11] op_sel:[0,1]
	flat_load_dword v0, v[0:1] offset:24
	s_waitcnt vmcnt(0) lgkmcnt(0)
	v_add_u32_e32 v0, -1, v0
	v_cmp_ne_u32_e32 vcc, 6, v0
	s_and_saveexec_b64 s[4:5], vcc
	s_cbranch_execz .LBB95_250
; %bb.249:
	v_mov_b32_e32 v1, 0
	v_lshl_add_u32 v0, v0, 3, v1
	buffer_load_dword v1, v0, s[0:3], 0 offen
	buffer_load_dword v66, v0, s[0:3], 0 offen offset:4
	buffer_load_dword v67, off, s[0:3], 0 offset:52
	buffer_load_dword v68, off, s[0:3], 0 offset:48
	s_waitcnt vmcnt(3)
	buffer_store_dword v1, off, s[0:3], 0 offset:48
	s_waitcnt vmcnt(3)
	buffer_store_dword v66, off, s[0:3], 0 offset:52
	s_waitcnt vmcnt(3)
	buffer_store_dword v67, v0, s[0:3], 0 offen offset:4
	s_waitcnt vmcnt(3)
	buffer_store_dword v68, v0, s[0:3], 0 offen
.LBB95_250:
	s_or_b64 exec, exec, s[4:5]
	v_pk_mov_b32 v[0:1], s[10:11], s[10:11] op_sel:[0,1]
	flat_load_dword v0, v[0:1] offset:20
	s_waitcnt vmcnt(0) lgkmcnt(0)
	v_add_u32_e32 v0, -1, v0
	v_cmp_ne_u32_e32 vcc, 5, v0
	s_and_saveexec_b64 s[4:5], vcc
	s_cbranch_execz .LBB95_252
; %bb.251:
	v_mov_b32_e32 v1, 0
	v_lshl_add_u32 v0, v0, 3, v1
	buffer_load_dword v1, v0, s[0:3], 0 offen
	buffer_load_dword v66, v0, s[0:3], 0 offen offset:4
	buffer_load_dword v67, off, s[0:3], 0 offset:40
	buffer_load_dword v68, off, s[0:3], 0 offset:44
	s_waitcnt vmcnt(3)
	buffer_store_dword v1, off, s[0:3], 0 offset:40
	s_waitcnt vmcnt(3)
	buffer_store_dword v66, off, s[0:3], 0 offset:44
	s_waitcnt vmcnt(3)
	buffer_store_dword v67, v0, s[0:3], 0 offen
	s_waitcnt vmcnt(3)
	buffer_store_dword v68, v0, s[0:3], 0 offen offset:4
.LBB95_252:
	s_or_b64 exec, exec, s[4:5]
	v_pk_mov_b32 v[0:1], s[10:11], s[10:11] op_sel:[0,1]
	flat_load_dword v0, v[0:1] offset:16
	s_waitcnt vmcnt(0) lgkmcnt(0)
	v_add_u32_e32 v0, -1, v0
	v_cmp_ne_u32_e32 vcc, 4, v0
	s_and_saveexec_b64 s[4:5], vcc
	s_cbranch_execz .LBB95_254
; %bb.253:
	v_mov_b32_e32 v1, 0
	v_lshl_add_u32 v0, v0, 3, v1
	buffer_load_dword v1, v0, s[0:3], 0 offen
	buffer_load_dword v66, v0, s[0:3], 0 offen offset:4
	buffer_load_dword v67, off, s[0:3], 0 offset:36
	buffer_load_dword v68, off, s[0:3], 0 offset:32
	s_waitcnt vmcnt(3)
	buffer_store_dword v1, off, s[0:3], 0 offset:32
	s_waitcnt vmcnt(3)
	buffer_store_dword v66, off, s[0:3], 0 offset:36
	s_waitcnt vmcnt(3)
	buffer_store_dword v67, v0, s[0:3], 0 offen offset:4
	s_waitcnt vmcnt(3)
	buffer_store_dword v68, v0, s[0:3], 0 offen
.LBB95_254:
	s_or_b64 exec, exec, s[4:5]
	v_pk_mov_b32 v[0:1], s[10:11], s[10:11] op_sel:[0,1]
	flat_load_dword v0, v[0:1] offset:12
	s_waitcnt vmcnt(0) lgkmcnt(0)
	v_add_u32_e32 v0, -1, v0
	v_cmp_ne_u32_e32 vcc, 3, v0
	s_and_saveexec_b64 s[4:5], vcc
	s_cbranch_execz .LBB95_256
; %bb.255:
	v_mov_b32_e32 v1, 0
	v_lshl_add_u32 v0, v0, 3, v1
	buffer_load_dword v1, v0, s[0:3], 0 offen
	buffer_load_dword v66, v0, s[0:3], 0 offen offset:4
	buffer_load_dword v67, off, s[0:3], 0 offset:24
	buffer_load_dword v68, off, s[0:3], 0 offset:28
	s_waitcnt vmcnt(3)
	buffer_store_dword v1, off, s[0:3], 0 offset:24
	s_waitcnt vmcnt(3)
	buffer_store_dword v66, off, s[0:3], 0 offset:28
	s_waitcnt vmcnt(3)
	buffer_store_dword v67, v0, s[0:3], 0 offen
	s_waitcnt vmcnt(3)
	buffer_store_dword v68, v0, s[0:3], 0 offen offset:4
.LBB95_256:
	s_or_b64 exec, exec, s[4:5]
	v_pk_mov_b32 v[0:1], s[10:11], s[10:11] op_sel:[0,1]
	flat_load_dword v0, v[0:1] offset:8
	s_waitcnt vmcnt(0) lgkmcnt(0)
	v_add_u32_e32 v0, -1, v0
	v_cmp_ne_u32_e32 vcc, 2, v0
	s_and_saveexec_b64 s[4:5], vcc
	s_cbranch_execz .LBB95_258
; %bb.257:
	v_mov_b32_e32 v1, 0
	v_lshl_add_u32 v0, v0, 3, v1
	buffer_load_dword v1, v0, s[0:3], 0 offen
	buffer_load_dword v66, v0, s[0:3], 0 offen offset:4
	buffer_load_dword v67, off, s[0:3], 0 offset:20
	buffer_load_dword v68, off, s[0:3], 0 offset:16
	s_waitcnt vmcnt(3)
	buffer_store_dword v1, off, s[0:3], 0 offset:16
	s_waitcnt vmcnt(3)
	buffer_store_dword v66, off, s[0:3], 0 offset:20
	s_waitcnt vmcnt(3)
	buffer_store_dword v67, v0, s[0:3], 0 offen offset:4
	s_waitcnt vmcnt(3)
	buffer_store_dword v68, v0, s[0:3], 0 offen
.LBB95_258:
	s_or_b64 exec, exec, s[4:5]
	v_pk_mov_b32 v[0:1], s[10:11], s[10:11] op_sel:[0,1]
	flat_load_dword v0, v[0:1] offset:4
	s_waitcnt vmcnt(0) lgkmcnt(0)
	v_add_u32_e32 v0, -1, v0
	v_cmp_ne_u32_e32 vcc, 1, v0
	s_and_saveexec_b64 s[4:5], vcc
	s_cbranch_execz .LBB95_260
; %bb.259:
	v_mov_b32_e32 v1, 0
	v_lshl_add_u32 v0, v0, 3, v1
	buffer_load_dword v1, v0, s[0:3], 0 offen
	buffer_load_dword v66, v0, s[0:3], 0 offen offset:4
	buffer_load_dword v67, off, s[0:3], 0 offset:8
	buffer_load_dword v68, off, s[0:3], 0 offset:12
	s_waitcnt vmcnt(3)
	buffer_store_dword v1, off, s[0:3], 0 offset:8
	s_waitcnt vmcnt(3)
	buffer_store_dword v66, off, s[0:3], 0 offset:12
	s_waitcnt vmcnt(3)
	buffer_store_dword v67, v0, s[0:3], 0 offen
	s_waitcnt vmcnt(3)
	buffer_store_dword v68, v0, s[0:3], 0 offen offset:4
.LBB95_260:
	s_or_b64 exec, exec, s[4:5]
	v_pk_mov_b32 v[0:1], s[10:11], s[10:11] op_sel:[0,1]
	flat_load_dword v66, v[0:1]
	s_nop 0
	buffer_load_dword v0, off, s[0:3], 0
	buffer_load_dword v1, off, s[0:3], 0 offset:4
	s_waitcnt vmcnt(0) lgkmcnt(0)
	v_add_u32_e32 v66, -1, v66
	v_cmp_ne_u32_e32 vcc, 0, v66
	s_and_saveexec_b64 s[4:5], vcc
	s_cbranch_execz .LBB95_262
; %bb.261:
	v_mov_b32_e32 v67, 0
	v_lshl_add_u32 v66, v66, 3, v67
	buffer_load_dword v67, v66, s[0:3], 0 offen offset:4
	buffer_load_dword v68, v66, s[0:3], 0 offen
	s_waitcnt vmcnt(1)
	buffer_store_dword v67, off, s[0:3], 0 offset:4
	s_waitcnt vmcnt(1)
	buffer_store_dword v68, off, s[0:3], 0
	buffer_store_dword v1, v66, s[0:3], 0 offen offset:4
	buffer_store_dword v0, v66, s[0:3], 0 offen
	buffer_load_dword v0, off, s[0:3], 0
	s_nop 0
	buffer_load_dword v1, off, s[0:3], 0 offset:4
.LBB95_262:
	s_or_b64 exec, exec, s[4:5]
.LBB95_263:
	buffer_load_dword v66, off, s[0:3], 0 offset:8
	buffer_load_dword v67, off, s[0:3], 0 offset:12
	;; [unrolled: 1-line block ×62, first 2 shown]
	s_waitcnt vmcnt(62)
	global_store_dwordx2 v[54:55], v[0:1], off
	s_waitcnt vmcnt(61)
	global_store_dwordx2 v[58:59], v[66:67], off
	;; [unrolled: 2-line block ×32, first 2 shown]
	s_endpgm
	.section	.rodata,"a",@progbits
	.p2align	6, 0x0
	.amdhsa_kernel _ZN9rocsolver6v33100L18getri_kernel_smallILi32EdPKPdEEvT1_iilPiilS6_bb
		.amdhsa_group_segment_fixed_size 520
		.amdhsa_private_segment_fixed_size 272
		.amdhsa_kernarg_size 60
		.amdhsa_user_sgpr_count 8
		.amdhsa_user_sgpr_private_segment_buffer 1
		.amdhsa_user_sgpr_dispatch_ptr 0
		.amdhsa_user_sgpr_queue_ptr 0
		.amdhsa_user_sgpr_kernarg_segment_ptr 1
		.amdhsa_user_sgpr_dispatch_id 0
		.amdhsa_user_sgpr_flat_scratch_init 1
		.amdhsa_user_sgpr_kernarg_preload_length 0
		.amdhsa_user_sgpr_kernarg_preload_offset 0
		.amdhsa_user_sgpr_private_segment_size 0
		.amdhsa_uses_dynamic_stack 0
		.amdhsa_system_sgpr_private_segment_wavefront_offset 1
		.amdhsa_system_sgpr_workgroup_id_x 1
		.amdhsa_system_sgpr_workgroup_id_y 0
		.amdhsa_system_sgpr_workgroup_id_z 0
		.amdhsa_system_sgpr_workgroup_info 0
		.amdhsa_system_vgpr_workitem_id 0
		.amdhsa_next_free_vgpr 128
		.amdhsa_next_free_sgpr 22
		.amdhsa_accum_offset 128
		.amdhsa_reserve_vcc 1
		.amdhsa_reserve_flat_scratch 1
		.amdhsa_float_round_mode_32 0
		.amdhsa_float_round_mode_16_64 0
		.amdhsa_float_denorm_mode_32 3
		.amdhsa_float_denorm_mode_16_64 3
		.amdhsa_dx10_clamp 1
		.amdhsa_ieee_mode 1
		.amdhsa_fp16_overflow 0
		.amdhsa_tg_split 0
		.amdhsa_exception_fp_ieee_invalid_op 0
		.amdhsa_exception_fp_denorm_src 0
		.amdhsa_exception_fp_ieee_div_zero 0
		.amdhsa_exception_fp_ieee_overflow 0
		.amdhsa_exception_fp_ieee_underflow 0
		.amdhsa_exception_fp_ieee_inexact 0
		.amdhsa_exception_int_div_zero 0
	.end_amdhsa_kernel
	.section	.text._ZN9rocsolver6v33100L18getri_kernel_smallILi32EdPKPdEEvT1_iilPiilS6_bb,"axG",@progbits,_ZN9rocsolver6v33100L18getri_kernel_smallILi32EdPKPdEEvT1_iilPiilS6_bb,comdat
.Lfunc_end95:
	.size	_ZN9rocsolver6v33100L18getri_kernel_smallILi32EdPKPdEEvT1_iilPiilS6_bb, .Lfunc_end95-_ZN9rocsolver6v33100L18getri_kernel_smallILi32EdPKPdEEvT1_iilPiilS6_bb
                                        ; -- End function
	.section	.AMDGPU.csdata,"",@progbits
; Kernel info:
; codeLenInByte = 30680
; NumSgprs: 28
; NumVgprs: 128
; NumAgprs: 0
; TotalNumVgprs: 128
; ScratchSize: 272
; MemoryBound: 0
; FloatMode: 240
; IeeeMode: 1
; LDSByteSize: 520 bytes/workgroup (compile time only)
; SGPRBlocks: 3
; VGPRBlocks: 15
; NumSGPRsForWavesPerEU: 28
; NumVGPRsForWavesPerEU: 128
; AccumOffset: 128
; Occupancy: 4
; WaveLimiterHint : 1
; COMPUTE_PGM_RSRC2:SCRATCH_EN: 1
; COMPUTE_PGM_RSRC2:USER_SGPR: 8
; COMPUTE_PGM_RSRC2:TRAP_HANDLER: 0
; COMPUTE_PGM_RSRC2:TGID_X_EN: 1
; COMPUTE_PGM_RSRC2:TGID_Y_EN: 0
; COMPUTE_PGM_RSRC2:TGID_Z_EN: 0
; COMPUTE_PGM_RSRC2:TIDIG_COMP_CNT: 0
; COMPUTE_PGM_RSRC3_GFX90A:ACCUM_OFFSET: 31
; COMPUTE_PGM_RSRC3_GFX90A:TG_SPLIT: 0
	.section	.text._ZN9rocsolver6v33100L18getri_kernel_smallILi33EdPKPdEEvT1_iilPiilS6_bb,"axG",@progbits,_ZN9rocsolver6v33100L18getri_kernel_smallILi33EdPKPdEEvT1_iilPiilS6_bb,comdat
	.globl	_ZN9rocsolver6v33100L18getri_kernel_smallILi33EdPKPdEEvT1_iilPiilS6_bb ; -- Begin function _ZN9rocsolver6v33100L18getri_kernel_smallILi33EdPKPdEEvT1_iilPiilS6_bb
	.p2align	8
	.type	_ZN9rocsolver6v33100L18getri_kernel_smallILi33EdPKPdEEvT1_iilPiilS6_bb,@function
_ZN9rocsolver6v33100L18getri_kernel_smallILi33EdPKPdEEvT1_iilPiilS6_bb: ; @_ZN9rocsolver6v33100L18getri_kernel_smallILi33EdPKPdEEvT1_iilPiilS6_bb
; %bb.0:
	s_add_u32 flat_scratch_lo, s6, s9
	s_addc_u32 flat_scratch_hi, s7, 0
	s_add_u32 s0, s0, s9
	s_addc_u32 s1, s1, 0
	v_cmp_gt_u32_e32 vcc, 33, v0
	s_and_saveexec_b64 s[6:7], vcc
	s_cbranch_execz .LBB96_140
; %bb.1:
	s_load_dword s20, s[4:5], 0x38
	s_load_dwordx2 s[6:7], s[4:5], 0x0
	s_load_dwordx4 s[12:15], s[4:5], 0x28
	s_waitcnt lgkmcnt(0)
	s_bitcmp1_b32 s20, 8
	s_cselect_b64 s[16:17], -1, 0
	s_ashr_i32 s9, s8, 31
	s_lshl_b64 s[10:11], s[8:9], 3
	s_add_u32 s6, s6, s10
	s_addc_u32 s7, s7, s11
	s_load_dwordx2 s[18:19], s[6:7], 0x0
	s_bfe_u32 s6, s20, 0x10008
	s_cmp_eq_u32 s6, 0
                                        ; implicit-def: $sgpr10_sgpr11
	s_cbranch_scc1 .LBB96_3
; %bb.2:
	s_load_dword s6, s[4:5], 0x20
	s_load_dwordx2 s[10:11], s[4:5], 0x18
	s_mul_i32 s7, s8, s13
	s_mul_hi_u32 s13, s8, s12
	s_add_i32 s13, s13, s7
	s_mul_i32 s21, s9, s12
	s_add_i32 s13, s13, s21
	s_mul_i32 s12, s8, s12
	s_waitcnt lgkmcnt(0)
	s_ashr_i32 s7, s6, 31
	s_lshl_b64 s[12:13], s[12:13], 2
	s_add_u32 s10, s10, s12
	s_addc_u32 s11, s11, s13
	s_lshl_b64 s[6:7], s[6:7], 2
	s_add_u32 s10, s10, s6
	s_addc_u32 s11, s11, s7
.LBB96_3:
	s_load_dwordx2 s[6:7], s[4:5], 0x8
	s_waitcnt lgkmcnt(0)
	s_ashr_i32 s5, s6, 31
	s_mov_b32 s4, s6
	s_lshl_b64 s[4:5], s[4:5], 3
	s_add_u32 s4, s18, s4
	s_addc_u32 s5, s19, s5
	s_add_i32 s6, s7, s7
	v_add_u32_e32 v4, s6, v0
	v_ashrrev_i32_e32 v5, 31, v4
	v_lshlrev_b64 v[2:3], 3, v[4:5]
	v_add_u32_e32 v6, s7, v4
	v_mov_b32_e32 v1, s5
	v_add_co_u32_e32 v2, vcc, s4, v2
	v_ashrrev_i32_e32 v7, 31, v6
	v_addc_co_u32_e32 v3, vcc, v1, v3, vcc
	v_lshlrev_b64 v[4:5], 3, v[6:7]
	v_add_u32_e32 v8, s7, v6
	v_add_co_u32_e32 v4, vcc, s4, v4
	v_ashrrev_i32_e32 v9, 31, v8
	v_addc_co_u32_e32 v5, vcc, v1, v5, vcc
	v_lshlrev_b64 v[6:7], 3, v[8:9]
	v_add_u32_e32 v10, s7, v8
	;; [unrolled: 5-line block ×5, first 2 shown]
	v_add_co_u32_e32 v12, vcc, s4, v12
	v_ashrrev_i32_e32 v15, 31, v14
	v_addc_co_u32_e32 v13, vcc, v1, v13, vcc
	v_lshlrev_b64 v[16:17], 3, v[14:15]
	v_add_co_u32_e32 v18, vcc, s4, v16
	v_add_u32_e32 v16, s7, v14
	v_addc_co_u32_e32 v19, vcc, v1, v17, vcc
	v_ashrrev_i32_e32 v17, 31, v16
	v_lshlrev_b64 v[14:15], 3, v[16:17]
	v_add_u32_e32 v20, s7, v16
	v_add_co_u32_e32 v14, vcc, s4, v14
	v_ashrrev_i32_e32 v21, 31, v20
	v_addc_co_u32_e32 v15, vcc, v1, v15, vcc
	v_lshlrev_b64 v[16:17], 3, v[20:21]
	v_add_u32_e32 v22, s7, v20
	v_add_co_u32_e32 v16, vcc, s4, v16
	v_ashrrev_i32_e32 v23, 31, v22
	v_addc_co_u32_e32 v17, vcc, v1, v17, vcc
	;; [unrolled: 5-line block ×16, first 2 shown]
	v_lshlrev_b64 v[48:49], 3, v[50:51]
	v_add_co_u32_e32 v48, vcc, s4, v48
	v_addc_co_u32_e32 v49, vcc, v1, v49, vcc
	v_lshlrev_b32_e32 v1, 3, v0
	v_add_u32_e32 v52, s7, v50
	global_load_dwordx2 v[68:69], v1, s[4:5]
	global_load_dwordx2 v[72:73], v[2:3], off
	global_load_dwordx2 v[74:75], v[4:5], off
	;; [unrolled: 1-line block ×3, first 2 shown]
	v_mov_b32_e32 v50, s5
	v_add_co_u32_e32 v66, vcc, s4, v1
	s_ashr_i32 s13, s7, 31
	s_mov_b32 s12, s7
	v_addc_co_u32_e32 v67, vcc, 0, v50, vcc
	s_lshl_b64 s[12:13], s[12:13], 3
	v_mov_b32_e32 v50, s13
	v_add_co_u32_e32 v64, vcc, s12, v66
	v_addc_co_u32_e32 v65, vcc, v67, v50, vcc
	global_load_dwordx2 v[70:71], v[64:65], off
	global_load_dwordx2 v[84:85], v[18:19], off
	v_ashrrev_i32_e32 v53, 31, v52
	v_lshlrev_b64 v[50:51], 3, v[52:53]
	v_add_u32_e32 v54, s7, v52
	v_mov_b32_e32 v53, s5
	v_add_co_u32_e32 v50, vcc, s4, v50
	v_ashrrev_i32_e32 v55, 31, v54
	v_addc_co_u32_e32 v51, vcc, v53, v51, vcc
	v_lshlrev_b64 v[52:53], 3, v[54:55]
	v_add_u32_e32 v56, s7, v54
	v_mov_b32_e32 v55, s5
	v_add_co_u32_e32 v52, vcc, s4, v52
	v_ashrrev_i32_e32 v57, 31, v56
	v_addc_co_u32_e32 v53, vcc, v55, v53, vcc
	;; [unrolled: 6-line block ×5, first 2 shown]
	v_lshlrev_b64 v[62:63], 3, v[60:61]
	v_mov_b32_e32 v96, s5
	v_add_co_u32_e32 v62, vcc, s4, v62
	global_load_dwordx2 v[78:79], v[8:9], off
	global_load_dwordx2 v[80:81], v[10:11], off
	;; [unrolled: 1-line block ×8, first 2 shown]
	v_addc_co_u32_e32 v63, vcc, v96, v63, vcc
	global_load_dwordx2 v[96:97], v[26:27], off
	global_load_dwordx2 v[98:99], v[28:29], off
	;; [unrolled: 1-line block ×8, first 2 shown]
	v_add_u32_e32 v60, s7, v60
	v_ashrrev_i32_e32 v61, 31, v60
	v_lshlrev_b64 v[60:61], 3, v[60:61]
	v_mov_b32_e32 v112, s5
	v_add_co_u32_e32 v60, vcc, s4, v60
	v_addc_co_u32_e32 v61, vcc, v112, v61, vcc
	global_load_dwordx2 v[112:113], v[42:43], off
	global_load_dwordx2 v[114:115], v[44:45], off
	global_load_dwordx2 v[116:117], v[48:49], off
	global_load_dwordx2 v[118:119], v[52:53], off
	global_load_dwordx2 v[120:121], v[56:57], off
	global_load_dwordx2 v[122:123], v[62:63], off
	s_bitcmp0_b32 s20, 0
	s_waitcnt vmcnt(27)
	buffer_store_dword v69, off, s[0:3], 0 offset:4
	buffer_store_dword v68, off, s[0:3], 0
	global_load_dwordx2 v[68:69], v[46:47], off
	s_mov_b64 s[6:7], -1
	s_waitcnt vmcnt(29)
	buffer_store_dword v73, off, s[0:3], 0 offset:20
	buffer_store_dword v72, off, s[0:3], 0 offset:16
	s_waitcnt vmcnt(28)
	buffer_store_dword v71, off, s[0:3], 0 offset:12
	buffer_store_dword v70, off, s[0:3], 0 offset:8
	global_load_dwordx2 v[70:71], v[50:51], off
	s_nop 0
	global_load_dwordx2 v[72:73], v[54:55], off
	s_nop 0
	buffer_store_dword v75, off, s[0:3], 0 offset:28
	buffer_store_dword v74, off, s[0:3], 0 offset:24
	global_load_dwordx2 v[74:75], v[58:59], off
	s_nop 0
	buffer_store_dword v77, off, s[0:3], 0 offset:36
	buffer_store_dword v76, off, s[0:3], 0 offset:32
	global_load_dwordx2 v[76:77], v[60:61], off
	s_waitcnt vmcnt(36)
	buffer_store_dword v79, off, s[0:3], 0 offset:44
	buffer_store_dword v78, off, s[0:3], 0 offset:40
	s_waitcnt vmcnt(37)
	buffer_store_dword v81, off, s[0:3], 0 offset:52
	buffer_store_dword v80, off, s[0:3], 0 offset:48
	;; [unrolled: 3-line block ×3, first 2 shown]
	buffer_store_dword v85, off, s[0:3], 0 offset:68
	buffer_store_dword v84, off, s[0:3], 0 offset:64
	s_waitcnt vmcnt(41)
	buffer_store_dword v86, off, s[0:3], 0 offset:72
	buffer_store_dword v87, off, s[0:3], 0 offset:76
	s_waitcnt vmcnt(42)
	;; [unrolled: 3-line block ×16, first 2 shown]
	buffer_store_dword v68, off, s[0:3], 0 offset:192
	buffer_store_dword v69, off, s[0:3], 0 offset:196
	buffer_store_dword v117, off, s[0:3], 0 offset:204
	buffer_store_dword v116, off, s[0:3], 0 offset:200
	s_waitcnt vmcnt(49)
	buffer_store_dword v71, off, s[0:3], 0 offset:212
	buffer_store_dword v70, off, s[0:3], 0 offset:208
	buffer_store_dword v118, off, s[0:3], 0 offset:216
	buffer_store_dword v119, off, s[0:3], 0 offset:220
	s_waitcnt vmcnt(52)
	;; [unrolled: 5-line block ×4, first 2 shown]
	buffer_store_dword v77, off, s[0:3], 0 offset:260
	buffer_store_dword v76, off, s[0:3], 0 offset:256
	s_cbranch_scc1 .LBB96_138
; %bb.4:
	v_cmp_eq_u32_e64 s[4:5], 0, v0
	s_and_saveexec_b64 s[6:7], s[4:5]
	s_cbranch_execz .LBB96_6
; %bb.5:
	v_mov_b32_e32 v68, 0
	ds_write_b32 v68, v68 offset:264
.LBB96_6:
	s_or_b64 exec, exec, s[6:7]
	v_mov_b32_e32 v68, 0
	v_lshl_add_u32 v68, v0, 3, v68
	s_waitcnt lgkmcnt(0)
	; wave barrier
	s_waitcnt lgkmcnt(0)
	buffer_load_dword v70, v68, s[0:3], 0 offen
	buffer_load_dword v71, v68, s[0:3], 0 offen offset:4
	s_waitcnt vmcnt(0)
	v_cmp_eq_f64_e32 vcc, 0, v[70:71]
	s_and_saveexec_b64 s[12:13], vcc
	s_cbranch_execz .LBB96_10
; %bb.7:
	v_mov_b32_e32 v69, 0
	ds_read_b32 v71, v69 offset:264
	v_add_u32_e32 v70, 1, v0
	s_waitcnt lgkmcnt(0)
	v_readfirstlane_b32 s6, v71
	s_cmp_eq_u32 s6, 0
	s_cselect_b64 s[18:19], -1, 0
	v_cmp_gt_i32_e32 vcc, s6, v70
	s_or_b64 s[18:19], s[18:19], vcc
	s_and_b64 exec, exec, s[18:19]
	s_cbranch_execz .LBB96_10
; %bb.8:
	s_mov_b64 s[18:19], 0
	v_mov_b32_e32 v71, s6
.LBB96_9:                               ; =>This Inner Loop Header: Depth=1
	ds_cmpst_rtn_b32 v71, v69, v71, v70 offset:264
	s_waitcnt lgkmcnt(0)
	v_cmp_ne_u32_e32 vcc, 0, v71
	v_cmp_le_i32_e64 s[6:7], v71, v70
	s_and_b64 s[6:7], vcc, s[6:7]
	s_and_b64 s[6:7], exec, s[6:7]
	s_or_b64 s[18:19], s[6:7], s[18:19]
	s_andn2_b64 exec, exec, s[18:19]
	s_cbranch_execnz .LBB96_9
.LBB96_10:
	s_or_b64 exec, exec, s[12:13]
	v_mov_b32_e32 v70, 0
	s_waitcnt lgkmcnt(0)
	; wave barrier
	ds_read_b32 v69, v70 offset:264
	s_and_saveexec_b64 s[6:7], s[4:5]
	s_cbranch_execz .LBB96_12
; %bb.11:
	s_lshl_b64 s[12:13], s[8:9], 2
	s_add_u32 s12, s14, s12
	s_addc_u32 s13, s15, s13
	s_waitcnt lgkmcnt(0)
	global_store_dword v70, v69, s[12:13]
.LBB96_12:
	s_or_b64 exec, exec, s[6:7]
	s_waitcnt lgkmcnt(0)
	v_cmp_ne_u32_e32 vcc, 0, v69
	s_mov_b64 s[6:7], 0
	s_cbranch_vccnz .LBB96_138
; %bb.13:
	buffer_load_dword v70, v68, s[0:3], 0 offen
	buffer_load_dword v71, v68, s[0:3], 0 offen offset:4
	s_waitcnt vmcnt(0)
	v_div_scale_f64 v[72:73], s[6:7], v[70:71], v[70:71], 1.0
	v_rcp_f64_e32 v[74:75], v[72:73]
	v_div_scale_f64 v[76:77], vcc, 1.0, v[70:71], 1.0
	v_fma_f64 v[78:79], -v[72:73], v[74:75], 1.0
	v_fmac_f64_e32 v[74:75], v[74:75], v[78:79]
	v_fma_f64 v[78:79], -v[72:73], v[74:75], 1.0
	v_fmac_f64_e32 v[74:75], v[74:75], v[78:79]
	v_mul_f64 v[78:79], v[76:77], v[74:75]
	v_fma_f64 v[72:73], -v[72:73], v[78:79], v[76:77]
	v_div_fmas_f64 v[72:73], v[72:73], v[74:75], v[78:79]
	v_div_fixup_f64 v[72:73], v[72:73], v[70:71], 1.0
	buffer_store_dword v73, v68, s[0:3], 0 offen offset:4
	buffer_store_dword v72, v68, s[0:3], 0 offen
	buffer_load_dword v75, off, s[0:3], 0 offset:12
	buffer_load_dword v74, off, s[0:3], 0 offset:8
	v_add_u32_e32 v70, 0x110, v1
	v_xor_b32_e32 v73, 0x80000000, v73
	s_waitcnt vmcnt(0)
	ds_write2_b64 v1, v[72:73], v[74:75] offset1:34
	s_waitcnt lgkmcnt(0)
	; wave barrier
	s_waitcnt lgkmcnt(0)
	s_and_saveexec_b64 s[6:7], s[4:5]
	s_cbranch_execz .LBB96_15
; %bb.14:
	buffer_load_dword v72, v68, s[0:3], 0 offen
	buffer_load_dword v73, v68, s[0:3], 0 offen offset:4
	v_mov_b32_e32 v69, 0
	ds_read_b64 v[74:75], v70
	ds_read_b64 v[76:77], v69 offset:8
	s_waitcnt vmcnt(0) lgkmcnt(1)
	v_fma_f64 v[72:73], v[72:73], v[74:75], 0
	s_waitcnt lgkmcnt(0)
	v_mul_f64 v[72:73], v[72:73], v[76:77]
	buffer_store_dword v72, off, s[0:3], 0 offset:8
	buffer_store_dword v73, off, s[0:3], 0 offset:12
.LBB96_15:
	s_or_b64 exec, exec, s[6:7]
	s_waitcnt lgkmcnt(0)
	; wave barrier
	buffer_load_dword v72, off, s[0:3], 0 offset:16
	buffer_load_dword v73, off, s[0:3], 0 offset:20
	v_cmp_gt_u32_e32 vcc, 2, v0
	s_waitcnt vmcnt(0)
	ds_write_b64 v70, v[72:73]
	s_waitcnt lgkmcnt(0)
	; wave barrier
	s_waitcnt lgkmcnt(0)
	s_and_saveexec_b64 s[6:7], vcc
	s_cbranch_execz .LBB96_17
; %bb.16:
	buffer_load_dword v69, v68, s[0:3], 0 offen offset:4
	buffer_load_dword v76, off, s[0:3], 0 offset:8
	s_nop 0
	buffer_load_dword v68, v68, s[0:3], 0 offen
	s_nop 0
	buffer_load_dword v77, off, s[0:3], 0 offset:12
	ds_read_b64 v[78:79], v70
	v_mov_b32_e32 v71, 0
	ds_read2_b64 v[72:75], v71 offset0:2 offset1:35
	s_waitcnt vmcnt(1) lgkmcnt(1)
	v_fma_f64 v[68:69], v[68:69], v[78:79], 0
	s_waitcnt vmcnt(0) lgkmcnt(0)
	v_fma_f64 v[74:75], v[76:77], v[74:75], v[68:69]
	v_cndmask_b32_e64 v69, v69, v75, s[4:5]
	v_cndmask_b32_e64 v68, v68, v74, s[4:5]
	v_mul_f64 v[68:69], v[68:69], v[72:73]
	buffer_store_dword v69, off, s[0:3], 0 offset:20
	buffer_store_dword v68, off, s[0:3], 0 offset:16
.LBB96_17:
	s_or_b64 exec, exec, s[6:7]
	s_waitcnt lgkmcnt(0)
	; wave barrier
	buffer_load_dword v68, off, s[0:3], 0 offset:24
	buffer_load_dword v69, off, s[0:3], 0 offset:28
	v_cmp_gt_u32_e32 vcc, 3, v0
	v_add_u32_e32 v71, -1, v0
	s_waitcnt vmcnt(0)
	ds_write_b64 v70, v[68:69]
	s_waitcnt lgkmcnt(0)
	; wave barrier
	s_waitcnt lgkmcnt(0)
	s_and_saveexec_b64 s[4:5], vcc
	s_cbranch_execz .LBB96_21
; %bb.18:
	v_add_u32_e32 v72, -1, v0
	v_add_u32_e32 v73, 0x110, v1
	v_add_u32_e32 v74, 0, v1
	s_mov_b64 s[6:7], 0
	v_pk_mov_b32 v[68:69], 0, 0
.LBB96_19:                              ; =>This Inner Loop Header: Depth=1
	buffer_load_dword v76, v74, s[0:3], 0 offen
	buffer_load_dword v77, v74, s[0:3], 0 offen offset:4
	ds_read_b64 v[78:79], v73
	v_add_u32_e32 v72, 1, v72
	v_cmp_lt_u32_e32 vcc, 1, v72
	v_add_u32_e32 v73, 8, v73
	v_add_u32_e32 v74, 8, v74
	s_or_b64 s[6:7], vcc, s[6:7]
	s_waitcnt vmcnt(0) lgkmcnt(0)
	v_fmac_f64_e32 v[68:69], v[76:77], v[78:79]
	s_andn2_b64 exec, exec, s[6:7]
	s_cbranch_execnz .LBB96_19
; %bb.20:
	s_or_b64 exec, exec, s[6:7]
	v_mov_b32_e32 v72, 0
	ds_read_b64 v[72:73], v72 offset:24
	s_waitcnt lgkmcnt(0)
	v_mul_f64 v[68:69], v[68:69], v[72:73]
	buffer_store_dword v69, off, s[0:3], 0 offset:28
	buffer_store_dword v68, off, s[0:3], 0 offset:24
.LBB96_21:
	s_or_b64 exec, exec, s[4:5]
	s_waitcnt lgkmcnt(0)
	; wave barrier
	buffer_load_dword v68, off, s[0:3], 0 offset:32
	buffer_load_dword v69, off, s[0:3], 0 offset:36
	v_cmp_gt_u32_e32 vcc, 4, v0
	s_waitcnt vmcnt(0)
	ds_write_b64 v70, v[68:69]
	s_waitcnt lgkmcnt(0)
	; wave barrier
	s_waitcnt lgkmcnt(0)
	s_and_saveexec_b64 s[4:5], vcc
	s_cbranch_execz .LBB96_25
; %bb.22:
	v_add_u32_e32 v72, -1, v0
	v_add_u32_e32 v73, 0x110, v1
	v_add_u32_e32 v74, 0, v1
	s_mov_b64 s[6:7], 0
	v_pk_mov_b32 v[68:69], 0, 0
.LBB96_23:                              ; =>This Inner Loop Header: Depth=1
	buffer_load_dword v76, v74, s[0:3], 0 offen
	buffer_load_dword v77, v74, s[0:3], 0 offen offset:4
	ds_read_b64 v[78:79], v73
	v_add_u32_e32 v72, 1, v72
	v_cmp_lt_u32_e32 vcc, 2, v72
	v_add_u32_e32 v73, 8, v73
	v_add_u32_e32 v74, 8, v74
	s_or_b64 s[6:7], vcc, s[6:7]
	s_waitcnt vmcnt(0) lgkmcnt(0)
	v_fmac_f64_e32 v[68:69], v[76:77], v[78:79]
	s_andn2_b64 exec, exec, s[6:7]
	s_cbranch_execnz .LBB96_23
; %bb.24:
	s_or_b64 exec, exec, s[6:7]
	v_mov_b32_e32 v72, 0
	ds_read_b64 v[72:73], v72 offset:32
	s_waitcnt lgkmcnt(0)
	v_mul_f64 v[68:69], v[68:69], v[72:73]
	buffer_store_dword v69, off, s[0:3], 0 offset:36
	buffer_store_dword v68, off, s[0:3], 0 offset:32
.LBB96_25:
	s_or_b64 exec, exec, s[4:5]
	s_waitcnt lgkmcnt(0)
	; wave barrier
	buffer_load_dword v68, off, s[0:3], 0 offset:40
	buffer_load_dword v69, off, s[0:3], 0 offset:44
	v_cmp_gt_u32_e32 vcc, 5, v0
	;; [unrolled: 41-line block ×21, first 2 shown]
	s_waitcnt vmcnt(0)
	ds_write_b64 v70, v[68:69]
	s_waitcnt lgkmcnt(0)
	; wave barrier
	s_waitcnt lgkmcnt(0)
	s_and_saveexec_b64 s[4:5], vcc
	s_cbranch_execz .LBB96_105
; %bb.102:
	v_add_u32_e32 v72, -1, v0
	v_add_u32_e32 v73, 0x110, v1
	v_add_u32_e32 v74, 0, v1
	s_mov_b64 s[6:7], 0
	v_pk_mov_b32 v[68:69], 0, 0
.LBB96_103:                             ; =>This Inner Loop Header: Depth=1
	buffer_load_dword v76, v74, s[0:3], 0 offen
	buffer_load_dword v77, v74, s[0:3], 0 offen offset:4
	ds_read_b64 v[78:79], v73
	v_add_u32_e32 v72, 1, v72
	v_cmp_lt_u32_e32 vcc, 22, v72
	v_add_u32_e32 v73, 8, v73
	v_add_u32_e32 v74, 8, v74
	s_or_b64 s[6:7], vcc, s[6:7]
	s_waitcnt vmcnt(0) lgkmcnt(0)
	v_fmac_f64_e32 v[68:69], v[76:77], v[78:79]
	s_andn2_b64 exec, exec, s[6:7]
	s_cbranch_execnz .LBB96_103
; %bb.104:
	s_or_b64 exec, exec, s[6:7]
	v_mov_b32_e32 v72, 0
	ds_read_b64 v[72:73], v72 offset:192
	s_waitcnt lgkmcnt(0)
	v_mul_f64 v[68:69], v[68:69], v[72:73]
	buffer_store_dword v69, off, s[0:3], 0 offset:196
	buffer_store_dword v68, off, s[0:3], 0 offset:192
.LBB96_105:
	s_or_b64 exec, exec, s[4:5]
	s_waitcnt lgkmcnt(0)
	; wave barrier
	buffer_load_dword v68, off, s[0:3], 0 offset:200
	buffer_load_dword v69, off, s[0:3], 0 offset:204
	v_cmp_gt_u32_e32 vcc, 25, v0
	s_waitcnt vmcnt(0)
	ds_write_b64 v70, v[68:69]
	s_waitcnt lgkmcnt(0)
	; wave barrier
	s_waitcnt lgkmcnt(0)
	s_and_saveexec_b64 s[4:5], vcc
	s_cbranch_execz .LBB96_109
; %bb.106:
	v_add_u32_e32 v72, -1, v0
	v_add_u32_e32 v73, 0x110, v1
	v_add_u32_e32 v74, 0, v1
	s_mov_b64 s[6:7], 0
	v_pk_mov_b32 v[68:69], 0, 0
.LBB96_107:                             ; =>This Inner Loop Header: Depth=1
	buffer_load_dword v76, v74, s[0:3], 0 offen
	buffer_load_dword v77, v74, s[0:3], 0 offen offset:4
	ds_read_b64 v[78:79], v73
	v_add_u32_e32 v72, 1, v72
	v_cmp_lt_u32_e32 vcc, 23, v72
	v_add_u32_e32 v73, 8, v73
	v_add_u32_e32 v74, 8, v74
	s_or_b64 s[6:7], vcc, s[6:7]
	s_waitcnt vmcnt(0) lgkmcnt(0)
	v_fmac_f64_e32 v[68:69], v[76:77], v[78:79]
	s_andn2_b64 exec, exec, s[6:7]
	s_cbranch_execnz .LBB96_107
; %bb.108:
	s_or_b64 exec, exec, s[6:7]
	v_mov_b32_e32 v72, 0
	ds_read_b64 v[72:73], v72 offset:200
	s_waitcnt lgkmcnt(0)
	v_mul_f64 v[68:69], v[68:69], v[72:73]
	buffer_store_dword v69, off, s[0:3], 0 offset:204
	buffer_store_dword v68, off, s[0:3], 0 offset:200
.LBB96_109:
	s_or_b64 exec, exec, s[4:5]
	s_waitcnt lgkmcnt(0)
	; wave barrier
	buffer_load_dword v68, off, s[0:3], 0 offset:208
	buffer_load_dword v69, off, s[0:3], 0 offset:212
	v_cmp_gt_u32_e32 vcc, 26, v0
	;; [unrolled: 41-line block ×7, first 2 shown]
	s_waitcnt vmcnt(0)
	ds_write_b64 v70, v[68:69]
	s_waitcnt lgkmcnt(0)
	; wave barrier
	s_waitcnt lgkmcnt(0)
	s_and_saveexec_b64 s[4:5], vcc
	s_cbranch_execz .LBB96_133
; %bb.130:
	v_add_u32_e32 v72, -1, v0
	v_add_u32_e32 v73, 0x110, v1
	v_add_u32_e32 v74, 0, v1
	s_mov_b64 s[6:7], 0
	v_pk_mov_b32 v[68:69], 0, 0
.LBB96_131:                             ; =>This Inner Loop Header: Depth=1
	buffer_load_dword v76, v74, s[0:3], 0 offen
	buffer_load_dword v77, v74, s[0:3], 0 offen offset:4
	ds_read_b64 v[78:79], v73
	v_add_u32_e32 v72, 1, v72
	v_cmp_lt_u32_e32 vcc, 29, v72
	v_add_u32_e32 v73, 8, v73
	v_add_u32_e32 v74, 8, v74
	s_or_b64 s[6:7], vcc, s[6:7]
	s_waitcnt vmcnt(0) lgkmcnt(0)
	v_fmac_f64_e32 v[68:69], v[76:77], v[78:79]
	s_andn2_b64 exec, exec, s[6:7]
	s_cbranch_execnz .LBB96_131
; %bb.132:
	s_or_b64 exec, exec, s[6:7]
	v_mov_b32_e32 v72, 0
	ds_read_b64 v[72:73], v72 offset:248
	s_waitcnt lgkmcnt(0)
	v_mul_f64 v[68:69], v[68:69], v[72:73]
	buffer_store_dword v69, off, s[0:3], 0 offset:252
	buffer_store_dword v68, off, s[0:3], 0 offset:248
.LBB96_133:
	s_or_b64 exec, exec, s[4:5]
	s_waitcnt lgkmcnt(0)
	; wave barrier
	buffer_load_dword v68, off, s[0:3], 0 offset:256
	buffer_load_dword v69, off, s[0:3], 0 offset:260
	v_cmp_ne_u32_e32 vcc, 32, v0
	s_waitcnt vmcnt(0)
	ds_write_b64 v70, v[68:69]
	s_waitcnt lgkmcnt(0)
	; wave barrier
	s_waitcnt lgkmcnt(0)
	s_and_saveexec_b64 s[4:5], vcc
	s_cbranch_execz .LBB96_137
; %bb.134:
	v_add_u32_e32 v70, 0x110, v1
	v_add_u32_e32 v1, 0, v1
	s_mov_b64 s[6:7], 0
	v_pk_mov_b32 v[68:69], 0, 0
.LBB96_135:                             ; =>This Inner Loop Header: Depth=1
	buffer_load_dword v72, v1, s[0:3], 0 offen
	buffer_load_dword v73, v1, s[0:3], 0 offen offset:4
	ds_read_b64 v[74:75], v70
	v_add_u32_e32 v71, 1, v71
	v_cmp_lt_u32_e32 vcc, 30, v71
	v_add_u32_e32 v70, 8, v70
	v_add_u32_e32 v1, 8, v1
	s_or_b64 s[6:7], vcc, s[6:7]
	s_waitcnt vmcnt(0) lgkmcnt(0)
	v_fmac_f64_e32 v[68:69], v[72:73], v[74:75]
	s_andn2_b64 exec, exec, s[6:7]
	s_cbranch_execnz .LBB96_135
; %bb.136:
	s_or_b64 exec, exec, s[6:7]
	v_mov_b32_e32 v1, 0
	ds_read_b64 v[70:71], v1 offset:256
	s_waitcnt lgkmcnt(0)
	v_mul_f64 v[68:69], v[68:69], v[70:71]
	buffer_store_dword v69, off, s[0:3], 0 offset:260
	buffer_store_dword v68, off, s[0:3], 0 offset:256
.LBB96_137:
	s_or_b64 exec, exec, s[4:5]
	s_mov_b64 s[6:7], -1
	s_waitcnt lgkmcnt(0)
	; wave barrier
.LBB96_138:
	s_and_b64 vcc, exec, s[6:7]
	s_cbranch_vccz .LBB96_140
; %bb.139:
	s_lshl_b64 s[4:5], s[8:9], 2
	s_add_u32 s4, s14, s4
	s_addc_u32 s5, s15, s5
	v_mov_b32_e32 v1, 0
	global_load_dword v1, v1, s[4:5]
	s_waitcnt vmcnt(0)
	v_cmp_ne_u32_e32 vcc, 0, v1
	s_cbranch_vccz .LBB96_141
.LBB96_140:
	s_endpgm
.LBB96_141:
	v_mov_b32_e32 v1, 0x110
	v_lshl_add_u32 v1, v0, 3, v1
	v_cmp_eq_u32_e32 vcc, 32, v0
	s_and_saveexec_b64 s[4:5], vcc
	s_cbranch_execz .LBB96_143
; %bb.142:
	buffer_load_dword v68, off, s[0:3], 0 offset:248
	buffer_load_dword v69, off, s[0:3], 0 offset:252
	v_mov_b32_e32 v70, 0
	buffer_store_dword v70, off, s[0:3], 0 offset:248
	buffer_store_dword v70, off, s[0:3], 0 offset:252
	s_waitcnt vmcnt(2)
	ds_write_b64 v1, v[68:69]
.LBB96_143:
	s_or_b64 exec, exec, s[4:5]
	s_waitcnt lgkmcnt(0)
	; wave barrier
	s_waitcnt lgkmcnt(0)
	buffer_load_dword v70, off, s[0:3], 0 offset:256
	buffer_load_dword v71, off, s[0:3], 0 offset:260
	;; [unrolled: 1-line block ×4, first 2 shown]
	v_mov_b32_e32 v68, 0
	ds_read_b64 v[74:75], v68 offset:528
	v_cmp_lt_u32_e32 vcc, 30, v0
	s_waitcnt vmcnt(2) lgkmcnt(0)
	v_fma_f64 v[70:71], v[70:71], v[74:75], 0
	s_waitcnt vmcnt(0)
	v_add_f64 v[70:71], v[72:73], -v[70:71]
	buffer_store_dword v70, off, s[0:3], 0 offset:248
	buffer_store_dword v71, off, s[0:3], 0 offset:252
	s_and_saveexec_b64 s[4:5], vcc
	s_cbranch_execz .LBB96_145
; %bb.144:
	buffer_load_dword v70, off, s[0:3], 0 offset:240
	buffer_load_dword v71, off, s[0:3], 0 offset:244
	s_waitcnt vmcnt(0)
	ds_write_b64 v1, v[70:71]
	buffer_store_dword v68, off, s[0:3], 0 offset:240
	buffer_store_dword v68, off, s[0:3], 0 offset:244
.LBB96_145:
	s_or_b64 exec, exec, s[4:5]
	s_waitcnt lgkmcnt(0)
	; wave barrier
	s_waitcnt lgkmcnt(0)
	buffer_load_dword v72, off, s[0:3], 0 offset:248
	buffer_load_dword v73, off, s[0:3], 0 offset:252
	;; [unrolled: 1-line block ×6, first 2 shown]
	ds_read2_b64 v[68:71], v68 offset0:65 offset1:66
	v_cmp_lt_u32_e32 vcc, 29, v0
	s_waitcnt vmcnt(4) lgkmcnt(0)
	v_fma_f64 v[68:69], v[72:73], v[68:69], 0
	s_waitcnt vmcnt(2)
	v_fmac_f64_e32 v[68:69], v[74:75], v[70:71]
	s_waitcnt vmcnt(0)
	v_add_f64 v[68:69], v[76:77], -v[68:69]
	buffer_store_dword v68, off, s[0:3], 0 offset:240
	buffer_store_dword v69, off, s[0:3], 0 offset:244
	s_and_saveexec_b64 s[4:5], vcc
	s_cbranch_execz .LBB96_147
; %bb.146:
	buffer_load_dword v68, off, s[0:3], 0 offset:232
	buffer_load_dword v69, off, s[0:3], 0 offset:236
	v_mov_b32_e32 v70, 0
	buffer_store_dword v70, off, s[0:3], 0 offset:232
	buffer_store_dword v70, off, s[0:3], 0 offset:236
	s_waitcnt vmcnt(2)
	ds_write_b64 v1, v[68:69]
.LBB96_147:
	s_or_b64 exec, exec, s[4:5]
	s_waitcnt lgkmcnt(0)
	; wave barrier
	s_waitcnt lgkmcnt(0)
	buffer_load_dword v74, off, s[0:3], 0 offset:240
	buffer_load_dword v75, off, s[0:3], 0 offset:244
	buffer_load_dword v76, off, s[0:3], 0 offset:248
	buffer_load_dword v77, off, s[0:3], 0 offset:252
	buffer_load_dword v78, off, s[0:3], 0 offset:256
	buffer_load_dword v79, off, s[0:3], 0 offset:260
	buffer_load_dword v80, off, s[0:3], 0 offset:232
	buffer_load_dword v81, off, s[0:3], 0 offset:236
	v_mov_b32_e32 v68, 0
	ds_read_b128 v[70:73], v68 offset:512
	ds_read_b64 v[82:83], v68 offset:528
	v_cmp_lt_u32_e32 vcc, 28, v0
	s_waitcnt vmcnt(6) lgkmcnt(1)
	v_fma_f64 v[70:71], v[74:75], v[70:71], 0
	s_waitcnt vmcnt(4)
	v_fmac_f64_e32 v[70:71], v[76:77], v[72:73]
	s_waitcnt vmcnt(2) lgkmcnt(0)
	v_fmac_f64_e32 v[70:71], v[78:79], v[82:83]
	s_waitcnt vmcnt(0)
	v_add_f64 v[70:71], v[80:81], -v[70:71]
	buffer_store_dword v70, off, s[0:3], 0 offset:232
	buffer_store_dword v71, off, s[0:3], 0 offset:236
	s_and_saveexec_b64 s[4:5], vcc
	s_cbranch_execz .LBB96_149
; %bb.148:
	buffer_load_dword v70, off, s[0:3], 0 offset:224
	buffer_load_dword v71, off, s[0:3], 0 offset:228
	s_waitcnt vmcnt(0)
	ds_write_b64 v1, v[70:71]
	buffer_store_dword v68, off, s[0:3], 0 offset:224
	buffer_store_dword v68, off, s[0:3], 0 offset:228
.LBB96_149:
	s_or_b64 exec, exec, s[4:5]
	s_waitcnt lgkmcnt(0)
	; wave barrier
	s_waitcnt lgkmcnt(0)
	buffer_load_dword v78, off, s[0:3], 0 offset:232
	buffer_load_dword v79, off, s[0:3], 0 offset:236
	;; [unrolled: 1-line block ×10, first 2 shown]
	ds_read2_b64 v[70:73], v68 offset0:63 offset1:64
	ds_read2_b64 v[74:77], v68 offset0:65 offset1:66
	v_cmp_lt_u32_e32 vcc, 27, v0
	s_waitcnt vmcnt(8) lgkmcnt(1)
	v_fma_f64 v[68:69], v[78:79], v[70:71], 0
	s_waitcnt vmcnt(6)
	v_fmac_f64_e32 v[68:69], v[80:81], v[72:73]
	s_waitcnt vmcnt(4) lgkmcnt(0)
	v_fmac_f64_e32 v[68:69], v[82:83], v[74:75]
	s_waitcnt vmcnt(2)
	v_fmac_f64_e32 v[68:69], v[84:85], v[76:77]
	s_waitcnt vmcnt(0)
	v_add_f64 v[68:69], v[86:87], -v[68:69]
	buffer_store_dword v68, off, s[0:3], 0 offset:224
	buffer_store_dword v69, off, s[0:3], 0 offset:228
	s_and_saveexec_b64 s[4:5], vcc
	s_cbranch_execz .LBB96_151
; %bb.150:
	buffer_load_dword v68, off, s[0:3], 0 offset:216
	buffer_load_dword v69, off, s[0:3], 0 offset:220
	v_mov_b32_e32 v70, 0
	buffer_store_dword v70, off, s[0:3], 0 offset:216
	buffer_store_dword v70, off, s[0:3], 0 offset:220
	s_waitcnt vmcnt(2)
	ds_write_b64 v1, v[68:69]
.LBB96_151:
	s_or_b64 exec, exec, s[4:5]
	s_waitcnt lgkmcnt(0)
	; wave barrier
	s_waitcnt lgkmcnt(0)
	buffer_load_dword v78, off, s[0:3], 0 offset:224
	buffer_load_dword v79, off, s[0:3], 0 offset:228
	;; [unrolled: 1-line block ×12, first 2 shown]
	v_mov_b32_e32 v68, 0
	ds_read_b128 v[70:73], v68 offset:496
	ds_read_b128 v[74:77], v68 offset:512
	ds_read_b64 v[90:91], v68 offset:528
	v_cmp_lt_u32_e32 vcc, 26, v0
	s_waitcnt vmcnt(10) lgkmcnt(2)
	v_fma_f64 v[70:71], v[78:79], v[70:71], 0
	s_waitcnt vmcnt(8)
	v_fmac_f64_e32 v[70:71], v[80:81], v[72:73]
	s_waitcnt vmcnt(6) lgkmcnt(1)
	v_fmac_f64_e32 v[70:71], v[82:83], v[74:75]
	s_waitcnt vmcnt(4)
	v_fmac_f64_e32 v[70:71], v[84:85], v[76:77]
	s_waitcnt vmcnt(2) lgkmcnt(0)
	v_fmac_f64_e32 v[70:71], v[86:87], v[90:91]
	s_waitcnt vmcnt(0)
	v_add_f64 v[70:71], v[88:89], -v[70:71]
	buffer_store_dword v70, off, s[0:3], 0 offset:216
	buffer_store_dword v71, off, s[0:3], 0 offset:220
	s_and_saveexec_b64 s[4:5], vcc
	s_cbranch_execz .LBB96_153
; %bb.152:
	buffer_load_dword v70, off, s[0:3], 0 offset:208
	buffer_load_dword v71, off, s[0:3], 0 offset:212
	s_waitcnt vmcnt(0)
	ds_write_b64 v1, v[70:71]
	buffer_store_dword v68, off, s[0:3], 0 offset:208
	buffer_store_dword v68, off, s[0:3], 0 offset:212
.LBB96_153:
	s_or_b64 exec, exec, s[4:5]
	s_waitcnt lgkmcnt(0)
	; wave barrier
	s_waitcnt lgkmcnt(0)
	buffer_load_dword v82, off, s[0:3], 0 offset:216
	buffer_load_dword v83, off, s[0:3], 0 offset:220
	;; [unrolled: 1-line block ×14, first 2 shown]
	ds_read2_b64 v[70:73], v68 offset0:61 offset1:62
	ds_read2_b64 v[74:77], v68 offset0:63 offset1:64
	;; [unrolled: 1-line block ×3, first 2 shown]
	v_cmp_lt_u32_e32 vcc, 25, v0
	s_waitcnt vmcnt(12) lgkmcnt(2)
	v_fma_f64 v[68:69], v[82:83], v[70:71], 0
	s_waitcnt vmcnt(10)
	v_fmac_f64_e32 v[68:69], v[84:85], v[72:73]
	s_waitcnt vmcnt(8) lgkmcnt(1)
	v_fmac_f64_e32 v[68:69], v[86:87], v[74:75]
	s_waitcnt vmcnt(6)
	v_fmac_f64_e32 v[68:69], v[88:89], v[76:77]
	s_waitcnt vmcnt(4) lgkmcnt(0)
	v_fmac_f64_e32 v[68:69], v[90:91], v[78:79]
	s_waitcnt vmcnt(2)
	v_fmac_f64_e32 v[68:69], v[92:93], v[80:81]
	s_waitcnt vmcnt(0)
	v_add_f64 v[68:69], v[94:95], -v[68:69]
	buffer_store_dword v68, off, s[0:3], 0 offset:208
	buffer_store_dword v69, off, s[0:3], 0 offset:212
	s_and_saveexec_b64 s[4:5], vcc
	s_cbranch_execz .LBB96_155
; %bb.154:
	buffer_load_dword v68, off, s[0:3], 0 offset:200
	buffer_load_dword v69, off, s[0:3], 0 offset:204
	v_mov_b32_e32 v70, 0
	buffer_store_dword v70, off, s[0:3], 0 offset:200
	buffer_store_dword v70, off, s[0:3], 0 offset:204
	s_waitcnt vmcnt(2)
	ds_write_b64 v1, v[68:69]
.LBB96_155:
	s_or_b64 exec, exec, s[4:5]
	s_waitcnt lgkmcnt(0)
	; wave barrier
	s_waitcnt lgkmcnt(0)
	buffer_load_dword v82, off, s[0:3], 0 offset:208
	buffer_load_dword v83, off, s[0:3], 0 offset:212
	;; [unrolled: 1-line block ×16, first 2 shown]
	v_mov_b32_e32 v68, 0
	ds_read_b128 v[70:73], v68 offset:480
	ds_read_b128 v[74:77], v68 offset:496
	;; [unrolled: 1-line block ×3, first 2 shown]
	ds_read_b64 v[98:99], v68 offset:528
	v_cmp_lt_u32_e32 vcc, 24, v0
	s_waitcnt vmcnt(14) lgkmcnt(3)
	v_fma_f64 v[70:71], v[82:83], v[70:71], 0
	s_waitcnt vmcnt(12)
	v_fmac_f64_e32 v[70:71], v[84:85], v[72:73]
	s_waitcnt vmcnt(10) lgkmcnt(2)
	v_fmac_f64_e32 v[70:71], v[86:87], v[74:75]
	s_waitcnt vmcnt(8)
	v_fmac_f64_e32 v[70:71], v[88:89], v[76:77]
	s_waitcnt vmcnt(6) lgkmcnt(1)
	v_fmac_f64_e32 v[70:71], v[90:91], v[78:79]
	;; [unrolled: 4-line block ×3, first 2 shown]
	s_waitcnt vmcnt(0)
	v_add_f64 v[70:71], v[96:97], -v[70:71]
	buffer_store_dword v70, off, s[0:3], 0 offset:200
	buffer_store_dword v71, off, s[0:3], 0 offset:204
	s_and_saveexec_b64 s[4:5], vcc
	s_cbranch_execz .LBB96_157
; %bb.156:
	buffer_load_dword v70, off, s[0:3], 0 offset:192
	buffer_load_dword v71, off, s[0:3], 0 offset:196
	s_waitcnt vmcnt(0)
	ds_write_b64 v1, v[70:71]
	buffer_store_dword v68, off, s[0:3], 0 offset:192
	buffer_store_dword v68, off, s[0:3], 0 offset:196
.LBB96_157:
	s_or_b64 exec, exec, s[4:5]
	s_waitcnt lgkmcnt(0)
	; wave barrier
	s_waitcnt lgkmcnt(0)
	buffer_load_dword v86, off, s[0:3], 0 offset:200
	buffer_load_dword v87, off, s[0:3], 0 offset:204
	;; [unrolled: 1-line block ×18, first 2 shown]
	ds_read2_b64 v[70:73], v68 offset0:59 offset1:60
	ds_read2_b64 v[74:77], v68 offset0:61 offset1:62
	;; [unrolled: 1-line block ×4, first 2 shown]
	v_cmp_lt_u32_e32 vcc, 23, v0
	s_waitcnt vmcnt(16) lgkmcnt(3)
	v_fma_f64 v[68:69], v[86:87], v[70:71], 0
	s_waitcnt vmcnt(14)
	v_fmac_f64_e32 v[68:69], v[88:89], v[72:73]
	s_waitcnt vmcnt(12) lgkmcnt(2)
	v_fmac_f64_e32 v[68:69], v[90:91], v[74:75]
	s_waitcnt vmcnt(10)
	v_fmac_f64_e32 v[68:69], v[92:93], v[76:77]
	s_waitcnt vmcnt(8) lgkmcnt(1)
	v_fmac_f64_e32 v[68:69], v[94:95], v[78:79]
	;; [unrolled: 4-line block ×3, first 2 shown]
	s_waitcnt vmcnt(2)
	v_fmac_f64_e32 v[68:69], v[100:101], v[84:85]
	s_waitcnt vmcnt(0)
	v_add_f64 v[68:69], v[102:103], -v[68:69]
	buffer_store_dword v68, off, s[0:3], 0 offset:192
	buffer_store_dword v69, off, s[0:3], 0 offset:196
	s_and_saveexec_b64 s[4:5], vcc
	s_cbranch_execz .LBB96_159
; %bb.158:
	buffer_load_dword v68, off, s[0:3], 0 offset:184
	buffer_load_dword v69, off, s[0:3], 0 offset:188
	v_mov_b32_e32 v70, 0
	buffer_store_dword v70, off, s[0:3], 0 offset:184
	buffer_store_dword v70, off, s[0:3], 0 offset:188
	s_waitcnt vmcnt(2)
	ds_write_b64 v1, v[68:69]
.LBB96_159:
	s_or_b64 exec, exec, s[4:5]
	s_waitcnt lgkmcnt(0)
	; wave barrier
	s_waitcnt lgkmcnt(0)
	buffer_load_dword v86, off, s[0:3], 0 offset:192
	buffer_load_dword v87, off, s[0:3], 0 offset:196
	;; [unrolled: 1-line block ×20, first 2 shown]
	v_mov_b32_e32 v68, 0
	ds_read_b128 v[70:73], v68 offset:464
	ds_read_b128 v[74:77], v68 offset:480
	ds_read_b128 v[78:81], v68 offset:496
	ds_read_b128 v[82:85], v68 offset:512
	ds_read_b64 v[106:107], v68 offset:528
	v_cmp_lt_u32_e32 vcc, 22, v0
	s_waitcnt vmcnt(18) lgkmcnt(4)
	v_fma_f64 v[70:71], v[86:87], v[70:71], 0
	s_waitcnt vmcnt(16)
	v_fmac_f64_e32 v[70:71], v[88:89], v[72:73]
	s_waitcnt vmcnt(14) lgkmcnt(3)
	v_fmac_f64_e32 v[70:71], v[90:91], v[74:75]
	s_waitcnt vmcnt(12)
	v_fmac_f64_e32 v[70:71], v[92:93], v[76:77]
	s_waitcnt vmcnt(10) lgkmcnt(2)
	v_fmac_f64_e32 v[70:71], v[94:95], v[78:79]
	;; [unrolled: 4-line block ×3, first 2 shown]
	s_waitcnt vmcnt(2)
	v_fmac_f64_e32 v[70:71], v[102:103], v[84:85]
	s_waitcnt lgkmcnt(0)
	v_fmac_f64_e32 v[70:71], v[100:101], v[106:107]
	s_waitcnt vmcnt(0)
	v_add_f64 v[70:71], v[104:105], -v[70:71]
	buffer_store_dword v70, off, s[0:3], 0 offset:184
	buffer_store_dword v71, off, s[0:3], 0 offset:188
	s_and_saveexec_b64 s[4:5], vcc
	s_cbranch_execz .LBB96_161
; %bb.160:
	buffer_load_dword v70, off, s[0:3], 0 offset:176
	buffer_load_dword v71, off, s[0:3], 0 offset:180
	s_waitcnt vmcnt(0)
	ds_write_b64 v1, v[70:71]
	buffer_store_dword v68, off, s[0:3], 0 offset:176
	buffer_store_dword v68, off, s[0:3], 0 offset:180
.LBB96_161:
	s_or_b64 exec, exec, s[4:5]
	s_waitcnt lgkmcnt(0)
	; wave barrier
	s_waitcnt lgkmcnt(0)
	buffer_load_dword v90, off, s[0:3], 0 offset:184
	buffer_load_dword v91, off, s[0:3], 0 offset:188
	;; [unrolled: 1-line block ×22, first 2 shown]
	ds_read2_b64 v[70:73], v68 offset0:57 offset1:58
	ds_read2_b64 v[74:77], v68 offset0:59 offset1:60
	;; [unrolled: 1-line block ×5, first 2 shown]
	v_cmp_lt_u32_e32 vcc, 21, v0
	s_waitcnt vmcnt(20) lgkmcnt(4)
	v_fma_f64 v[68:69], v[90:91], v[70:71], 0
	s_waitcnt vmcnt(18)
	v_fmac_f64_e32 v[68:69], v[92:93], v[72:73]
	s_waitcnt vmcnt(16) lgkmcnt(3)
	v_fmac_f64_e32 v[68:69], v[94:95], v[74:75]
	s_waitcnt vmcnt(14)
	v_fmac_f64_e32 v[68:69], v[96:97], v[76:77]
	s_waitcnt vmcnt(12) lgkmcnt(2)
	v_fmac_f64_e32 v[68:69], v[98:99], v[78:79]
	;; [unrolled: 4-line block ×3, first 2 shown]
	s_waitcnt vmcnt(3)
	v_fmac_f64_e32 v[68:69], v[108:109], v[84:85]
	s_waitcnt lgkmcnt(0)
	v_fmac_f64_e32 v[68:69], v[106:107], v[86:87]
	s_waitcnt vmcnt(2)
	v_fmac_f64_e32 v[68:69], v[104:105], v[88:89]
	s_waitcnt vmcnt(0)
	v_add_f64 v[68:69], v[110:111], -v[68:69]
	buffer_store_dword v68, off, s[0:3], 0 offset:176
	buffer_store_dword v69, off, s[0:3], 0 offset:180
	s_and_saveexec_b64 s[4:5], vcc
	s_cbranch_execz .LBB96_163
; %bb.162:
	buffer_load_dword v68, off, s[0:3], 0 offset:168
	buffer_load_dword v69, off, s[0:3], 0 offset:172
	v_mov_b32_e32 v70, 0
	buffer_store_dword v70, off, s[0:3], 0 offset:168
	buffer_store_dword v70, off, s[0:3], 0 offset:172
	s_waitcnt vmcnt(2)
	ds_write_b64 v1, v[68:69]
.LBB96_163:
	s_or_b64 exec, exec, s[4:5]
	s_waitcnt lgkmcnt(0)
	; wave barrier
	s_waitcnt lgkmcnt(0)
	buffer_load_dword v90, off, s[0:3], 0 offset:176
	buffer_load_dword v91, off, s[0:3], 0 offset:180
	;; [unrolled: 1-line block ×24, first 2 shown]
	v_mov_b32_e32 v68, 0
	ds_read_b128 v[70:73], v68 offset:448
	ds_read_b128 v[74:77], v68 offset:464
	;; [unrolled: 1-line block ×5, first 2 shown]
	ds_read_b64 v[114:115], v68 offset:528
	v_cmp_lt_u32_e32 vcc, 20, v0
	s_waitcnt vmcnt(22) lgkmcnt(5)
	v_fma_f64 v[70:71], v[90:91], v[70:71], 0
	s_waitcnt vmcnt(20)
	v_fmac_f64_e32 v[70:71], v[92:93], v[72:73]
	s_waitcnt vmcnt(18) lgkmcnt(4)
	v_fmac_f64_e32 v[70:71], v[94:95], v[74:75]
	s_waitcnt vmcnt(16)
	v_fmac_f64_e32 v[70:71], v[96:97], v[76:77]
	s_waitcnt vmcnt(14) lgkmcnt(3)
	v_fmac_f64_e32 v[70:71], v[98:99], v[78:79]
	;; [unrolled: 4-line block ×3, first 2 shown]
	s_waitcnt vmcnt(4)
	v_fmac_f64_e32 v[70:71], v[110:111], v[84:85]
	s_waitcnt lgkmcnt(1)
	v_fmac_f64_e32 v[70:71], v[108:109], v[86:87]
	s_waitcnt vmcnt(3)
	v_fmac_f64_e32 v[70:71], v[106:107], v[88:89]
	s_waitcnt vmcnt(2) lgkmcnt(0)
	v_fmac_f64_e32 v[70:71], v[104:105], v[114:115]
	s_waitcnt vmcnt(0)
	v_add_f64 v[70:71], v[112:113], -v[70:71]
	buffer_store_dword v71, off, s[0:3], 0 offset:172
	buffer_store_dword v70, off, s[0:3], 0 offset:168
	s_and_saveexec_b64 s[4:5], vcc
	s_cbranch_execz .LBB96_165
; %bb.164:
	buffer_load_dword v70, off, s[0:3], 0 offset:160
	buffer_load_dword v71, off, s[0:3], 0 offset:164
	s_waitcnt vmcnt(0)
	ds_write_b64 v1, v[70:71]
	buffer_store_dword v68, off, s[0:3], 0 offset:160
	buffer_store_dword v68, off, s[0:3], 0 offset:164
.LBB96_165:
	s_or_b64 exec, exec, s[4:5]
	s_waitcnt lgkmcnt(0)
	; wave barrier
	s_waitcnt lgkmcnt(0)
	buffer_load_dword v94, off, s[0:3], 0 offset:168
	buffer_load_dword v95, off, s[0:3], 0 offset:172
	;; [unrolled: 1-line block ×26, first 2 shown]
	ds_read2_b64 v[70:73], v68 offset0:55 offset1:56
	ds_read2_b64 v[74:77], v68 offset0:57 offset1:58
	;; [unrolled: 1-line block ×6, first 2 shown]
	v_cmp_lt_u32_e32 vcc, 19, v0
	s_waitcnt vmcnt(24) lgkmcnt(5)
	v_fma_f64 v[68:69], v[94:95], v[70:71], 0
	s_waitcnt vmcnt(22)
	v_fmac_f64_e32 v[68:69], v[96:97], v[72:73]
	s_waitcnt vmcnt(20) lgkmcnt(4)
	v_fmac_f64_e32 v[68:69], v[98:99], v[74:75]
	s_waitcnt vmcnt(18)
	v_fmac_f64_e32 v[68:69], v[100:101], v[76:77]
	s_waitcnt vmcnt(16) lgkmcnt(3)
	v_fmac_f64_e32 v[68:69], v[102:103], v[78:79]
	;; [unrolled: 4-line block ×3, first 2 shown]
	s_waitcnt vmcnt(5)
	v_fmac_f64_e32 v[68:69], v[114:115], v[84:85]
	s_waitcnt lgkmcnt(1)
	v_fmac_f64_e32 v[68:69], v[112:113], v[86:87]
	v_fmac_f64_e32 v[68:69], v[110:111], v[88:89]
	s_waitcnt vmcnt(4) lgkmcnt(0)
	v_fmac_f64_e32 v[68:69], v[108:109], v[90:91]
	s_waitcnt vmcnt(2)
	v_fmac_f64_e32 v[68:69], v[116:117], v[92:93]
	s_waitcnt vmcnt(0)
	v_add_f64 v[68:69], v[118:119], -v[68:69]
	buffer_store_dword v69, off, s[0:3], 0 offset:164
	buffer_store_dword v68, off, s[0:3], 0 offset:160
	s_and_saveexec_b64 s[4:5], vcc
	s_cbranch_execz .LBB96_167
; %bb.166:
	buffer_load_dword v68, off, s[0:3], 0 offset:152
	buffer_load_dword v69, off, s[0:3], 0 offset:156
	v_mov_b32_e32 v70, 0
	buffer_store_dword v70, off, s[0:3], 0 offset:152
	buffer_store_dword v70, off, s[0:3], 0 offset:156
	s_waitcnt vmcnt(2)
	ds_write_b64 v1, v[68:69]
.LBB96_167:
	s_or_b64 exec, exec, s[4:5]
	s_waitcnt lgkmcnt(0)
	; wave barrier
	s_waitcnt lgkmcnt(0)
	buffer_load_dword v94, off, s[0:3], 0 offset:160
	buffer_load_dword v95, off, s[0:3], 0 offset:164
	;; [unrolled: 1-line block ×28, first 2 shown]
	v_mov_b32_e32 v68, 0
	ds_read_b128 v[70:73], v68 offset:432
	ds_read_b128 v[74:77], v68 offset:448
	;; [unrolled: 1-line block ×6, first 2 shown]
	ds_read_b64 v[122:123], v68 offset:528
	v_cmp_lt_u32_e32 vcc, 18, v0
	s_waitcnt vmcnt(26) lgkmcnt(6)
	v_fma_f64 v[70:71], v[94:95], v[70:71], 0
	s_waitcnt vmcnt(24)
	v_fmac_f64_e32 v[70:71], v[96:97], v[72:73]
	s_waitcnt vmcnt(22) lgkmcnt(5)
	v_fmac_f64_e32 v[70:71], v[98:99], v[74:75]
	s_waitcnt vmcnt(20)
	v_fmac_f64_e32 v[70:71], v[100:101], v[76:77]
	s_waitcnt vmcnt(18) lgkmcnt(4)
	v_fmac_f64_e32 v[70:71], v[102:103], v[78:79]
	;; [unrolled: 4-line block ×3, first 2 shown]
	s_waitcnt vmcnt(6)
	v_fmac_f64_e32 v[70:71], v[114:115], v[84:85]
	s_waitcnt lgkmcnt(2)
	v_fmac_f64_e32 v[70:71], v[112:113], v[86:87]
	v_fmac_f64_e32 v[70:71], v[110:111], v[88:89]
	s_waitcnt lgkmcnt(1)
	v_fmac_f64_e32 v[70:71], v[108:109], v[90:91]
	s_waitcnt vmcnt(2)
	v_fmac_f64_e32 v[70:71], v[118:119], v[92:93]
	s_waitcnt lgkmcnt(0)
	v_fmac_f64_e32 v[70:71], v[116:117], v[122:123]
	s_waitcnt vmcnt(0)
	v_add_f64 v[70:71], v[120:121], -v[70:71]
	buffer_store_dword v71, off, s[0:3], 0 offset:156
	buffer_store_dword v70, off, s[0:3], 0 offset:152
	s_and_saveexec_b64 s[4:5], vcc
	s_cbranch_execz .LBB96_169
; %bb.168:
	buffer_load_dword v70, off, s[0:3], 0 offset:144
	buffer_load_dword v71, off, s[0:3], 0 offset:148
	s_waitcnt vmcnt(0)
	ds_write_b64 v1, v[70:71]
	buffer_store_dword v68, off, s[0:3], 0 offset:144
	buffer_store_dword v68, off, s[0:3], 0 offset:148
.LBB96_169:
	s_or_b64 exec, exec, s[4:5]
	s_waitcnt lgkmcnt(0)
	; wave barrier
	s_waitcnt lgkmcnt(0)
	buffer_load_dword v98, off, s[0:3], 0 offset:152
	buffer_load_dword v99, off, s[0:3], 0 offset:156
	;; [unrolled: 1-line block ×30, first 2 shown]
	ds_read2_b64 v[70:73], v68 offset0:53 offset1:54
	ds_read2_b64 v[74:77], v68 offset0:55 offset1:56
	;; [unrolled: 1-line block ×7, first 2 shown]
	v_cmp_lt_u32_e32 vcc, 17, v0
	s_waitcnt vmcnt(28) lgkmcnt(6)
	v_fma_f64 v[68:69], v[98:99], v[70:71], 0
	s_waitcnt vmcnt(26)
	v_fmac_f64_e32 v[68:69], v[100:101], v[72:73]
	s_waitcnt vmcnt(24) lgkmcnt(5)
	v_fmac_f64_e32 v[68:69], v[102:103], v[74:75]
	s_waitcnt vmcnt(22)
	v_fmac_f64_e32 v[68:69], v[104:105], v[76:77]
	s_waitcnt vmcnt(20) lgkmcnt(4)
	v_fmac_f64_e32 v[68:69], v[106:107], v[78:79]
	;; [unrolled: 4-line block ×3, first 2 shown]
	s_waitcnt vmcnt(8)
	v_fmac_f64_e32 v[68:69], v[118:119], v[84:85]
	s_waitcnt lgkmcnt(2)
	v_fmac_f64_e32 v[68:69], v[116:117], v[86:87]
	v_fmac_f64_e32 v[68:69], v[114:115], v[88:89]
	s_waitcnt lgkmcnt(1)
	v_fmac_f64_e32 v[68:69], v[112:113], v[90:91]
	s_waitcnt vmcnt(3)
	v_fmac_f64_e32 v[68:69], v[124:125], v[92:93]
	s_waitcnt lgkmcnt(0)
	v_fmac_f64_e32 v[68:69], v[122:123], v[94:95]
	s_waitcnt vmcnt(2)
	v_fmac_f64_e32 v[68:69], v[120:121], v[96:97]
	s_waitcnt vmcnt(0)
	v_add_f64 v[68:69], v[126:127], -v[68:69]
	buffer_store_dword v69, off, s[0:3], 0 offset:148
	buffer_store_dword v68, off, s[0:3], 0 offset:144
	s_and_saveexec_b64 s[4:5], vcc
	s_cbranch_execz .LBB96_171
; %bb.170:
	buffer_load_dword v68, off, s[0:3], 0 offset:136
	buffer_load_dword v69, off, s[0:3], 0 offset:140
	v_mov_b32_e32 v70, 0
	buffer_store_dword v70, off, s[0:3], 0 offset:136
	buffer_store_dword v70, off, s[0:3], 0 offset:140
	s_waitcnt vmcnt(2)
	ds_write_b64 v1, v[68:69]
.LBB96_171:
	s_or_b64 exec, exec, s[4:5]
	s_waitcnt lgkmcnt(0)
	; wave barrier
	s_waitcnt lgkmcnt(0)
	buffer_load_dword v86, off, s[0:3], 0 offset:136
	buffer_load_dword v87, off, s[0:3], 0 offset:140
	;; [unrolled: 1-line block ×16, first 2 shown]
	v_mov_b32_e32 v68, 0
	ds_read_b128 v[70:73], v68 offset:416
	ds_read_b128 v[74:77], v68 offset:432
	;; [unrolled: 1-line block ×4, first 2 shown]
	v_cmp_lt_u32_e32 vcc, 16, v0
	s_waitcnt vmcnt(12) lgkmcnt(3)
	v_fma_f64 v[88:89], v[88:89], v[70:71], 0
	buffer_load_dword v71, off, s[0:3], 0 offset:204
	buffer_load_dword v70, off, s[0:3], 0 offset:200
	s_waitcnt vmcnt(12)
	v_fmac_f64_e32 v[88:89], v[90:91], v[72:73]
	s_waitcnt vmcnt(10) lgkmcnt(2)
	v_fmac_f64_e32 v[88:89], v[92:93], v[74:75]
	buffer_load_dword v75, off, s[0:3], 0 offset:212
	buffer_load_dword v74, off, s[0:3], 0 offset:208
	s_waitcnt vmcnt(10)
	v_fmac_f64_e32 v[88:89], v[94:95], v[76:77]
	s_waitcnt vmcnt(8) lgkmcnt(1)
	v_fmac_f64_e32 v[88:89], v[96:97], v[78:79]
	s_waitcnt vmcnt(6)
	v_fmac_f64_e32 v[88:89], v[98:99], v[80:81]
	s_waitcnt vmcnt(4) lgkmcnt(0)
	v_fmac_f64_e32 v[88:89], v[100:101], v[82:83]
	s_waitcnt vmcnt(2)
	v_fmac_f64_e32 v[88:89], v[70:71], v[84:85]
	ds_read_b128 v[70:73], v68 offset:480
	s_waitcnt vmcnt(0) lgkmcnt(0)
	v_fmac_f64_e32 v[88:89], v[74:75], v[70:71]
	buffer_load_dword v71, off, s[0:3], 0 offset:220
	buffer_load_dword v70, off, s[0:3], 0 offset:216
	;; [unrolled: 1-line block ×4, first 2 shown]
	s_waitcnt vmcnt(2)
	v_fmac_f64_e32 v[88:89], v[70:71], v[72:73]
	ds_read_b128 v[70:73], v68 offset:496
	s_waitcnt vmcnt(0) lgkmcnt(0)
	v_fmac_f64_e32 v[88:89], v[74:75], v[70:71]
	buffer_load_dword v71, off, s[0:3], 0 offset:236
	buffer_load_dword v70, off, s[0:3], 0 offset:232
	;; [unrolled: 1-line block ×4, first 2 shown]
	s_waitcnt vmcnt(2)
	v_fmac_f64_e32 v[88:89], v[70:71], v[72:73]
	ds_read_b128 v[70:73], v68 offset:512
	s_waitcnt vmcnt(0) lgkmcnt(0)
	v_fmac_f64_e32 v[88:89], v[74:75], v[70:71]
	buffer_load_dword v71, off, s[0:3], 0 offset:252
	buffer_load_dword v70, off, s[0:3], 0 offset:248
	s_waitcnt vmcnt(0)
	v_fmac_f64_e32 v[88:89], v[70:71], v[72:73]
	buffer_load_dword v71, off, s[0:3], 0 offset:260
	buffer_load_dword v70, off, s[0:3], 0 offset:256
	ds_read_b64 v[72:73], v68 offset:528
	s_waitcnt vmcnt(0) lgkmcnt(0)
	v_fmac_f64_e32 v[88:89], v[70:71], v[72:73]
	v_add_f64 v[70:71], v[86:87], -v[88:89]
	buffer_store_dword v71, off, s[0:3], 0 offset:140
	buffer_store_dword v70, off, s[0:3], 0 offset:136
	s_and_saveexec_b64 s[4:5], vcc
	s_cbranch_execz .LBB96_173
; %bb.172:
	buffer_load_dword v70, off, s[0:3], 0 offset:128
	buffer_load_dword v71, off, s[0:3], 0 offset:132
	s_waitcnt vmcnt(0)
	ds_write_b64 v1, v[70:71]
	buffer_store_dword v68, off, s[0:3], 0 offset:128
	buffer_store_dword v68, off, s[0:3], 0 offset:132
.LBB96_173:
	s_or_b64 exec, exec, s[4:5]
	s_waitcnt lgkmcnt(0)
	; wave barrier
	s_waitcnt lgkmcnt(0)
	buffer_load_dword v74, off, s[0:3], 0 offset:128
	buffer_load_dword v75, off, s[0:3], 0 offset:132
	buffer_load_dword v76, off, s[0:3], 0 offset:136
	buffer_load_dword v77, off, s[0:3], 0 offset:140
	buffer_load_dword v78, off, s[0:3], 0 offset:144
	buffer_load_dword v79, off, s[0:3], 0 offset:148
	buffer_load_dword v80, off, s[0:3], 0 offset:152
	buffer_load_dword v81, off, s[0:3], 0 offset:156
	buffer_load_dword v82, off, s[0:3], 0 offset:160
	buffer_load_dword v83, off, s[0:3], 0 offset:164
	buffer_load_dword v84, off, s[0:3], 0 offset:168
	buffer_load_dword v85, off, s[0:3], 0 offset:172
	buffer_load_dword v86, off, s[0:3], 0 offset:176
	buffer_load_dword v87, off, s[0:3], 0 offset:180
	buffer_load_dword v88, off, s[0:3], 0 offset:184
	buffer_load_dword v89, off, s[0:3], 0 offset:188
	ds_read2_b64 v[70:73], v68 offset0:51 offset1:52
	v_cmp_lt_u32_e32 vcc, 15, v0
	s_waitcnt vmcnt(12) lgkmcnt(0)
	v_fma_f64 v[76:77], v[76:77], v[70:71], 0
	s_waitcnt vmcnt(10)
	v_fmac_f64_e32 v[76:77], v[78:79], v[72:73]
	ds_read2_b64 v[70:73], v68 offset0:53 offset1:54
	s_waitcnt vmcnt(8) lgkmcnt(0)
	v_fmac_f64_e32 v[76:77], v[80:81], v[70:71]
	s_waitcnt vmcnt(6)
	v_fmac_f64_e32 v[76:77], v[82:83], v[72:73]
	ds_read2_b64 v[70:73], v68 offset0:55 offset1:56
	s_waitcnt vmcnt(4) lgkmcnt(0)
	v_fmac_f64_e32 v[76:77], v[84:85], v[70:71]
	;; [unrolled: 5-line block ×3, first 2 shown]
	buffer_load_dword v71, off, s[0:3], 0 offset:196
	buffer_load_dword v70, off, s[0:3], 0 offset:192
	buffer_load_dword v79, off, s[0:3], 0 offset:204
	buffer_load_dword v78, off, s[0:3], 0 offset:200
	s_waitcnt vmcnt(2)
	v_fmac_f64_e32 v[76:77], v[70:71], v[72:73]
	ds_read2_b64 v[70:73], v68 offset0:59 offset1:60
	s_waitcnt vmcnt(0) lgkmcnt(0)
	v_fmac_f64_e32 v[76:77], v[78:79], v[70:71]
	buffer_load_dword v71, off, s[0:3], 0 offset:212
	buffer_load_dword v70, off, s[0:3], 0 offset:208
	buffer_load_dword v79, off, s[0:3], 0 offset:220
	buffer_load_dword v78, off, s[0:3], 0 offset:216
	s_waitcnt vmcnt(2)
	v_fmac_f64_e32 v[76:77], v[70:71], v[72:73]
	ds_read2_b64 v[70:73], v68 offset0:61 offset1:62
	s_waitcnt vmcnt(0) lgkmcnt(0)
	v_fmac_f64_e32 v[76:77], v[78:79], v[70:71]
	;; [unrolled: 9-line block ×3, first 2 shown]
	buffer_load_dword v71, off, s[0:3], 0 offset:244
	buffer_load_dword v70, off, s[0:3], 0 offset:240
	s_waitcnt vmcnt(0)
	v_fmac_f64_e32 v[76:77], v[70:71], v[72:73]
	buffer_load_dword v73, off, s[0:3], 0 offset:252
	buffer_load_dword v72, off, s[0:3], 0 offset:248
	ds_read2_b64 v[68:71], v68 offset0:65 offset1:66
	s_waitcnt vmcnt(0) lgkmcnt(0)
	v_fmac_f64_e32 v[76:77], v[72:73], v[68:69]
	buffer_load_dword v69, off, s[0:3], 0 offset:260
	buffer_load_dword v68, off, s[0:3], 0 offset:256
	s_waitcnt vmcnt(0)
	v_fmac_f64_e32 v[76:77], v[68:69], v[70:71]
	v_add_f64 v[68:69], v[74:75], -v[76:77]
	buffer_store_dword v69, off, s[0:3], 0 offset:132
	buffer_store_dword v68, off, s[0:3], 0 offset:128
	s_and_saveexec_b64 s[4:5], vcc
	s_cbranch_execz .LBB96_175
; %bb.174:
	buffer_load_dword v68, off, s[0:3], 0 offset:120
	buffer_load_dword v69, off, s[0:3], 0 offset:124
	v_mov_b32_e32 v70, 0
	buffer_store_dword v70, off, s[0:3], 0 offset:120
	buffer_store_dword v70, off, s[0:3], 0 offset:124
	s_waitcnt vmcnt(2)
	ds_write_b64 v1, v[68:69]
.LBB96_175:
	s_or_b64 exec, exec, s[4:5]
	s_waitcnt lgkmcnt(0)
	; wave barrier
	s_waitcnt lgkmcnt(0)
	buffer_load_dword v68, off, s[0:3], 0 offset:120
	buffer_load_dword v69, off, s[0:3], 0 offset:124
	;; [unrolled: 1-line block ×16, first 2 shown]
	v_mov_b32_e32 v72, 0
	ds_read_b128 v[74:77], v72 offset:400
	ds_read_b128 v[78:81], v72 offset:416
	;; [unrolled: 1-line block ×4, first 2 shown]
	v_cmp_lt_u32_e32 vcc, 14, v0
	s_waitcnt vmcnt(12) lgkmcnt(3)
	v_fma_f64 v[70:71], v[70:71], v[74:75], 0
	buffer_load_dword v75, off, s[0:3], 0 offset:188
	buffer_load_dword v74, off, s[0:3], 0 offset:184
	s_waitcnt vmcnt(12)
	v_fmac_f64_e32 v[70:71], v[90:91], v[76:77]
	s_waitcnt vmcnt(10) lgkmcnt(2)
	v_fmac_f64_e32 v[70:71], v[92:93], v[78:79]
	buffer_load_dword v79, off, s[0:3], 0 offset:196
	buffer_load_dword v78, off, s[0:3], 0 offset:192
	s_waitcnt vmcnt(10)
	v_fmac_f64_e32 v[70:71], v[94:95], v[80:81]
	s_waitcnt vmcnt(8) lgkmcnt(1)
	v_fmac_f64_e32 v[70:71], v[96:97], v[82:83]
	s_waitcnt vmcnt(6)
	v_fmac_f64_e32 v[70:71], v[98:99], v[84:85]
	s_waitcnt vmcnt(4) lgkmcnt(0)
	v_fmac_f64_e32 v[70:71], v[100:101], v[86:87]
	s_waitcnt vmcnt(2)
	v_fmac_f64_e32 v[70:71], v[74:75], v[88:89]
	ds_read_b128 v[74:77], v72 offset:464
	s_waitcnt vmcnt(0) lgkmcnt(0)
	v_fmac_f64_e32 v[70:71], v[78:79], v[74:75]
	buffer_load_dword v75, off, s[0:3], 0 offset:204
	buffer_load_dword v74, off, s[0:3], 0 offset:200
	buffer_load_dword v79, off, s[0:3], 0 offset:212
	buffer_load_dword v78, off, s[0:3], 0 offset:208
	s_waitcnt vmcnt(2)
	v_fmac_f64_e32 v[70:71], v[74:75], v[76:77]
	ds_read_b128 v[74:77], v72 offset:480
	s_waitcnt vmcnt(0) lgkmcnt(0)
	v_fmac_f64_e32 v[70:71], v[78:79], v[74:75]
	buffer_load_dword v75, off, s[0:3], 0 offset:220
	buffer_load_dword v74, off, s[0:3], 0 offset:216
	buffer_load_dword v79, off, s[0:3], 0 offset:228
	buffer_load_dword v78, off, s[0:3], 0 offset:224
	;; [unrolled: 9-line block ×3, first 2 shown]
	s_waitcnt vmcnt(2)
	v_fmac_f64_e32 v[70:71], v[74:75], v[76:77]
	ds_read_b128 v[74:77], v72 offset:512
	s_waitcnt vmcnt(0) lgkmcnt(0)
	v_fmac_f64_e32 v[70:71], v[78:79], v[74:75]
	buffer_load_dword v75, off, s[0:3], 0 offset:252
	buffer_load_dword v74, off, s[0:3], 0 offset:248
	s_waitcnt vmcnt(0)
	v_fmac_f64_e32 v[70:71], v[74:75], v[76:77]
	buffer_load_dword v75, off, s[0:3], 0 offset:260
	buffer_load_dword v74, off, s[0:3], 0 offset:256
	ds_read_b64 v[76:77], v72 offset:528
	s_waitcnt vmcnt(0) lgkmcnt(0)
	v_fmac_f64_e32 v[70:71], v[74:75], v[76:77]
	v_add_f64 v[68:69], v[68:69], -v[70:71]
	buffer_store_dword v69, off, s[0:3], 0 offset:124
	buffer_store_dword v68, off, s[0:3], 0 offset:120
	s_and_saveexec_b64 s[4:5], vcc
	s_cbranch_execz .LBB96_177
; %bb.176:
	buffer_load_dword v68, off, s[0:3], 0 offset:112
	buffer_load_dword v69, off, s[0:3], 0 offset:116
	s_waitcnt vmcnt(0)
	ds_write_b64 v1, v[68:69]
	buffer_store_dword v72, off, s[0:3], 0 offset:112
	buffer_store_dword v72, off, s[0:3], 0 offset:116
.LBB96_177:
	s_or_b64 exec, exec, s[4:5]
	s_waitcnt lgkmcnt(0)
	; wave barrier
	s_waitcnt lgkmcnt(0)
	buffer_load_dword v68, off, s[0:3], 0 offset:112
	buffer_load_dword v69, off, s[0:3], 0 offset:116
	;; [unrolled: 1-line block ×16, first 2 shown]
	ds_read2_b64 v[74:77], v72 offset0:49 offset1:50
	v_cmp_lt_u32_e32 vcc, 13, v0
	s_waitcnt vmcnt(12) lgkmcnt(0)
	v_fma_f64 v[70:71], v[70:71], v[74:75], 0
	s_waitcnt vmcnt(10)
	v_fmac_f64_e32 v[70:71], v[78:79], v[76:77]
	ds_read2_b64 v[74:77], v72 offset0:51 offset1:52
	s_waitcnt vmcnt(8) lgkmcnt(0)
	v_fmac_f64_e32 v[70:71], v[80:81], v[74:75]
	s_waitcnt vmcnt(6)
	v_fmac_f64_e32 v[70:71], v[82:83], v[76:77]
	ds_read2_b64 v[74:77], v72 offset0:53 offset1:54
	s_waitcnt vmcnt(4) lgkmcnt(0)
	v_fmac_f64_e32 v[70:71], v[84:85], v[74:75]
	;; [unrolled: 5-line block ×3, first 2 shown]
	buffer_load_dword v75, off, s[0:3], 0 offset:180
	buffer_load_dword v74, off, s[0:3], 0 offset:176
	buffer_load_dword v79, off, s[0:3], 0 offset:188
	buffer_load_dword v78, off, s[0:3], 0 offset:184
	s_waitcnt vmcnt(2)
	v_fmac_f64_e32 v[70:71], v[74:75], v[76:77]
	ds_read2_b64 v[74:77], v72 offset0:57 offset1:58
	s_waitcnt vmcnt(0) lgkmcnt(0)
	v_fmac_f64_e32 v[70:71], v[78:79], v[74:75]
	buffer_load_dword v75, off, s[0:3], 0 offset:196
	buffer_load_dword v74, off, s[0:3], 0 offset:192
	buffer_load_dword v79, off, s[0:3], 0 offset:204
	buffer_load_dword v78, off, s[0:3], 0 offset:200
	s_waitcnt vmcnt(2)
	v_fmac_f64_e32 v[70:71], v[74:75], v[76:77]
	ds_read2_b64 v[74:77], v72 offset0:59 offset1:60
	s_waitcnt vmcnt(0) lgkmcnt(0)
	v_fmac_f64_e32 v[70:71], v[78:79], v[74:75]
	;; [unrolled: 9-line block ×4, first 2 shown]
	buffer_load_dword v75, off, s[0:3], 0 offset:244
	buffer_load_dword v74, off, s[0:3], 0 offset:240
	s_waitcnt vmcnt(0)
	v_fmac_f64_e32 v[70:71], v[74:75], v[76:77]
	buffer_load_dword v77, off, s[0:3], 0 offset:252
	buffer_load_dword v76, off, s[0:3], 0 offset:248
	ds_read2_b64 v[72:75], v72 offset0:65 offset1:66
	s_waitcnt vmcnt(0) lgkmcnt(0)
	v_fmac_f64_e32 v[70:71], v[76:77], v[72:73]
	buffer_load_dword v73, off, s[0:3], 0 offset:260
	buffer_load_dword v72, off, s[0:3], 0 offset:256
	s_waitcnt vmcnt(0)
	v_fmac_f64_e32 v[70:71], v[72:73], v[74:75]
	v_add_f64 v[68:69], v[68:69], -v[70:71]
	buffer_store_dword v69, off, s[0:3], 0 offset:116
	buffer_store_dword v68, off, s[0:3], 0 offset:112
	s_and_saveexec_b64 s[4:5], vcc
	s_cbranch_execz .LBB96_179
; %bb.178:
	buffer_load_dword v68, off, s[0:3], 0 offset:104
	buffer_load_dword v69, off, s[0:3], 0 offset:108
	v_mov_b32_e32 v70, 0
	buffer_store_dword v70, off, s[0:3], 0 offset:104
	buffer_store_dword v70, off, s[0:3], 0 offset:108
	s_waitcnt vmcnt(2)
	ds_write_b64 v1, v[68:69]
.LBB96_179:
	s_or_b64 exec, exec, s[4:5]
	s_waitcnt lgkmcnt(0)
	; wave barrier
	s_waitcnt lgkmcnt(0)
	buffer_load_dword v68, off, s[0:3], 0 offset:104
	buffer_load_dword v69, off, s[0:3], 0 offset:108
	;; [unrolled: 1-line block ×16, first 2 shown]
	v_mov_b32_e32 v72, 0
	ds_read_b128 v[74:77], v72 offset:384
	ds_read_b128 v[78:81], v72 offset:400
	;; [unrolled: 1-line block ×4, first 2 shown]
	v_cmp_lt_u32_e32 vcc, 12, v0
	s_waitcnt vmcnt(12) lgkmcnt(3)
	v_fma_f64 v[70:71], v[70:71], v[74:75], 0
	buffer_load_dword v75, off, s[0:3], 0 offset:172
	buffer_load_dword v74, off, s[0:3], 0 offset:168
	s_waitcnt vmcnt(12)
	v_fmac_f64_e32 v[70:71], v[90:91], v[76:77]
	s_waitcnt vmcnt(10) lgkmcnt(2)
	v_fmac_f64_e32 v[70:71], v[92:93], v[78:79]
	buffer_load_dword v79, off, s[0:3], 0 offset:180
	buffer_load_dword v78, off, s[0:3], 0 offset:176
	s_waitcnt vmcnt(10)
	v_fmac_f64_e32 v[70:71], v[94:95], v[80:81]
	s_waitcnt vmcnt(8) lgkmcnt(1)
	v_fmac_f64_e32 v[70:71], v[96:97], v[82:83]
	s_waitcnt vmcnt(6)
	v_fmac_f64_e32 v[70:71], v[98:99], v[84:85]
	s_waitcnt vmcnt(4) lgkmcnt(0)
	v_fmac_f64_e32 v[70:71], v[100:101], v[86:87]
	s_waitcnt vmcnt(2)
	v_fmac_f64_e32 v[70:71], v[74:75], v[88:89]
	ds_read_b128 v[74:77], v72 offset:448
	s_waitcnt vmcnt(0) lgkmcnt(0)
	v_fmac_f64_e32 v[70:71], v[78:79], v[74:75]
	buffer_load_dword v75, off, s[0:3], 0 offset:188
	buffer_load_dword v74, off, s[0:3], 0 offset:184
	buffer_load_dword v79, off, s[0:3], 0 offset:196
	buffer_load_dword v78, off, s[0:3], 0 offset:192
	s_waitcnt vmcnt(2)
	v_fmac_f64_e32 v[70:71], v[74:75], v[76:77]
	ds_read_b128 v[74:77], v72 offset:464
	s_waitcnt vmcnt(0) lgkmcnt(0)
	v_fmac_f64_e32 v[70:71], v[78:79], v[74:75]
	buffer_load_dword v75, off, s[0:3], 0 offset:204
	buffer_load_dword v74, off, s[0:3], 0 offset:200
	buffer_load_dword v79, off, s[0:3], 0 offset:212
	buffer_load_dword v78, off, s[0:3], 0 offset:208
	;; [unrolled: 9-line block ×4, first 2 shown]
	s_waitcnt vmcnt(2)
	v_fmac_f64_e32 v[70:71], v[74:75], v[76:77]
	ds_read_b128 v[74:77], v72 offset:512
	s_waitcnt vmcnt(0) lgkmcnt(0)
	v_fmac_f64_e32 v[70:71], v[78:79], v[74:75]
	buffer_load_dword v75, off, s[0:3], 0 offset:252
	buffer_load_dword v74, off, s[0:3], 0 offset:248
	s_waitcnt vmcnt(0)
	v_fmac_f64_e32 v[70:71], v[74:75], v[76:77]
	buffer_load_dword v75, off, s[0:3], 0 offset:260
	buffer_load_dword v74, off, s[0:3], 0 offset:256
	ds_read_b64 v[76:77], v72 offset:528
	s_waitcnt vmcnt(0) lgkmcnt(0)
	v_fmac_f64_e32 v[70:71], v[74:75], v[76:77]
	v_add_f64 v[68:69], v[68:69], -v[70:71]
	buffer_store_dword v69, off, s[0:3], 0 offset:108
	buffer_store_dword v68, off, s[0:3], 0 offset:104
	s_and_saveexec_b64 s[4:5], vcc
	s_cbranch_execz .LBB96_181
; %bb.180:
	buffer_load_dword v68, off, s[0:3], 0 offset:96
	buffer_load_dword v69, off, s[0:3], 0 offset:100
	s_waitcnt vmcnt(0)
	ds_write_b64 v1, v[68:69]
	buffer_store_dword v72, off, s[0:3], 0 offset:96
	buffer_store_dword v72, off, s[0:3], 0 offset:100
.LBB96_181:
	s_or_b64 exec, exec, s[4:5]
	s_waitcnt lgkmcnt(0)
	; wave barrier
	s_waitcnt lgkmcnt(0)
	buffer_load_dword v68, off, s[0:3], 0 offset:96
	buffer_load_dword v69, off, s[0:3], 0 offset:100
	;; [unrolled: 1-line block ×16, first 2 shown]
	ds_read2_b64 v[74:77], v72 offset0:47 offset1:48
	v_cmp_lt_u32_e32 vcc, 11, v0
	s_waitcnt vmcnt(12) lgkmcnt(0)
	v_fma_f64 v[70:71], v[70:71], v[74:75], 0
	s_waitcnt vmcnt(10)
	v_fmac_f64_e32 v[70:71], v[78:79], v[76:77]
	ds_read2_b64 v[74:77], v72 offset0:49 offset1:50
	s_waitcnt vmcnt(8) lgkmcnt(0)
	v_fmac_f64_e32 v[70:71], v[80:81], v[74:75]
	s_waitcnt vmcnt(6)
	v_fmac_f64_e32 v[70:71], v[82:83], v[76:77]
	ds_read2_b64 v[74:77], v72 offset0:51 offset1:52
	s_waitcnt vmcnt(4) lgkmcnt(0)
	v_fmac_f64_e32 v[70:71], v[84:85], v[74:75]
	;; [unrolled: 5-line block ×3, first 2 shown]
	buffer_load_dword v75, off, s[0:3], 0 offset:164
	buffer_load_dword v74, off, s[0:3], 0 offset:160
	buffer_load_dword v79, off, s[0:3], 0 offset:172
	buffer_load_dword v78, off, s[0:3], 0 offset:168
	s_waitcnt vmcnt(2)
	v_fmac_f64_e32 v[70:71], v[74:75], v[76:77]
	ds_read2_b64 v[74:77], v72 offset0:55 offset1:56
	s_waitcnt vmcnt(0) lgkmcnt(0)
	v_fmac_f64_e32 v[70:71], v[78:79], v[74:75]
	buffer_load_dword v75, off, s[0:3], 0 offset:180
	buffer_load_dword v74, off, s[0:3], 0 offset:176
	buffer_load_dword v79, off, s[0:3], 0 offset:188
	buffer_load_dword v78, off, s[0:3], 0 offset:184
	s_waitcnt vmcnt(2)
	v_fmac_f64_e32 v[70:71], v[74:75], v[76:77]
	ds_read2_b64 v[74:77], v72 offset0:57 offset1:58
	s_waitcnt vmcnt(0) lgkmcnt(0)
	v_fmac_f64_e32 v[70:71], v[78:79], v[74:75]
	;; [unrolled: 9-line block ×5, first 2 shown]
	buffer_load_dword v75, off, s[0:3], 0 offset:244
	buffer_load_dword v74, off, s[0:3], 0 offset:240
	s_waitcnt vmcnt(0)
	v_fmac_f64_e32 v[70:71], v[74:75], v[76:77]
	buffer_load_dword v77, off, s[0:3], 0 offset:252
	buffer_load_dword v76, off, s[0:3], 0 offset:248
	ds_read2_b64 v[72:75], v72 offset0:65 offset1:66
	s_waitcnt vmcnt(0) lgkmcnt(0)
	v_fmac_f64_e32 v[70:71], v[76:77], v[72:73]
	buffer_load_dword v73, off, s[0:3], 0 offset:260
	buffer_load_dword v72, off, s[0:3], 0 offset:256
	s_waitcnt vmcnt(0)
	v_fmac_f64_e32 v[70:71], v[72:73], v[74:75]
	v_add_f64 v[68:69], v[68:69], -v[70:71]
	buffer_store_dword v69, off, s[0:3], 0 offset:100
	buffer_store_dword v68, off, s[0:3], 0 offset:96
	s_and_saveexec_b64 s[4:5], vcc
	s_cbranch_execz .LBB96_183
; %bb.182:
	buffer_load_dword v68, off, s[0:3], 0 offset:88
	buffer_load_dword v69, off, s[0:3], 0 offset:92
	v_mov_b32_e32 v70, 0
	buffer_store_dword v70, off, s[0:3], 0 offset:88
	buffer_store_dword v70, off, s[0:3], 0 offset:92
	s_waitcnt vmcnt(2)
	ds_write_b64 v1, v[68:69]
.LBB96_183:
	s_or_b64 exec, exec, s[4:5]
	s_waitcnt lgkmcnt(0)
	; wave barrier
	s_waitcnt lgkmcnt(0)
	buffer_load_dword v68, off, s[0:3], 0 offset:88
	buffer_load_dword v69, off, s[0:3], 0 offset:92
	;; [unrolled: 1-line block ×16, first 2 shown]
	v_mov_b32_e32 v72, 0
	ds_read_b128 v[74:77], v72 offset:368
	ds_read_b128 v[78:81], v72 offset:384
	;; [unrolled: 1-line block ×4, first 2 shown]
	v_cmp_lt_u32_e32 vcc, 10, v0
	s_waitcnt vmcnt(12) lgkmcnt(3)
	v_fma_f64 v[70:71], v[70:71], v[74:75], 0
	buffer_load_dword v75, off, s[0:3], 0 offset:156
	buffer_load_dword v74, off, s[0:3], 0 offset:152
	s_waitcnt vmcnt(12)
	v_fmac_f64_e32 v[70:71], v[90:91], v[76:77]
	s_waitcnt vmcnt(10) lgkmcnt(2)
	v_fmac_f64_e32 v[70:71], v[92:93], v[78:79]
	buffer_load_dword v79, off, s[0:3], 0 offset:164
	buffer_load_dword v78, off, s[0:3], 0 offset:160
	s_waitcnt vmcnt(10)
	v_fmac_f64_e32 v[70:71], v[94:95], v[80:81]
	s_waitcnt vmcnt(8) lgkmcnt(1)
	v_fmac_f64_e32 v[70:71], v[96:97], v[82:83]
	s_waitcnt vmcnt(6)
	v_fmac_f64_e32 v[70:71], v[98:99], v[84:85]
	s_waitcnt vmcnt(4) lgkmcnt(0)
	v_fmac_f64_e32 v[70:71], v[100:101], v[86:87]
	s_waitcnt vmcnt(2)
	v_fmac_f64_e32 v[70:71], v[74:75], v[88:89]
	ds_read_b128 v[74:77], v72 offset:432
	s_waitcnt vmcnt(0) lgkmcnt(0)
	v_fmac_f64_e32 v[70:71], v[78:79], v[74:75]
	buffer_load_dword v75, off, s[0:3], 0 offset:172
	buffer_load_dword v74, off, s[0:3], 0 offset:168
	buffer_load_dword v79, off, s[0:3], 0 offset:180
	buffer_load_dword v78, off, s[0:3], 0 offset:176
	s_waitcnt vmcnt(2)
	v_fmac_f64_e32 v[70:71], v[74:75], v[76:77]
	ds_read_b128 v[74:77], v72 offset:448
	s_waitcnt vmcnt(0) lgkmcnt(0)
	v_fmac_f64_e32 v[70:71], v[78:79], v[74:75]
	buffer_load_dword v75, off, s[0:3], 0 offset:188
	buffer_load_dword v74, off, s[0:3], 0 offset:184
	buffer_load_dword v79, off, s[0:3], 0 offset:196
	buffer_load_dword v78, off, s[0:3], 0 offset:192
	;; [unrolled: 9-line block ×5, first 2 shown]
	s_waitcnt vmcnt(2)
	v_fmac_f64_e32 v[70:71], v[74:75], v[76:77]
	ds_read_b128 v[74:77], v72 offset:512
	s_waitcnt vmcnt(0) lgkmcnt(0)
	v_fmac_f64_e32 v[70:71], v[78:79], v[74:75]
	buffer_load_dword v75, off, s[0:3], 0 offset:252
	buffer_load_dword v74, off, s[0:3], 0 offset:248
	s_waitcnt vmcnt(0)
	v_fmac_f64_e32 v[70:71], v[74:75], v[76:77]
	buffer_load_dword v75, off, s[0:3], 0 offset:260
	buffer_load_dword v74, off, s[0:3], 0 offset:256
	ds_read_b64 v[76:77], v72 offset:528
	s_waitcnt vmcnt(0) lgkmcnt(0)
	v_fmac_f64_e32 v[70:71], v[74:75], v[76:77]
	v_add_f64 v[68:69], v[68:69], -v[70:71]
	buffer_store_dword v69, off, s[0:3], 0 offset:92
	buffer_store_dword v68, off, s[0:3], 0 offset:88
	s_and_saveexec_b64 s[4:5], vcc
	s_cbranch_execz .LBB96_185
; %bb.184:
	buffer_load_dword v68, off, s[0:3], 0 offset:80
	buffer_load_dword v69, off, s[0:3], 0 offset:84
	s_waitcnt vmcnt(0)
	ds_write_b64 v1, v[68:69]
	buffer_store_dword v72, off, s[0:3], 0 offset:80
	buffer_store_dword v72, off, s[0:3], 0 offset:84
.LBB96_185:
	s_or_b64 exec, exec, s[4:5]
	s_waitcnt lgkmcnt(0)
	; wave barrier
	s_waitcnt lgkmcnt(0)
	buffer_load_dword v68, off, s[0:3], 0 offset:80
	buffer_load_dword v69, off, s[0:3], 0 offset:84
	;; [unrolled: 1-line block ×16, first 2 shown]
	ds_read2_b64 v[74:77], v72 offset0:45 offset1:46
	v_cmp_lt_u32_e32 vcc, 9, v0
	s_waitcnt vmcnt(12) lgkmcnt(0)
	v_fma_f64 v[70:71], v[70:71], v[74:75], 0
	s_waitcnt vmcnt(10)
	v_fmac_f64_e32 v[70:71], v[78:79], v[76:77]
	ds_read2_b64 v[74:77], v72 offset0:47 offset1:48
	s_waitcnt vmcnt(8) lgkmcnt(0)
	v_fmac_f64_e32 v[70:71], v[80:81], v[74:75]
	s_waitcnt vmcnt(6)
	v_fmac_f64_e32 v[70:71], v[82:83], v[76:77]
	ds_read2_b64 v[74:77], v72 offset0:49 offset1:50
	s_waitcnt vmcnt(4) lgkmcnt(0)
	v_fmac_f64_e32 v[70:71], v[84:85], v[74:75]
	;; [unrolled: 5-line block ×3, first 2 shown]
	buffer_load_dword v75, off, s[0:3], 0 offset:148
	buffer_load_dword v74, off, s[0:3], 0 offset:144
	buffer_load_dword v79, off, s[0:3], 0 offset:156
	buffer_load_dword v78, off, s[0:3], 0 offset:152
	s_waitcnt vmcnt(2)
	v_fmac_f64_e32 v[70:71], v[74:75], v[76:77]
	ds_read2_b64 v[74:77], v72 offset0:53 offset1:54
	s_waitcnt vmcnt(0) lgkmcnt(0)
	v_fmac_f64_e32 v[70:71], v[78:79], v[74:75]
	buffer_load_dword v75, off, s[0:3], 0 offset:164
	buffer_load_dword v74, off, s[0:3], 0 offset:160
	buffer_load_dword v79, off, s[0:3], 0 offset:172
	buffer_load_dword v78, off, s[0:3], 0 offset:168
	s_waitcnt vmcnt(2)
	v_fmac_f64_e32 v[70:71], v[74:75], v[76:77]
	ds_read2_b64 v[74:77], v72 offset0:55 offset1:56
	s_waitcnt vmcnt(0) lgkmcnt(0)
	v_fmac_f64_e32 v[70:71], v[78:79], v[74:75]
	;; [unrolled: 9-line block ×6, first 2 shown]
	buffer_load_dword v75, off, s[0:3], 0 offset:244
	buffer_load_dword v74, off, s[0:3], 0 offset:240
	s_waitcnt vmcnt(0)
	v_fmac_f64_e32 v[70:71], v[74:75], v[76:77]
	buffer_load_dword v77, off, s[0:3], 0 offset:252
	buffer_load_dword v76, off, s[0:3], 0 offset:248
	ds_read2_b64 v[72:75], v72 offset0:65 offset1:66
	s_waitcnt vmcnt(0) lgkmcnt(0)
	v_fmac_f64_e32 v[70:71], v[76:77], v[72:73]
	buffer_load_dword v73, off, s[0:3], 0 offset:260
	buffer_load_dword v72, off, s[0:3], 0 offset:256
	s_waitcnt vmcnt(0)
	v_fmac_f64_e32 v[70:71], v[72:73], v[74:75]
	v_add_f64 v[68:69], v[68:69], -v[70:71]
	buffer_store_dword v69, off, s[0:3], 0 offset:84
	buffer_store_dword v68, off, s[0:3], 0 offset:80
	s_and_saveexec_b64 s[4:5], vcc
	s_cbranch_execz .LBB96_187
; %bb.186:
	buffer_load_dword v68, off, s[0:3], 0 offset:72
	buffer_load_dword v69, off, s[0:3], 0 offset:76
	v_mov_b32_e32 v70, 0
	buffer_store_dword v70, off, s[0:3], 0 offset:72
	buffer_store_dword v70, off, s[0:3], 0 offset:76
	s_waitcnt vmcnt(2)
	ds_write_b64 v1, v[68:69]
.LBB96_187:
	s_or_b64 exec, exec, s[4:5]
	s_waitcnt lgkmcnt(0)
	; wave barrier
	s_waitcnt lgkmcnt(0)
	buffer_load_dword v68, off, s[0:3], 0 offset:72
	buffer_load_dword v69, off, s[0:3], 0 offset:76
	;; [unrolled: 1-line block ×16, first 2 shown]
	v_mov_b32_e32 v72, 0
	ds_read_b128 v[74:77], v72 offset:352
	ds_read_b128 v[78:81], v72 offset:368
	;; [unrolled: 1-line block ×4, first 2 shown]
	v_cmp_lt_u32_e32 vcc, 8, v0
	s_waitcnt vmcnt(12) lgkmcnt(3)
	v_fma_f64 v[70:71], v[70:71], v[74:75], 0
	buffer_load_dword v75, off, s[0:3], 0 offset:140
	buffer_load_dword v74, off, s[0:3], 0 offset:136
	s_waitcnt vmcnt(12)
	v_fmac_f64_e32 v[70:71], v[90:91], v[76:77]
	s_waitcnt vmcnt(10) lgkmcnt(2)
	v_fmac_f64_e32 v[70:71], v[92:93], v[78:79]
	buffer_load_dword v79, off, s[0:3], 0 offset:148
	buffer_load_dword v78, off, s[0:3], 0 offset:144
	s_waitcnt vmcnt(10)
	v_fmac_f64_e32 v[70:71], v[94:95], v[80:81]
	s_waitcnt vmcnt(8) lgkmcnt(1)
	v_fmac_f64_e32 v[70:71], v[96:97], v[82:83]
	s_waitcnt vmcnt(6)
	v_fmac_f64_e32 v[70:71], v[98:99], v[84:85]
	s_waitcnt vmcnt(4) lgkmcnt(0)
	v_fmac_f64_e32 v[70:71], v[100:101], v[86:87]
	s_waitcnt vmcnt(2)
	v_fmac_f64_e32 v[70:71], v[74:75], v[88:89]
	ds_read_b128 v[74:77], v72 offset:416
	s_waitcnt vmcnt(0) lgkmcnt(0)
	v_fmac_f64_e32 v[70:71], v[78:79], v[74:75]
	buffer_load_dword v75, off, s[0:3], 0 offset:156
	buffer_load_dword v74, off, s[0:3], 0 offset:152
	buffer_load_dword v79, off, s[0:3], 0 offset:164
	buffer_load_dword v78, off, s[0:3], 0 offset:160
	s_waitcnt vmcnt(2)
	v_fmac_f64_e32 v[70:71], v[74:75], v[76:77]
	ds_read_b128 v[74:77], v72 offset:432
	s_waitcnt vmcnt(0) lgkmcnt(0)
	v_fmac_f64_e32 v[70:71], v[78:79], v[74:75]
	buffer_load_dword v75, off, s[0:3], 0 offset:172
	buffer_load_dword v74, off, s[0:3], 0 offset:168
	buffer_load_dword v79, off, s[0:3], 0 offset:180
	buffer_load_dword v78, off, s[0:3], 0 offset:176
	;; [unrolled: 9-line block ×6, first 2 shown]
	s_waitcnt vmcnt(2)
	v_fmac_f64_e32 v[70:71], v[74:75], v[76:77]
	ds_read_b128 v[74:77], v72 offset:512
	s_waitcnt vmcnt(0) lgkmcnt(0)
	v_fmac_f64_e32 v[70:71], v[78:79], v[74:75]
	buffer_load_dword v75, off, s[0:3], 0 offset:252
	buffer_load_dword v74, off, s[0:3], 0 offset:248
	s_waitcnt vmcnt(0)
	v_fmac_f64_e32 v[70:71], v[74:75], v[76:77]
	buffer_load_dword v75, off, s[0:3], 0 offset:260
	buffer_load_dword v74, off, s[0:3], 0 offset:256
	ds_read_b64 v[76:77], v72 offset:528
	s_waitcnt vmcnt(0) lgkmcnt(0)
	v_fmac_f64_e32 v[70:71], v[74:75], v[76:77]
	v_add_f64 v[68:69], v[68:69], -v[70:71]
	buffer_store_dword v69, off, s[0:3], 0 offset:76
	buffer_store_dword v68, off, s[0:3], 0 offset:72
	s_and_saveexec_b64 s[4:5], vcc
	s_cbranch_execz .LBB96_189
; %bb.188:
	buffer_load_dword v68, off, s[0:3], 0 offset:64
	buffer_load_dword v69, off, s[0:3], 0 offset:68
	s_waitcnt vmcnt(0)
	ds_write_b64 v1, v[68:69]
	buffer_store_dword v72, off, s[0:3], 0 offset:64
	buffer_store_dword v72, off, s[0:3], 0 offset:68
.LBB96_189:
	s_or_b64 exec, exec, s[4:5]
	s_waitcnt lgkmcnt(0)
	; wave barrier
	s_waitcnt lgkmcnt(0)
	buffer_load_dword v68, off, s[0:3], 0 offset:64
	buffer_load_dword v69, off, s[0:3], 0 offset:68
	;; [unrolled: 1-line block ×16, first 2 shown]
	ds_read2_b64 v[74:77], v72 offset0:43 offset1:44
	v_cmp_lt_u32_e32 vcc, 7, v0
	s_waitcnt vmcnt(12) lgkmcnt(0)
	v_fma_f64 v[70:71], v[70:71], v[74:75], 0
	s_waitcnt vmcnt(10)
	v_fmac_f64_e32 v[70:71], v[78:79], v[76:77]
	ds_read2_b64 v[74:77], v72 offset0:45 offset1:46
	s_waitcnt vmcnt(8) lgkmcnt(0)
	v_fmac_f64_e32 v[70:71], v[80:81], v[74:75]
	s_waitcnt vmcnt(6)
	v_fmac_f64_e32 v[70:71], v[82:83], v[76:77]
	ds_read2_b64 v[74:77], v72 offset0:47 offset1:48
	s_waitcnt vmcnt(4) lgkmcnt(0)
	v_fmac_f64_e32 v[70:71], v[84:85], v[74:75]
	;; [unrolled: 5-line block ×3, first 2 shown]
	buffer_load_dword v75, off, s[0:3], 0 offset:132
	buffer_load_dword v74, off, s[0:3], 0 offset:128
	buffer_load_dword v79, off, s[0:3], 0 offset:140
	buffer_load_dword v78, off, s[0:3], 0 offset:136
	s_waitcnt vmcnt(2)
	v_fmac_f64_e32 v[70:71], v[74:75], v[76:77]
	ds_read2_b64 v[74:77], v72 offset0:51 offset1:52
	s_waitcnt vmcnt(0) lgkmcnt(0)
	v_fmac_f64_e32 v[70:71], v[78:79], v[74:75]
	buffer_load_dword v75, off, s[0:3], 0 offset:148
	buffer_load_dword v74, off, s[0:3], 0 offset:144
	buffer_load_dword v79, off, s[0:3], 0 offset:156
	buffer_load_dword v78, off, s[0:3], 0 offset:152
	s_waitcnt vmcnt(2)
	v_fmac_f64_e32 v[70:71], v[74:75], v[76:77]
	ds_read2_b64 v[74:77], v72 offset0:53 offset1:54
	s_waitcnt vmcnt(0) lgkmcnt(0)
	v_fmac_f64_e32 v[70:71], v[78:79], v[74:75]
	;; [unrolled: 9-line block ×7, first 2 shown]
	buffer_load_dword v75, off, s[0:3], 0 offset:244
	buffer_load_dword v74, off, s[0:3], 0 offset:240
	s_waitcnt vmcnt(0)
	v_fmac_f64_e32 v[70:71], v[74:75], v[76:77]
	buffer_load_dword v77, off, s[0:3], 0 offset:252
	buffer_load_dword v76, off, s[0:3], 0 offset:248
	ds_read2_b64 v[72:75], v72 offset0:65 offset1:66
	s_waitcnt vmcnt(0) lgkmcnt(0)
	v_fmac_f64_e32 v[70:71], v[76:77], v[72:73]
	buffer_load_dword v73, off, s[0:3], 0 offset:260
	buffer_load_dword v72, off, s[0:3], 0 offset:256
	s_waitcnt vmcnt(0)
	v_fmac_f64_e32 v[70:71], v[72:73], v[74:75]
	v_add_f64 v[68:69], v[68:69], -v[70:71]
	buffer_store_dword v69, off, s[0:3], 0 offset:68
	buffer_store_dword v68, off, s[0:3], 0 offset:64
	s_and_saveexec_b64 s[4:5], vcc
	s_cbranch_execz .LBB96_191
; %bb.190:
	buffer_load_dword v68, off, s[0:3], 0 offset:56
	buffer_load_dword v69, off, s[0:3], 0 offset:60
	v_mov_b32_e32 v70, 0
	buffer_store_dword v70, off, s[0:3], 0 offset:56
	buffer_store_dword v70, off, s[0:3], 0 offset:60
	s_waitcnt vmcnt(2)
	ds_write_b64 v1, v[68:69]
.LBB96_191:
	s_or_b64 exec, exec, s[4:5]
	s_waitcnt lgkmcnt(0)
	; wave barrier
	s_waitcnt lgkmcnt(0)
	buffer_load_dword v68, off, s[0:3], 0 offset:56
	buffer_load_dword v69, off, s[0:3], 0 offset:60
	;; [unrolled: 1-line block ×16, first 2 shown]
	v_mov_b32_e32 v72, 0
	ds_read_b128 v[74:77], v72 offset:336
	ds_read_b128 v[78:81], v72 offset:352
	ds_read_b128 v[82:85], v72 offset:368
	ds_read_b128 v[86:89], v72 offset:384
	v_cmp_lt_u32_e32 vcc, 6, v0
	s_waitcnt vmcnt(12) lgkmcnt(3)
	v_fma_f64 v[70:71], v[70:71], v[74:75], 0
	buffer_load_dword v75, off, s[0:3], 0 offset:124
	buffer_load_dword v74, off, s[0:3], 0 offset:120
	s_waitcnt vmcnt(12)
	v_fmac_f64_e32 v[70:71], v[90:91], v[76:77]
	s_waitcnt vmcnt(10) lgkmcnt(2)
	v_fmac_f64_e32 v[70:71], v[92:93], v[78:79]
	buffer_load_dword v79, off, s[0:3], 0 offset:132
	buffer_load_dword v78, off, s[0:3], 0 offset:128
	s_waitcnt vmcnt(10)
	v_fmac_f64_e32 v[70:71], v[94:95], v[80:81]
	s_waitcnt vmcnt(8) lgkmcnt(1)
	v_fmac_f64_e32 v[70:71], v[96:97], v[82:83]
	s_waitcnt vmcnt(6)
	v_fmac_f64_e32 v[70:71], v[98:99], v[84:85]
	s_waitcnt vmcnt(4) lgkmcnt(0)
	v_fmac_f64_e32 v[70:71], v[100:101], v[86:87]
	s_waitcnt vmcnt(2)
	v_fmac_f64_e32 v[70:71], v[74:75], v[88:89]
	ds_read_b128 v[74:77], v72 offset:400
	s_waitcnt vmcnt(0) lgkmcnt(0)
	v_fmac_f64_e32 v[70:71], v[78:79], v[74:75]
	buffer_load_dword v75, off, s[0:3], 0 offset:140
	buffer_load_dword v74, off, s[0:3], 0 offset:136
	buffer_load_dword v79, off, s[0:3], 0 offset:148
	buffer_load_dword v78, off, s[0:3], 0 offset:144
	s_waitcnt vmcnt(2)
	v_fmac_f64_e32 v[70:71], v[74:75], v[76:77]
	ds_read_b128 v[74:77], v72 offset:416
	s_waitcnt vmcnt(0) lgkmcnt(0)
	v_fmac_f64_e32 v[70:71], v[78:79], v[74:75]
	buffer_load_dword v75, off, s[0:3], 0 offset:156
	buffer_load_dword v74, off, s[0:3], 0 offset:152
	buffer_load_dword v79, off, s[0:3], 0 offset:164
	buffer_load_dword v78, off, s[0:3], 0 offset:160
	;; [unrolled: 9-line block ×7, first 2 shown]
	s_waitcnt vmcnt(2)
	v_fmac_f64_e32 v[70:71], v[74:75], v[76:77]
	ds_read_b128 v[74:77], v72 offset:512
	s_waitcnt vmcnt(0) lgkmcnt(0)
	v_fmac_f64_e32 v[70:71], v[78:79], v[74:75]
	buffer_load_dword v75, off, s[0:3], 0 offset:252
	buffer_load_dword v74, off, s[0:3], 0 offset:248
	s_waitcnt vmcnt(0)
	v_fmac_f64_e32 v[70:71], v[74:75], v[76:77]
	buffer_load_dword v75, off, s[0:3], 0 offset:260
	buffer_load_dword v74, off, s[0:3], 0 offset:256
	ds_read_b64 v[76:77], v72 offset:528
	s_waitcnt vmcnt(0) lgkmcnt(0)
	v_fmac_f64_e32 v[70:71], v[74:75], v[76:77]
	v_add_f64 v[68:69], v[68:69], -v[70:71]
	buffer_store_dword v69, off, s[0:3], 0 offset:60
	buffer_store_dword v68, off, s[0:3], 0 offset:56
	s_and_saveexec_b64 s[4:5], vcc
	s_cbranch_execz .LBB96_193
; %bb.192:
	buffer_load_dword v68, off, s[0:3], 0 offset:48
	buffer_load_dword v69, off, s[0:3], 0 offset:52
	s_waitcnt vmcnt(0)
	ds_write_b64 v1, v[68:69]
	buffer_store_dword v72, off, s[0:3], 0 offset:48
	buffer_store_dword v72, off, s[0:3], 0 offset:52
.LBB96_193:
	s_or_b64 exec, exec, s[4:5]
	s_waitcnt lgkmcnt(0)
	; wave barrier
	s_waitcnt lgkmcnt(0)
	buffer_load_dword v68, off, s[0:3], 0 offset:48
	buffer_load_dword v69, off, s[0:3], 0 offset:52
	;; [unrolled: 1-line block ×16, first 2 shown]
	ds_read2_b64 v[74:77], v72 offset0:41 offset1:42
	v_cmp_lt_u32_e32 vcc, 5, v0
	s_waitcnt vmcnt(12) lgkmcnt(0)
	v_fma_f64 v[70:71], v[70:71], v[74:75], 0
	s_waitcnt vmcnt(10)
	v_fmac_f64_e32 v[70:71], v[78:79], v[76:77]
	ds_read2_b64 v[74:77], v72 offset0:43 offset1:44
	s_waitcnt vmcnt(8) lgkmcnt(0)
	v_fmac_f64_e32 v[70:71], v[80:81], v[74:75]
	s_waitcnt vmcnt(6)
	v_fmac_f64_e32 v[70:71], v[82:83], v[76:77]
	ds_read2_b64 v[74:77], v72 offset0:45 offset1:46
	s_waitcnt vmcnt(4) lgkmcnt(0)
	v_fmac_f64_e32 v[70:71], v[84:85], v[74:75]
	;; [unrolled: 5-line block ×3, first 2 shown]
	buffer_load_dword v75, off, s[0:3], 0 offset:116
	buffer_load_dword v74, off, s[0:3], 0 offset:112
	buffer_load_dword v79, off, s[0:3], 0 offset:124
	buffer_load_dword v78, off, s[0:3], 0 offset:120
	s_waitcnt vmcnt(2)
	v_fmac_f64_e32 v[70:71], v[74:75], v[76:77]
	ds_read2_b64 v[74:77], v72 offset0:49 offset1:50
	s_waitcnt vmcnt(0) lgkmcnt(0)
	v_fmac_f64_e32 v[70:71], v[78:79], v[74:75]
	buffer_load_dword v75, off, s[0:3], 0 offset:132
	buffer_load_dword v74, off, s[0:3], 0 offset:128
	buffer_load_dword v79, off, s[0:3], 0 offset:140
	buffer_load_dword v78, off, s[0:3], 0 offset:136
	s_waitcnt vmcnt(2)
	v_fmac_f64_e32 v[70:71], v[74:75], v[76:77]
	ds_read2_b64 v[74:77], v72 offset0:51 offset1:52
	s_waitcnt vmcnt(0) lgkmcnt(0)
	v_fmac_f64_e32 v[70:71], v[78:79], v[74:75]
	;; [unrolled: 9-line block ×8, first 2 shown]
	buffer_load_dword v75, off, s[0:3], 0 offset:244
	buffer_load_dword v74, off, s[0:3], 0 offset:240
	s_waitcnt vmcnt(0)
	v_fmac_f64_e32 v[70:71], v[74:75], v[76:77]
	buffer_load_dword v77, off, s[0:3], 0 offset:252
	buffer_load_dword v76, off, s[0:3], 0 offset:248
	ds_read2_b64 v[72:75], v72 offset0:65 offset1:66
	s_waitcnt vmcnt(0) lgkmcnt(0)
	v_fmac_f64_e32 v[70:71], v[76:77], v[72:73]
	buffer_load_dword v73, off, s[0:3], 0 offset:260
	buffer_load_dword v72, off, s[0:3], 0 offset:256
	s_waitcnt vmcnt(0)
	v_fmac_f64_e32 v[70:71], v[72:73], v[74:75]
	v_add_f64 v[68:69], v[68:69], -v[70:71]
	buffer_store_dword v69, off, s[0:3], 0 offset:52
	buffer_store_dword v68, off, s[0:3], 0 offset:48
	s_and_saveexec_b64 s[4:5], vcc
	s_cbranch_execz .LBB96_195
; %bb.194:
	buffer_load_dword v68, off, s[0:3], 0 offset:40
	buffer_load_dword v69, off, s[0:3], 0 offset:44
	v_mov_b32_e32 v70, 0
	buffer_store_dword v70, off, s[0:3], 0 offset:40
	buffer_store_dword v70, off, s[0:3], 0 offset:44
	s_waitcnt vmcnt(2)
	ds_write_b64 v1, v[68:69]
.LBB96_195:
	s_or_b64 exec, exec, s[4:5]
	s_waitcnt lgkmcnt(0)
	; wave barrier
	s_waitcnt lgkmcnt(0)
	buffer_load_dword v68, off, s[0:3], 0 offset:40
	buffer_load_dword v69, off, s[0:3], 0 offset:44
	;; [unrolled: 1-line block ×16, first 2 shown]
	v_mov_b32_e32 v72, 0
	ds_read_b128 v[74:77], v72 offset:320
	ds_read_b128 v[78:81], v72 offset:336
	;; [unrolled: 1-line block ×4, first 2 shown]
	v_cmp_lt_u32_e32 vcc, 4, v0
	s_waitcnt vmcnt(12) lgkmcnt(3)
	v_fma_f64 v[70:71], v[70:71], v[74:75], 0
	buffer_load_dword v75, off, s[0:3], 0 offset:108
	buffer_load_dword v74, off, s[0:3], 0 offset:104
	s_waitcnt vmcnt(12)
	v_fmac_f64_e32 v[70:71], v[90:91], v[76:77]
	s_waitcnt vmcnt(10) lgkmcnt(2)
	v_fmac_f64_e32 v[70:71], v[92:93], v[78:79]
	buffer_load_dword v79, off, s[0:3], 0 offset:116
	buffer_load_dword v78, off, s[0:3], 0 offset:112
	s_waitcnt vmcnt(10)
	v_fmac_f64_e32 v[70:71], v[94:95], v[80:81]
	s_waitcnt vmcnt(8) lgkmcnt(1)
	v_fmac_f64_e32 v[70:71], v[96:97], v[82:83]
	s_waitcnt vmcnt(6)
	v_fmac_f64_e32 v[70:71], v[98:99], v[84:85]
	s_waitcnt vmcnt(4) lgkmcnt(0)
	v_fmac_f64_e32 v[70:71], v[100:101], v[86:87]
	s_waitcnt vmcnt(2)
	v_fmac_f64_e32 v[70:71], v[74:75], v[88:89]
	ds_read_b128 v[74:77], v72 offset:384
	s_waitcnt vmcnt(0) lgkmcnt(0)
	v_fmac_f64_e32 v[70:71], v[78:79], v[74:75]
	buffer_load_dword v75, off, s[0:3], 0 offset:124
	buffer_load_dword v74, off, s[0:3], 0 offset:120
	buffer_load_dword v79, off, s[0:3], 0 offset:132
	buffer_load_dword v78, off, s[0:3], 0 offset:128
	s_waitcnt vmcnt(2)
	v_fmac_f64_e32 v[70:71], v[74:75], v[76:77]
	ds_read_b128 v[74:77], v72 offset:400
	s_waitcnt vmcnt(0) lgkmcnt(0)
	v_fmac_f64_e32 v[70:71], v[78:79], v[74:75]
	buffer_load_dword v75, off, s[0:3], 0 offset:140
	buffer_load_dword v74, off, s[0:3], 0 offset:136
	buffer_load_dword v79, off, s[0:3], 0 offset:148
	buffer_load_dword v78, off, s[0:3], 0 offset:144
	;; [unrolled: 9-line block ×8, first 2 shown]
	s_waitcnt vmcnt(2)
	v_fmac_f64_e32 v[70:71], v[74:75], v[76:77]
	ds_read_b128 v[74:77], v72 offset:512
	s_waitcnt vmcnt(0) lgkmcnt(0)
	v_fmac_f64_e32 v[70:71], v[78:79], v[74:75]
	buffer_load_dword v75, off, s[0:3], 0 offset:252
	buffer_load_dword v74, off, s[0:3], 0 offset:248
	s_waitcnt vmcnt(0)
	v_fmac_f64_e32 v[70:71], v[74:75], v[76:77]
	buffer_load_dword v75, off, s[0:3], 0 offset:260
	buffer_load_dword v74, off, s[0:3], 0 offset:256
	ds_read_b64 v[76:77], v72 offset:528
	s_waitcnt vmcnt(0) lgkmcnt(0)
	v_fmac_f64_e32 v[70:71], v[74:75], v[76:77]
	v_add_f64 v[68:69], v[68:69], -v[70:71]
	buffer_store_dword v69, off, s[0:3], 0 offset:44
	buffer_store_dword v68, off, s[0:3], 0 offset:40
	s_and_saveexec_b64 s[4:5], vcc
	s_cbranch_execz .LBB96_197
; %bb.196:
	buffer_load_dword v68, off, s[0:3], 0 offset:32
	buffer_load_dword v69, off, s[0:3], 0 offset:36
	s_waitcnt vmcnt(0)
	ds_write_b64 v1, v[68:69]
	buffer_store_dword v72, off, s[0:3], 0 offset:32
	buffer_store_dword v72, off, s[0:3], 0 offset:36
.LBB96_197:
	s_or_b64 exec, exec, s[4:5]
	s_waitcnt lgkmcnt(0)
	; wave barrier
	s_waitcnt lgkmcnt(0)
	buffer_load_dword v68, off, s[0:3], 0 offset:32
	buffer_load_dword v69, off, s[0:3], 0 offset:36
	;; [unrolled: 1-line block ×16, first 2 shown]
	ds_read2_b64 v[74:77], v72 offset0:39 offset1:40
	v_cmp_lt_u32_e32 vcc, 3, v0
	s_waitcnt vmcnt(12) lgkmcnt(0)
	v_fma_f64 v[70:71], v[70:71], v[74:75], 0
	s_waitcnt vmcnt(10)
	v_fmac_f64_e32 v[70:71], v[78:79], v[76:77]
	ds_read2_b64 v[74:77], v72 offset0:41 offset1:42
	s_waitcnt vmcnt(8) lgkmcnt(0)
	v_fmac_f64_e32 v[70:71], v[80:81], v[74:75]
	s_waitcnt vmcnt(6)
	v_fmac_f64_e32 v[70:71], v[82:83], v[76:77]
	ds_read2_b64 v[74:77], v72 offset0:43 offset1:44
	s_waitcnt vmcnt(4) lgkmcnt(0)
	v_fmac_f64_e32 v[70:71], v[84:85], v[74:75]
	;; [unrolled: 5-line block ×3, first 2 shown]
	buffer_load_dword v75, off, s[0:3], 0 offset:100
	buffer_load_dword v74, off, s[0:3], 0 offset:96
	buffer_load_dword v79, off, s[0:3], 0 offset:108
	buffer_load_dword v78, off, s[0:3], 0 offset:104
	s_waitcnt vmcnt(2)
	v_fmac_f64_e32 v[70:71], v[74:75], v[76:77]
	ds_read2_b64 v[74:77], v72 offset0:47 offset1:48
	s_waitcnt vmcnt(0) lgkmcnt(0)
	v_fmac_f64_e32 v[70:71], v[78:79], v[74:75]
	buffer_load_dword v75, off, s[0:3], 0 offset:116
	buffer_load_dword v74, off, s[0:3], 0 offset:112
	buffer_load_dword v79, off, s[0:3], 0 offset:124
	buffer_load_dword v78, off, s[0:3], 0 offset:120
	s_waitcnt vmcnt(2)
	v_fmac_f64_e32 v[70:71], v[74:75], v[76:77]
	ds_read2_b64 v[74:77], v72 offset0:49 offset1:50
	s_waitcnt vmcnt(0) lgkmcnt(0)
	v_fmac_f64_e32 v[70:71], v[78:79], v[74:75]
	;; [unrolled: 9-line block ×9, first 2 shown]
	buffer_load_dword v75, off, s[0:3], 0 offset:244
	buffer_load_dword v74, off, s[0:3], 0 offset:240
	s_waitcnt vmcnt(0)
	v_fmac_f64_e32 v[70:71], v[74:75], v[76:77]
	buffer_load_dword v77, off, s[0:3], 0 offset:252
	buffer_load_dword v76, off, s[0:3], 0 offset:248
	ds_read2_b64 v[72:75], v72 offset0:65 offset1:66
	s_waitcnt vmcnt(0) lgkmcnt(0)
	v_fmac_f64_e32 v[70:71], v[76:77], v[72:73]
	buffer_load_dword v73, off, s[0:3], 0 offset:260
	buffer_load_dword v72, off, s[0:3], 0 offset:256
	s_waitcnt vmcnt(0)
	v_fmac_f64_e32 v[70:71], v[72:73], v[74:75]
	v_add_f64 v[68:69], v[68:69], -v[70:71]
	buffer_store_dword v69, off, s[0:3], 0 offset:36
	buffer_store_dword v68, off, s[0:3], 0 offset:32
	s_and_saveexec_b64 s[4:5], vcc
	s_cbranch_execz .LBB96_199
; %bb.198:
	buffer_load_dword v68, off, s[0:3], 0 offset:24
	buffer_load_dword v69, off, s[0:3], 0 offset:28
	v_mov_b32_e32 v70, 0
	buffer_store_dword v70, off, s[0:3], 0 offset:24
	buffer_store_dword v70, off, s[0:3], 0 offset:28
	s_waitcnt vmcnt(2)
	ds_write_b64 v1, v[68:69]
.LBB96_199:
	s_or_b64 exec, exec, s[4:5]
	s_waitcnt lgkmcnt(0)
	; wave barrier
	s_waitcnt lgkmcnt(0)
	buffer_load_dword v68, off, s[0:3], 0 offset:24
	buffer_load_dword v69, off, s[0:3], 0 offset:28
	;; [unrolled: 1-line block ×16, first 2 shown]
	v_mov_b32_e32 v72, 0
	ds_read_b128 v[74:77], v72 offset:304
	ds_read_b128 v[78:81], v72 offset:320
	;; [unrolled: 1-line block ×4, first 2 shown]
	v_cmp_lt_u32_e32 vcc, 2, v0
	s_waitcnt vmcnt(12) lgkmcnt(3)
	v_fma_f64 v[70:71], v[70:71], v[74:75], 0
	buffer_load_dword v75, off, s[0:3], 0 offset:92
	buffer_load_dword v74, off, s[0:3], 0 offset:88
	s_waitcnt vmcnt(12)
	v_fmac_f64_e32 v[70:71], v[90:91], v[76:77]
	s_waitcnt vmcnt(10) lgkmcnt(2)
	v_fmac_f64_e32 v[70:71], v[92:93], v[78:79]
	buffer_load_dword v79, off, s[0:3], 0 offset:100
	buffer_load_dword v78, off, s[0:3], 0 offset:96
	s_waitcnt vmcnt(10)
	v_fmac_f64_e32 v[70:71], v[94:95], v[80:81]
	s_waitcnt vmcnt(8) lgkmcnt(1)
	v_fmac_f64_e32 v[70:71], v[96:97], v[82:83]
	s_waitcnt vmcnt(6)
	v_fmac_f64_e32 v[70:71], v[98:99], v[84:85]
	s_waitcnt vmcnt(4) lgkmcnt(0)
	v_fmac_f64_e32 v[70:71], v[100:101], v[86:87]
	s_waitcnt vmcnt(2)
	v_fmac_f64_e32 v[70:71], v[74:75], v[88:89]
	ds_read_b128 v[74:77], v72 offset:368
	s_waitcnt vmcnt(0) lgkmcnt(0)
	v_fmac_f64_e32 v[70:71], v[78:79], v[74:75]
	buffer_load_dword v75, off, s[0:3], 0 offset:108
	buffer_load_dword v74, off, s[0:3], 0 offset:104
	buffer_load_dword v79, off, s[0:3], 0 offset:116
	buffer_load_dword v78, off, s[0:3], 0 offset:112
	s_waitcnt vmcnt(2)
	v_fmac_f64_e32 v[70:71], v[74:75], v[76:77]
	ds_read_b128 v[74:77], v72 offset:384
	s_waitcnt vmcnt(0) lgkmcnt(0)
	v_fmac_f64_e32 v[70:71], v[78:79], v[74:75]
	buffer_load_dword v75, off, s[0:3], 0 offset:124
	buffer_load_dword v74, off, s[0:3], 0 offset:120
	buffer_load_dword v79, off, s[0:3], 0 offset:132
	buffer_load_dword v78, off, s[0:3], 0 offset:128
	;; [unrolled: 9-line block ×9, first 2 shown]
	s_waitcnt vmcnt(2)
	v_fmac_f64_e32 v[70:71], v[74:75], v[76:77]
	ds_read_b128 v[74:77], v72 offset:512
	s_waitcnt vmcnt(0) lgkmcnt(0)
	v_fmac_f64_e32 v[70:71], v[78:79], v[74:75]
	buffer_load_dword v75, off, s[0:3], 0 offset:252
	buffer_load_dword v74, off, s[0:3], 0 offset:248
	s_waitcnt vmcnt(0)
	v_fmac_f64_e32 v[70:71], v[74:75], v[76:77]
	buffer_load_dword v75, off, s[0:3], 0 offset:260
	buffer_load_dword v74, off, s[0:3], 0 offset:256
	ds_read_b64 v[76:77], v72 offset:528
	s_waitcnt vmcnt(0) lgkmcnt(0)
	v_fmac_f64_e32 v[70:71], v[74:75], v[76:77]
	v_add_f64 v[68:69], v[68:69], -v[70:71]
	buffer_store_dword v69, off, s[0:3], 0 offset:28
	buffer_store_dword v68, off, s[0:3], 0 offset:24
	s_and_saveexec_b64 s[4:5], vcc
	s_cbranch_execz .LBB96_201
; %bb.200:
	buffer_load_dword v68, off, s[0:3], 0 offset:16
	buffer_load_dword v69, off, s[0:3], 0 offset:20
	s_waitcnt vmcnt(0)
	ds_write_b64 v1, v[68:69]
	buffer_store_dword v72, off, s[0:3], 0 offset:16
	buffer_store_dword v72, off, s[0:3], 0 offset:20
.LBB96_201:
	s_or_b64 exec, exec, s[4:5]
	s_waitcnt lgkmcnt(0)
	; wave barrier
	s_waitcnt lgkmcnt(0)
	buffer_load_dword v68, off, s[0:3], 0 offset:16
	buffer_load_dword v69, off, s[0:3], 0 offset:20
	buffer_load_dword v70, off, s[0:3], 0 offset:24
	buffer_load_dword v71, off, s[0:3], 0 offset:28
	buffer_load_dword v78, off, s[0:3], 0 offset:32
	buffer_load_dword v79, off, s[0:3], 0 offset:36
	buffer_load_dword v80, off, s[0:3], 0 offset:40
	buffer_load_dword v81, off, s[0:3], 0 offset:44
	buffer_load_dword v82, off, s[0:3], 0 offset:48
	buffer_load_dword v83, off, s[0:3], 0 offset:52
	buffer_load_dword v84, off, s[0:3], 0 offset:56
	buffer_load_dword v85, off, s[0:3], 0 offset:60
	buffer_load_dword v86, off, s[0:3], 0 offset:64
	buffer_load_dword v87, off, s[0:3], 0 offset:68
	buffer_load_dword v88, off, s[0:3], 0 offset:72
	buffer_load_dword v89, off, s[0:3], 0 offset:76
	ds_read2_b64 v[74:77], v72 offset0:37 offset1:38
	v_cmp_lt_u32_e32 vcc, 1, v0
	s_waitcnt vmcnt(12) lgkmcnt(0)
	v_fma_f64 v[70:71], v[70:71], v[74:75], 0
	s_waitcnt vmcnt(10)
	v_fmac_f64_e32 v[70:71], v[78:79], v[76:77]
	ds_read2_b64 v[74:77], v72 offset0:39 offset1:40
	s_waitcnt vmcnt(8) lgkmcnt(0)
	v_fmac_f64_e32 v[70:71], v[80:81], v[74:75]
	s_waitcnt vmcnt(6)
	v_fmac_f64_e32 v[70:71], v[82:83], v[76:77]
	ds_read2_b64 v[74:77], v72 offset0:41 offset1:42
	s_waitcnt vmcnt(4) lgkmcnt(0)
	v_fmac_f64_e32 v[70:71], v[84:85], v[74:75]
	;; [unrolled: 5-line block ×3, first 2 shown]
	buffer_load_dword v75, off, s[0:3], 0 offset:84
	buffer_load_dword v74, off, s[0:3], 0 offset:80
	buffer_load_dword v79, off, s[0:3], 0 offset:92
	buffer_load_dword v78, off, s[0:3], 0 offset:88
	s_waitcnt vmcnt(2)
	v_fmac_f64_e32 v[70:71], v[74:75], v[76:77]
	ds_read2_b64 v[74:77], v72 offset0:45 offset1:46
	s_waitcnt vmcnt(0) lgkmcnt(0)
	v_fmac_f64_e32 v[70:71], v[78:79], v[74:75]
	buffer_load_dword v75, off, s[0:3], 0 offset:100
	buffer_load_dword v74, off, s[0:3], 0 offset:96
	buffer_load_dword v79, off, s[0:3], 0 offset:108
	buffer_load_dword v78, off, s[0:3], 0 offset:104
	s_waitcnt vmcnt(2)
	v_fmac_f64_e32 v[70:71], v[74:75], v[76:77]
	ds_read2_b64 v[74:77], v72 offset0:47 offset1:48
	s_waitcnt vmcnt(0) lgkmcnt(0)
	v_fmac_f64_e32 v[70:71], v[78:79], v[74:75]
	;; [unrolled: 9-line block ×10, first 2 shown]
	buffer_load_dword v75, off, s[0:3], 0 offset:244
	buffer_load_dword v74, off, s[0:3], 0 offset:240
	s_waitcnt vmcnt(0)
	v_fmac_f64_e32 v[70:71], v[74:75], v[76:77]
	buffer_load_dword v77, off, s[0:3], 0 offset:252
	buffer_load_dword v76, off, s[0:3], 0 offset:248
	ds_read2_b64 v[72:75], v72 offset0:65 offset1:66
	s_waitcnt vmcnt(0) lgkmcnt(0)
	v_fmac_f64_e32 v[70:71], v[76:77], v[72:73]
	buffer_load_dword v73, off, s[0:3], 0 offset:260
	buffer_load_dword v72, off, s[0:3], 0 offset:256
	s_waitcnt vmcnt(0)
	v_fmac_f64_e32 v[70:71], v[72:73], v[74:75]
	v_add_f64 v[68:69], v[68:69], -v[70:71]
	buffer_store_dword v69, off, s[0:3], 0 offset:20
	buffer_store_dword v68, off, s[0:3], 0 offset:16
	s_and_saveexec_b64 s[4:5], vcc
	s_cbranch_execz .LBB96_203
; %bb.202:
	buffer_load_dword v68, off, s[0:3], 0 offset:8
	buffer_load_dword v69, off, s[0:3], 0 offset:12
	v_mov_b32_e32 v70, 0
	buffer_store_dword v70, off, s[0:3], 0 offset:8
	buffer_store_dword v70, off, s[0:3], 0 offset:12
	s_waitcnt vmcnt(2)
	ds_write_b64 v1, v[68:69]
.LBB96_203:
	s_or_b64 exec, exec, s[4:5]
	s_waitcnt lgkmcnt(0)
	; wave barrier
	s_waitcnt lgkmcnt(0)
	buffer_load_dword v68, off, s[0:3], 0 offset:8
	buffer_load_dword v69, off, s[0:3], 0 offset:12
	;; [unrolled: 1-line block ×16, first 2 shown]
	v_mov_b32_e32 v72, 0
	ds_read_b128 v[74:77], v72 offset:288
	ds_read_b128 v[78:81], v72 offset:304
	;; [unrolled: 1-line block ×4, first 2 shown]
	v_cmp_ne_u32_e32 vcc, 0, v0
	s_waitcnt vmcnt(12) lgkmcnt(3)
	v_fma_f64 v[70:71], v[70:71], v[74:75], 0
	buffer_load_dword v75, off, s[0:3], 0 offset:76
	buffer_load_dword v74, off, s[0:3], 0 offset:72
	s_waitcnt vmcnt(12)
	v_fmac_f64_e32 v[70:71], v[90:91], v[76:77]
	s_waitcnt vmcnt(10) lgkmcnt(2)
	v_fmac_f64_e32 v[70:71], v[92:93], v[78:79]
	buffer_load_dword v79, off, s[0:3], 0 offset:84
	buffer_load_dword v78, off, s[0:3], 0 offset:80
	s_waitcnt vmcnt(10)
	v_fmac_f64_e32 v[70:71], v[94:95], v[80:81]
	s_waitcnt vmcnt(8) lgkmcnt(1)
	v_fmac_f64_e32 v[70:71], v[96:97], v[82:83]
	s_waitcnt vmcnt(6)
	v_fmac_f64_e32 v[70:71], v[98:99], v[84:85]
	s_waitcnt vmcnt(4) lgkmcnt(0)
	v_fmac_f64_e32 v[70:71], v[100:101], v[86:87]
	s_waitcnt vmcnt(2)
	v_fmac_f64_e32 v[70:71], v[74:75], v[88:89]
	ds_read_b128 v[74:77], v72 offset:352
	s_waitcnt vmcnt(0) lgkmcnt(0)
	v_fmac_f64_e32 v[70:71], v[78:79], v[74:75]
	buffer_load_dword v75, off, s[0:3], 0 offset:92
	buffer_load_dword v74, off, s[0:3], 0 offset:88
	buffer_load_dword v79, off, s[0:3], 0 offset:100
	buffer_load_dword v78, off, s[0:3], 0 offset:96
	s_waitcnt vmcnt(2)
	v_fmac_f64_e32 v[70:71], v[74:75], v[76:77]
	ds_read_b128 v[74:77], v72 offset:368
	s_waitcnt vmcnt(0) lgkmcnt(0)
	v_fmac_f64_e32 v[70:71], v[78:79], v[74:75]
	buffer_load_dword v75, off, s[0:3], 0 offset:108
	buffer_load_dword v74, off, s[0:3], 0 offset:104
	buffer_load_dword v79, off, s[0:3], 0 offset:116
	buffer_load_dword v78, off, s[0:3], 0 offset:112
	;; [unrolled: 9-line block ×10, first 2 shown]
	s_waitcnt vmcnt(2)
	v_fmac_f64_e32 v[70:71], v[74:75], v[76:77]
	ds_read_b128 v[74:77], v72 offset:512
	s_waitcnt vmcnt(0) lgkmcnt(0)
	v_fmac_f64_e32 v[70:71], v[78:79], v[74:75]
	buffer_load_dword v75, off, s[0:3], 0 offset:252
	buffer_load_dword v74, off, s[0:3], 0 offset:248
	s_waitcnt vmcnt(0)
	v_fmac_f64_e32 v[70:71], v[74:75], v[76:77]
	buffer_load_dword v75, off, s[0:3], 0 offset:260
	buffer_load_dword v74, off, s[0:3], 0 offset:256
	ds_read_b64 v[76:77], v72 offset:528
	s_waitcnt vmcnt(0) lgkmcnt(0)
	v_fmac_f64_e32 v[70:71], v[74:75], v[76:77]
	v_add_f64 v[68:69], v[68:69], -v[70:71]
	buffer_store_dword v69, off, s[0:3], 0 offset:12
	buffer_store_dword v68, off, s[0:3], 0 offset:8
	s_and_saveexec_b64 s[4:5], vcc
	s_cbranch_execz .LBB96_205
; %bb.204:
	buffer_load_dword v68, off, s[0:3], 0
	buffer_load_dword v69, off, s[0:3], 0 offset:4
	s_waitcnt vmcnt(0)
	ds_write_b64 v1, v[68:69]
	buffer_store_dword v72, off, s[0:3], 0
	buffer_store_dword v72, off, s[0:3], 0 offset:4
.LBB96_205:
	s_or_b64 exec, exec, s[4:5]
	s_waitcnt lgkmcnt(0)
	; wave barrier
	s_waitcnt lgkmcnt(0)
	buffer_load_dword v0, off, s[0:3], 0
	buffer_load_dword v1, off, s[0:3], 0 offset:4
	buffer_load_dword v74, off, s[0:3], 0 offset:8
	;; [unrolled: 1-line block ×15, first 2 shown]
	ds_read2_b64 v[68:71], v72 offset0:35 offset1:36
	s_and_b64 vcc, exec, s[16:17]
	s_waitcnt vmcnt(12) lgkmcnt(0)
	v_fma_f64 v[68:69], v[74:75], v[68:69], 0
	s_waitcnt vmcnt(10)
	v_fmac_f64_e32 v[68:69], v[76:77], v[70:71]
	ds_read2_b64 v[74:77], v72 offset0:37 offset1:38
	s_waitcnt vmcnt(8) lgkmcnt(0)
	v_fmac_f64_e32 v[68:69], v[78:79], v[74:75]
	s_waitcnt vmcnt(6)
	v_fmac_f64_e32 v[68:69], v[80:81], v[76:77]
	ds_read2_b64 v[74:77], v72 offset0:39 offset1:40
	s_waitcnt vmcnt(4) lgkmcnt(0)
	v_fmac_f64_e32 v[68:69], v[82:83], v[74:75]
	s_waitcnt vmcnt(2)
	v_fmac_f64_e32 v[68:69], v[84:85], v[76:77]
	ds_read2_b64 v[74:77], v72 offset0:41 offset1:42
	buffer_load_dword v71, off, s[0:3], 0 offset:68
	buffer_load_dword v70, off, s[0:3], 0 offset:64
	s_waitcnt vmcnt(2) lgkmcnt(0)
	v_fmac_f64_e32 v[68:69], v[86:87], v[74:75]
	s_waitcnt vmcnt(0)
	v_fmac_f64_e32 v[68:69], v[70:71], v[76:77]
	buffer_load_dword v71, off, s[0:3], 0 offset:76
	buffer_load_dword v70, off, s[0:3], 0 offset:72
	ds_read2_b64 v[74:77], v72 offset0:43 offset1:44
	s_waitcnt vmcnt(0) lgkmcnt(0)
	v_fmac_f64_e32 v[68:69], v[70:71], v[74:75]
	buffer_load_dword v71, off, s[0:3], 0 offset:84
	buffer_load_dword v70, off, s[0:3], 0 offset:80
	s_waitcnt vmcnt(0)
	v_fmac_f64_e32 v[68:69], v[70:71], v[76:77]
	buffer_load_dword v71, off, s[0:3], 0 offset:92
	buffer_load_dword v70, off, s[0:3], 0 offset:88
	ds_read2_b64 v[74:77], v72 offset0:45 offset1:46
	s_waitcnt vmcnt(0) lgkmcnt(0)
	v_fmac_f64_e32 v[68:69], v[70:71], v[74:75]
	buffer_load_dword v71, off, s[0:3], 0 offset:100
	buffer_load_dword v70, off, s[0:3], 0 offset:96
	;; [unrolled: 9-line block ×12, first 2 shown]
	s_waitcnt vmcnt(0)
	v_fmac_f64_e32 v[68:69], v[72:73], v[74:75]
	v_add_f64 v[0:1], v[0:1], -v[68:69]
	buffer_store_dword v1, off, s[0:3], 0 offset:4
	buffer_store_dword v0, off, s[0:3], 0
	s_cbranch_vccz .LBB96_271
; %bb.206:
	v_pk_mov_b32 v[0:1], s[10:11], s[10:11] op_sel:[0,1]
	flat_load_dword v0, v[0:1] offset:124
	s_waitcnt vmcnt(0) lgkmcnt(0)
	v_add_u32_e32 v0, -1, v0
	v_cmp_ne_u32_e32 vcc, 31, v0
	s_and_saveexec_b64 s[4:5], vcc
	s_cbranch_execz .LBB96_208
; %bb.207:
	v_mov_b32_e32 v1, 0
	v_lshl_add_u32 v0, v0, 3, v1
	buffer_load_dword v1, v0, s[0:3], 0 offen
	buffer_load_dword v68, v0, s[0:3], 0 offen offset:4
	s_waitcnt vmcnt(1)
	buffer_store_dword v1, off, s[0:3], 0 offset:248
	s_waitcnt vmcnt(1)
	buffer_store_dword v68, off, s[0:3], 0 offset:252
	buffer_store_dword v70, v0, s[0:3], 0 offen
	buffer_store_dword v71, v0, s[0:3], 0 offen offset:4
.LBB96_208:
	s_or_b64 exec, exec, s[4:5]
	v_pk_mov_b32 v[0:1], s[10:11], s[10:11] op_sel:[0,1]
	flat_load_dword v0, v[0:1] offset:120
	s_waitcnt vmcnt(0) lgkmcnt(0)
	v_add_u32_e32 v0, -1, v0
	v_cmp_ne_u32_e32 vcc, 30, v0
	s_and_saveexec_b64 s[4:5], vcc
	s_cbranch_execz .LBB96_210
; %bb.209:
	v_mov_b32_e32 v1, 0
	v_lshl_add_u32 v0, v0, 3, v1
	buffer_load_dword v1, v0, s[0:3], 0 offen
	buffer_load_dword v68, v0, s[0:3], 0 offen offset:4
	buffer_load_dword v69, off, s[0:3], 0 offset:244
	buffer_load_dword v70, off, s[0:3], 0 offset:240
	s_waitcnt vmcnt(3)
	buffer_store_dword v1, off, s[0:3], 0 offset:240
	s_waitcnt vmcnt(3)
	buffer_store_dword v68, off, s[0:3], 0 offset:244
	s_waitcnt vmcnt(3)
	buffer_store_dword v69, v0, s[0:3], 0 offen offset:4
	s_waitcnt vmcnt(3)
	buffer_store_dword v70, v0, s[0:3], 0 offen
.LBB96_210:
	s_or_b64 exec, exec, s[4:5]
	v_pk_mov_b32 v[0:1], s[10:11], s[10:11] op_sel:[0,1]
	flat_load_dword v0, v[0:1] offset:116
	s_waitcnt vmcnt(0) lgkmcnt(0)
	v_add_u32_e32 v0, -1, v0
	v_cmp_ne_u32_e32 vcc, 29, v0
	s_and_saveexec_b64 s[4:5], vcc
	s_cbranch_execz .LBB96_212
; %bb.211:
	v_mov_b32_e32 v1, 0
	v_lshl_add_u32 v0, v0, 3, v1
	buffer_load_dword v1, v0, s[0:3], 0 offen
	buffer_load_dword v68, v0, s[0:3], 0 offen offset:4
	buffer_load_dword v69, off, s[0:3], 0 offset:232
	buffer_load_dword v70, off, s[0:3], 0 offset:236
	s_waitcnt vmcnt(3)
	buffer_store_dword v1, off, s[0:3], 0 offset:232
	s_waitcnt vmcnt(3)
	buffer_store_dword v68, off, s[0:3], 0 offset:236
	s_waitcnt vmcnt(3)
	buffer_store_dword v69, v0, s[0:3], 0 offen
	s_waitcnt vmcnt(3)
	buffer_store_dword v70, v0, s[0:3], 0 offen offset:4
.LBB96_212:
	s_or_b64 exec, exec, s[4:5]
	v_pk_mov_b32 v[0:1], s[10:11], s[10:11] op_sel:[0,1]
	flat_load_dword v0, v[0:1] offset:112
	s_waitcnt vmcnt(0) lgkmcnt(0)
	v_add_u32_e32 v0, -1, v0
	v_cmp_ne_u32_e32 vcc, 28, v0
	s_and_saveexec_b64 s[4:5], vcc
	s_cbranch_execz .LBB96_214
; %bb.213:
	v_mov_b32_e32 v1, 0
	v_lshl_add_u32 v0, v0, 3, v1
	buffer_load_dword v1, v0, s[0:3], 0 offen
	buffer_load_dword v68, v0, s[0:3], 0 offen offset:4
	buffer_load_dword v69, off, s[0:3], 0 offset:228
	buffer_load_dword v70, off, s[0:3], 0 offset:224
	s_waitcnt vmcnt(3)
	buffer_store_dword v1, off, s[0:3], 0 offset:224
	s_waitcnt vmcnt(3)
	buffer_store_dword v68, off, s[0:3], 0 offset:228
	s_waitcnt vmcnt(3)
	buffer_store_dword v69, v0, s[0:3], 0 offen offset:4
	s_waitcnt vmcnt(3)
	buffer_store_dword v70, v0, s[0:3], 0 offen
.LBB96_214:
	s_or_b64 exec, exec, s[4:5]
	v_pk_mov_b32 v[0:1], s[10:11], s[10:11] op_sel:[0,1]
	flat_load_dword v0, v[0:1] offset:108
	s_waitcnt vmcnt(0) lgkmcnt(0)
	v_add_u32_e32 v0, -1, v0
	v_cmp_ne_u32_e32 vcc, 27, v0
	s_and_saveexec_b64 s[4:5], vcc
	s_cbranch_execz .LBB96_216
; %bb.215:
	v_mov_b32_e32 v1, 0
	v_lshl_add_u32 v0, v0, 3, v1
	buffer_load_dword v1, v0, s[0:3], 0 offen
	buffer_load_dword v68, v0, s[0:3], 0 offen offset:4
	buffer_load_dword v69, off, s[0:3], 0 offset:216
	buffer_load_dword v70, off, s[0:3], 0 offset:220
	s_waitcnt vmcnt(3)
	buffer_store_dword v1, off, s[0:3], 0 offset:216
	s_waitcnt vmcnt(3)
	buffer_store_dword v68, off, s[0:3], 0 offset:220
	s_waitcnt vmcnt(3)
	buffer_store_dword v69, v0, s[0:3], 0 offen
	s_waitcnt vmcnt(3)
	buffer_store_dword v70, v0, s[0:3], 0 offen offset:4
.LBB96_216:
	;; [unrolled: 48-line block ×15, first 2 shown]
	s_or_b64 exec, exec, s[4:5]
	v_pk_mov_b32 v[0:1], s[10:11], s[10:11] op_sel:[0,1]
	flat_load_dword v68, v[0:1]
	s_nop 0
	buffer_load_dword v0, off, s[0:3], 0
	buffer_load_dword v1, off, s[0:3], 0 offset:4
	s_waitcnt vmcnt(0) lgkmcnt(0)
	v_add_u32_e32 v68, -1, v68
	v_cmp_ne_u32_e32 vcc, 0, v68
	s_and_saveexec_b64 s[4:5], vcc
	s_cbranch_execz .LBB96_270
; %bb.269:
	v_mov_b32_e32 v69, 0
	v_lshl_add_u32 v68, v68, 3, v69
	buffer_load_dword v69, v68, s[0:3], 0 offen offset:4
	buffer_load_dword v70, v68, s[0:3], 0 offen
	s_waitcnt vmcnt(1)
	buffer_store_dword v69, off, s[0:3], 0 offset:4
	s_waitcnt vmcnt(1)
	buffer_store_dword v70, off, s[0:3], 0
	buffer_store_dword v1, v68, s[0:3], 0 offen offset:4
	buffer_store_dword v0, v68, s[0:3], 0 offen
	buffer_load_dword v0, off, s[0:3], 0
	s_nop 0
	buffer_load_dword v1, off, s[0:3], 0 offset:4
.LBB96_270:
	s_or_b64 exec, exec, s[4:5]
.LBB96_271:
	s_waitcnt vmcnt(0)
	global_store_dwordx2 v[66:67], v[0:1], off
	buffer_load_dword v0, off, s[0:3], 0 offset:8
	s_nop 0
	buffer_load_dword v1, off, s[0:3], 0 offset:12
	buffer_load_dword v66, off, s[0:3], 0 offset:16
	;; [unrolled: 1-line block ×15, first 2 shown]
	s_waitcnt vmcnt(14)
	global_store_dwordx2 v[64:65], v[0:1], off
	s_waitcnt vmcnt(13)
	global_store_dwordx2 v[2:3], v[66:67], off
	;; [unrolled: 2-line block ×8, first 2 shown]
	buffer_load_dword v0, off, s[0:3], 0 offset:72
	buffer_load_dword v1, off, s[0:3], 0 offset:76
	s_waitcnt vmcnt(0)
	global_store_dwordx2 v[14:15], v[0:1], off
	buffer_load_dword v0, off, s[0:3], 0 offset:80
	s_nop 0
	buffer_load_dword v1, off, s[0:3], 0 offset:84
	s_waitcnt vmcnt(0)
	global_store_dwordx2 v[16:17], v[0:1], off
	buffer_load_dword v0, off, s[0:3], 0 offset:88
	s_nop 0
	;; [unrolled: 5-line block ×23, first 2 shown]
	buffer_load_dword v1, off, s[0:3], 0 offset:260
	s_waitcnt vmcnt(0)
	global_store_dwordx2 v[60:61], v[0:1], off
	s_endpgm
	.section	.rodata,"a",@progbits
	.p2align	6, 0x0
	.amdhsa_kernel _ZN9rocsolver6v33100L18getri_kernel_smallILi33EdPKPdEEvT1_iilPiilS6_bb
		.amdhsa_group_segment_fixed_size 536
		.amdhsa_private_segment_fixed_size 272
		.amdhsa_kernarg_size 60
		.amdhsa_user_sgpr_count 8
		.amdhsa_user_sgpr_private_segment_buffer 1
		.amdhsa_user_sgpr_dispatch_ptr 0
		.amdhsa_user_sgpr_queue_ptr 0
		.amdhsa_user_sgpr_kernarg_segment_ptr 1
		.amdhsa_user_sgpr_dispatch_id 0
		.amdhsa_user_sgpr_flat_scratch_init 1
		.amdhsa_user_sgpr_kernarg_preload_length 0
		.amdhsa_user_sgpr_kernarg_preload_offset 0
		.amdhsa_user_sgpr_private_segment_size 0
		.amdhsa_uses_dynamic_stack 0
		.amdhsa_system_sgpr_private_segment_wavefront_offset 1
		.amdhsa_system_sgpr_workgroup_id_x 1
		.amdhsa_system_sgpr_workgroup_id_y 0
		.amdhsa_system_sgpr_workgroup_id_z 0
		.amdhsa_system_sgpr_workgroup_info 0
		.amdhsa_system_vgpr_workitem_id 0
		.amdhsa_next_free_vgpr 128
		.amdhsa_next_free_sgpr 22
		.amdhsa_accum_offset 128
		.amdhsa_reserve_vcc 1
		.amdhsa_reserve_flat_scratch 1
		.amdhsa_float_round_mode_32 0
		.amdhsa_float_round_mode_16_64 0
		.amdhsa_float_denorm_mode_32 3
		.amdhsa_float_denorm_mode_16_64 3
		.amdhsa_dx10_clamp 1
		.amdhsa_ieee_mode 1
		.amdhsa_fp16_overflow 0
		.amdhsa_tg_split 0
		.amdhsa_exception_fp_ieee_invalid_op 0
		.amdhsa_exception_fp_denorm_src 0
		.amdhsa_exception_fp_ieee_div_zero 0
		.amdhsa_exception_fp_ieee_overflow 0
		.amdhsa_exception_fp_ieee_underflow 0
		.amdhsa_exception_fp_ieee_inexact 0
		.amdhsa_exception_int_div_zero 0
	.end_amdhsa_kernel
	.section	.text._ZN9rocsolver6v33100L18getri_kernel_smallILi33EdPKPdEEvT1_iilPiilS6_bb,"axG",@progbits,_ZN9rocsolver6v33100L18getri_kernel_smallILi33EdPKPdEEvT1_iilPiilS6_bb,comdat
.Lfunc_end96:
	.size	_ZN9rocsolver6v33100L18getri_kernel_smallILi33EdPKPdEEvT1_iilPiilS6_bb, .Lfunc_end96-_ZN9rocsolver6v33100L18getri_kernel_smallILi33EdPKPdEEvT1_iilPiilS6_bb
                                        ; -- End function
	.section	.AMDGPU.csdata,"",@progbits
; Kernel info:
; codeLenInByte = 32184
; NumSgprs: 28
; NumVgprs: 128
; NumAgprs: 0
; TotalNumVgprs: 128
; ScratchSize: 272
; MemoryBound: 0
; FloatMode: 240
; IeeeMode: 1
; LDSByteSize: 536 bytes/workgroup (compile time only)
; SGPRBlocks: 3
; VGPRBlocks: 15
; NumSGPRsForWavesPerEU: 28
; NumVGPRsForWavesPerEU: 128
; AccumOffset: 128
; Occupancy: 4
; WaveLimiterHint : 1
; COMPUTE_PGM_RSRC2:SCRATCH_EN: 1
; COMPUTE_PGM_RSRC2:USER_SGPR: 8
; COMPUTE_PGM_RSRC2:TRAP_HANDLER: 0
; COMPUTE_PGM_RSRC2:TGID_X_EN: 1
; COMPUTE_PGM_RSRC2:TGID_Y_EN: 0
; COMPUTE_PGM_RSRC2:TGID_Z_EN: 0
; COMPUTE_PGM_RSRC2:TIDIG_COMP_CNT: 0
; COMPUTE_PGM_RSRC3_GFX90A:ACCUM_OFFSET: 31
; COMPUTE_PGM_RSRC3_GFX90A:TG_SPLIT: 0
	.section	.text._ZN9rocsolver6v33100L18getri_kernel_smallILi34EdPKPdEEvT1_iilPiilS6_bb,"axG",@progbits,_ZN9rocsolver6v33100L18getri_kernel_smallILi34EdPKPdEEvT1_iilPiilS6_bb,comdat
	.globl	_ZN9rocsolver6v33100L18getri_kernel_smallILi34EdPKPdEEvT1_iilPiilS6_bb ; -- Begin function _ZN9rocsolver6v33100L18getri_kernel_smallILi34EdPKPdEEvT1_iilPiilS6_bb
	.p2align	8
	.type	_ZN9rocsolver6v33100L18getri_kernel_smallILi34EdPKPdEEvT1_iilPiilS6_bb,@function
_ZN9rocsolver6v33100L18getri_kernel_smallILi34EdPKPdEEvT1_iilPiilS6_bb: ; @_ZN9rocsolver6v33100L18getri_kernel_smallILi34EdPKPdEEvT1_iilPiilS6_bb
; %bb.0:
	s_add_u32 flat_scratch_lo, s6, s9
	s_addc_u32 flat_scratch_hi, s7, 0
	s_add_u32 s0, s0, s9
	s_addc_u32 s1, s1, 0
	v_cmp_gt_u32_e32 vcc, 34, v0
	s_and_saveexec_b64 s[6:7], vcc
	s_cbranch_execz .LBB97_144
; %bb.1:
	s_load_dword s20, s[4:5], 0x38
	s_load_dwordx2 s[6:7], s[4:5], 0x0
	s_load_dwordx4 s[12:15], s[4:5], 0x28
	s_waitcnt lgkmcnt(0)
	s_bitcmp1_b32 s20, 8
	s_cselect_b64 s[16:17], -1, 0
	s_ashr_i32 s9, s8, 31
	s_lshl_b64 s[10:11], s[8:9], 3
	s_add_u32 s6, s6, s10
	s_addc_u32 s7, s7, s11
	s_load_dwordx2 s[18:19], s[6:7], 0x0
	s_bfe_u32 s6, s20, 0x10008
	s_cmp_eq_u32 s6, 0
                                        ; implicit-def: $sgpr10_sgpr11
	s_cbranch_scc1 .LBB97_3
; %bb.2:
	s_load_dword s6, s[4:5], 0x20
	s_load_dwordx2 s[10:11], s[4:5], 0x18
	s_mul_i32 s7, s8, s13
	s_mul_hi_u32 s13, s8, s12
	s_add_i32 s13, s13, s7
	s_mul_i32 s21, s9, s12
	s_add_i32 s13, s13, s21
	s_mul_i32 s12, s8, s12
	s_waitcnt lgkmcnt(0)
	s_ashr_i32 s7, s6, 31
	s_lshl_b64 s[12:13], s[12:13], 2
	s_add_u32 s10, s10, s12
	s_addc_u32 s11, s11, s13
	s_lshl_b64 s[6:7], s[6:7], 2
	s_add_u32 s10, s10, s6
	s_addc_u32 s11, s11, s7
.LBB97_3:
	s_load_dwordx2 s[6:7], s[4:5], 0x8
	s_waitcnt lgkmcnt(0)
	s_ashr_i32 s5, s6, 31
	s_mov_b32 s4, s6
	s_lshl_b64 s[4:5], s[4:5], 3
	s_add_u32 s4, s18, s4
	s_addc_u32 s5, s19, s5
	s_add_i32 s6, s7, s7
	v_add_u32_e32 v4, s6, v0
	v_ashrrev_i32_e32 v5, 31, v4
	v_lshlrev_b64 v[2:3], 3, v[4:5]
	v_add_u32_e32 v6, s7, v4
	v_mov_b32_e32 v1, s5
	v_add_co_u32_e32 v2, vcc, s4, v2
	v_ashrrev_i32_e32 v7, 31, v6
	v_addc_co_u32_e32 v3, vcc, v1, v3, vcc
	v_lshlrev_b64 v[4:5], 3, v[6:7]
	v_add_u32_e32 v8, s7, v6
	v_add_co_u32_e32 v4, vcc, s4, v4
	v_ashrrev_i32_e32 v9, 31, v8
	v_addc_co_u32_e32 v5, vcc, v1, v5, vcc
	v_lshlrev_b64 v[6:7], 3, v[8:9]
	v_add_u32_e32 v10, s7, v8
	;; [unrolled: 5-line block ×5, first 2 shown]
	v_add_co_u32_e32 v12, vcc, s4, v12
	v_ashrrev_i32_e32 v15, 31, v14
	v_addc_co_u32_e32 v13, vcc, v1, v13, vcc
	v_lshlrev_b64 v[16:17], 3, v[14:15]
	v_add_co_u32_e32 v18, vcc, s4, v16
	v_add_u32_e32 v16, s7, v14
	v_addc_co_u32_e32 v19, vcc, v1, v17, vcc
	v_ashrrev_i32_e32 v17, 31, v16
	v_lshlrev_b64 v[14:15], 3, v[16:17]
	v_add_u32_e32 v20, s7, v16
	v_add_co_u32_e32 v14, vcc, s4, v14
	v_ashrrev_i32_e32 v21, 31, v20
	v_addc_co_u32_e32 v15, vcc, v1, v15, vcc
	v_lshlrev_b64 v[16:17], 3, v[20:21]
	v_add_u32_e32 v22, s7, v20
	v_add_co_u32_e32 v16, vcc, s4, v16
	v_ashrrev_i32_e32 v23, 31, v22
	v_addc_co_u32_e32 v17, vcc, v1, v17, vcc
	;; [unrolled: 5-line block ×16, first 2 shown]
	v_lshlrev_b64 v[48:49], 3, v[50:51]
	v_add_co_u32_e32 v48, vcc, s4, v48
	v_addc_co_u32_e32 v49, vcc, v1, v49, vcc
	v_lshlrev_b32_e32 v1, 3, v0
	global_load_dwordx2 v[70:71], v1, s[4:5]
	global_load_dwordx2 v[74:75], v[2:3], off
	global_load_dwordx2 v[76:77], v[4:5], off
	;; [unrolled: 1-line block ×3, first 2 shown]
	v_mov_b32_e32 v54, s5
	v_add_co_u32_e32 v68, vcc, s4, v1
	s_ashr_i32 s13, s7, 31
	s_mov_b32 s12, s7
	v_addc_co_u32_e32 v69, vcc, 0, v54, vcc
	s_lshl_b64 s[12:13], s[12:13], 3
	v_mov_b32_e32 v54, s13
	v_add_co_u32_e32 v66, vcc, s12, v68
	v_addc_co_u32_e32 v67, vcc, v69, v54, vcc
	global_load_dwordx2 v[72:73], v[66:67], off
	global_load_dwordx2 v[82:83], v[10:11], off
	;; [unrolled: 1-line block ×3, first 2 shown]
	v_add_u32_e32 v52, s7, v50
	v_ashrrev_i32_e32 v53, 31, v52
	v_lshlrev_b64 v[50:51], 3, v[52:53]
	v_add_u32_e32 v54, s7, v52
	v_mov_b32_e32 v53, s5
	v_add_co_u32_e32 v50, vcc, s4, v50
	v_ashrrev_i32_e32 v55, 31, v54
	v_addc_co_u32_e32 v51, vcc, v53, v51, vcc
	v_lshlrev_b64 v[52:53], 3, v[54:55]
	v_mov_b32_e32 v55, s5
	v_add_co_u32_e32 v52, vcc, s4, v52
	v_add_u32_e32 v54, s7, v54
	v_addc_co_u32_e32 v53, vcc, v55, v53, vcc
	v_ashrrev_i32_e32 v55, 31, v54
	v_lshlrev_b64 v[56:57], 3, v[54:55]
	v_mov_b32_e32 v55, s5
	v_add_co_u32_e32 v56, vcc, s4, v56
	v_add_u32_e32 v54, s7, v54
	v_addc_co_u32_e32 v57, vcc, v55, v57, vcc
	v_ashrrev_i32_e32 v55, 31, v54
	;; [unrolled: 6-line block ×3, first 2 shown]
	v_lshlrev_b64 v[60:61], 3, v[54:55]
	v_add_u32_e32 v54, s7, v54
	v_mov_b32_e32 v62, s5
	v_add_co_u32_e32 v60, vcc, s4, v60
	v_ashrrev_i32_e32 v55, 31, v54
	v_addc_co_u32_e32 v61, vcc, v62, v61, vcc
	v_lshlrev_b64 v[62:63], 3, v[54:55]
	v_add_u32_e32 v54, s7, v54
	v_mov_b32_e32 v64, s5
	v_add_co_u32_e32 v62, vcc, s4, v62
	v_ashrrev_i32_e32 v55, 31, v54
	v_addc_co_u32_e32 v63, vcc, v64, v63, vcc
	;; [unrolled: 6-line block ×3, first 2 shown]
	v_lshlrev_b64 v[54:55], 3, v[54:55]
	v_mov_b32_e32 v104, s5
	v_add_co_u32_e32 v54, vcc, s4, v54
	global_load_dwordx2 v[84:85], v[12:13], off
	global_load_dwordx2 v[86:87], v[18:19], off
	;; [unrolled: 1-line block ×10, first 2 shown]
	v_addc_co_u32_e32 v55, vcc, v104, v55, vcc
	global_load_dwordx2 v[104:105], v[32:33], off
	global_load_dwordx2 v[106:107], v[54:55], off
	global_load_dwordx2 v[108:109], v[34:35], off
	global_load_dwordx2 v[110:111], v[36:37], off
	global_load_dwordx2 v[112:113], v[40:41], off
	global_load_dwordx2 v[114:115], v[44:45], off
	global_load_dwordx2 v[116:117], v[48:49], off
	global_load_dwordx2 v[118:119], v[52:53], off
	global_load_dwordx2 v[120:121], v[58:59], off
	global_load_dwordx2 v[122:123], v[62:63], off
	s_bitcmp0_b32 s20, 0
	s_waitcnt vmcnt(26)
	buffer_store_dword v71, off, s[0:3], 0 offset:4
	buffer_store_dword v70, off, s[0:3], 0
	global_load_dwordx2 v[70:71], v[38:39], off
	s_mov_b64 s[6:7], -1
	s_waitcnt vmcnt(25)
	buffer_store_dword v73, off, s[0:3], 0 offset:12
	buffer_store_dword v72, off, s[0:3], 0 offset:8
	global_load_dwordx2 v[72:73], v[42:43], off
	s_nop 0
	buffer_store_dword v75, off, s[0:3], 0 offset:20
	buffer_store_dword v74, off, s[0:3], 0 offset:16
	global_load_dwordx2 v[74:75], v[46:47], off
	s_nop 0
	;; [unrolled: 4-line block ×3, first 2 shown]
	buffer_store_dword v79, off, s[0:3], 0 offset:36
	buffer_store_dword v78, off, s[0:3], 0 offset:32
	global_load_dwordx2 v[78:79], v[56:57], off
	s_waitcnt vmcnt(35)
	buffer_store_dword v81, off, s[0:3], 0 offset:44
	buffer_store_dword v80, off, s[0:3], 0 offset:40
	global_load_dwordx2 v[80:81], v[60:61], off
	s_nop 0
	buffer_store_dword v83, off, s[0:3], 0 offset:52
	buffer_store_dword v82, off, s[0:3], 0 offset:48
	global_load_dwordx2 v[82:83], v[64:65], off
	s_waitcnt vmcnt(40)
	buffer_store_dword v85, off, s[0:3], 0 offset:60
	buffer_store_dword v84, off, s[0:3], 0 offset:56
	s_waitcnt vmcnt(41)
	buffer_store_dword v87, off, s[0:3], 0 offset:68
	buffer_store_dword v86, off, s[0:3], 0 offset:64
	;; [unrolled: 3-line block ×14, first 2 shown]
	buffer_store_dword v112, off, s[0:3], 0 offset:168
	buffer_store_dword v113, off, s[0:3], 0 offset:172
	s_waitcnt vmcnt(45)
	buffer_store_dword v72, off, s[0:3], 0 offset:176
	buffer_store_dword v73, off, s[0:3], 0 offset:180
	buffer_store_dword v114, off, s[0:3], 0 offset:184
	buffer_store_dword v115, off, s[0:3], 0 offset:188
	s_waitcnt vmcnt(46)
	buffer_store_dword v74, off, s[0:3], 0 offset:192
	buffer_store_dword v75, off, s[0:3], 0 offset:196
	;; [unrolled: 5-line block ×6, first 2 shown]
	buffer_store_dword v106, off, s[0:3], 0 offset:264
	buffer_store_dword v107, off, s[0:3], 0 offset:268
	s_cbranch_scc1 .LBB97_142
; %bb.4:
	v_cmp_eq_u32_e64 s[4:5], 0, v0
	s_and_saveexec_b64 s[6:7], s[4:5]
	s_cbranch_execz .LBB97_6
; %bb.5:
	v_mov_b32_e32 v70, 0
	ds_write_b32 v70, v70 offset:544
.LBB97_6:
	s_or_b64 exec, exec, s[6:7]
	v_mov_b32_e32 v70, 0
	v_lshl_add_u32 v70, v0, 3, v70
	s_waitcnt lgkmcnt(0)
	; wave barrier
	s_waitcnt lgkmcnt(0)
	buffer_load_dword v72, v70, s[0:3], 0 offen
	buffer_load_dword v73, v70, s[0:3], 0 offen offset:4
	s_waitcnt vmcnt(0)
	v_cmp_eq_f64_e32 vcc, 0, v[72:73]
	s_and_saveexec_b64 s[12:13], vcc
	s_cbranch_execz .LBB97_10
; %bb.7:
	v_mov_b32_e32 v71, 0
	ds_read_b32 v73, v71 offset:544
	v_add_u32_e32 v72, 1, v0
	s_waitcnt lgkmcnt(0)
	v_readfirstlane_b32 s6, v73
	s_cmp_eq_u32 s6, 0
	s_cselect_b64 s[18:19], -1, 0
	v_cmp_gt_i32_e32 vcc, s6, v72
	s_or_b64 s[18:19], s[18:19], vcc
	s_and_b64 exec, exec, s[18:19]
	s_cbranch_execz .LBB97_10
; %bb.8:
	s_mov_b64 s[18:19], 0
	v_mov_b32_e32 v73, s6
.LBB97_9:                               ; =>This Inner Loop Header: Depth=1
	ds_cmpst_rtn_b32 v73, v71, v73, v72 offset:544
	s_waitcnt lgkmcnt(0)
	v_cmp_ne_u32_e32 vcc, 0, v73
	v_cmp_le_i32_e64 s[6:7], v73, v72
	s_and_b64 s[6:7], vcc, s[6:7]
	s_and_b64 s[6:7], exec, s[6:7]
	s_or_b64 s[18:19], s[6:7], s[18:19]
	s_andn2_b64 exec, exec, s[18:19]
	s_cbranch_execnz .LBB97_9
.LBB97_10:
	s_or_b64 exec, exec, s[12:13]
	v_mov_b32_e32 v72, 0
	s_waitcnt lgkmcnt(0)
	; wave barrier
	ds_read_b32 v71, v72 offset:544
	s_and_saveexec_b64 s[6:7], s[4:5]
	s_cbranch_execz .LBB97_12
; %bb.11:
	s_lshl_b64 s[12:13], s[8:9], 2
	s_add_u32 s12, s14, s12
	s_addc_u32 s13, s15, s13
	s_waitcnt lgkmcnt(0)
	global_store_dword v72, v71, s[12:13]
.LBB97_12:
	s_or_b64 exec, exec, s[6:7]
	s_waitcnt lgkmcnt(0)
	v_cmp_ne_u32_e32 vcc, 0, v71
	s_mov_b64 s[6:7], 0
	s_cbranch_vccnz .LBB97_142
; %bb.13:
	buffer_load_dword v72, v70, s[0:3], 0 offen
	buffer_load_dword v73, v70, s[0:3], 0 offen offset:4
	s_waitcnt vmcnt(0)
	v_div_scale_f64 v[74:75], s[6:7], v[72:73], v[72:73], 1.0
	v_rcp_f64_e32 v[76:77], v[74:75]
	v_div_scale_f64 v[78:79], vcc, 1.0, v[72:73], 1.0
	v_fma_f64 v[80:81], -v[74:75], v[76:77], 1.0
	v_fmac_f64_e32 v[76:77], v[76:77], v[80:81]
	v_fma_f64 v[80:81], -v[74:75], v[76:77], 1.0
	v_fmac_f64_e32 v[76:77], v[76:77], v[80:81]
	v_mul_f64 v[80:81], v[78:79], v[76:77]
	v_fma_f64 v[74:75], -v[74:75], v[80:81], v[78:79]
	v_div_fmas_f64 v[74:75], v[74:75], v[76:77], v[80:81]
	v_div_fixup_f64 v[74:75], v[74:75], v[72:73], 1.0
	buffer_store_dword v75, v70, s[0:3], 0 offen offset:4
	buffer_store_dword v74, v70, s[0:3], 0 offen
	buffer_load_dword v77, off, s[0:3], 0 offset:12
	buffer_load_dword v76, off, s[0:3], 0 offset:8
	v_add_u32_e32 v72, 0x110, v1
	v_xor_b32_e32 v75, 0x80000000, v75
	s_waitcnt vmcnt(0)
	ds_write2_b64 v1, v[74:75], v[76:77] offset1:34
	s_waitcnt lgkmcnt(0)
	; wave barrier
	s_waitcnt lgkmcnt(0)
	s_and_saveexec_b64 s[6:7], s[4:5]
	s_cbranch_execz .LBB97_15
; %bb.14:
	buffer_load_dword v74, v70, s[0:3], 0 offen
	buffer_load_dword v75, v70, s[0:3], 0 offen offset:4
	v_mov_b32_e32 v71, 0
	ds_read_b64 v[76:77], v72
	ds_read_b64 v[78:79], v71 offset:8
	s_waitcnt vmcnt(0) lgkmcnt(1)
	v_fma_f64 v[74:75], v[74:75], v[76:77], 0
	s_waitcnt lgkmcnt(0)
	v_mul_f64 v[74:75], v[74:75], v[78:79]
	buffer_store_dword v74, off, s[0:3], 0 offset:8
	buffer_store_dword v75, off, s[0:3], 0 offset:12
.LBB97_15:
	s_or_b64 exec, exec, s[6:7]
	s_waitcnt lgkmcnt(0)
	; wave barrier
	buffer_load_dword v74, off, s[0:3], 0 offset:16
	buffer_load_dword v75, off, s[0:3], 0 offset:20
	v_cmp_gt_u32_e32 vcc, 2, v0
	s_waitcnt vmcnt(0)
	ds_write_b64 v72, v[74:75]
	s_waitcnt lgkmcnt(0)
	; wave barrier
	s_waitcnt lgkmcnt(0)
	s_and_saveexec_b64 s[6:7], vcc
	s_cbranch_execz .LBB97_17
; %bb.16:
	buffer_load_dword v71, v70, s[0:3], 0 offen offset:4
	buffer_load_dword v78, off, s[0:3], 0 offset:8
	s_nop 0
	buffer_load_dword v70, v70, s[0:3], 0 offen
	s_nop 0
	buffer_load_dword v79, off, s[0:3], 0 offset:12
	ds_read_b64 v[80:81], v72
	v_mov_b32_e32 v73, 0
	ds_read2_b64 v[74:77], v73 offset0:2 offset1:35
	s_waitcnt vmcnt(1) lgkmcnt(1)
	v_fma_f64 v[70:71], v[70:71], v[80:81], 0
	s_waitcnt vmcnt(0) lgkmcnt(0)
	v_fma_f64 v[76:77], v[78:79], v[76:77], v[70:71]
	v_cndmask_b32_e64 v71, v71, v77, s[4:5]
	v_cndmask_b32_e64 v70, v70, v76, s[4:5]
	v_mul_f64 v[70:71], v[70:71], v[74:75]
	buffer_store_dword v71, off, s[0:3], 0 offset:20
	buffer_store_dword v70, off, s[0:3], 0 offset:16
.LBB97_17:
	s_or_b64 exec, exec, s[6:7]
	s_waitcnt lgkmcnt(0)
	; wave barrier
	buffer_load_dword v70, off, s[0:3], 0 offset:24
	buffer_load_dword v71, off, s[0:3], 0 offset:28
	v_cmp_gt_u32_e32 vcc, 3, v0
	v_add_u32_e32 v73, -1, v0
	s_waitcnt vmcnt(0)
	ds_write_b64 v72, v[70:71]
	s_waitcnt lgkmcnt(0)
	; wave barrier
	s_waitcnt lgkmcnt(0)
	s_and_saveexec_b64 s[4:5], vcc
	s_cbranch_execz .LBB97_21
; %bb.18:
	v_add_u32_e32 v74, -1, v0
	v_add_u32_e32 v75, 0x110, v1
	v_add_u32_e32 v76, 0, v1
	s_mov_b64 s[6:7], 0
	v_pk_mov_b32 v[70:71], 0, 0
.LBB97_19:                              ; =>This Inner Loop Header: Depth=1
	buffer_load_dword v78, v76, s[0:3], 0 offen
	buffer_load_dword v79, v76, s[0:3], 0 offen offset:4
	ds_read_b64 v[80:81], v75
	v_add_u32_e32 v74, 1, v74
	v_cmp_lt_u32_e32 vcc, 1, v74
	v_add_u32_e32 v75, 8, v75
	v_add_u32_e32 v76, 8, v76
	s_or_b64 s[6:7], vcc, s[6:7]
	s_waitcnt vmcnt(0) lgkmcnt(0)
	v_fmac_f64_e32 v[70:71], v[78:79], v[80:81]
	s_andn2_b64 exec, exec, s[6:7]
	s_cbranch_execnz .LBB97_19
; %bb.20:
	s_or_b64 exec, exec, s[6:7]
	v_mov_b32_e32 v74, 0
	ds_read_b64 v[74:75], v74 offset:24
	s_waitcnt lgkmcnt(0)
	v_mul_f64 v[70:71], v[70:71], v[74:75]
	buffer_store_dword v71, off, s[0:3], 0 offset:28
	buffer_store_dword v70, off, s[0:3], 0 offset:24
.LBB97_21:
	s_or_b64 exec, exec, s[4:5]
	s_waitcnt lgkmcnt(0)
	; wave barrier
	buffer_load_dword v70, off, s[0:3], 0 offset:32
	buffer_load_dword v71, off, s[0:3], 0 offset:36
	v_cmp_gt_u32_e32 vcc, 4, v0
	s_waitcnt vmcnt(0)
	ds_write_b64 v72, v[70:71]
	s_waitcnt lgkmcnt(0)
	; wave barrier
	s_waitcnt lgkmcnt(0)
	s_and_saveexec_b64 s[4:5], vcc
	s_cbranch_execz .LBB97_25
; %bb.22:
	v_add_u32_e32 v74, -1, v0
	v_add_u32_e32 v75, 0x110, v1
	v_add_u32_e32 v76, 0, v1
	s_mov_b64 s[6:7], 0
	v_pk_mov_b32 v[70:71], 0, 0
.LBB97_23:                              ; =>This Inner Loop Header: Depth=1
	buffer_load_dword v78, v76, s[0:3], 0 offen
	buffer_load_dword v79, v76, s[0:3], 0 offen offset:4
	ds_read_b64 v[80:81], v75
	v_add_u32_e32 v74, 1, v74
	v_cmp_lt_u32_e32 vcc, 2, v74
	v_add_u32_e32 v75, 8, v75
	v_add_u32_e32 v76, 8, v76
	s_or_b64 s[6:7], vcc, s[6:7]
	s_waitcnt vmcnt(0) lgkmcnt(0)
	v_fmac_f64_e32 v[70:71], v[78:79], v[80:81]
	s_andn2_b64 exec, exec, s[6:7]
	s_cbranch_execnz .LBB97_23
; %bb.24:
	s_or_b64 exec, exec, s[6:7]
	v_mov_b32_e32 v74, 0
	ds_read_b64 v[74:75], v74 offset:32
	s_waitcnt lgkmcnt(0)
	v_mul_f64 v[70:71], v[70:71], v[74:75]
	buffer_store_dword v71, off, s[0:3], 0 offset:36
	buffer_store_dword v70, off, s[0:3], 0 offset:32
.LBB97_25:
	s_or_b64 exec, exec, s[4:5]
	s_waitcnt lgkmcnt(0)
	; wave barrier
	buffer_load_dword v70, off, s[0:3], 0 offset:40
	buffer_load_dword v71, off, s[0:3], 0 offset:44
	v_cmp_gt_u32_e32 vcc, 5, v0
	;; [unrolled: 41-line block ×21, first 2 shown]
	s_waitcnt vmcnt(0)
	ds_write_b64 v72, v[70:71]
	s_waitcnt lgkmcnt(0)
	; wave barrier
	s_waitcnt lgkmcnt(0)
	s_and_saveexec_b64 s[4:5], vcc
	s_cbranch_execz .LBB97_105
; %bb.102:
	v_add_u32_e32 v74, -1, v0
	v_add_u32_e32 v75, 0x110, v1
	v_add_u32_e32 v76, 0, v1
	s_mov_b64 s[6:7], 0
	v_pk_mov_b32 v[70:71], 0, 0
.LBB97_103:                             ; =>This Inner Loop Header: Depth=1
	buffer_load_dword v78, v76, s[0:3], 0 offen
	buffer_load_dword v79, v76, s[0:3], 0 offen offset:4
	ds_read_b64 v[80:81], v75
	v_add_u32_e32 v74, 1, v74
	v_cmp_lt_u32_e32 vcc, 22, v74
	v_add_u32_e32 v75, 8, v75
	v_add_u32_e32 v76, 8, v76
	s_or_b64 s[6:7], vcc, s[6:7]
	s_waitcnt vmcnt(0) lgkmcnt(0)
	v_fmac_f64_e32 v[70:71], v[78:79], v[80:81]
	s_andn2_b64 exec, exec, s[6:7]
	s_cbranch_execnz .LBB97_103
; %bb.104:
	s_or_b64 exec, exec, s[6:7]
	v_mov_b32_e32 v74, 0
	ds_read_b64 v[74:75], v74 offset:192
	s_waitcnt lgkmcnt(0)
	v_mul_f64 v[70:71], v[70:71], v[74:75]
	buffer_store_dword v71, off, s[0:3], 0 offset:196
	buffer_store_dword v70, off, s[0:3], 0 offset:192
.LBB97_105:
	s_or_b64 exec, exec, s[4:5]
	s_waitcnt lgkmcnt(0)
	; wave barrier
	buffer_load_dword v70, off, s[0:3], 0 offset:200
	buffer_load_dword v71, off, s[0:3], 0 offset:204
	v_cmp_gt_u32_e32 vcc, 25, v0
	s_waitcnt vmcnt(0)
	ds_write_b64 v72, v[70:71]
	s_waitcnt lgkmcnt(0)
	; wave barrier
	s_waitcnt lgkmcnt(0)
	s_and_saveexec_b64 s[4:5], vcc
	s_cbranch_execz .LBB97_109
; %bb.106:
	v_add_u32_e32 v74, -1, v0
	v_add_u32_e32 v75, 0x110, v1
	v_add_u32_e32 v76, 0, v1
	s_mov_b64 s[6:7], 0
	v_pk_mov_b32 v[70:71], 0, 0
.LBB97_107:                             ; =>This Inner Loop Header: Depth=1
	buffer_load_dword v78, v76, s[0:3], 0 offen
	buffer_load_dword v79, v76, s[0:3], 0 offen offset:4
	ds_read_b64 v[80:81], v75
	v_add_u32_e32 v74, 1, v74
	v_cmp_lt_u32_e32 vcc, 23, v74
	v_add_u32_e32 v75, 8, v75
	v_add_u32_e32 v76, 8, v76
	s_or_b64 s[6:7], vcc, s[6:7]
	s_waitcnt vmcnt(0) lgkmcnt(0)
	v_fmac_f64_e32 v[70:71], v[78:79], v[80:81]
	s_andn2_b64 exec, exec, s[6:7]
	s_cbranch_execnz .LBB97_107
; %bb.108:
	s_or_b64 exec, exec, s[6:7]
	v_mov_b32_e32 v74, 0
	ds_read_b64 v[74:75], v74 offset:200
	s_waitcnt lgkmcnt(0)
	v_mul_f64 v[70:71], v[70:71], v[74:75]
	buffer_store_dword v71, off, s[0:3], 0 offset:204
	buffer_store_dword v70, off, s[0:3], 0 offset:200
.LBB97_109:
	s_or_b64 exec, exec, s[4:5]
	s_waitcnt lgkmcnt(0)
	; wave barrier
	buffer_load_dword v70, off, s[0:3], 0 offset:208
	buffer_load_dword v71, off, s[0:3], 0 offset:212
	v_cmp_gt_u32_e32 vcc, 26, v0
	;; [unrolled: 41-line block ×8, first 2 shown]
	s_waitcnt vmcnt(0)
	ds_write_b64 v72, v[70:71]
	s_waitcnt lgkmcnt(0)
	; wave barrier
	s_waitcnt lgkmcnt(0)
	s_and_saveexec_b64 s[4:5], vcc
	s_cbranch_execz .LBB97_137
; %bb.134:
	v_add_u32_e32 v74, -1, v0
	v_add_u32_e32 v75, 0x110, v1
	v_add_u32_e32 v76, 0, v1
	s_mov_b64 s[6:7], 0
	v_pk_mov_b32 v[70:71], 0, 0
.LBB97_135:                             ; =>This Inner Loop Header: Depth=1
	buffer_load_dword v78, v76, s[0:3], 0 offen
	buffer_load_dword v79, v76, s[0:3], 0 offen offset:4
	ds_read_b64 v[80:81], v75
	v_add_u32_e32 v74, 1, v74
	v_cmp_lt_u32_e32 vcc, 30, v74
	v_add_u32_e32 v75, 8, v75
	v_add_u32_e32 v76, 8, v76
	s_or_b64 s[6:7], vcc, s[6:7]
	s_waitcnt vmcnt(0) lgkmcnt(0)
	v_fmac_f64_e32 v[70:71], v[78:79], v[80:81]
	s_andn2_b64 exec, exec, s[6:7]
	s_cbranch_execnz .LBB97_135
; %bb.136:
	s_or_b64 exec, exec, s[6:7]
	v_mov_b32_e32 v74, 0
	ds_read_b64 v[74:75], v74 offset:256
	s_waitcnt lgkmcnt(0)
	v_mul_f64 v[70:71], v[70:71], v[74:75]
	buffer_store_dword v71, off, s[0:3], 0 offset:260
	buffer_store_dword v70, off, s[0:3], 0 offset:256
.LBB97_137:
	s_or_b64 exec, exec, s[4:5]
	s_waitcnt lgkmcnt(0)
	; wave barrier
	buffer_load_dword v70, off, s[0:3], 0 offset:264
	buffer_load_dword v71, off, s[0:3], 0 offset:268
	v_cmp_ne_u32_e32 vcc, 33, v0
	s_waitcnt vmcnt(0)
	ds_write_b64 v72, v[70:71]
	s_waitcnt lgkmcnt(0)
	; wave barrier
	s_waitcnt lgkmcnt(0)
	s_and_saveexec_b64 s[4:5], vcc
	s_cbranch_execz .LBB97_141
; %bb.138:
	v_add_u32_e32 v72, 0x110, v1
	v_add_u32_e32 v1, 0, v1
	s_mov_b64 s[6:7], 0
	v_pk_mov_b32 v[70:71], 0, 0
.LBB97_139:                             ; =>This Inner Loop Header: Depth=1
	buffer_load_dword v74, v1, s[0:3], 0 offen
	buffer_load_dword v75, v1, s[0:3], 0 offen offset:4
	ds_read_b64 v[76:77], v72
	v_add_u32_e32 v73, 1, v73
	v_cmp_lt_u32_e32 vcc, 31, v73
	v_add_u32_e32 v72, 8, v72
	v_add_u32_e32 v1, 8, v1
	s_or_b64 s[6:7], vcc, s[6:7]
	s_waitcnt vmcnt(0) lgkmcnt(0)
	v_fmac_f64_e32 v[70:71], v[74:75], v[76:77]
	s_andn2_b64 exec, exec, s[6:7]
	s_cbranch_execnz .LBB97_139
; %bb.140:
	s_or_b64 exec, exec, s[6:7]
	v_mov_b32_e32 v1, 0
	ds_read_b64 v[72:73], v1 offset:264
	s_waitcnt lgkmcnt(0)
	v_mul_f64 v[70:71], v[70:71], v[72:73]
	buffer_store_dword v71, off, s[0:3], 0 offset:268
	buffer_store_dword v70, off, s[0:3], 0 offset:264
.LBB97_141:
	s_or_b64 exec, exec, s[4:5]
	s_mov_b64 s[6:7], -1
	s_waitcnt lgkmcnt(0)
	; wave barrier
.LBB97_142:
	s_and_b64 vcc, exec, s[6:7]
	s_cbranch_vccz .LBB97_144
; %bb.143:
	s_lshl_b64 s[4:5], s[8:9], 2
	s_add_u32 s4, s14, s4
	s_addc_u32 s5, s15, s5
	v_mov_b32_e32 v1, 0
	global_load_dword v1, v1, s[4:5]
	s_waitcnt vmcnt(0)
	v_cmp_ne_u32_e32 vcc, 0, v1
	s_cbranch_vccz .LBB97_145
.LBB97_144:
	s_endpgm
.LBB97_145:
	v_mov_b32_e32 v1, 0x110
	v_lshl_add_u32 v1, v0, 3, v1
	v_cmp_eq_u32_e32 vcc, 33, v0
	s_and_saveexec_b64 s[4:5], vcc
	s_cbranch_execz .LBB97_147
; %bb.146:
	buffer_load_dword v70, off, s[0:3], 0 offset:256
	buffer_load_dword v71, off, s[0:3], 0 offset:260
	v_mov_b32_e32 v72, 0
	buffer_store_dword v72, off, s[0:3], 0 offset:256
	buffer_store_dword v72, off, s[0:3], 0 offset:260
	s_waitcnt vmcnt(2)
	ds_write_b64 v1, v[70:71]
.LBB97_147:
	s_or_b64 exec, exec, s[4:5]
	s_waitcnt lgkmcnt(0)
	; wave barrier
	s_waitcnt lgkmcnt(0)
	buffer_load_dword v72, off, s[0:3], 0 offset:264
	buffer_load_dword v73, off, s[0:3], 0 offset:268
	;; [unrolled: 1-line block ×4, first 2 shown]
	v_mov_b32_e32 v70, 0
	ds_read_b64 v[76:77], v70 offset:536
	v_cmp_lt_u32_e32 vcc, 31, v0
	s_waitcnt vmcnt(2) lgkmcnt(0)
	v_fma_f64 v[72:73], v[72:73], v[76:77], 0
	s_waitcnt vmcnt(0)
	v_add_f64 v[72:73], v[74:75], -v[72:73]
	buffer_store_dword v72, off, s[0:3], 0 offset:256
	buffer_store_dword v73, off, s[0:3], 0 offset:260
	s_and_saveexec_b64 s[4:5], vcc
	s_cbranch_execz .LBB97_149
; %bb.148:
	buffer_load_dword v72, off, s[0:3], 0 offset:248
	buffer_load_dword v73, off, s[0:3], 0 offset:252
	s_waitcnt vmcnt(0)
	ds_write_b64 v1, v[72:73]
	buffer_store_dword v70, off, s[0:3], 0 offset:248
	buffer_store_dword v70, off, s[0:3], 0 offset:252
.LBB97_149:
	s_or_b64 exec, exec, s[4:5]
	s_waitcnt lgkmcnt(0)
	; wave barrier
	s_waitcnt lgkmcnt(0)
	buffer_load_dword v74, off, s[0:3], 0 offset:256
	buffer_load_dword v75, off, s[0:3], 0 offset:260
	;; [unrolled: 1-line block ×6, first 2 shown]
	ds_read_b128 v[70:73], v70 offset:528
	v_cmp_lt_u32_e32 vcc, 30, v0
	s_waitcnt vmcnt(4) lgkmcnt(0)
	v_fma_f64 v[70:71], v[74:75], v[70:71], 0
	s_waitcnt vmcnt(2)
	v_fmac_f64_e32 v[70:71], v[76:77], v[72:73]
	s_waitcnt vmcnt(0)
	v_add_f64 v[70:71], v[78:79], -v[70:71]
	buffer_store_dword v70, off, s[0:3], 0 offset:248
	buffer_store_dword v71, off, s[0:3], 0 offset:252
	s_and_saveexec_b64 s[4:5], vcc
	s_cbranch_execz .LBB97_151
; %bb.150:
	buffer_load_dword v70, off, s[0:3], 0 offset:240
	buffer_load_dword v71, off, s[0:3], 0 offset:244
	v_mov_b32_e32 v72, 0
	buffer_store_dword v72, off, s[0:3], 0 offset:240
	buffer_store_dword v72, off, s[0:3], 0 offset:244
	s_waitcnt vmcnt(2)
	ds_write_b64 v1, v[70:71]
.LBB97_151:
	s_or_b64 exec, exec, s[4:5]
	s_waitcnt lgkmcnt(0)
	; wave barrier
	s_waitcnt lgkmcnt(0)
	buffer_load_dword v76, off, s[0:3], 0 offset:248
	buffer_load_dword v77, off, s[0:3], 0 offset:252
	;; [unrolled: 1-line block ×8, first 2 shown]
	v_mov_b32_e32 v70, 0
	ds_read2_b64 v[72:75], v70 offset0:65 offset1:66
	ds_read_b64 v[84:85], v70 offset:536
	v_cmp_lt_u32_e32 vcc, 29, v0
	s_waitcnt vmcnt(6) lgkmcnt(1)
	v_fma_f64 v[72:73], v[76:77], v[72:73], 0
	s_waitcnt vmcnt(4)
	v_fmac_f64_e32 v[72:73], v[78:79], v[74:75]
	s_waitcnt vmcnt(2) lgkmcnt(0)
	v_fmac_f64_e32 v[72:73], v[80:81], v[84:85]
	s_waitcnt vmcnt(0)
	v_add_f64 v[72:73], v[82:83], -v[72:73]
	buffer_store_dword v72, off, s[0:3], 0 offset:240
	buffer_store_dword v73, off, s[0:3], 0 offset:244
	s_and_saveexec_b64 s[4:5], vcc
	s_cbranch_execz .LBB97_153
; %bb.152:
	buffer_load_dword v72, off, s[0:3], 0 offset:232
	buffer_load_dword v73, off, s[0:3], 0 offset:236
	s_waitcnt vmcnt(0)
	ds_write_b64 v1, v[72:73]
	buffer_store_dword v70, off, s[0:3], 0 offset:232
	buffer_store_dword v70, off, s[0:3], 0 offset:236
.LBB97_153:
	s_or_b64 exec, exec, s[4:5]
	s_waitcnt lgkmcnt(0)
	; wave barrier
	s_waitcnt lgkmcnt(0)
	buffer_load_dword v80, off, s[0:3], 0 offset:240
	buffer_load_dword v81, off, s[0:3], 0 offset:244
	;; [unrolled: 1-line block ×10, first 2 shown]
	ds_read_b128 v[72:75], v70 offset:512
	ds_read_b128 v[76:79], v70 offset:528
	v_cmp_lt_u32_e32 vcc, 28, v0
	s_waitcnt vmcnt(8) lgkmcnt(1)
	v_fma_f64 v[70:71], v[80:81], v[72:73], 0
	s_waitcnt vmcnt(6)
	v_fmac_f64_e32 v[70:71], v[82:83], v[74:75]
	s_waitcnt vmcnt(4) lgkmcnt(0)
	v_fmac_f64_e32 v[70:71], v[84:85], v[76:77]
	s_waitcnt vmcnt(2)
	v_fmac_f64_e32 v[70:71], v[86:87], v[78:79]
	s_waitcnt vmcnt(0)
	v_add_f64 v[70:71], v[88:89], -v[70:71]
	buffer_store_dword v70, off, s[0:3], 0 offset:232
	buffer_store_dword v71, off, s[0:3], 0 offset:236
	s_and_saveexec_b64 s[4:5], vcc
	s_cbranch_execz .LBB97_155
; %bb.154:
	buffer_load_dword v70, off, s[0:3], 0 offset:224
	buffer_load_dword v71, off, s[0:3], 0 offset:228
	v_mov_b32_e32 v72, 0
	buffer_store_dword v72, off, s[0:3], 0 offset:224
	buffer_store_dword v72, off, s[0:3], 0 offset:228
	s_waitcnt vmcnt(2)
	ds_write_b64 v1, v[70:71]
.LBB97_155:
	s_or_b64 exec, exec, s[4:5]
	s_waitcnt lgkmcnt(0)
	; wave barrier
	s_waitcnt lgkmcnt(0)
	buffer_load_dword v80, off, s[0:3], 0 offset:232
	buffer_load_dword v81, off, s[0:3], 0 offset:236
	;; [unrolled: 1-line block ×12, first 2 shown]
	v_mov_b32_e32 v70, 0
	ds_read2_b64 v[72:75], v70 offset0:63 offset1:64
	ds_read2_b64 v[76:79], v70 offset0:65 offset1:66
	ds_read_b64 v[92:93], v70 offset:536
	v_cmp_lt_u32_e32 vcc, 27, v0
	s_waitcnt vmcnt(10) lgkmcnt(2)
	v_fma_f64 v[72:73], v[80:81], v[72:73], 0
	s_waitcnt vmcnt(8)
	v_fmac_f64_e32 v[72:73], v[82:83], v[74:75]
	s_waitcnt vmcnt(6) lgkmcnt(1)
	v_fmac_f64_e32 v[72:73], v[84:85], v[76:77]
	s_waitcnt vmcnt(4)
	v_fmac_f64_e32 v[72:73], v[86:87], v[78:79]
	s_waitcnt vmcnt(2) lgkmcnt(0)
	v_fmac_f64_e32 v[72:73], v[88:89], v[92:93]
	s_waitcnt vmcnt(0)
	v_add_f64 v[72:73], v[90:91], -v[72:73]
	buffer_store_dword v72, off, s[0:3], 0 offset:224
	buffer_store_dword v73, off, s[0:3], 0 offset:228
	s_and_saveexec_b64 s[4:5], vcc
	s_cbranch_execz .LBB97_157
; %bb.156:
	buffer_load_dword v72, off, s[0:3], 0 offset:216
	buffer_load_dword v73, off, s[0:3], 0 offset:220
	s_waitcnt vmcnt(0)
	ds_write_b64 v1, v[72:73]
	buffer_store_dword v70, off, s[0:3], 0 offset:216
	buffer_store_dword v70, off, s[0:3], 0 offset:220
.LBB97_157:
	s_or_b64 exec, exec, s[4:5]
	s_waitcnt lgkmcnt(0)
	; wave barrier
	s_waitcnt lgkmcnt(0)
	buffer_load_dword v84, off, s[0:3], 0 offset:224
	buffer_load_dword v85, off, s[0:3], 0 offset:228
	;; [unrolled: 1-line block ×14, first 2 shown]
	ds_read_b128 v[72:75], v70 offset:496
	ds_read_b128 v[76:79], v70 offset:512
	;; [unrolled: 1-line block ×3, first 2 shown]
	v_cmp_lt_u32_e32 vcc, 26, v0
	s_waitcnt vmcnt(12) lgkmcnt(2)
	v_fma_f64 v[70:71], v[84:85], v[72:73], 0
	s_waitcnt vmcnt(10)
	v_fmac_f64_e32 v[70:71], v[86:87], v[74:75]
	s_waitcnt vmcnt(8) lgkmcnt(1)
	v_fmac_f64_e32 v[70:71], v[88:89], v[76:77]
	s_waitcnt vmcnt(6)
	v_fmac_f64_e32 v[70:71], v[90:91], v[78:79]
	s_waitcnt vmcnt(4) lgkmcnt(0)
	v_fmac_f64_e32 v[70:71], v[92:93], v[80:81]
	s_waitcnt vmcnt(2)
	v_fmac_f64_e32 v[70:71], v[94:95], v[82:83]
	s_waitcnt vmcnt(0)
	v_add_f64 v[70:71], v[96:97], -v[70:71]
	buffer_store_dword v70, off, s[0:3], 0 offset:216
	buffer_store_dword v71, off, s[0:3], 0 offset:220
	s_and_saveexec_b64 s[4:5], vcc
	s_cbranch_execz .LBB97_159
; %bb.158:
	buffer_load_dword v70, off, s[0:3], 0 offset:208
	buffer_load_dword v71, off, s[0:3], 0 offset:212
	v_mov_b32_e32 v72, 0
	buffer_store_dword v72, off, s[0:3], 0 offset:208
	buffer_store_dword v72, off, s[0:3], 0 offset:212
	s_waitcnt vmcnt(2)
	ds_write_b64 v1, v[70:71]
.LBB97_159:
	s_or_b64 exec, exec, s[4:5]
	s_waitcnt lgkmcnt(0)
	; wave barrier
	s_waitcnt lgkmcnt(0)
	buffer_load_dword v84, off, s[0:3], 0 offset:216
	buffer_load_dword v85, off, s[0:3], 0 offset:220
	;; [unrolled: 1-line block ×16, first 2 shown]
	v_mov_b32_e32 v70, 0
	ds_read2_b64 v[72:75], v70 offset0:61 offset1:62
	ds_read2_b64 v[76:79], v70 offset0:63 offset1:64
	;; [unrolled: 1-line block ×3, first 2 shown]
	ds_read_b64 v[100:101], v70 offset:536
	v_cmp_lt_u32_e32 vcc, 25, v0
	s_waitcnt vmcnt(14) lgkmcnt(3)
	v_fma_f64 v[72:73], v[84:85], v[72:73], 0
	s_waitcnt vmcnt(12)
	v_fmac_f64_e32 v[72:73], v[86:87], v[74:75]
	s_waitcnt vmcnt(10) lgkmcnt(2)
	v_fmac_f64_e32 v[72:73], v[88:89], v[76:77]
	s_waitcnt vmcnt(8)
	v_fmac_f64_e32 v[72:73], v[90:91], v[78:79]
	s_waitcnt vmcnt(6) lgkmcnt(1)
	v_fmac_f64_e32 v[72:73], v[92:93], v[80:81]
	;; [unrolled: 4-line block ×3, first 2 shown]
	s_waitcnt vmcnt(0)
	v_add_f64 v[72:73], v[98:99], -v[72:73]
	buffer_store_dword v72, off, s[0:3], 0 offset:208
	buffer_store_dword v73, off, s[0:3], 0 offset:212
	s_and_saveexec_b64 s[4:5], vcc
	s_cbranch_execz .LBB97_161
; %bb.160:
	buffer_load_dword v72, off, s[0:3], 0 offset:200
	buffer_load_dword v73, off, s[0:3], 0 offset:204
	s_waitcnt vmcnt(0)
	ds_write_b64 v1, v[72:73]
	buffer_store_dword v70, off, s[0:3], 0 offset:200
	buffer_store_dword v70, off, s[0:3], 0 offset:204
.LBB97_161:
	s_or_b64 exec, exec, s[4:5]
	s_waitcnt lgkmcnt(0)
	; wave barrier
	s_waitcnt lgkmcnt(0)
	buffer_load_dword v88, off, s[0:3], 0 offset:208
	buffer_load_dword v89, off, s[0:3], 0 offset:212
	;; [unrolled: 1-line block ×18, first 2 shown]
	ds_read_b128 v[72:75], v70 offset:480
	ds_read_b128 v[76:79], v70 offset:496
	;; [unrolled: 1-line block ×4, first 2 shown]
	v_cmp_lt_u32_e32 vcc, 24, v0
	s_waitcnt vmcnt(16) lgkmcnt(3)
	v_fma_f64 v[70:71], v[88:89], v[72:73], 0
	s_waitcnt vmcnt(14)
	v_fmac_f64_e32 v[70:71], v[90:91], v[74:75]
	s_waitcnt vmcnt(12) lgkmcnt(2)
	v_fmac_f64_e32 v[70:71], v[92:93], v[76:77]
	s_waitcnt vmcnt(10)
	v_fmac_f64_e32 v[70:71], v[94:95], v[78:79]
	s_waitcnt vmcnt(8) lgkmcnt(1)
	v_fmac_f64_e32 v[70:71], v[96:97], v[80:81]
	;; [unrolled: 4-line block ×3, first 2 shown]
	s_waitcnt vmcnt(2)
	v_fmac_f64_e32 v[70:71], v[102:103], v[86:87]
	s_waitcnt vmcnt(0)
	v_add_f64 v[70:71], v[104:105], -v[70:71]
	buffer_store_dword v70, off, s[0:3], 0 offset:200
	buffer_store_dword v71, off, s[0:3], 0 offset:204
	s_and_saveexec_b64 s[4:5], vcc
	s_cbranch_execz .LBB97_163
; %bb.162:
	buffer_load_dword v70, off, s[0:3], 0 offset:192
	buffer_load_dword v71, off, s[0:3], 0 offset:196
	v_mov_b32_e32 v72, 0
	buffer_store_dword v72, off, s[0:3], 0 offset:192
	buffer_store_dword v72, off, s[0:3], 0 offset:196
	s_waitcnt vmcnt(2)
	ds_write_b64 v1, v[70:71]
.LBB97_163:
	s_or_b64 exec, exec, s[4:5]
	s_waitcnt lgkmcnt(0)
	; wave barrier
	s_waitcnt lgkmcnt(0)
	buffer_load_dword v88, off, s[0:3], 0 offset:200
	buffer_load_dword v89, off, s[0:3], 0 offset:204
	;; [unrolled: 1-line block ×20, first 2 shown]
	v_mov_b32_e32 v70, 0
	ds_read2_b64 v[72:75], v70 offset0:59 offset1:60
	ds_read2_b64 v[76:79], v70 offset0:61 offset1:62
	;; [unrolled: 1-line block ×4, first 2 shown]
	ds_read_b64 v[108:109], v70 offset:536
	v_cmp_lt_u32_e32 vcc, 23, v0
	s_waitcnt vmcnt(18) lgkmcnt(4)
	v_fma_f64 v[72:73], v[88:89], v[72:73], 0
	s_waitcnt vmcnt(16)
	v_fmac_f64_e32 v[72:73], v[90:91], v[74:75]
	s_waitcnt vmcnt(14) lgkmcnt(3)
	v_fmac_f64_e32 v[72:73], v[92:93], v[76:77]
	s_waitcnt vmcnt(12)
	v_fmac_f64_e32 v[72:73], v[94:95], v[78:79]
	s_waitcnt vmcnt(10) lgkmcnt(2)
	v_fmac_f64_e32 v[72:73], v[96:97], v[80:81]
	s_waitcnt vmcnt(8)
	v_fmac_f64_e32 v[72:73], v[98:99], v[82:83]
	s_waitcnt vmcnt(6) lgkmcnt(1)
	v_fmac_f64_e32 v[72:73], v[100:101], v[84:85]
	s_waitcnt vmcnt(2)
	v_fmac_f64_e32 v[72:73], v[104:105], v[86:87]
	s_waitcnt lgkmcnt(0)
	v_fmac_f64_e32 v[72:73], v[102:103], v[108:109]
	s_waitcnt vmcnt(0)
	v_add_f64 v[72:73], v[106:107], -v[72:73]
	buffer_store_dword v72, off, s[0:3], 0 offset:192
	buffer_store_dword v73, off, s[0:3], 0 offset:196
	s_and_saveexec_b64 s[4:5], vcc
	s_cbranch_execz .LBB97_165
; %bb.164:
	buffer_load_dword v72, off, s[0:3], 0 offset:184
	buffer_load_dword v73, off, s[0:3], 0 offset:188
	s_waitcnt vmcnt(0)
	ds_write_b64 v1, v[72:73]
	buffer_store_dword v70, off, s[0:3], 0 offset:184
	buffer_store_dword v70, off, s[0:3], 0 offset:188
.LBB97_165:
	s_or_b64 exec, exec, s[4:5]
	s_waitcnt lgkmcnt(0)
	; wave barrier
	s_waitcnt lgkmcnt(0)
	buffer_load_dword v92, off, s[0:3], 0 offset:192
	buffer_load_dword v93, off, s[0:3], 0 offset:196
	;; [unrolled: 1-line block ×22, first 2 shown]
	ds_read_b128 v[72:75], v70 offset:464
	ds_read_b128 v[76:79], v70 offset:480
	;; [unrolled: 1-line block ×5, first 2 shown]
	v_cmp_lt_u32_e32 vcc, 22, v0
	s_waitcnt vmcnt(20) lgkmcnt(4)
	v_fma_f64 v[70:71], v[92:93], v[72:73], 0
	s_waitcnt vmcnt(18)
	v_fmac_f64_e32 v[70:71], v[94:95], v[74:75]
	s_waitcnt vmcnt(16) lgkmcnt(3)
	v_fmac_f64_e32 v[70:71], v[96:97], v[76:77]
	s_waitcnt vmcnt(14)
	v_fmac_f64_e32 v[70:71], v[98:99], v[78:79]
	s_waitcnt vmcnt(12) lgkmcnt(2)
	v_fmac_f64_e32 v[70:71], v[100:101], v[80:81]
	;; [unrolled: 4-line block ×3, first 2 shown]
	s_waitcnt vmcnt(3)
	v_fmac_f64_e32 v[70:71], v[110:111], v[86:87]
	s_waitcnt lgkmcnt(0)
	v_fmac_f64_e32 v[70:71], v[108:109], v[88:89]
	s_waitcnt vmcnt(2)
	v_fmac_f64_e32 v[70:71], v[106:107], v[90:91]
	s_waitcnt vmcnt(0)
	v_add_f64 v[70:71], v[112:113], -v[70:71]
	buffer_store_dword v70, off, s[0:3], 0 offset:184
	buffer_store_dword v71, off, s[0:3], 0 offset:188
	s_and_saveexec_b64 s[4:5], vcc
	s_cbranch_execz .LBB97_167
; %bb.166:
	buffer_load_dword v70, off, s[0:3], 0 offset:176
	buffer_load_dword v71, off, s[0:3], 0 offset:180
	v_mov_b32_e32 v72, 0
	buffer_store_dword v72, off, s[0:3], 0 offset:176
	buffer_store_dword v72, off, s[0:3], 0 offset:180
	s_waitcnt vmcnt(2)
	ds_write_b64 v1, v[70:71]
.LBB97_167:
	s_or_b64 exec, exec, s[4:5]
	s_waitcnt lgkmcnt(0)
	; wave barrier
	s_waitcnt lgkmcnt(0)
	buffer_load_dword v92, off, s[0:3], 0 offset:184
	buffer_load_dword v93, off, s[0:3], 0 offset:188
	;; [unrolled: 1-line block ×24, first 2 shown]
	v_mov_b32_e32 v70, 0
	ds_read2_b64 v[72:75], v70 offset0:57 offset1:58
	ds_read2_b64 v[76:79], v70 offset0:59 offset1:60
	ds_read2_b64 v[80:83], v70 offset0:61 offset1:62
	ds_read2_b64 v[84:87], v70 offset0:63 offset1:64
	ds_read2_b64 v[88:91], v70 offset0:65 offset1:66
	ds_read_b64 v[116:117], v70 offset:536
	v_cmp_lt_u32_e32 vcc, 21, v0
	s_waitcnt vmcnt(22) lgkmcnt(5)
	v_fma_f64 v[72:73], v[92:93], v[72:73], 0
	s_waitcnt vmcnt(20)
	v_fmac_f64_e32 v[72:73], v[94:95], v[74:75]
	s_waitcnt vmcnt(18) lgkmcnt(4)
	v_fmac_f64_e32 v[72:73], v[96:97], v[76:77]
	s_waitcnt vmcnt(16)
	v_fmac_f64_e32 v[72:73], v[98:99], v[78:79]
	s_waitcnt vmcnt(14) lgkmcnt(3)
	v_fmac_f64_e32 v[72:73], v[100:101], v[80:81]
	;; [unrolled: 4-line block ×3, first 2 shown]
	s_waitcnt vmcnt(4)
	v_fmac_f64_e32 v[72:73], v[112:113], v[86:87]
	s_waitcnt lgkmcnt(1)
	v_fmac_f64_e32 v[72:73], v[110:111], v[88:89]
	s_waitcnt vmcnt(3)
	v_fmac_f64_e32 v[72:73], v[108:109], v[90:91]
	s_waitcnt vmcnt(2) lgkmcnt(0)
	v_fmac_f64_e32 v[72:73], v[106:107], v[116:117]
	s_waitcnt vmcnt(0)
	v_add_f64 v[72:73], v[114:115], -v[72:73]
	buffer_store_dword v73, off, s[0:3], 0 offset:180
	buffer_store_dword v72, off, s[0:3], 0 offset:176
	s_and_saveexec_b64 s[4:5], vcc
	s_cbranch_execz .LBB97_169
; %bb.168:
	buffer_load_dword v72, off, s[0:3], 0 offset:168
	buffer_load_dword v73, off, s[0:3], 0 offset:172
	s_waitcnt vmcnt(0)
	ds_write_b64 v1, v[72:73]
	buffer_store_dword v70, off, s[0:3], 0 offset:168
	buffer_store_dword v70, off, s[0:3], 0 offset:172
.LBB97_169:
	s_or_b64 exec, exec, s[4:5]
	s_waitcnt lgkmcnt(0)
	; wave barrier
	s_waitcnt lgkmcnt(0)
	buffer_load_dword v96, off, s[0:3], 0 offset:176
	buffer_load_dword v97, off, s[0:3], 0 offset:180
	buffer_load_dword v98, off, s[0:3], 0 offset:184
	buffer_load_dword v99, off, s[0:3], 0 offset:188
	buffer_load_dword v100, off, s[0:3], 0 offset:192
	buffer_load_dword v101, off, s[0:3], 0 offset:196
	buffer_load_dword v102, off, s[0:3], 0 offset:200
	buffer_load_dword v103, off, s[0:3], 0 offset:204
	buffer_load_dword v104, off, s[0:3], 0 offset:208
	buffer_load_dword v105, off, s[0:3], 0 offset:212
	buffer_load_dword v106, off, s[0:3], 0 offset:216
	buffer_load_dword v107, off, s[0:3], 0 offset:220
	buffer_load_dword v108, off, s[0:3], 0 offset:224
	buffer_load_dword v109, off, s[0:3], 0 offset:228
	buffer_load_dword v110, off, s[0:3], 0 offset:256
	buffer_load_dword v113, off, s[0:3], 0 offset:252
	buffer_load_dword v112, off, s[0:3], 0 offset:248
	buffer_load_dword v115, off, s[0:3], 0 offset:244
	buffer_load_dword v114, off, s[0:3], 0 offset:240
	buffer_load_dword v117, off, s[0:3], 0 offset:236
	buffer_load_dword v116, off, s[0:3], 0 offset:232
	buffer_load_dword v111, off, s[0:3], 0 offset:260
	buffer_load_dword v119, off, s[0:3], 0 offset:268
	buffer_load_dword v118, off, s[0:3], 0 offset:264
	buffer_load_dword v120, off, s[0:3], 0 offset:168
	buffer_load_dword v121, off, s[0:3], 0 offset:172
	ds_read_b128 v[72:75], v70 offset:448
	ds_read_b128 v[76:79], v70 offset:464
	;; [unrolled: 1-line block ×6, first 2 shown]
	v_cmp_lt_u32_e32 vcc, 20, v0
	s_waitcnt vmcnt(24) lgkmcnt(5)
	v_fma_f64 v[70:71], v[96:97], v[72:73], 0
	s_waitcnt vmcnt(22)
	v_fmac_f64_e32 v[70:71], v[98:99], v[74:75]
	s_waitcnt vmcnt(20) lgkmcnt(4)
	v_fmac_f64_e32 v[70:71], v[100:101], v[76:77]
	s_waitcnt vmcnt(18)
	v_fmac_f64_e32 v[70:71], v[102:103], v[78:79]
	s_waitcnt vmcnt(16) lgkmcnt(3)
	v_fmac_f64_e32 v[70:71], v[104:105], v[80:81]
	s_waitcnt vmcnt(14)
	v_fmac_f64_e32 v[70:71], v[106:107], v[82:83]
	s_waitcnt vmcnt(12) lgkmcnt(2)
	v_fmac_f64_e32 v[70:71], v[108:109], v[84:85]
	s_waitcnt vmcnt(5)
	v_fmac_f64_e32 v[70:71], v[116:117], v[86:87]
	s_waitcnt lgkmcnt(1)
	v_fmac_f64_e32 v[70:71], v[114:115], v[88:89]
	v_fmac_f64_e32 v[70:71], v[112:113], v[90:91]
	s_waitcnt vmcnt(4) lgkmcnt(0)
	v_fmac_f64_e32 v[70:71], v[110:111], v[92:93]
	s_waitcnt vmcnt(2)
	v_fmac_f64_e32 v[70:71], v[118:119], v[94:95]
	s_waitcnt vmcnt(0)
	v_add_f64 v[70:71], v[120:121], -v[70:71]
	buffer_store_dword v71, off, s[0:3], 0 offset:172
	buffer_store_dword v70, off, s[0:3], 0 offset:168
	s_and_saveexec_b64 s[4:5], vcc
	s_cbranch_execz .LBB97_171
; %bb.170:
	buffer_load_dword v70, off, s[0:3], 0 offset:160
	buffer_load_dword v71, off, s[0:3], 0 offset:164
	v_mov_b32_e32 v72, 0
	buffer_store_dword v72, off, s[0:3], 0 offset:160
	buffer_store_dword v72, off, s[0:3], 0 offset:164
	s_waitcnt vmcnt(2)
	ds_write_b64 v1, v[70:71]
.LBB97_171:
	s_or_b64 exec, exec, s[4:5]
	s_waitcnt lgkmcnt(0)
	; wave barrier
	s_waitcnt lgkmcnt(0)
	buffer_load_dword v96, off, s[0:3], 0 offset:168
	buffer_load_dword v97, off, s[0:3], 0 offset:172
	;; [unrolled: 1-line block ×28, first 2 shown]
	v_mov_b32_e32 v70, 0
	ds_read2_b64 v[72:75], v70 offset0:55 offset1:56
	ds_read2_b64 v[76:79], v70 offset0:57 offset1:58
	;; [unrolled: 1-line block ×6, first 2 shown]
	ds_read_b64 v[124:125], v70 offset:536
	v_cmp_lt_u32_e32 vcc, 19, v0
	s_waitcnt vmcnt(26) lgkmcnt(6)
	v_fma_f64 v[72:73], v[96:97], v[72:73], 0
	s_waitcnt vmcnt(24)
	v_fmac_f64_e32 v[72:73], v[98:99], v[74:75]
	s_waitcnt vmcnt(22) lgkmcnt(5)
	v_fmac_f64_e32 v[72:73], v[100:101], v[76:77]
	s_waitcnt vmcnt(20)
	v_fmac_f64_e32 v[72:73], v[102:103], v[78:79]
	s_waitcnt vmcnt(18) lgkmcnt(4)
	v_fmac_f64_e32 v[72:73], v[104:105], v[80:81]
	;; [unrolled: 4-line block ×3, first 2 shown]
	s_waitcnt vmcnt(6)
	v_fmac_f64_e32 v[72:73], v[116:117], v[86:87]
	s_waitcnt lgkmcnt(2)
	v_fmac_f64_e32 v[72:73], v[114:115], v[88:89]
	v_fmac_f64_e32 v[72:73], v[112:113], v[90:91]
	s_waitcnt lgkmcnt(1)
	v_fmac_f64_e32 v[72:73], v[110:111], v[92:93]
	s_waitcnt vmcnt(2)
	v_fmac_f64_e32 v[72:73], v[120:121], v[94:95]
	s_waitcnt lgkmcnt(0)
	v_fmac_f64_e32 v[72:73], v[118:119], v[124:125]
	s_waitcnt vmcnt(0)
	v_add_f64 v[72:73], v[122:123], -v[72:73]
	buffer_store_dword v73, off, s[0:3], 0 offset:164
	buffer_store_dword v72, off, s[0:3], 0 offset:160
	s_and_saveexec_b64 s[4:5], vcc
	s_cbranch_execz .LBB97_173
; %bb.172:
	buffer_load_dword v72, off, s[0:3], 0 offset:152
	buffer_load_dword v73, off, s[0:3], 0 offset:156
	s_waitcnt vmcnt(0)
	ds_write_b64 v1, v[72:73]
	buffer_store_dword v70, off, s[0:3], 0 offset:152
	buffer_store_dword v70, off, s[0:3], 0 offset:156
.LBB97_173:
	s_or_b64 exec, exec, s[4:5]
	s_waitcnt lgkmcnt(0)
	; wave barrier
	s_waitcnt lgkmcnt(0)
	buffer_load_dword v88, off, s[0:3], 0 offset:152
	buffer_load_dword v89, off, s[0:3], 0 offset:156
	;; [unrolled: 1-line block ×16, first 2 shown]
	ds_read_b128 v[72:75], v70 offset:432
	ds_read_b128 v[76:79], v70 offset:448
	;; [unrolled: 1-line block ×4, first 2 shown]
	v_cmp_lt_u32_e32 vcc, 18, v0
	s_waitcnt vmcnt(12) lgkmcnt(3)
	v_fma_f64 v[90:91], v[90:91], v[72:73], 0
	buffer_load_dword v73, off, s[0:3], 0 offset:220
	buffer_load_dword v72, off, s[0:3], 0 offset:216
	s_waitcnt vmcnt(12)
	v_fmac_f64_e32 v[90:91], v[92:93], v[74:75]
	s_waitcnt vmcnt(10) lgkmcnt(2)
	v_fmac_f64_e32 v[90:91], v[94:95], v[76:77]
	buffer_load_dword v77, off, s[0:3], 0 offset:228
	buffer_load_dword v76, off, s[0:3], 0 offset:224
	s_waitcnt vmcnt(10)
	v_fmac_f64_e32 v[90:91], v[96:97], v[78:79]
	s_waitcnt vmcnt(8) lgkmcnt(1)
	v_fmac_f64_e32 v[90:91], v[98:99], v[80:81]
	s_waitcnt vmcnt(6)
	v_fmac_f64_e32 v[90:91], v[100:101], v[82:83]
	s_waitcnt vmcnt(4) lgkmcnt(0)
	v_fmac_f64_e32 v[90:91], v[102:103], v[84:85]
	s_waitcnt vmcnt(2)
	v_fmac_f64_e32 v[90:91], v[72:73], v[86:87]
	ds_read_b128 v[72:75], v70 offset:496
	s_waitcnt vmcnt(0) lgkmcnt(0)
	v_fmac_f64_e32 v[90:91], v[76:77], v[72:73]
	buffer_load_dword v73, off, s[0:3], 0 offset:236
	buffer_load_dword v72, off, s[0:3], 0 offset:232
	;; [unrolled: 1-line block ×4, first 2 shown]
	s_waitcnt vmcnt(2)
	v_fmac_f64_e32 v[90:91], v[72:73], v[74:75]
	ds_read_b128 v[72:75], v70 offset:512
	s_waitcnt vmcnt(0) lgkmcnt(0)
	v_fmac_f64_e32 v[90:91], v[76:77], v[72:73]
	buffer_load_dword v73, off, s[0:3], 0 offset:252
	buffer_load_dword v72, off, s[0:3], 0 offset:248
	s_waitcnt vmcnt(0)
	v_fmac_f64_e32 v[90:91], v[72:73], v[74:75]
	buffer_load_dword v75, off, s[0:3], 0 offset:260
	buffer_load_dword v74, off, s[0:3], 0 offset:256
	ds_read_b128 v[70:73], v70 offset:528
	s_waitcnt vmcnt(0) lgkmcnt(0)
	v_fmac_f64_e32 v[90:91], v[74:75], v[70:71]
	buffer_load_dword v71, off, s[0:3], 0 offset:268
	buffer_load_dword v70, off, s[0:3], 0 offset:264
	s_waitcnt vmcnt(0)
	v_fmac_f64_e32 v[90:91], v[70:71], v[72:73]
	v_add_f64 v[70:71], v[88:89], -v[90:91]
	buffer_store_dword v71, off, s[0:3], 0 offset:156
	buffer_store_dword v70, off, s[0:3], 0 offset:152
	s_and_saveexec_b64 s[4:5], vcc
	s_cbranch_execz .LBB97_175
; %bb.174:
	buffer_load_dword v70, off, s[0:3], 0 offset:144
	buffer_load_dword v71, off, s[0:3], 0 offset:148
	v_mov_b32_e32 v72, 0
	buffer_store_dword v72, off, s[0:3], 0 offset:144
	buffer_store_dword v72, off, s[0:3], 0 offset:148
	s_waitcnt vmcnt(2)
	ds_write_b64 v1, v[70:71]
.LBB97_175:
	s_or_b64 exec, exec, s[4:5]
	s_waitcnt lgkmcnt(0)
	; wave barrier
	s_waitcnt lgkmcnt(0)
	buffer_load_dword v76, off, s[0:3], 0 offset:144
	buffer_load_dword v77, off, s[0:3], 0 offset:148
	;; [unrolled: 1-line block ×16, first 2 shown]
	v_mov_b32_e32 v70, 0
	ds_read2_b64 v[72:75], v70 offset0:53 offset1:54
	v_cmp_lt_u32_e32 vcc, 17, v0
	s_waitcnt vmcnt(12) lgkmcnt(0)
	v_fma_f64 v[78:79], v[78:79], v[72:73], 0
	s_waitcnt vmcnt(10)
	v_fmac_f64_e32 v[78:79], v[80:81], v[74:75]
	ds_read2_b64 v[72:75], v70 offset0:55 offset1:56
	s_waitcnt vmcnt(8) lgkmcnt(0)
	v_fmac_f64_e32 v[78:79], v[82:83], v[72:73]
	s_waitcnt vmcnt(6)
	v_fmac_f64_e32 v[78:79], v[84:85], v[74:75]
	ds_read2_b64 v[72:75], v70 offset0:57 offset1:58
	s_waitcnt vmcnt(4) lgkmcnt(0)
	v_fmac_f64_e32 v[78:79], v[86:87], v[72:73]
	;; [unrolled: 5-line block ×3, first 2 shown]
	buffer_load_dword v73, off, s[0:3], 0 offset:212
	buffer_load_dword v72, off, s[0:3], 0 offset:208
	buffer_load_dword v81, off, s[0:3], 0 offset:220
	buffer_load_dword v80, off, s[0:3], 0 offset:216
	s_waitcnt vmcnt(2)
	v_fmac_f64_e32 v[78:79], v[72:73], v[74:75]
	ds_read2_b64 v[72:75], v70 offset0:61 offset1:62
	s_waitcnt vmcnt(0) lgkmcnt(0)
	v_fmac_f64_e32 v[78:79], v[80:81], v[72:73]
	buffer_load_dword v73, off, s[0:3], 0 offset:228
	buffer_load_dword v72, off, s[0:3], 0 offset:224
	buffer_load_dword v81, off, s[0:3], 0 offset:236
	buffer_load_dword v80, off, s[0:3], 0 offset:232
	s_waitcnt vmcnt(2)
	v_fmac_f64_e32 v[78:79], v[72:73], v[74:75]
	ds_read2_b64 v[72:75], v70 offset0:63 offset1:64
	s_waitcnt vmcnt(0) lgkmcnt(0)
	v_fmac_f64_e32 v[78:79], v[80:81], v[72:73]
	;; [unrolled: 9-line block ×3, first 2 shown]
	buffer_load_dword v73, off, s[0:3], 0 offset:260
	buffer_load_dword v72, off, s[0:3], 0 offset:256
	s_waitcnt vmcnt(0)
	v_fmac_f64_e32 v[78:79], v[72:73], v[74:75]
	buffer_load_dword v73, off, s[0:3], 0 offset:268
	buffer_load_dword v72, off, s[0:3], 0 offset:264
	ds_read_b64 v[74:75], v70 offset:536
	s_waitcnt vmcnt(0) lgkmcnt(0)
	v_fmac_f64_e32 v[78:79], v[72:73], v[74:75]
	v_add_f64 v[72:73], v[76:77], -v[78:79]
	buffer_store_dword v73, off, s[0:3], 0 offset:148
	buffer_store_dword v72, off, s[0:3], 0 offset:144
	s_and_saveexec_b64 s[4:5], vcc
	s_cbranch_execz .LBB97_177
; %bb.176:
	buffer_load_dword v72, off, s[0:3], 0 offset:136
	buffer_load_dword v73, off, s[0:3], 0 offset:140
	s_waitcnt vmcnt(0)
	ds_write_b64 v1, v[72:73]
	buffer_store_dword v70, off, s[0:3], 0 offset:136
	buffer_store_dword v70, off, s[0:3], 0 offset:140
.LBB97_177:
	s_or_b64 exec, exec, s[4:5]
	s_waitcnt lgkmcnt(0)
	; wave barrier
	s_waitcnt lgkmcnt(0)
	buffer_load_dword v88, off, s[0:3], 0 offset:136
	buffer_load_dword v89, off, s[0:3], 0 offset:140
	;; [unrolled: 1-line block ×16, first 2 shown]
	ds_read_b128 v[72:75], v70 offset:416
	ds_read_b128 v[76:79], v70 offset:432
	;; [unrolled: 1-line block ×4, first 2 shown]
	v_cmp_lt_u32_e32 vcc, 16, v0
	s_waitcnt vmcnt(12) lgkmcnt(3)
	v_fma_f64 v[90:91], v[90:91], v[72:73], 0
	buffer_load_dword v73, off, s[0:3], 0 offset:204
	buffer_load_dword v72, off, s[0:3], 0 offset:200
	s_waitcnt vmcnt(12)
	v_fmac_f64_e32 v[90:91], v[92:93], v[74:75]
	s_waitcnt vmcnt(10) lgkmcnt(2)
	v_fmac_f64_e32 v[90:91], v[94:95], v[76:77]
	buffer_load_dword v77, off, s[0:3], 0 offset:212
	buffer_load_dword v76, off, s[0:3], 0 offset:208
	s_waitcnt vmcnt(10)
	v_fmac_f64_e32 v[90:91], v[96:97], v[78:79]
	s_waitcnt vmcnt(8) lgkmcnt(1)
	v_fmac_f64_e32 v[90:91], v[98:99], v[80:81]
	s_waitcnt vmcnt(6)
	v_fmac_f64_e32 v[90:91], v[100:101], v[82:83]
	s_waitcnt vmcnt(4) lgkmcnt(0)
	v_fmac_f64_e32 v[90:91], v[102:103], v[84:85]
	s_waitcnt vmcnt(2)
	v_fmac_f64_e32 v[90:91], v[72:73], v[86:87]
	ds_read_b128 v[72:75], v70 offset:480
	s_waitcnt vmcnt(0) lgkmcnt(0)
	v_fmac_f64_e32 v[90:91], v[76:77], v[72:73]
	buffer_load_dword v73, off, s[0:3], 0 offset:220
	buffer_load_dword v72, off, s[0:3], 0 offset:216
	;; [unrolled: 1-line block ×4, first 2 shown]
	s_waitcnt vmcnt(2)
	v_fmac_f64_e32 v[90:91], v[72:73], v[74:75]
	ds_read_b128 v[72:75], v70 offset:496
	s_waitcnt vmcnt(0) lgkmcnt(0)
	v_fmac_f64_e32 v[90:91], v[76:77], v[72:73]
	buffer_load_dword v73, off, s[0:3], 0 offset:236
	buffer_load_dword v72, off, s[0:3], 0 offset:232
	;; [unrolled: 1-line block ×4, first 2 shown]
	s_waitcnt vmcnt(2)
	v_fmac_f64_e32 v[90:91], v[72:73], v[74:75]
	ds_read_b128 v[72:75], v70 offset:512
	s_waitcnt vmcnt(0) lgkmcnt(0)
	v_fmac_f64_e32 v[90:91], v[76:77], v[72:73]
	buffer_load_dword v73, off, s[0:3], 0 offset:252
	buffer_load_dword v72, off, s[0:3], 0 offset:248
	s_waitcnt vmcnt(0)
	v_fmac_f64_e32 v[90:91], v[72:73], v[74:75]
	buffer_load_dword v75, off, s[0:3], 0 offset:260
	buffer_load_dword v74, off, s[0:3], 0 offset:256
	ds_read_b128 v[70:73], v70 offset:528
	s_waitcnt vmcnt(0) lgkmcnt(0)
	v_fmac_f64_e32 v[90:91], v[74:75], v[70:71]
	buffer_load_dword v71, off, s[0:3], 0 offset:268
	buffer_load_dword v70, off, s[0:3], 0 offset:264
	s_waitcnt vmcnt(0)
	v_fmac_f64_e32 v[90:91], v[70:71], v[72:73]
	v_add_f64 v[70:71], v[88:89], -v[90:91]
	buffer_store_dword v71, off, s[0:3], 0 offset:140
	buffer_store_dword v70, off, s[0:3], 0 offset:136
	s_and_saveexec_b64 s[4:5], vcc
	s_cbranch_execz .LBB97_179
; %bb.178:
	buffer_load_dword v70, off, s[0:3], 0 offset:128
	buffer_load_dword v71, off, s[0:3], 0 offset:132
	v_mov_b32_e32 v72, 0
	buffer_store_dword v72, off, s[0:3], 0 offset:128
	buffer_store_dword v72, off, s[0:3], 0 offset:132
	s_waitcnt vmcnt(2)
	ds_write_b64 v1, v[70:71]
.LBB97_179:
	s_or_b64 exec, exec, s[4:5]
	s_waitcnt lgkmcnt(0)
	; wave barrier
	s_waitcnt lgkmcnt(0)
	buffer_load_dword v70, off, s[0:3], 0 offset:128
	buffer_load_dword v71, off, s[0:3], 0 offset:132
	;; [unrolled: 1-line block ×16, first 2 shown]
	v_mov_b32_e32 v74, 0
	ds_read2_b64 v[76:79], v74 offset0:51 offset1:52
	v_cmp_lt_u32_e32 vcc, 15, v0
	s_waitcnt vmcnt(12) lgkmcnt(0)
	v_fma_f64 v[72:73], v[72:73], v[76:77], 0
	s_waitcnt vmcnt(10)
	v_fmac_f64_e32 v[72:73], v[80:81], v[78:79]
	ds_read2_b64 v[76:79], v74 offset0:53 offset1:54
	s_waitcnt vmcnt(8) lgkmcnt(0)
	v_fmac_f64_e32 v[72:73], v[82:83], v[76:77]
	s_waitcnt vmcnt(6)
	v_fmac_f64_e32 v[72:73], v[84:85], v[78:79]
	ds_read2_b64 v[76:79], v74 offset0:55 offset1:56
	s_waitcnt vmcnt(4) lgkmcnt(0)
	v_fmac_f64_e32 v[72:73], v[86:87], v[76:77]
	;; [unrolled: 5-line block ×3, first 2 shown]
	buffer_load_dword v77, off, s[0:3], 0 offset:196
	buffer_load_dword v76, off, s[0:3], 0 offset:192
	buffer_load_dword v81, off, s[0:3], 0 offset:204
	buffer_load_dword v80, off, s[0:3], 0 offset:200
	s_waitcnt vmcnt(2)
	v_fmac_f64_e32 v[72:73], v[76:77], v[78:79]
	ds_read2_b64 v[76:79], v74 offset0:59 offset1:60
	s_waitcnt vmcnt(0) lgkmcnt(0)
	v_fmac_f64_e32 v[72:73], v[80:81], v[76:77]
	buffer_load_dword v77, off, s[0:3], 0 offset:212
	buffer_load_dword v76, off, s[0:3], 0 offset:208
	buffer_load_dword v81, off, s[0:3], 0 offset:220
	buffer_load_dword v80, off, s[0:3], 0 offset:216
	s_waitcnt vmcnt(2)
	v_fmac_f64_e32 v[72:73], v[76:77], v[78:79]
	ds_read2_b64 v[76:79], v74 offset0:61 offset1:62
	s_waitcnt vmcnt(0) lgkmcnt(0)
	v_fmac_f64_e32 v[72:73], v[80:81], v[76:77]
	;; [unrolled: 9-line block ×4, first 2 shown]
	buffer_load_dword v77, off, s[0:3], 0 offset:260
	buffer_load_dword v76, off, s[0:3], 0 offset:256
	s_waitcnt vmcnt(0)
	v_fmac_f64_e32 v[72:73], v[76:77], v[78:79]
	buffer_load_dword v77, off, s[0:3], 0 offset:268
	buffer_load_dword v76, off, s[0:3], 0 offset:264
	ds_read_b64 v[78:79], v74 offset:536
	s_waitcnt vmcnt(0) lgkmcnt(0)
	v_fmac_f64_e32 v[72:73], v[76:77], v[78:79]
	v_add_f64 v[70:71], v[70:71], -v[72:73]
	buffer_store_dword v71, off, s[0:3], 0 offset:132
	buffer_store_dword v70, off, s[0:3], 0 offset:128
	s_and_saveexec_b64 s[4:5], vcc
	s_cbranch_execz .LBB97_181
; %bb.180:
	buffer_load_dword v70, off, s[0:3], 0 offset:120
	buffer_load_dword v71, off, s[0:3], 0 offset:124
	s_waitcnt vmcnt(0)
	ds_write_b64 v1, v[70:71]
	buffer_store_dword v74, off, s[0:3], 0 offset:120
	buffer_store_dword v74, off, s[0:3], 0 offset:124
.LBB97_181:
	s_or_b64 exec, exec, s[4:5]
	s_waitcnt lgkmcnt(0)
	; wave barrier
	s_waitcnt lgkmcnt(0)
	buffer_load_dword v70, off, s[0:3], 0 offset:120
	buffer_load_dword v71, off, s[0:3], 0 offset:124
	buffer_load_dword v72, off, s[0:3], 0 offset:128
	buffer_load_dword v73, off, s[0:3], 0 offset:132
	buffer_load_dword v92, off, s[0:3], 0 offset:136
	buffer_load_dword v93, off, s[0:3], 0 offset:140
	buffer_load_dword v94, off, s[0:3], 0 offset:144
	buffer_load_dword v95, off, s[0:3], 0 offset:148
	buffer_load_dword v96, off, s[0:3], 0 offset:152
	buffer_load_dword v97, off, s[0:3], 0 offset:156
	buffer_load_dword v98, off, s[0:3], 0 offset:160
	buffer_load_dword v99, off, s[0:3], 0 offset:164
	buffer_load_dword v100, off, s[0:3], 0 offset:168
	buffer_load_dword v101, off, s[0:3], 0 offset:172
	buffer_load_dword v102, off, s[0:3], 0 offset:176
	buffer_load_dword v103, off, s[0:3], 0 offset:180
	ds_read_b128 v[76:79], v74 offset:400
	ds_read_b128 v[80:83], v74 offset:416
	;; [unrolled: 1-line block ×4, first 2 shown]
	v_cmp_lt_u32_e32 vcc, 14, v0
	s_waitcnt vmcnt(12) lgkmcnt(3)
	v_fma_f64 v[72:73], v[72:73], v[76:77], 0
	buffer_load_dword v77, off, s[0:3], 0 offset:188
	buffer_load_dword v76, off, s[0:3], 0 offset:184
	s_waitcnt vmcnt(12)
	v_fmac_f64_e32 v[72:73], v[92:93], v[78:79]
	s_waitcnt vmcnt(10) lgkmcnt(2)
	v_fmac_f64_e32 v[72:73], v[94:95], v[80:81]
	buffer_load_dword v81, off, s[0:3], 0 offset:196
	buffer_load_dword v80, off, s[0:3], 0 offset:192
	s_waitcnt vmcnt(10)
	v_fmac_f64_e32 v[72:73], v[96:97], v[82:83]
	s_waitcnt vmcnt(8) lgkmcnt(1)
	v_fmac_f64_e32 v[72:73], v[98:99], v[84:85]
	s_waitcnt vmcnt(6)
	v_fmac_f64_e32 v[72:73], v[100:101], v[86:87]
	s_waitcnt vmcnt(4) lgkmcnt(0)
	v_fmac_f64_e32 v[72:73], v[102:103], v[88:89]
	s_waitcnt vmcnt(2)
	v_fmac_f64_e32 v[72:73], v[76:77], v[90:91]
	ds_read_b128 v[76:79], v74 offset:464
	s_waitcnt vmcnt(0) lgkmcnt(0)
	v_fmac_f64_e32 v[72:73], v[80:81], v[76:77]
	buffer_load_dword v77, off, s[0:3], 0 offset:204
	buffer_load_dword v76, off, s[0:3], 0 offset:200
	buffer_load_dword v81, off, s[0:3], 0 offset:212
	buffer_load_dword v80, off, s[0:3], 0 offset:208
	s_waitcnt vmcnt(2)
	v_fmac_f64_e32 v[72:73], v[76:77], v[78:79]
	ds_read_b128 v[76:79], v74 offset:480
	s_waitcnt vmcnt(0) lgkmcnt(0)
	v_fmac_f64_e32 v[72:73], v[80:81], v[76:77]
	buffer_load_dword v77, off, s[0:3], 0 offset:220
	buffer_load_dword v76, off, s[0:3], 0 offset:216
	buffer_load_dword v81, off, s[0:3], 0 offset:228
	buffer_load_dword v80, off, s[0:3], 0 offset:224
	s_waitcnt vmcnt(2)
	v_fmac_f64_e32 v[72:73], v[76:77], v[78:79]
	ds_read_b128 v[76:79], v74 offset:496
	s_waitcnt vmcnt(0) lgkmcnt(0)
	v_fmac_f64_e32 v[72:73], v[80:81], v[76:77]
	buffer_load_dword v77, off, s[0:3], 0 offset:236
	buffer_load_dword v76, off, s[0:3], 0 offset:232
	buffer_load_dword v81, off, s[0:3], 0 offset:244
	buffer_load_dword v80, off, s[0:3], 0 offset:240
	s_waitcnt vmcnt(2)
	v_fmac_f64_e32 v[72:73], v[76:77], v[78:79]
	ds_read_b128 v[76:79], v74 offset:512
	s_waitcnt vmcnt(0) lgkmcnt(0)
	v_fmac_f64_e32 v[72:73], v[80:81], v[76:77]
	buffer_load_dword v77, off, s[0:3], 0 offset:252
	buffer_load_dword v76, off, s[0:3], 0 offset:248
	s_waitcnt vmcnt(0)
	v_fmac_f64_e32 v[72:73], v[76:77], v[78:79]
	buffer_load_dword v79, off, s[0:3], 0 offset:260
	buffer_load_dword v78, off, s[0:3], 0 offset:256
	ds_read_b128 v[74:77], v74 offset:528
	s_waitcnt vmcnt(0) lgkmcnt(0)
	v_fmac_f64_e32 v[72:73], v[78:79], v[74:75]
	buffer_load_dword v75, off, s[0:3], 0 offset:268
	buffer_load_dword v74, off, s[0:3], 0 offset:264
	s_waitcnt vmcnt(0)
	v_fmac_f64_e32 v[72:73], v[74:75], v[76:77]
	v_add_f64 v[70:71], v[70:71], -v[72:73]
	buffer_store_dword v71, off, s[0:3], 0 offset:124
	buffer_store_dword v70, off, s[0:3], 0 offset:120
	s_and_saveexec_b64 s[4:5], vcc
	s_cbranch_execz .LBB97_183
; %bb.182:
	buffer_load_dword v70, off, s[0:3], 0 offset:112
	buffer_load_dword v71, off, s[0:3], 0 offset:116
	v_mov_b32_e32 v72, 0
	buffer_store_dword v72, off, s[0:3], 0 offset:112
	buffer_store_dword v72, off, s[0:3], 0 offset:116
	s_waitcnt vmcnt(2)
	ds_write_b64 v1, v[70:71]
.LBB97_183:
	s_or_b64 exec, exec, s[4:5]
	s_waitcnt lgkmcnt(0)
	; wave barrier
	s_waitcnt lgkmcnt(0)
	buffer_load_dword v70, off, s[0:3], 0 offset:112
	buffer_load_dword v71, off, s[0:3], 0 offset:116
	;; [unrolled: 1-line block ×16, first 2 shown]
	v_mov_b32_e32 v74, 0
	ds_read2_b64 v[76:79], v74 offset0:49 offset1:50
	v_cmp_lt_u32_e32 vcc, 13, v0
	s_waitcnt vmcnt(12) lgkmcnt(0)
	v_fma_f64 v[72:73], v[72:73], v[76:77], 0
	s_waitcnt vmcnt(10)
	v_fmac_f64_e32 v[72:73], v[80:81], v[78:79]
	ds_read2_b64 v[76:79], v74 offset0:51 offset1:52
	s_waitcnt vmcnt(8) lgkmcnt(0)
	v_fmac_f64_e32 v[72:73], v[82:83], v[76:77]
	s_waitcnt vmcnt(6)
	v_fmac_f64_e32 v[72:73], v[84:85], v[78:79]
	ds_read2_b64 v[76:79], v74 offset0:53 offset1:54
	s_waitcnt vmcnt(4) lgkmcnt(0)
	v_fmac_f64_e32 v[72:73], v[86:87], v[76:77]
	;; [unrolled: 5-line block ×3, first 2 shown]
	buffer_load_dword v77, off, s[0:3], 0 offset:180
	buffer_load_dword v76, off, s[0:3], 0 offset:176
	buffer_load_dword v81, off, s[0:3], 0 offset:188
	buffer_load_dword v80, off, s[0:3], 0 offset:184
	s_waitcnt vmcnt(2)
	v_fmac_f64_e32 v[72:73], v[76:77], v[78:79]
	ds_read2_b64 v[76:79], v74 offset0:57 offset1:58
	s_waitcnt vmcnt(0) lgkmcnt(0)
	v_fmac_f64_e32 v[72:73], v[80:81], v[76:77]
	buffer_load_dword v77, off, s[0:3], 0 offset:196
	buffer_load_dword v76, off, s[0:3], 0 offset:192
	buffer_load_dword v81, off, s[0:3], 0 offset:204
	buffer_load_dword v80, off, s[0:3], 0 offset:200
	s_waitcnt vmcnt(2)
	v_fmac_f64_e32 v[72:73], v[76:77], v[78:79]
	ds_read2_b64 v[76:79], v74 offset0:59 offset1:60
	s_waitcnt vmcnt(0) lgkmcnt(0)
	v_fmac_f64_e32 v[72:73], v[80:81], v[76:77]
	;; [unrolled: 9-line block ×5, first 2 shown]
	buffer_load_dword v77, off, s[0:3], 0 offset:260
	buffer_load_dword v76, off, s[0:3], 0 offset:256
	s_waitcnt vmcnt(0)
	v_fmac_f64_e32 v[72:73], v[76:77], v[78:79]
	buffer_load_dword v77, off, s[0:3], 0 offset:268
	buffer_load_dword v76, off, s[0:3], 0 offset:264
	ds_read_b64 v[78:79], v74 offset:536
	s_waitcnt vmcnt(0) lgkmcnt(0)
	v_fmac_f64_e32 v[72:73], v[76:77], v[78:79]
	v_add_f64 v[70:71], v[70:71], -v[72:73]
	buffer_store_dword v71, off, s[0:3], 0 offset:116
	buffer_store_dword v70, off, s[0:3], 0 offset:112
	s_and_saveexec_b64 s[4:5], vcc
	s_cbranch_execz .LBB97_185
; %bb.184:
	buffer_load_dword v70, off, s[0:3], 0 offset:104
	buffer_load_dword v71, off, s[0:3], 0 offset:108
	s_waitcnt vmcnt(0)
	ds_write_b64 v1, v[70:71]
	buffer_store_dword v74, off, s[0:3], 0 offset:104
	buffer_store_dword v74, off, s[0:3], 0 offset:108
.LBB97_185:
	s_or_b64 exec, exec, s[4:5]
	s_waitcnt lgkmcnt(0)
	; wave barrier
	s_waitcnt lgkmcnt(0)
	buffer_load_dword v70, off, s[0:3], 0 offset:104
	buffer_load_dword v71, off, s[0:3], 0 offset:108
	;; [unrolled: 1-line block ×16, first 2 shown]
	ds_read_b128 v[76:79], v74 offset:384
	ds_read_b128 v[80:83], v74 offset:400
	;; [unrolled: 1-line block ×4, first 2 shown]
	v_cmp_lt_u32_e32 vcc, 12, v0
	s_waitcnt vmcnt(12) lgkmcnt(3)
	v_fma_f64 v[72:73], v[72:73], v[76:77], 0
	buffer_load_dword v77, off, s[0:3], 0 offset:172
	buffer_load_dword v76, off, s[0:3], 0 offset:168
	s_waitcnt vmcnt(12)
	v_fmac_f64_e32 v[72:73], v[92:93], v[78:79]
	s_waitcnt vmcnt(10) lgkmcnt(2)
	v_fmac_f64_e32 v[72:73], v[94:95], v[80:81]
	buffer_load_dword v81, off, s[0:3], 0 offset:180
	buffer_load_dword v80, off, s[0:3], 0 offset:176
	s_waitcnt vmcnt(10)
	v_fmac_f64_e32 v[72:73], v[96:97], v[82:83]
	s_waitcnt vmcnt(8) lgkmcnt(1)
	v_fmac_f64_e32 v[72:73], v[98:99], v[84:85]
	s_waitcnt vmcnt(6)
	v_fmac_f64_e32 v[72:73], v[100:101], v[86:87]
	s_waitcnt vmcnt(4) lgkmcnt(0)
	v_fmac_f64_e32 v[72:73], v[102:103], v[88:89]
	s_waitcnt vmcnt(2)
	v_fmac_f64_e32 v[72:73], v[76:77], v[90:91]
	ds_read_b128 v[76:79], v74 offset:448
	s_waitcnt vmcnt(0) lgkmcnt(0)
	v_fmac_f64_e32 v[72:73], v[80:81], v[76:77]
	buffer_load_dword v77, off, s[0:3], 0 offset:188
	buffer_load_dword v76, off, s[0:3], 0 offset:184
	buffer_load_dword v81, off, s[0:3], 0 offset:196
	buffer_load_dword v80, off, s[0:3], 0 offset:192
	s_waitcnt vmcnt(2)
	v_fmac_f64_e32 v[72:73], v[76:77], v[78:79]
	ds_read_b128 v[76:79], v74 offset:464
	s_waitcnt vmcnt(0) lgkmcnt(0)
	v_fmac_f64_e32 v[72:73], v[80:81], v[76:77]
	buffer_load_dword v77, off, s[0:3], 0 offset:204
	buffer_load_dword v76, off, s[0:3], 0 offset:200
	buffer_load_dword v81, off, s[0:3], 0 offset:212
	buffer_load_dword v80, off, s[0:3], 0 offset:208
	;; [unrolled: 9-line block ×4, first 2 shown]
	s_waitcnt vmcnt(2)
	v_fmac_f64_e32 v[72:73], v[76:77], v[78:79]
	ds_read_b128 v[76:79], v74 offset:512
	s_waitcnt vmcnt(0) lgkmcnt(0)
	v_fmac_f64_e32 v[72:73], v[80:81], v[76:77]
	buffer_load_dword v77, off, s[0:3], 0 offset:252
	buffer_load_dword v76, off, s[0:3], 0 offset:248
	s_waitcnt vmcnt(0)
	v_fmac_f64_e32 v[72:73], v[76:77], v[78:79]
	buffer_load_dword v79, off, s[0:3], 0 offset:260
	buffer_load_dword v78, off, s[0:3], 0 offset:256
	ds_read_b128 v[74:77], v74 offset:528
	s_waitcnt vmcnt(0) lgkmcnt(0)
	v_fmac_f64_e32 v[72:73], v[78:79], v[74:75]
	buffer_load_dword v75, off, s[0:3], 0 offset:268
	buffer_load_dword v74, off, s[0:3], 0 offset:264
	s_waitcnt vmcnt(0)
	v_fmac_f64_e32 v[72:73], v[74:75], v[76:77]
	v_add_f64 v[70:71], v[70:71], -v[72:73]
	buffer_store_dword v71, off, s[0:3], 0 offset:108
	buffer_store_dword v70, off, s[0:3], 0 offset:104
	s_and_saveexec_b64 s[4:5], vcc
	s_cbranch_execz .LBB97_187
; %bb.186:
	buffer_load_dword v70, off, s[0:3], 0 offset:96
	buffer_load_dword v71, off, s[0:3], 0 offset:100
	v_mov_b32_e32 v72, 0
	buffer_store_dword v72, off, s[0:3], 0 offset:96
	buffer_store_dword v72, off, s[0:3], 0 offset:100
	s_waitcnt vmcnt(2)
	ds_write_b64 v1, v[70:71]
.LBB97_187:
	s_or_b64 exec, exec, s[4:5]
	s_waitcnt lgkmcnt(0)
	; wave barrier
	s_waitcnt lgkmcnt(0)
	buffer_load_dword v70, off, s[0:3], 0 offset:96
	buffer_load_dword v71, off, s[0:3], 0 offset:100
	buffer_load_dword v72, off, s[0:3], 0 offset:104
	buffer_load_dword v73, off, s[0:3], 0 offset:108
	buffer_load_dword v80, off, s[0:3], 0 offset:112
	buffer_load_dword v81, off, s[0:3], 0 offset:116
	buffer_load_dword v82, off, s[0:3], 0 offset:120
	buffer_load_dword v83, off, s[0:3], 0 offset:124
	buffer_load_dword v84, off, s[0:3], 0 offset:128
	buffer_load_dword v85, off, s[0:3], 0 offset:132
	buffer_load_dword v86, off, s[0:3], 0 offset:136
	buffer_load_dword v87, off, s[0:3], 0 offset:140
	buffer_load_dword v88, off, s[0:3], 0 offset:144
	buffer_load_dword v89, off, s[0:3], 0 offset:148
	buffer_load_dword v90, off, s[0:3], 0 offset:152
	buffer_load_dword v91, off, s[0:3], 0 offset:156
	v_mov_b32_e32 v74, 0
	ds_read2_b64 v[76:79], v74 offset0:47 offset1:48
	v_cmp_lt_u32_e32 vcc, 11, v0
	s_waitcnt vmcnt(12) lgkmcnt(0)
	v_fma_f64 v[72:73], v[72:73], v[76:77], 0
	s_waitcnt vmcnt(10)
	v_fmac_f64_e32 v[72:73], v[80:81], v[78:79]
	ds_read2_b64 v[76:79], v74 offset0:49 offset1:50
	s_waitcnt vmcnt(8) lgkmcnt(0)
	v_fmac_f64_e32 v[72:73], v[82:83], v[76:77]
	s_waitcnt vmcnt(6)
	v_fmac_f64_e32 v[72:73], v[84:85], v[78:79]
	ds_read2_b64 v[76:79], v74 offset0:51 offset1:52
	s_waitcnt vmcnt(4) lgkmcnt(0)
	v_fmac_f64_e32 v[72:73], v[86:87], v[76:77]
	;; [unrolled: 5-line block ×3, first 2 shown]
	buffer_load_dword v77, off, s[0:3], 0 offset:164
	buffer_load_dword v76, off, s[0:3], 0 offset:160
	buffer_load_dword v81, off, s[0:3], 0 offset:172
	buffer_load_dword v80, off, s[0:3], 0 offset:168
	s_waitcnt vmcnt(2)
	v_fmac_f64_e32 v[72:73], v[76:77], v[78:79]
	ds_read2_b64 v[76:79], v74 offset0:55 offset1:56
	s_waitcnt vmcnt(0) lgkmcnt(0)
	v_fmac_f64_e32 v[72:73], v[80:81], v[76:77]
	buffer_load_dword v77, off, s[0:3], 0 offset:180
	buffer_load_dword v76, off, s[0:3], 0 offset:176
	buffer_load_dword v81, off, s[0:3], 0 offset:188
	buffer_load_dword v80, off, s[0:3], 0 offset:184
	s_waitcnt vmcnt(2)
	v_fmac_f64_e32 v[72:73], v[76:77], v[78:79]
	ds_read2_b64 v[76:79], v74 offset0:57 offset1:58
	s_waitcnt vmcnt(0) lgkmcnt(0)
	v_fmac_f64_e32 v[72:73], v[80:81], v[76:77]
	;; [unrolled: 9-line block ×6, first 2 shown]
	buffer_load_dword v77, off, s[0:3], 0 offset:260
	buffer_load_dword v76, off, s[0:3], 0 offset:256
	s_waitcnt vmcnt(0)
	v_fmac_f64_e32 v[72:73], v[76:77], v[78:79]
	buffer_load_dword v77, off, s[0:3], 0 offset:268
	buffer_load_dword v76, off, s[0:3], 0 offset:264
	ds_read_b64 v[78:79], v74 offset:536
	s_waitcnt vmcnt(0) lgkmcnt(0)
	v_fmac_f64_e32 v[72:73], v[76:77], v[78:79]
	v_add_f64 v[70:71], v[70:71], -v[72:73]
	buffer_store_dword v71, off, s[0:3], 0 offset:100
	buffer_store_dword v70, off, s[0:3], 0 offset:96
	s_and_saveexec_b64 s[4:5], vcc
	s_cbranch_execz .LBB97_189
; %bb.188:
	buffer_load_dword v70, off, s[0:3], 0 offset:88
	buffer_load_dword v71, off, s[0:3], 0 offset:92
	s_waitcnt vmcnt(0)
	ds_write_b64 v1, v[70:71]
	buffer_store_dword v74, off, s[0:3], 0 offset:88
	buffer_store_dword v74, off, s[0:3], 0 offset:92
.LBB97_189:
	s_or_b64 exec, exec, s[4:5]
	s_waitcnt lgkmcnt(0)
	; wave barrier
	s_waitcnt lgkmcnt(0)
	buffer_load_dword v70, off, s[0:3], 0 offset:88
	buffer_load_dword v71, off, s[0:3], 0 offset:92
	;; [unrolled: 1-line block ×16, first 2 shown]
	ds_read_b128 v[76:79], v74 offset:368
	ds_read_b128 v[80:83], v74 offset:384
	;; [unrolled: 1-line block ×4, first 2 shown]
	v_cmp_lt_u32_e32 vcc, 10, v0
	s_waitcnt vmcnt(12) lgkmcnt(3)
	v_fma_f64 v[72:73], v[72:73], v[76:77], 0
	buffer_load_dword v77, off, s[0:3], 0 offset:156
	buffer_load_dword v76, off, s[0:3], 0 offset:152
	s_waitcnt vmcnt(12)
	v_fmac_f64_e32 v[72:73], v[92:93], v[78:79]
	s_waitcnt vmcnt(10) lgkmcnt(2)
	v_fmac_f64_e32 v[72:73], v[94:95], v[80:81]
	buffer_load_dword v81, off, s[0:3], 0 offset:164
	buffer_load_dword v80, off, s[0:3], 0 offset:160
	s_waitcnt vmcnt(10)
	v_fmac_f64_e32 v[72:73], v[96:97], v[82:83]
	s_waitcnt vmcnt(8) lgkmcnt(1)
	v_fmac_f64_e32 v[72:73], v[98:99], v[84:85]
	s_waitcnt vmcnt(6)
	v_fmac_f64_e32 v[72:73], v[100:101], v[86:87]
	s_waitcnt vmcnt(4) lgkmcnt(0)
	v_fmac_f64_e32 v[72:73], v[102:103], v[88:89]
	s_waitcnt vmcnt(2)
	v_fmac_f64_e32 v[72:73], v[76:77], v[90:91]
	ds_read_b128 v[76:79], v74 offset:432
	s_waitcnt vmcnt(0) lgkmcnt(0)
	v_fmac_f64_e32 v[72:73], v[80:81], v[76:77]
	buffer_load_dword v77, off, s[0:3], 0 offset:172
	buffer_load_dword v76, off, s[0:3], 0 offset:168
	buffer_load_dword v81, off, s[0:3], 0 offset:180
	buffer_load_dword v80, off, s[0:3], 0 offset:176
	s_waitcnt vmcnt(2)
	v_fmac_f64_e32 v[72:73], v[76:77], v[78:79]
	ds_read_b128 v[76:79], v74 offset:448
	s_waitcnt vmcnt(0) lgkmcnt(0)
	v_fmac_f64_e32 v[72:73], v[80:81], v[76:77]
	buffer_load_dword v77, off, s[0:3], 0 offset:188
	buffer_load_dword v76, off, s[0:3], 0 offset:184
	buffer_load_dword v81, off, s[0:3], 0 offset:196
	buffer_load_dword v80, off, s[0:3], 0 offset:192
	;; [unrolled: 9-line block ×5, first 2 shown]
	s_waitcnt vmcnt(2)
	v_fmac_f64_e32 v[72:73], v[76:77], v[78:79]
	ds_read_b128 v[76:79], v74 offset:512
	s_waitcnt vmcnt(0) lgkmcnt(0)
	v_fmac_f64_e32 v[72:73], v[80:81], v[76:77]
	buffer_load_dword v77, off, s[0:3], 0 offset:252
	buffer_load_dword v76, off, s[0:3], 0 offset:248
	s_waitcnt vmcnt(0)
	v_fmac_f64_e32 v[72:73], v[76:77], v[78:79]
	buffer_load_dword v79, off, s[0:3], 0 offset:260
	buffer_load_dword v78, off, s[0:3], 0 offset:256
	ds_read_b128 v[74:77], v74 offset:528
	s_waitcnt vmcnt(0) lgkmcnt(0)
	v_fmac_f64_e32 v[72:73], v[78:79], v[74:75]
	buffer_load_dword v75, off, s[0:3], 0 offset:268
	buffer_load_dword v74, off, s[0:3], 0 offset:264
	s_waitcnt vmcnt(0)
	v_fmac_f64_e32 v[72:73], v[74:75], v[76:77]
	v_add_f64 v[70:71], v[70:71], -v[72:73]
	buffer_store_dword v71, off, s[0:3], 0 offset:92
	buffer_store_dword v70, off, s[0:3], 0 offset:88
	s_and_saveexec_b64 s[4:5], vcc
	s_cbranch_execz .LBB97_191
; %bb.190:
	buffer_load_dword v70, off, s[0:3], 0 offset:80
	buffer_load_dword v71, off, s[0:3], 0 offset:84
	v_mov_b32_e32 v72, 0
	buffer_store_dword v72, off, s[0:3], 0 offset:80
	buffer_store_dword v72, off, s[0:3], 0 offset:84
	s_waitcnt vmcnt(2)
	ds_write_b64 v1, v[70:71]
.LBB97_191:
	s_or_b64 exec, exec, s[4:5]
	s_waitcnt lgkmcnt(0)
	; wave barrier
	s_waitcnt lgkmcnt(0)
	buffer_load_dword v70, off, s[0:3], 0 offset:80
	buffer_load_dword v71, off, s[0:3], 0 offset:84
	;; [unrolled: 1-line block ×16, first 2 shown]
	v_mov_b32_e32 v74, 0
	ds_read2_b64 v[76:79], v74 offset0:45 offset1:46
	v_cmp_lt_u32_e32 vcc, 9, v0
	s_waitcnt vmcnt(12) lgkmcnt(0)
	v_fma_f64 v[72:73], v[72:73], v[76:77], 0
	s_waitcnt vmcnt(10)
	v_fmac_f64_e32 v[72:73], v[80:81], v[78:79]
	ds_read2_b64 v[76:79], v74 offset0:47 offset1:48
	s_waitcnt vmcnt(8) lgkmcnt(0)
	v_fmac_f64_e32 v[72:73], v[82:83], v[76:77]
	s_waitcnt vmcnt(6)
	v_fmac_f64_e32 v[72:73], v[84:85], v[78:79]
	ds_read2_b64 v[76:79], v74 offset0:49 offset1:50
	s_waitcnt vmcnt(4) lgkmcnt(0)
	v_fmac_f64_e32 v[72:73], v[86:87], v[76:77]
	;; [unrolled: 5-line block ×3, first 2 shown]
	buffer_load_dword v77, off, s[0:3], 0 offset:148
	buffer_load_dword v76, off, s[0:3], 0 offset:144
	buffer_load_dword v81, off, s[0:3], 0 offset:156
	buffer_load_dword v80, off, s[0:3], 0 offset:152
	s_waitcnt vmcnt(2)
	v_fmac_f64_e32 v[72:73], v[76:77], v[78:79]
	ds_read2_b64 v[76:79], v74 offset0:53 offset1:54
	s_waitcnt vmcnt(0) lgkmcnt(0)
	v_fmac_f64_e32 v[72:73], v[80:81], v[76:77]
	buffer_load_dword v77, off, s[0:3], 0 offset:164
	buffer_load_dword v76, off, s[0:3], 0 offset:160
	buffer_load_dword v81, off, s[0:3], 0 offset:172
	buffer_load_dword v80, off, s[0:3], 0 offset:168
	s_waitcnt vmcnt(2)
	v_fmac_f64_e32 v[72:73], v[76:77], v[78:79]
	ds_read2_b64 v[76:79], v74 offset0:55 offset1:56
	s_waitcnt vmcnt(0) lgkmcnt(0)
	v_fmac_f64_e32 v[72:73], v[80:81], v[76:77]
	;; [unrolled: 9-line block ×7, first 2 shown]
	buffer_load_dword v77, off, s[0:3], 0 offset:260
	buffer_load_dword v76, off, s[0:3], 0 offset:256
	s_waitcnt vmcnt(0)
	v_fmac_f64_e32 v[72:73], v[76:77], v[78:79]
	buffer_load_dword v77, off, s[0:3], 0 offset:268
	buffer_load_dword v76, off, s[0:3], 0 offset:264
	ds_read_b64 v[78:79], v74 offset:536
	s_waitcnt vmcnt(0) lgkmcnt(0)
	v_fmac_f64_e32 v[72:73], v[76:77], v[78:79]
	v_add_f64 v[70:71], v[70:71], -v[72:73]
	buffer_store_dword v71, off, s[0:3], 0 offset:84
	buffer_store_dword v70, off, s[0:3], 0 offset:80
	s_and_saveexec_b64 s[4:5], vcc
	s_cbranch_execz .LBB97_193
; %bb.192:
	buffer_load_dword v70, off, s[0:3], 0 offset:72
	buffer_load_dword v71, off, s[0:3], 0 offset:76
	s_waitcnt vmcnt(0)
	ds_write_b64 v1, v[70:71]
	buffer_store_dword v74, off, s[0:3], 0 offset:72
	buffer_store_dword v74, off, s[0:3], 0 offset:76
.LBB97_193:
	s_or_b64 exec, exec, s[4:5]
	s_waitcnt lgkmcnt(0)
	; wave barrier
	s_waitcnt lgkmcnt(0)
	buffer_load_dword v70, off, s[0:3], 0 offset:72
	buffer_load_dword v71, off, s[0:3], 0 offset:76
	;; [unrolled: 1-line block ×16, first 2 shown]
	ds_read_b128 v[76:79], v74 offset:352
	ds_read_b128 v[80:83], v74 offset:368
	;; [unrolled: 1-line block ×4, first 2 shown]
	v_cmp_lt_u32_e32 vcc, 8, v0
	s_waitcnt vmcnt(12) lgkmcnt(3)
	v_fma_f64 v[72:73], v[72:73], v[76:77], 0
	buffer_load_dword v77, off, s[0:3], 0 offset:140
	buffer_load_dword v76, off, s[0:3], 0 offset:136
	s_waitcnt vmcnt(12)
	v_fmac_f64_e32 v[72:73], v[92:93], v[78:79]
	s_waitcnt vmcnt(10) lgkmcnt(2)
	v_fmac_f64_e32 v[72:73], v[94:95], v[80:81]
	buffer_load_dword v81, off, s[0:3], 0 offset:148
	buffer_load_dword v80, off, s[0:3], 0 offset:144
	s_waitcnt vmcnt(10)
	v_fmac_f64_e32 v[72:73], v[96:97], v[82:83]
	s_waitcnt vmcnt(8) lgkmcnt(1)
	v_fmac_f64_e32 v[72:73], v[98:99], v[84:85]
	s_waitcnt vmcnt(6)
	v_fmac_f64_e32 v[72:73], v[100:101], v[86:87]
	s_waitcnt vmcnt(4) lgkmcnt(0)
	v_fmac_f64_e32 v[72:73], v[102:103], v[88:89]
	s_waitcnt vmcnt(2)
	v_fmac_f64_e32 v[72:73], v[76:77], v[90:91]
	ds_read_b128 v[76:79], v74 offset:416
	s_waitcnt vmcnt(0) lgkmcnt(0)
	v_fmac_f64_e32 v[72:73], v[80:81], v[76:77]
	buffer_load_dword v77, off, s[0:3], 0 offset:156
	buffer_load_dword v76, off, s[0:3], 0 offset:152
	buffer_load_dword v81, off, s[0:3], 0 offset:164
	buffer_load_dword v80, off, s[0:3], 0 offset:160
	s_waitcnt vmcnt(2)
	v_fmac_f64_e32 v[72:73], v[76:77], v[78:79]
	ds_read_b128 v[76:79], v74 offset:432
	s_waitcnt vmcnt(0) lgkmcnt(0)
	v_fmac_f64_e32 v[72:73], v[80:81], v[76:77]
	buffer_load_dword v77, off, s[0:3], 0 offset:172
	buffer_load_dword v76, off, s[0:3], 0 offset:168
	buffer_load_dword v81, off, s[0:3], 0 offset:180
	buffer_load_dword v80, off, s[0:3], 0 offset:176
	;; [unrolled: 9-line block ×6, first 2 shown]
	s_waitcnt vmcnt(2)
	v_fmac_f64_e32 v[72:73], v[76:77], v[78:79]
	ds_read_b128 v[76:79], v74 offset:512
	s_waitcnt vmcnt(0) lgkmcnt(0)
	v_fmac_f64_e32 v[72:73], v[80:81], v[76:77]
	buffer_load_dword v77, off, s[0:3], 0 offset:252
	buffer_load_dword v76, off, s[0:3], 0 offset:248
	s_waitcnt vmcnt(0)
	v_fmac_f64_e32 v[72:73], v[76:77], v[78:79]
	buffer_load_dword v79, off, s[0:3], 0 offset:260
	buffer_load_dword v78, off, s[0:3], 0 offset:256
	ds_read_b128 v[74:77], v74 offset:528
	s_waitcnt vmcnt(0) lgkmcnt(0)
	v_fmac_f64_e32 v[72:73], v[78:79], v[74:75]
	buffer_load_dword v75, off, s[0:3], 0 offset:268
	buffer_load_dword v74, off, s[0:3], 0 offset:264
	s_waitcnt vmcnt(0)
	v_fmac_f64_e32 v[72:73], v[74:75], v[76:77]
	v_add_f64 v[70:71], v[70:71], -v[72:73]
	buffer_store_dword v71, off, s[0:3], 0 offset:76
	buffer_store_dword v70, off, s[0:3], 0 offset:72
	s_and_saveexec_b64 s[4:5], vcc
	s_cbranch_execz .LBB97_195
; %bb.194:
	buffer_load_dword v70, off, s[0:3], 0 offset:64
	buffer_load_dword v71, off, s[0:3], 0 offset:68
	v_mov_b32_e32 v72, 0
	buffer_store_dword v72, off, s[0:3], 0 offset:64
	buffer_store_dword v72, off, s[0:3], 0 offset:68
	s_waitcnt vmcnt(2)
	ds_write_b64 v1, v[70:71]
.LBB97_195:
	s_or_b64 exec, exec, s[4:5]
	s_waitcnt lgkmcnt(0)
	; wave barrier
	s_waitcnt lgkmcnt(0)
	buffer_load_dword v70, off, s[0:3], 0 offset:64
	buffer_load_dword v71, off, s[0:3], 0 offset:68
	;; [unrolled: 1-line block ×16, first 2 shown]
	v_mov_b32_e32 v74, 0
	ds_read2_b64 v[76:79], v74 offset0:43 offset1:44
	v_cmp_lt_u32_e32 vcc, 7, v0
	s_waitcnt vmcnt(12) lgkmcnt(0)
	v_fma_f64 v[72:73], v[72:73], v[76:77], 0
	s_waitcnt vmcnt(10)
	v_fmac_f64_e32 v[72:73], v[80:81], v[78:79]
	ds_read2_b64 v[76:79], v74 offset0:45 offset1:46
	s_waitcnt vmcnt(8) lgkmcnt(0)
	v_fmac_f64_e32 v[72:73], v[82:83], v[76:77]
	s_waitcnt vmcnt(6)
	v_fmac_f64_e32 v[72:73], v[84:85], v[78:79]
	ds_read2_b64 v[76:79], v74 offset0:47 offset1:48
	s_waitcnt vmcnt(4) lgkmcnt(0)
	v_fmac_f64_e32 v[72:73], v[86:87], v[76:77]
	;; [unrolled: 5-line block ×3, first 2 shown]
	buffer_load_dword v77, off, s[0:3], 0 offset:132
	buffer_load_dword v76, off, s[0:3], 0 offset:128
	buffer_load_dword v81, off, s[0:3], 0 offset:140
	buffer_load_dword v80, off, s[0:3], 0 offset:136
	s_waitcnt vmcnt(2)
	v_fmac_f64_e32 v[72:73], v[76:77], v[78:79]
	ds_read2_b64 v[76:79], v74 offset0:51 offset1:52
	s_waitcnt vmcnt(0) lgkmcnt(0)
	v_fmac_f64_e32 v[72:73], v[80:81], v[76:77]
	buffer_load_dword v77, off, s[0:3], 0 offset:148
	buffer_load_dword v76, off, s[0:3], 0 offset:144
	buffer_load_dword v81, off, s[0:3], 0 offset:156
	buffer_load_dword v80, off, s[0:3], 0 offset:152
	s_waitcnt vmcnt(2)
	v_fmac_f64_e32 v[72:73], v[76:77], v[78:79]
	ds_read2_b64 v[76:79], v74 offset0:53 offset1:54
	s_waitcnt vmcnt(0) lgkmcnt(0)
	v_fmac_f64_e32 v[72:73], v[80:81], v[76:77]
	;; [unrolled: 9-line block ×8, first 2 shown]
	buffer_load_dword v77, off, s[0:3], 0 offset:260
	buffer_load_dword v76, off, s[0:3], 0 offset:256
	s_waitcnt vmcnt(0)
	v_fmac_f64_e32 v[72:73], v[76:77], v[78:79]
	buffer_load_dword v77, off, s[0:3], 0 offset:268
	buffer_load_dword v76, off, s[0:3], 0 offset:264
	ds_read_b64 v[78:79], v74 offset:536
	s_waitcnt vmcnt(0) lgkmcnt(0)
	v_fmac_f64_e32 v[72:73], v[76:77], v[78:79]
	v_add_f64 v[70:71], v[70:71], -v[72:73]
	buffer_store_dword v71, off, s[0:3], 0 offset:68
	buffer_store_dword v70, off, s[0:3], 0 offset:64
	s_and_saveexec_b64 s[4:5], vcc
	s_cbranch_execz .LBB97_197
; %bb.196:
	buffer_load_dword v70, off, s[0:3], 0 offset:56
	buffer_load_dword v71, off, s[0:3], 0 offset:60
	s_waitcnt vmcnt(0)
	ds_write_b64 v1, v[70:71]
	buffer_store_dword v74, off, s[0:3], 0 offset:56
	buffer_store_dword v74, off, s[0:3], 0 offset:60
.LBB97_197:
	s_or_b64 exec, exec, s[4:5]
	s_waitcnt lgkmcnt(0)
	; wave barrier
	s_waitcnt lgkmcnt(0)
	buffer_load_dword v70, off, s[0:3], 0 offset:56
	buffer_load_dword v71, off, s[0:3], 0 offset:60
	;; [unrolled: 1-line block ×16, first 2 shown]
	ds_read_b128 v[76:79], v74 offset:336
	ds_read_b128 v[80:83], v74 offset:352
	;; [unrolled: 1-line block ×4, first 2 shown]
	v_cmp_lt_u32_e32 vcc, 6, v0
	s_waitcnt vmcnt(12) lgkmcnt(3)
	v_fma_f64 v[72:73], v[72:73], v[76:77], 0
	buffer_load_dword v77, off, s[0:3], 0 offset:124
	buffer_load_dword v76, off, s[0:3], 0 offset:120
	s_waitcnt vmcnt(12)
	v_fmac_f64_e32 v[72:73], v[92:93], v[78:79]
	s_waitcnt vmcnt(10) lgkmcnt(2)
	v_fmac_f64_e32 v[72:73], v[94:95], v[80:81]
	buffer_load_dword v81, off, s[0:3], 0 offset:132
	buffer_load_dword v80, off, s[0:3], 0 offset:128
	s_waitcnt vmcnt(10)
	v_fmac_f64_e32 v[72:73], v[96:97], v[82:83]
	s_waitcnt vmcnt(8) lgkmcnt(1)
	v_fmac_f64_e32 v[72:73], v[98:99], v[84:85]
	s_waitcnt vmcnt(6)
	v_fmac_f64_e32 v[72:73], v[100:101], v[86:87]
	s_waitcnt vmcnt(4) lgkmcnt(0)
	v_fmac_f64_e32 v[72:73], v[102:103], v[88:89]
	s_waitcnt vmcnt(2)
	v_fmac_f64_e32 v[72:73], v[76:77], v[90:91]
	ds_read_b128 v[76:79], v74 offset:400
	s_waitcnt vmcnt(0) lgkmcnt(0)
	v_fmac_f64_e32 v[72:73], v[80:81], v[76:77]
	buffer_load_dword v77, off, s[0:3], 0 offset:140
	buffer_load_dword v76, off, s[0:3], 0 offset:136
	buffer_load_dword v81, off, s[0:3], 0 offset:148
	buffer_load_dword v80, off, s[0:3], 0 offset:144
	s_waitcnt vmcnt(2)
	v_fmac_f64_e32 v[72:73], v[76:77], v[78:79]
	ds_read_b128 v[76:79], v74 offset:416
	s_waitcnt vmcnt(0) lgkmcnt(0)
	v_fmac_f64_e32 v[72:73], v[80:81], v[76:77]
	buffer_load_dword v77, off, s[0:3], 0 offset:156
	buffer_load_dword v76, off, s[0:3], 0 offset:152
	buffer_load_dword v81, off, s[0:3], 0 offset:164
	buffer_load_dword v80, off, s[0:3], 0 offset:160
	s_waitcnt vmcnt(2)
	v_fmac_f64_e32 v[72:73], v[76:77], v[78:79]
	ds_read_b128 v[76:79], v74 offset:432
	s_waitcnt vmcnt(0) lgkmcnt(0)
	v_fmac_f64_e32 v[72:73], v[80:81], v[76:77]
	buffer_load_dword v77, off, s[0:3], 0 offset:172
	buffer_load_dword v76, off, s[0:3], 0 offset:168
	buffer_load_dword v81, off, s[0:3], 0 offset:180
	buffer_load_dword v80, off, s[0:3], 0 offset:176
	s_waitcnt vmcnt(2)
	v_fmac_f64_e32 v[72:73], v[76:77], v[78:79]
	ds_read_b128 v[76:79], v74 offset:448
	s_waitcnt vmcnt(0) lgkmcnt(0)
	v_fmac_f64_e32 v[72:73], v[80:81], v[76:77]
	buffer_load_dword v77, off, s[0:3], 0 offset:188
	buffer_load_dword v76, off, s[0:3], 0 offset:184
	buffer_load_dword v81, off, s[0:3], 0 offset:196
	buffer_load_dword v80, off, s[0:3], 0 offset:192
	s_waitcnt vmcnt(2)
	v_fmac_f64_e32 v[72:73], v[76:77], v[78:79]
	ds_read_b128 v[76:79], v74 offset:464
	s_waitcnt vmcnt(0) lgkmcnt(0)
	v_fmac_f64_e32 v[72:73], v[80:81], v[76:77]
	buffer_load_dword v77, off, s[0:3], 0 offset:204
	buffer_load_dword v76, off, s[0:3], 0 offset:200
	buffer_load_dword v81, off, s[0:3], 0 offset:212
	buffer_load_dword v80, off, s[0:3], 0 offset:208
	s_waitcnt vmcnt(2)
	v_fmac_f64_e32 v[72:73], v[76:77], v[78:79]
	ds_read_b128 v[76:79], v74 offset:480
	s_waitcnt vmcnt(0) lgkmcnt(0)
	v_fmac_f64_e32 v[72:73], v[80:81], v[76:77]
	buffer_load_dword v77, off, s[0:3], 0 offset:220
	buffer_load_dword v76, off, s[0:3], 0 offset:216
	buffer_load_dword v81, off, s[0:3], 0 offset:228
	buffer_load_dword v80, off, s[0:3], 0 offset:224
	s_waitcnt vmcnt(2)
	v_fmac_f64_e32 v[72:73], v[76:77], v[78:79]
	ds_read_b128 v[76:79], v74 offset:496
	s_waitcnt vmcnt(0) lgkmcnt(0)
	v_fmac_f64_e32 v[72:73], v[80:81], v[76:77]
	buffer_load_dword v77, off, s[0:3], 0 offset:236
	buffer_load_dword v76, off, s[0:3], 0 offset:232
	buffer_load_dword v81, off, s[0:3], 0 offset:244
	buffer_load_dword v80, off, s[0:3], 0 offset:240
	s_waitcnt vmcnt(2)
	v_fmac_f64_e32 v[72:73], v[76:77], v[78:79]
	ds_read_b128 v[76:79], v74 offset:512
	s_waitcnt vmcnt(0) lgkmcnt(0)
	v_fmac_f64_e32 v[72:73], v[80:81], v[76:77]
	buffer_load_dword v77, off, s[0:3], 0 offset:252
	buffer_load_dword v76, off, s[0:3], 0 offset:248
	s_waitcnt vmcnt(0)
	v_fmac_f64_e32 v[72:73], v[76:77], v[78:79]
	buffer_load_dword v79, off, s[0:3], 0 offset:260
	buffer_load_dword v78, off, s[0:3], 0 offset:256
	ds_read_b128 v[74:77], v74 offset:528
	s_waitcnt vmcnt(0) lgkmcnt(0)
	v_fmac_f64_e32 v[72:73], v[78:79], v[74:75]
	buffer_load_dword v75, off, s[0:3], 0 offset:268
	buffer_load_dword v74, off, s[0:3], 0 offset:264
	s_waitcnt vmcnt(0)
	v_fmac_f64_e32 v[72:73], v[74:75], v[76:77]
	v_add_f64 v[70:71], v[70:71], -v[72:73]
	buffer_store_dword v71, off, s[0:3], 0 offset:60
	buffer_store_dword v70, off, s[0:3], 0 offset:56
	s_and_saveexec_b64 s[4:5], vcc
	s_cbranch_execz .LBB97_199
; %bb.198:
	buffer_load_dword v70, off, s[0:3], 0 offset:48
	buffer_load_dword v71, off, s[0:3], 0 offset:52
	v_mov_b32_e32 v72, 0
	buffer_store_dword v72, off, s[0:3], 0 offset:48
	buffer_store_dword v72, off, s[0:3], 0 offset:52
	s_waitcnt vmcnt(2)
	ds_write_b64 v1, v[70:71]
.LBB97_199:
	s_or_b64 exec, exec, s[4:5]
	s_waitcnt lgkmcnt(0)
	; wave barrier
	s_waitcnt lgkmcnt(0)
	buffer_load_dword v70, off, s[0:3], 0 offset:48
	buffer_load_dword v71, off, s[0:3], 0 offset:52
	;; [unrolled: 1-line block ×16, first 2 shown]
	v_mov_b32_e32 v74, 0
	ds_read2_b64 v[76:79], v74 offset0:41 offset1:42
	v_cmp_lt_u32_e32 vcc, 5, v0
	s_waitcnt vmcnt(12) lgkmcnt(0)
	v_fma_f64 v[72:73], v[72:73], v[76:77], 0
	s_waitcnt vmcnt(10)
	v_fmac_f64_e32 v[72:73], v[80:81], v[78:79]
	ds_read2_b64 v[76:79], v74 offset0:43 offset1:44
	s_waitcnt vmcnt(8) lgkmcnt(0)
	v_fmac_f64_e32 v[72:73], v[82:83], v[76:77]
	s_waitcnt vmcnt(6)
	v_fmac_f64_e32 v[72:73], v[84:85], v[78:79]
	ds_read2_b64 v[76:79], v74 offset0:45 offset1:46
	s_waitcnt vmcnt(4) lgkmcnt(0)
	v_fmac_f64_e32 v[72:73], v[86:87], v[76:77]
	;; [unrolled: 5-line block ×3, first 2 shown]
	buffer_load_dword v77, off, s[0:3], 0 offset:116
	buffer_load_dword v76, off, s[0:3], 0 offset:112
	buffer_load_dword v81, off, s[0:3], 0 offset:124
	buffer_load_dword v80, off, s[0:3], 0 offset:120
	s_waitcnt vmcnt(2)
	v_fmac_f64_e32 v[72:73], v[76:77], v[78:79]
	ds_read2_b64 v[76:79], v74 offset0:49 offset1:50
	s_waitcnt vmcnt(0) lgkmcnt(0)
	v_fmac_f64_e32 v[72:73], v[80:81], v[76:77]
	buffer_load_dword v77, off, s[0:3], 0 offset:132
	buffer_load_dword v76, off, s[0:3], 0 offset:128
	buffer_load_dword v81, off, s[0:3], 0 offset:140
	buffer_load_dword v80, off, s[0:3], 0 offset:136
	s_waitcnt vmcnt(2)
	v_fmac_f64_e32 v[72:73], v[76:77], v[78:79]
	ds_read2_b64 v[76:79], v74 offset0:51 offset1:52
	s_waitcnt vmcnt(0) lgkmcnt(0)
	v_fmac_f64_e32 v[72:73], v[80:81], v[76:77]
	buffer_load_dword v77, off, s[0:3], 0 offset:148
	buffer_load_dword v76, off, s[0:3], 0 offset:144
	buffer_load_dword v81, off, s[0:3], 0 offset:156
	buffer_load_dword v80, off, s[0:3], 0 offset:152
	s_waitcnt vmcnt(2)
	v_fmac_f64_e32 v[72:73], v[76:77], v[78:79]
	ds_read2_b64 v[76:79], v74 offset0:53 offset1:54
	s_waitcnt vmcnt(0) lgkmcnt(0)
	v_fmac_f64_e32 v[72:73], v[80:81], v[76:77]
	buffer_load_dword v77, off, s[0:3], 0 offset:164
	buffer_load_dword v76, off, s[0:3], 0 offset:160
	buffer_load_dword v81, off, s[0:3], 0 offset:172
	buffer_load_dword v80, off, s[0:3], 0 offset:168
	s_waitcnt vmcnt(2)
	v_fmac_f64_e32 v[72:73], v[76:77], v[78:79]
	ds_read2_b64 v[76:79], v74 offset0:55 offset1:56
	s_waitcnt vmcnt(0) lgkmcnt(0)
	v_fmac_f64_e32 v[72:73], v[80:81], v[76:77]
	buffer_load_dword v77, off, s[0:3], 0 offset:180
	buffer_load_dword v76, off, s[0:3], 0 offset:176
	buffer_load_dword v81, off, s[0:3], 0 offset:188
	buffer_load_dword v80, off, s[0:3], 0 offset:184
	s_waitcnt vmcnt(2)
	v_fmac_f64_e32 v[72:73], v[76:77], v[78:79]
	ds_read2_b64 v[76:79], v74 offset0:57 offset1:58
	s_waitcnt vmcnt(0) lgkmcnt(0)
	v_fmac_f64_e32 v[72:73], v[80:81], v[76:77]
	buffer_load_dword v77, off, s[0:3], 0 offset:196
	buffer_load_dword v76, off, s[0:3], 0 offset:192
	buffer_load_dword v81, off, s[0:3], 0 offset:204
	buffer_load_dword v80, off, s[0:3], 0 offset:200
	s_waitcnt vmcnt(2)
	v_fmac_f64_e32 v[72:73], v[76:77], v[78:79]
	ds_read2_b64 v[76:79], v74 offset0:59 offset1:60
	s_waitcnt vmcnt(0) lgkmcnt(0)
	v_fmac_f64_e32 v[72:73], v[80:81], v[76:77]
	buffer_load_dword v77, off, s[0:3], 0 offset:212
	buffer_load_dword v76, off, s[0:3], 0 offset:208
	buffer_load_dword v81, off, s[0:3], 0 offset:220
	buffer_load_dword v80, off, s[0:3], 0 offset:216
	s_waitcnt vmcnt(2)
	v_fmac_f64_e32 v[72:73], v[76:77], v[78:79]
	ds_read2_b64 v[76:79], v74 offset0:61 offset1:62
	s_waitcnt vmcnt(0) lgkmcnt(0)
	v_fmac_f64_e32 v[72:73], v[80:81], v[76:77]
	buffer_load_dword v77, off, s[0:3], 0 offset:228
	buffer_load_dword v76, off, s[0:3], 0 offset:224
	buffer_load_dword v81, off, s[0:3], 0 offset:236
	buffer_load_dword v80, off, s[0:3], 0 offset:232
	s_waitcnt vmcnt(2)
	v_fmac_f64_e32 v[72:73], v[76:77], v[78:79]
	ds_read2_b64 v[76:79], v74 offset0:63 offset1:64
	s_waitcnt vmcnt(0) lgkmcnt(0)
	v_fmac_f64_e32 v[72:73], v[80:81], v[76:77]
	buffer_load_dword v77, off, s[0:3], 0 offset:244
	buffer_load_dword v76, off, s[0:3], 0 offset:240
	buffer_load_dword v81, off, s[0:3], 0 offset:252
	buffer_load_dword v80, off, s[0:3], 0 offset:248
	s_waitcnt vmcnt(2)
	v_fmac_f64_e32 v[72:73], v[76:77], v[78:79]
	ds_read2_b64 v[76:79], v74 offset0:65 offset1:66
	s_waitcnt vmcnt(0) lgkmcnt(0)
	v_fmac_f64_e32 v[72:73], v[80:81], v[76:77]
	buffer_load_dword v77, off, s[0:3], 0 offset:260
	buffer_load_dword v76, off, s[0:3], 0 offset:256
	s_waitcnt vmcnt(0)
	v_fmac_f64_e32 v[72:73], v[76:77], v[78:79]
	buffer_load_dword v77, off, s[0:3], 0 offset:268
	buffer_load_dword v76, off, s[0:3], 0 offset:264
	ds_read_b64 v[78:79], v74 offset:536
	s_waitcnt vmcnt(0) lgkmcnt(0)
	v_fmac_f64_e32 v[72:73], v[76:77], v[78:79]
	v_add_f64 v[70:71], v[70:71], -v[72:73]
	buffer_store_dword v71, off, s[0:3], 0 offset:52
	buffer_store_dword v70, off, s[0:3], 0 offset:48
	s_and_saveexec_b64 s[4:5], vcc
	s_cbranch_execz .LBB97_201
; %bb.200:
	buffer_load_dword v70, off, s[0:3], 0 offset:40
	buffer_load_dword v71, off, s[0:3], 0 offset:44
	s_waitcnt vmcnt(0)
	ds_write_b64 v1, v[70:71]
	buffer_store_dword v74, off, s[0:3], 0 offset:40
	buffer_store_dword v74, off, s[0:3], 0 offset:44
.LBB97_201:
	s_or_b64 exec, exec, s[4:5]
	s_waitcnt lgkmcnt(0)
	; wave barrier
	s_waitcnt lgkmcnt(0)
	buffer_load_dword v70, off, s[0:3], 0 offset:40
	buffer_load_dword v71, off, s[0:3], 0 offset:44
	;; [unrolled: 1-line block ×16, first 2 shown]
	ds_read_b128 v[76:79], v74 offset:320
	ds_read_b128 v[80:83], v74 offset:336
	;; [unrolled: 1-line block ×4, first 2 shown]
	v_cmp_lt_u32_e32 vcc, 4, v0
	s_waitcnt vmcnt(12) lgkmcnt(3)
	v_fma_f64 v[72:73], v[72:73], v[76:77], 0
	buffer_load_dword v77, off, s[0:3], 0 offset:108
	buffer_load_dword v76, off, s[0:3], 0 offset:104
	s_waitcnt vmcnt(12)
	v_fmac_f64_e32 v[72:73], v[92:93], v[78:79]
	s_waitcnt vmcnt(10) lgkmcnt(2)
	v_fmac_f64_e32 v[72:73], v[94:95], v[80:81]
	buffer_load_dword v81, off, s[0:3], 0 offset:116
	buffer_load_dword v80, off, s[0:3], 0 offset:112
	s_waitcnt vmcnt(10)
	v_fmac_f64_e32 v[72:73], v[96:97], v[82:83]
	s_waitcnt vmcnt(8) lgkmcnt(1)
	v_fmac_f64_e32 v[72:73], v[98:99], v[84:85]
	s_waitcnt vmcnt(6)
	v_fmac_f64_e32 v[72:73], v[100:101], v[86:87]
	s_waitcnt vmcnt(4) lgkmcnt(0)
	v_fmac_f64_e32 v[72:73], v[102:103], v[88:89]
	s_waitcnt vmcnt(2)
	v_fmac_f64_e32 v[72:73], v[76:77], v[90:91]
	ds_read_b128 v[76:79], v74 offset:384
	s_waitcnt vmcnt(0) lgkmcnt(0)
	v_fmac_f64_e32 v[72:73], v[80:81], v[76:77]
	buffer_load_dword v77, off, s[0:3], 0 offset:124
	buffer_load_dword v76, off, s[0:3], 0 offset:120
	buffer_load_dword v81, off, s[0:3], 0 offset:132
	buffer_load_dword v80, off, s[0:3], 0 offset:128
	s_waitcnt vmcnt(2)
	v_fmac_f64_e32 v[72:73], v[76:77], v[78:79]
	ds_read_b128 v[76:79], v74 offset:400
	s_waitcnt vmcnt(0) lgkmcnt(0)
	v_fmac_f64_e32 v[72:73], v[80:81], v[76:77]
	buffer_load_dword v77, off, s[0:3], 0 offset:140
	buffer_load_dword v76, off, s[0:3], 0 offset:136
	buffer_load_dword v81, off, s[0:3], 0 offset:148
	buffer_load_dword v80, off, s[0:3], 0 offset:144
	;; [unrolled: 9-line block ×8, first 2 shown]
	s_waitcnt vmcnt(2)
	v_fmac_f64_e32 v[72:73], v[76:77], v[78:79]
	ds_read_b128 v[76:79], v74 offset:512
	s_waitcnt vmcnt(0) lgkmcnt(0)
	v_fmac_f64_e32 v[72:73], v[80:81], v[76:77]
	buffer_load_dword v77, off, s[0:3], 0 offset:252
	buffer_load_dword v76, off, s[0:3], 0 offset:248
	s_waitcnt vmcnt(0)
	v_fmac_f64_e32 v[72:73], v[76:77], v[78:79]
	buffer_load_dword v79, off, s[0:3], 0 offset:260
	buffer_load_dword v78, off, s[0:3], 0 offset:256
	ds_read_b128 v[74:77], v74 offset:528
	s_waitcnt vmcnt(0) lgkmcnt(0)
	v_fmac_f64_e32 v[72:73], v[78:79], v[74:75]
	buffer_load_dword v75, off, s[0:3], 0 offset:268
	buffer_load_dword v74, off, s[0:3], 0 offset:264
	s_waitcnt vmcnt(0)
	v_fmac_f64_e32 v[72:73], v[74:75], v[76:77]
	v_add_f64 v[70:71], v[70:71], -v[72:73]
	buffer_store_dword v71, off, s[0:3], 0 offset:44
	buffer_store_dword v70, off, s[0:3], 0 offset:40
	s_and_saveexec_b64 s[4:5], vcc
	s_cbranch_execz .LBB97_203
; %bb.202:
	buffer_load_dword v70, off, s[0:3], 0 offset:32
	buffer_load_dword v71, off, s[0:3], 0 offset:36
	v_mov_b32_e32 v72, 0
	buffer_store_dword v72, off, s[0:3], 0 offset:32
	buffer_store_dword v72, off, s[0:3], 0 offset:36
	s_waitcnt vmcnt(2)
	ds_write_b64 v1, v[70:71]
.LBB97_203:
	s_or_b64 exec, exec, s[4:5]
	s_waitcnt lgkmcnt(0)
	; wave barrier
	s_waitcnt lgkmcnt(0)
	buffer_load_dword v70, off, s[0:3], 0 offset:32
	buffer_load_dword v71, off, s[0:3], 0 offset:36
	;; [unrolled: 1-line block ×16, first 2 shown]
	v_mov_b32_e32 v74, 0
	ds_read2_b64 v[76:79], v74 offset0:39 offset1:40
	v_cmp_lt_u32_e32 vcc, 3, v0
	s_waitcnt vmcnt(12) lgkmcnt(0)
	v_fma_f64 v[72:73], v[72:73], v[76:77], 0
	s_waitcnt vmcnt(10)
	v_fmac_f64_e32 v[72:73], v[80:81], v[78:79]
	ds_read2_b64 v[76:79], v74 offset0:41 offset1:42
	s_waitcnt vmcnt(8) lgkmcnt(0)
	v_fmac_f64_e32 v[72:73], v[82:83], v[76:77]
	s_waitcnt vmcnt(6)
	v_fmac_f64_e32 v[72:73], v[84:85], v[78:79]
	ds_read2_b64 v[76:79], v74 offset0:43 offset1:44
	s_waitcnt vmcnt(4) lgkmcnt(0)
	v_fmac_f64_e32 v[72:73], v[86:87], v[76:77]
	;; [unrolled: 5-line block ×3, first 2 shown]
	buffer_load_dword v77, off, s[0:3], 0 offset:100
	buffer_load_dword v76, off, s[0:3], 0 offset:96
	buffer_load_dword v81, off, s[0:3], 0 offset:108
	buffer_load_dword v80, off, s[0:3], 0 offset:104
	s_waitcnt vmcnt(2)
	v_fmac_f64_e32 v[72:73], v[76:77], v[78:79]
	ds_read2_b64 v[76:79], v74 offset0:47 offset1:48
	s_waitcnt vmcnt(0) lgkmcnt(0)
	v_fmac_f64_e32 v[72:73], v[80:81], v[76:77]
	buffer_load_dword v77, off, s[0:3], 0 offset:116
	buffer_load_dword v76, off, s[0:3], 0 offset:112
	buffer_load_dword v81, off, s[0:3], 0 offset:124
	buffer_load_dword v80, off, s[0:3], 0 offset:120
	s_waitcnt vmcnt(2)
	v_fmac_f64_e32 v[72:73], v[76:77], v[78:79]
	ds_read2_b64 v[76:79], v74 offset0:49 offset1:50
	s_waitcnt vmcnt(0) lgkmcnt(0)
	v_fmac_f64_e32 v[72:73], v[80:81], v[76:77]
	;; [unrolled: 9-line block ×10, first 2 shown]
	buffer_load_dword v77, off, s[0:3], 0 offset:260
	buffer_load_dword v76, off, s[0:3], 0 offset:256
	s_waitcnt vmcnt(0)
	v_fmac_f64_e32 v[72:73], v[76:77], v[78:79]
	buffer_load_dword v77, off, s[0:3], 0 offset:268
	buffer_load_dword v76, off, s[0:3], 0 offset:264
	ds_read_b64 v[78:79], v74 offset:536
	s_waitcnt vmcnt(0) lgkmcnt(0)
	v_fmac_f64_e32 v[72:73], v[76:77], v[78:79]
	v_add_f64 v[70:71], v[70:71], -v[72:73]
	buffer_store_dword v71, off, s[0:3], 0 offset:36
	buffer_store_dword v70, off, s[0:3], 0 offset:32
	s_and_saveexec_b64 s[4:5], vcc
	s_cbranch_execz .LBB97_205
; %bb.204:
	buffer_load_dword v70, off, s[0:3], 0 offset:24
	buffer_load_dword v71, off, s[0:3], 0 offset:28
	s_waitcnt vmcnt(0)
	ds_write_b64 v1, v[70:71]
	buffer_store_dword v74, off, s[0:3], 0 offset:24
	buffer_store_dword v74, off, s[0:3], 0 offset:28
.LBB97_205:
	s_or_b64 exec, exec, s[4:5]
	s_waitcnt lgkmcnt(0)
	; wave barrier
	s_waitcnt lgkmcnt(0)
	buffer_load_dword v70, off, s[0:3], 0 offset:24
	buffer_load_dword v71, off, s[0:3], 0 offset:28
	;; [unrolled: 1-line block ×16, first 2 shown]
	ds_read_b128 v[76:79], v74 offset:304
	ds_read_b128 v[80:83], v74 offset:320
	;; [unrolled: 1-line block ×4, first 2 shown]
	v_cmp_lt_u32_e32 vcc, 2, v0
	s_waitcnt vmcnt(12) lgkmcnt(3)
	v_fma_f64 v[72:73], v[72:73], v[76:77], 0
	buffer_load_dword v77, off, s[0:3], 0 offset:92
	buffer_load_dword v76, off, s[0:3], 0 offset:88
	s_waitcnt vmcnt(12)
	v_fmac_f64_e32 v[72:73], v[92:93], v[78:79]
	s_waitcnt vmcnt(10) lgkmcnt(2)
	v_fmac_f64_e32 v[72:73], v[94:95], v[80:81]
	buffer_load_dword v81, off, s[0:3], 0 offset:100
	buffer_load_dword v80, off, s[0:3], 0 offset:96
	s_waitcnt vmcnt(10)
	v_fmac_f64_e32 v[72:73], v[96:97], v[82:83]
	s_waitcnt vmcnt(8) lgkmcnt(1)
	v_fmac_f64_e32 v[72:73], v[98:99], v[84:85]
	s_waitcnt vmcnt(6)
	v_fmac_f64_e32 v[72:73], v[100:101], v[86:87]
	s_waitcnt vmcnt(4) lgkmcnt(0)
	v_fmac_f64_e32 v[72:73], v[102:103], v[88:89]
	s_waitcnt vmcnt(2)
	v_fmac_f64_e32 v[72:73], v[76:77], v[90:91]
	ds_read_b128 v[76:79], v74 offset:368
	s_waitcnt vmcnt(0) lgkmcnt(0)
	v_fmac_f64_e32 v[72:73], v[80:81], v[76:77]
	buffer_load_dword v77, off, s[0:3], 0 offset:108
	buffer_load_dword v76, off, s[0:3], 0 offset:104
	buffer_load_dword v81, off, s[0:3], 0 offset:116
	buffer_load_dword v80, off, s[0:3], 0 offset:112
	s_waitcnt vmcnt(2)
	v_fmac_f64_e32 v[72:73], v[76:77], v[78:79]
	ds_read_b128 v[76:79], v74 offset:384
	s_waitcnt vmcnt(0) lgkmcnt(0)
	v_fmac_f64_e32 v[72:73], v[80:81], v[76:77]
	buffer_load_dword v77, off, s[0:3], 0 offset:124
	buffer_load_dword v76, off, s[0:3], 0 offset:120
	buffer_load_dword v81, off, s[0:3], 0 offset:132
	buffer_load_dword v80, off, s[0:3], 0 offset:128
	;; [unrolled: 9-line block ×9, first 2 shown]
	s_waitcnt vmcnt(2)
	v_fmac_f64_e32 v[72:73], v[76:77], v[78:79]
	ds_read_b128 v[76:79], v74 offset:512
	s_waitcnt vmcnt(0) lgkmcnt(0)
	v_fmac_f64_e32 v[72:73], v[80:81], v[76:77]
	buffer_load_dword v77, off, s[0:3], 0 offset:252
	buffer_load_dword v76, off, s[0:3], 0 offset:248
	s_waitcnt vmcnt(0)
	v_fmac_f64_e32 v[72:73], v[76:77], v[78:79]
	buffer_load_dword v79, off, s[0:3], 0 offset:260
	buffer_load_dword v78, off, s[0:3], 0 offset:256
	ds_read_b128 v[74:77], v74 offset:528
	s_waitcnt vmcnt(0) lgkmcnt(0)
	v_fmac_f64_e32 v[72:73], v[78:79], v[74:75]
	buffer_load_dword v75, off, s[0:3], 0 offset:268
	buffer_load_dword v74, off, s[0:3], 0 offset:264
	s_waitcnt vmcnt(0)
	v_fmac_f64_e32 v[72:73], v[74:75], v[76:77]
	v_add_f64 v[70:71], v[70:71], -v[72:73]
	buffer_store_dword v71, off, s[0:3], 0 offset:28
	buffer_store_dword v70, off, s[0:3], 0 offset:24
	s_and_saveexec_b64 s[4:5], vcc
	s_cbranch_execz .LBB97_207
; %bb.206:
	buffer_load_dword v70, off, s[0:3], 0 offset:16
	buffer_load_dword v71, off, s[0:3], 0 offset:20
	v_mov_b32_e32 v72, 0
	buffer_store_dword v72, off, s[0:3], 0 offset:16
	buffer_store_dword v72, off, s[0:3], 0 offset:20
	s_waitcnt vmcnt(2)
	ds_write_b64 v1, v[70:71]
.LBB97_207:
	s_or_b64 exec, exec, s[4:5]
	s_waitcnt lgkmcnt(0)
	; wave barrier
	s_waitcnt lgkmcnt(0)
	buffer_load_dword v70, off, s[0:3], 0 offset:16
	buffer_load_dword v71, off, s[0:3], 0 offset:20
	;; [unrolled: 1-line block ×16, first 2 shown]
	v_mov_b32_e32 v74, 0
	ds_read2_b64 v[76:79], v74 offset0:37 offset1:38
	v_cmp_lt_u32_e32 vcc, 1, v0
	s_waitcnt vmcnt(12) lgkmcnt(0)
	v_fma_f64 v[72:73], v[72:73], v[76:77], 0
	s_waitcnt vmcnt(10)
	v_fmac_f64_e32 v[72:73], v[80:81], v[78:79]
	ds_read2_b64 v[76:79], v74 offset0:39 offset1:40
	s_waitcnt vmcnt(8) lgkmcnt(0)
	v_fmac_f64_e32 v[72:73], v[82:83], v[76:77]
	s_waitcnt vmcnt(6)
	v_fmac_f64_e32 v[72:73], v[84:85], v[78:79]
	ds_read2_b64 v[76:79], v74 offset0:41 offset1:42
	s_waitcnt vmcnt(4) lgkmcnt(0)
	v_fmac_f64_e32 v[72:73], v[86:87], v[76:77]
	;; [unrolled: 5-line block ×3, first 2 shown]
	buffer_load_dword v77, off, s[0:3], 0 offset:84
	buffer_load_dword v76, off, s[0:3], 0 offset:80
	buffer_load_dword v81, off, s[0:3], 0 offset:92
	buffer_load_dword v80, off, s[0:3], 0 offset:88
	s_waitcnt vmcnt(2)
	v_fmac_f64_e32 v[72:73], v[76:77], v[78:79]
	ds_read2_b64 v[76:79], v74 offset0:45 offset1:46
	s_waitcnt vmcnt(0) lgkmcnt(0)
	v_fmac_f64_e32 v[72:73], v[80:81], v[76:77]
	buffer_load_dword v77, off, s[0:3], 0 offset:100
	buffer_load_dword v76, off, s[0:3], 0 offset:96
	buffer_load_dword v81, off, s[0:3], 0 offset:108
	buffer_load_dword v80, off, s[0:3], 0 offset:104
	s_waitcnt vmcnt(2)
	v_fmac_f64_e32 v[72:73], v[76:77], v[78:79]
	ds_read2_b64 v[76:79], v74 offset0:47 offset1:48
	s_waitcnt vmcnt(0) lgkmcnt(0)
	v_fmac_f64_e32 v[72:73], v[80:81], v[76:77]
	;; [unrolled: 9-line block ×11, first 2 shown]
	buffer_load_dword v77, off, s[0:3], 0 offset:260
	buffer_load_dword v76, off, s[0:3], 0 offset:256
	s_waitcnt vmcnt(0)
	v_fmac_f64_e32 v[72:73], v[76:77], v[78:79]
	buffer_load_dword v77, off, s[0:3], 0 offset:268
	buffer_load_dword v76, off, s[0:3], 0 offset:264
	ds_read_b64 v[78:79], v74 offset:536
	s_waitcnt vmcnt(0) lgkmcnt(0)
	v_fmac_f64_e32 v[72:73], v[76:77], v[78:79]
	v_add_f64 v[70:71], v[70:71], -v[72:73]
	buffer_store_dword v71, off, s[0:3], 0 offset:20
	buffer_store_dword v70, off, s[0:3], 0 offset:16
	s_and_saveexec_b64 s[4:5], vcc
	s_cbranch_execz .LBB97_209
; %bb.208:
	buffer_load_dword v70, off, s[0:3], 0 offset:8
	buffer_load_dword v71, off, s[0:3], 0 offset:12
	s_waitcnt vmcnt(0)
	ds_write_b64 v1, v[70:71]
	buffer_store_dword v74, off, s[0:3], 0 offset:8
	buffer_store_dword v74, off, s[0:3], 0 offset:12
.LBB97_209:
	s_or_b64 exec, exec, s[4:5]
	s_waitcnt lgkmcnt(0)
	; wave barrier
	s_waitcnt lgkmcnt(0)
	buffer_load_dword v70, off, s[0:3], 0 offset:8
	buffer_load_dword v71, off, s[0:3], 0 offset:12
	;; [unrolled: 1-line block ×16, first 2 shown]
	ds_read_b128 v[76:79], v74 offset:288
	ds_read_b128 v[80:83], v74 offset:304
	;; [unrolled: 1-line block ×4, first 2 shown]
	v_cmp_ne_u32_e32 vcc, 0, v0
	s_waitcnt vmcnt(12) lgkmcnt(3)
	v_fma_f64 v[72:73], v[72:73], v[76:77], 0
	buffer_load_dword v77, off, s[0:3], 0 offset:76
	buffer_load_dword v76, off, s[0:3], 0 offset:72
	s_waitcnt vmcnt(12)
	v_fmac_f64_e32 v[72:73], v[92:93], v[78:79]
	s_waitcnt vmcnt(10) lgkmcnt(2)
	v_fmac_f64_e32 v[72:73], v[94:95], v[80:81]
	buffer_load_dword v81, off, s[0:3], 0 offset:84
	buffer_load_dword v80, off, s[0:3], 0 offset:80
	s_waitcnt vmcnt(10)
	v_fmac_f64_e32 v[72:73], v[96:97], v[82:83]
	s_waitcnt vmcnt(8) lgkmcnt(1)
	v_fmac_f64_e32 v[72:73], v[98:99], v[84:85]
	s_waitcnt vmcnt(6)
	v_fmac_f64_e32 v[72:73], v[100:101], v[86:87]
	s_waitcnt vmcnt(4) lgkmcnt(0)
	v_fmac_f64_e32 v[72:73], v[102:103], v[88:89]
	s_waitcnt vmcnt(2)
	v_fmac_f64_e32 v[72:73], v[76:77], v[90:91]
	ds_read_b128 v[76:79], v74 offset:352
	s_waitcnt vmcnt(0) lgkmcnt(0)
	v_fmac_f64_e32 v[72:73], v[80:81], v[76:77]
	buffer_load_dword v77, off, s[0:3], 0 offset:92
	buffer_load_dword v76, off, s[0:3], 0 offset:88
	buffer_load_dword v81, off, s[0:3], 0 offset:100
	buffer_load_dword v80, off, s[0:3], 0 offset:96
	s_waitcnt vmcnt(2)
	v_fmac_f64_e32 v[72:73], v[76:77], v[78:79]
	ds_read_b128 v[76:79], v74 offset:368
	s_waitcnt vmcnt(0) lgkmcnt(0)
	v_fmac_f64_e32 v[72:73], v[80:81], v[76:77]
	buffer_load_dword v77, off, s[0:3], 0 offset:108
	buffer_load_dword v76, off, s[0:3], 0 offset:104
	buffer_load_dword v81, off, s[0:3], 0 offset:116
	buffer_load_dword v80, off, s[0:3], 0 offset:112
	;; [unrolled: 9-line block ×10, first 2 shown]
	s_waitcnt vmcnt(2)
	v_fmac_f64_e32 v[72:73], v[76:77], v[78:79]
	ds_read_b128 v[76:79], v74 offset:512
	s_waitcnt vmcnt(0) lgkmcnt(0)
	v_fmac_f64_e32 v[72:73], v[80:81], v[76:77]
	buffer_load_dword v77, off, s[0:3], 0 offset:252
	buffer_load_dword v76, off, s[0:3], 0 offset:248
	s_waitcnt vmcnt(0)
	v_fmac_f64_e32 v[72:73], v[76:77], v[78:79]
	buffer_load_dword v79, off, s[0:3], 0 offset:260
	buffer_load_dword v78, off, s[0:3], 0 offset:256
	ds_read_b128 v[74:77], v74 offset:528
	s_waitcnt vmcnt(0) lgkmcnt(0)
	v_fmac_f64_e32 v[72:73], v[78:79], v[74:75]
	buffer_load_dword v75, off, s[0:3], 0 offset:268
	buffer_load_dword v74, off, s[0:3], 0 offset:264
	s_waitcnt vmcnt(0)
	v_fmac_f64_e32 v[72:73], v[74:75], v[76:77]
	v_add_f64 v[70:71], v[70:71], -v[72:73]
	buffer_store_dword v71, off, s[0:3], 0 offset:12
	buffer_store_dword v70, off, s[0:3], 0 offset:8
	s_and_saveexec_b64 s[4:5], vcc
	s_cbranch_execz .LBB97_211
; %bb.210:
	buffer_load_dword v70, off, s[0:3], 0
	buffer_load_dword v71, off, s[0:3], 0 offset:4
	v_mov_b32_e32 v0, 0
	buffer_store_dword v0, off, s[0:3], 0
	buffer_store_dword v0, off, s[0:3], 0 offset:4
	s_waitcnt vmcnt(2)
	ds_write_b64 v1, v[70:71]
.LBB97_211:
	s_or_b64 exec, exec, s[4:5]
	s_waitcnt lgkmcnt(0)
	; wave barrier
	s_waitcnt lgkmcnt(0)
	buffer_load_dword v0, off, s[0:3], 0
	buffer_load_dword v1, off, s[0:3], 0 offset:4
	buffer_load_dword v74, off, s[0:3], 0 offset:8
	;; [unrolled: 1-line block ×15, first 2 shown]
	v_mov_b32_e32 v88, 0
	ds_read2_b64 v[70:73], v88 offset0:35 offset1:36
	s_and_b64 vcc, exec, s[16:17]
	s_waitcnt vmcnt(12) lgkmcnt(0)
	v_fma_f64 v[70:71], v[74:75], v[70:71], 0
	s_waitcnt vmcnt(10)
	v_fmac_f64_e32 v[70:71], v[76:77], v[72:73]
	ds_read2_b64 v[72:75], v88 offset0:37 offset1:38
	s_waitcnt vmcnt(8) lgkmcnt(0)
	v_fmac_f64_e32 v[70:71], v[78:79], v[72:73]
	s_waitcnt vmcnt(6)
	v_fmac_f64_e32 v[70:71], v[80:81], v[74:75]
	ds_read2_b64 v[72:75], v88 offset0:39 offset1:40
	s_waitcnt vmcnt(4) lgkmcnt(0)
	v_fmac_f64_e32 v[70:71], v[82:83], v[72:73]
	;; [unrolled: 5-line block ×3, first 2 shown]
	buffer_load_dword v73, off, s[0:3], 0 offset:68
	buffer_load_dword v72, off, s[0:3], 0 offset:64
	buffer_load_dword v77, off, s[0:3], 0 offset:76
	buffer_load_dword v76, off, s[0:3], 0 offset:72
	s_waitcnt vmcnt(2)
	v_fmac_f64_e32 v[70:71], v[72:73], v[74:75]
	ds_read2_b64 v[72:75], v88 offset0:43 offset1:44
	s_waitcnt vmcnt(0) lgkmcnt(0)
	v_fmac_f64_e32 v[70:71], v[76:77], v[72:73]
	buffer_load_dword v73, off, s[0:3], 0 offset:84
	buffer_load_dword v72, off, s[0:3], 0 offset:80
	buffer_load_dword v77, off, s[0:3], 0 offset:92
	buffer_load_dword v76, off, s[0:3], 0 offset:88
	s_waitcnt vmcnt(2)
	v_fmac_f64_e32 v[70:71], v[72:73], v[74:75]
	ds_read2_b64 v[72:75], v88 offset0:45 offset1:46
	s_waitcnt vmcnt(0) lgkmcnt(0)
	v_fmac_f64_e32 v[70:71], v[76:77], v[72:73]
	;; [unrolled: 9-line block ×12, first 2 shown]
	buffer_load_dword v73, off, s[0:3], 0 offset:260
	buffer_load_dword v72, off, s[0:3], 0 offset:256
	s_waitcnt vmcnt(0)
	v_fmac_f64_e32 v[70:71], v[72:73], v[74:75]
	buffer_load_dword v75, off, s[0:3], 0 offset:268
	buffer_load_dword v74, off, s[0:3], 0 offset:264
	ds_read_b64 v[76:77], v88 offset:536
	s_waitcnt vmcnt(0) lgkmcnt(0)
	v_fmac_f64_e32 v[70:71], v[74:75], v[76:77]
	v_add_f64 v[0:1], v[0:1], -v[70:71]
	buffer_store_dword v1, off, s[0:3], 0 offset:4
	buffer_store_dword v0, off, s[0:3], 0
	s_cbranch_vccz .LBB97_279
; %bb.212:
	v_pk_mov_b32 v[0:1], s[10:11], s[10:11] op_sel:[0,1]
	flat_load_dword v0, v[0:1] offset:128
	s_waitcnt vmcnt(0) lgkmcnt(0)
	v_add_u32_e32 v0, -1, v0
	v_cmp_ne_u32_e32 vcc, 32, v0
	s_and_saveexec_b64 s[4:5], vcc
	s_cbranch_execz .LBB97_214
; %bb.213:
	v_mov_b32_e32 v1, 0
	v_lshl_add_u32 v0, v0, 3, v1
	buffer_load_dword v1, v0, s[0:3], 0 offen offset:4
	buffer_load_dword v70, v0, s[0:3], 0 offen
	s_waitcnt vmcnt(1)
	buffer_store_dword v1, off, s[0:3], 0 offset:260
	s_waitcnt vmcnt(1)
	buffer_store_dword v70, off, s[0:3], 0 offset:256
	buffer_store_dword v73, v0, s[0:3], 0 offen offset:4
	buffer_store_dword v72, v0, s[0:3], 0 offen
.LBB97_214:
	s_or_b64 exec, exec, s[4:5]
	v_pk_mov_b32 v[0:1], s[10:11], s[10:11] op_sel:[0,1]
	flat_load_dword v0, v[0:1] offset:124
	s_waitcnt vmcnt(0) lgkmcnt(0)
	v_add_u32_e32 v0, -1, v0
	v_cmp_ne_u32_e32 vcc, 31, v0
	s_and_saveexec_b64 s[4:5], vcc
	s_cbranch_execz .LBB97_216
; %bb.215:
	v_mov_b32_e32 v1, 0
	v_lshl_add_u32 v0, v0, 3, v1
	buffer_load_dword v1, v0, s[0:3], 0 offen
	buffer_load_dword v70, v0, s[0:3], 0 offen offset:4
	buffer_load_dword v71, off, s[0:3], 0 offset:248
	buffer_load_dword v72, off, s[0:3], 0 offset:252
	s_waitcnt vmcnt(3)
	buffer_store_dword v1, off, s[0:3], 0 offset:248
	s_waitcnt vmcnt(3)
	buffer_store_dword v70, off, s[0:3], 0 offset:252
	s_waitcnt vmcnt(3)
	buffer_store_dword v71, v0, s[0:3], 0 offen
	s_waitcnt vmcnt(3)
	buffer_store_dword v72, v0, s[0:3], 0 offen offset:4
.LBB97_216:
	s_or_b64 exec, exec, s[4:5]
	v_pk_mov_b32 v[0:1], s[10:11], s[10:11] op_sel:[0,1]
	flat_load_dword v0, v[0:1] offset:120
	s_waitcnt vmcnt(0) lgkmcnt(0)
	v_add_u32_e32 v0, -1, v0
	v_cmp_ne_u32_e32 vcc, 30, v0
	s_and_saveexec_b64 s[4:5], vcc
	s_cbranch_execz .LBB97_218
; %bb.217:
	v_mov_b32_e32 v1, 0
	v_lshl_add_u32 v0, v0, 3, v1
	buffer_load_dword v1, v0, s[0:3], 0 offen
	buffer_load_dword v70, v0, s[0:3], 0 offen offset:4
	buffer_load_dword v71, off, s[0:3], 0 offset:244
	buffer_load_dword v72, off, s[0:3], 0 offset:240
	s_waitcnt vmcnt(3)
	buffer_store_dword v1, off, s[0:3], 0 offset:240
	s_waitcnt vmcnt(3)
	buffer_store_dword v70, off, s[0:3], 0 offset:244
	s_waitcnt vmcnt(3)
	buffer_store_dword v71, v0, s[0:3], 0 offen offset:4
	s_waitcnt vmcnt(3)
	buffer_store_dword v72, v0, s[0:3], 0 offen
.LBB97_218:
	s_or_b64 exec, exec, s[4:5]
	v_pk_mov_b32 v[0:1], s[10:11], s[10:11] op_sel:[0,1]
	flat_load_dword v0, v[0:1] offset:116
	s_waitcnt vmcnt(0) lgkmcnt(0)
	v_add_u32_e32 v0, -1, v0
	v_cmp_ne_u32_e32 vcc, 29, v0
	s_and_saveexec_b64 s[4:5], vcc
	s_cbranch_execz .LBB97_220
; %bb.219:
	v_mov_b32_e32 v1, 0
	v_lshl_add_u32 v0, v0, 3, v1
	buffer_load_dword v1, v0, s[0:3], 0 offen
	buffer_load_dword v70, v0, s[0:3], 0 offen offset:4
	buffer_load_dword v71, off, s[0:3], 0 offset:232
	buffer_load_dword v72, off, s[0:3], 0 offset:236
	s_waitcnt vmcnt(3)
	buffer_store_dword v1, off, s[0:3], 0 offset:232
	s_waitcnt vmcnt(3)
	buffer_store_dword v70, off, s[0:3], 0 offset:236
	s_waitcnt vmcnt(3)
	buffer_store_dword v71, v0, s[0:3], 0 offen
	s_waitcnt vmcnt(3)
	buffer_store_dword v72, v0, s[0:3], 0 offen offset:4
.LBB97_220:
	s_or_b64 exec, exec, s[4:5]
	v_pk_mov_b32 v[0:1], s[10:11], s[10:11] op_sel:[0,1]
	flat_load_dword v0, v[0:1] offset:112
	s_waitcnt vmcnt(0) lgkmcnt(0)
	v_add_u32_e32 v0, -1, v0
	v_cmp_ne_u32_e32 vcc, 28, v0
	s_and_saveexec_b64 s[4:5], vcc
	s_cbranch_execz .LBB97_222
; %bb.221:
	v_mov_b32_e32 v1, 0
	v_lshl_add_u32 v0, v0, 3, v1
	buffer_load_dword v1, v0, s[0:3], 0 offen
	buffer_load_dword v70, v0, s[0:3], 0 offen offset:4
	buffer_load_dword v71, off, s[0:3], 0 offset:228
	buffer_load_dword v72, off, s[0:3], 0 offset:224
	s_waitcnt vmcnt(3)
	buffer_store_dword v1, off, s[0:3], 0 offset:224
	s_waitcnt vmcnt(3)
	buffer_store_dword v70, off, s[0:3], 0 offset:228
	s_waitcnt vmcnt(3)
	buffer_store_dword v71, v0, s[0:3], 0 offen offset:4
	s_waitcnt vmcnt(3)
	buffer_store_dword v72, v0, s[0:3], 0 offen
.LBB97_222:
	;; [unrolled: 48-line block ×15, first 2 shown]
	s_or_b64 exec, exec, s[4:5]
	v_pk_mov_b32 v[0:1], s[10:11], s[10:11] op_sel:[0,1]
	flat_load_dword v0, v[0:1] offset:4
	s_waitcnt vmcnt(0) lgkmcnt(0)
	v_add_u32_e32 v0, -1, v0
	v_cmp_ne_u32_e32 vcc, 1, v0
	s_and_saveexec_b64 s[4:5], vcc
	s_cbranch_execz .LBB97_276
; %bb.275:
	v_mov_b32_e32 v1, 0
	v_lshl_add_u32 v0, v0, 3, v1
	buffer_load_dword v1, v0, s[0:3], 0 offen
	buffer_load_dword v70, v0, s[0:3], 0 offen offset:4
	buffer_load_dword v71, off, s[0:3], 0 offset:8
	buffer_load_dword v72, off, s[0:3], 0 offset:12
	s_waitcnt vmcnt(3)
	buffer_store_dword v1, off, s[0:3], 0 offset:8
	s_waitcnt vmcnt(3)
	buffer_store_dword v70, off, s[0:3], 0 offset:12
	s_waitcnt vmcnt(3)
	buffer_store_dword v71, v0, s[0:3], 0 offen
	s_waitcnt vmcnt(3)
	buffer_store_dword v72, v0, s[0:3], 0 offen offset:4
.LBB97_276:
	s_or_b64 exec, exec, s[4:5]
	v_pk_mov_b32 v[0:1], s[10:11], s[10:11] op_sel:[0,1]
	flat_load_dword v70, v[0:1]
	s_nop 0
	buffer_load_dword v0, off, s[0:3], 0
	buffer_load_dword v1, off, s[0:3], 0 offset:4
	s_waitcnt vmcnt(0) lgkmcnt(0)
	v_add_u32_e32 v70, -1, v70
	v_cmp_ne_u32_e32 vcc, 0, v70
	s_and_saveexec_b64 s[4:5], vcc
	s_cbranch_execz .LBB97_278
; %bb.277:
	v_mov_b32_e32 v71, 0
	v_lshl_add_u32 v70, v70, 3, v71
	buffer_load_dword v71, v70, s[0:3], 0 offen offset:4
	buffer_load_dword v72, v70, s[0:3], 0 offen
	s_waitcnt vmcnt(1)
	buffer_store_dword v71, off, s[0:3], 0 offset:4
	s_waitcnt vmcnt(1)
	buffer_store_dword v72, off, s[0:3], 0
	buffer_store_dword v1, v70, s[0:3], 0 offen offset:4
	buffer_store_dword v0, v70, s[0:3], 0 offen
	buffer_load_dword v0, off, s[0:3], 0
	s_nop 0
	buffer_load_dword v1, off, s[0:3], 0 offset:4
.LBB97_278:
	s_or_b64 exec, exec, s[4:5]
.LBB97_279:
	s_waitcnt vmcnt(0)
	global_store_dwordx2 v[68:69], v[0:1], off
	buffer_load_dword v0, off, s[0:3], 0 offset:8
	s_nop 0
	buffer_load_dword v1, off, s[0:3], 0 offset:12
	buffer_load_dword v68, off, s[0:3], 0 offset:16
	;; [unrolled: 1-line block ×15, first 2 shown]
	s_waitcnt vmcnt(14)
	global_store_dwordx2 v[66:67], v[0:1], off
	s_waitcnt vmcnt(13)
	global_store_dwordx2 v[2:3], v[68:69], off
	;; [unrolled: 2-line block ×8, first 2 shown]
	buffer_load_dword v0, off, s[0:3], 0 offset:72
	buffer_load_dword v1, off, s[0:3], 0 offset:76
	s_waitcnt vmcnt(0)
	global_store_dwordx2 v[14:15], v[0:1], off
	buffer_load_dword v0, off, s[0:3], 0 offset:80
	s_nop 0
	buffer_load_dword v1, off, s[0:3], 0 offset:84
	s_waitcnt vmcnt(0)
	global_store_dwordx2 v[16:17], v[0:1], off
	buffer_load_dword v0, off, s[0:3], 0 offset:88
	s_nop 0
	buffer_load_dword v1, off, s[0:3], 0 offset:92
	s_waitcnt vmcnt(0)
	global_store_dwordx2 v[20:21], v[0:1], off
	buffer_load_dword v0, off, s[0:3], 0 offset:96
	s_nop 0
	buffer_load_dword v1, off, s[0:3], 0 offset:100
	s_waitcnt vmcnt(0)
	global_store_dwordx2 v[22:23], v[0:1], off
	buffer_load_dword v0, off, s[0:3], 0 offset:104
	s_nop 0
	buffer_load_dword v1, off, s[0:3], 0 offset:108
	s_waitcnt vmcnt(0)
	global_store_dwordx2 v[24:25], v[0:1], off
	buffer_load_dword v0, off, s[0:3], 0 offset:112
	s_nop 0
	buffer_load_dword v1, off, s[0:3], 0 offset:116
	s_waitcnt vmcnt(0)
	global_store_dwordx2 v[26:27], v[0:1], off
	buffer_load_dword v0, off, s[0:3], 0 offset:120
	s_nop 0
	buffer_load_dword v1, off, s[0:3], 0 offset:124
	s_waitcnt vmcnt(0)
	global_store_dwordx2 v[28:29], v[0:1], off
	buffer_load_dword v0, off, s[0:3], 0 offset:128
	s_nop 0
	buffer_load_dword v1, off, s[0:3], 0 offset:132
	s_waitcnt vmcnt(0)
	global_store_dwordx2 v[30:31], v[0:1], off
	buffer_load_dword v0, off, s[0:3], 0 offset:136
	s_nop 0
	buffer_load_dword v1, off, s[0:3], 0 offset:140
	s_waitcnt vmcnt(0)
	global_store_dwordx2 v[32:33], v[0:1], off
	buffer_load_dword v0, off, s[0:3], 0 offset:144
	s_nop 0
	buffer_load_dword v1, off, s[0:3], 0 offset:148
	s_waitcnt vmcnt(0)
	global_store_dwordx2 v[34:35], v[0:1], off
	buffer_load_dword v0, off, s[0:3], 0 offset:152
	s_nop 0
	buffer_load_dword v1, off, s[0:3], 0 offset:156
	s_waitcnt vmcnt(0)
	global_store_dwordx2 v[36:37], v[0:1], off
	buffer_load_dword v0, off, s[0:3], 0 offset:160
	s_nop 0
	buffer_load_dword v1, off, s[0:3], 0 offset:164
	s_waitcnt vmcnt(0)
	global_store_dwordx2 v[38:39], v[0:1], off
	buffer_load_dword v0, off, s[0:3], 0 offset:168
	s_nop 0
	buffer_load_dword v1, off, s[0:3], 0 offset:172
	s_waitcnt vmcnt(0)
	global_store_dwordx2 v[40:41], v[0:1], off
	buffer_load_dword v0, off, s[0:3], 0 offset:176
	s_nop 0
	buffer_load_dword v1, off, s[0:3], 0 offset:180
	s_waitcnt vmcnt(0)
	global_store_dwordx2 v[42:43], v[0:1], off
	buffer_load_dword v0, off, s[0:3], 0 offset:184
	s_nop 0
	buffer_load_dword v1, off, s[0:3], 0 offset:188
	s_waitcnt vmcnt(0)
	global_store_dwordx2 v[44:45], v[0:1], off
	buffer_load_dword v0, off, s[0:3], 0 offset:192
	s_nop 0
	buffer_load_dword v1, off, s[0:3], 0 offset:196
	s_waitcnt vmcnt(0)
	global_store_dwordx2 v[46:47], v[0:1], off
	buffer_load_dword v0, off, s[0:3], 0 offset:200
	s_nop 0
	buffer_load_dword v1, off, s[0:3], 0 offset:204
	s_waitcnt vmcnt(0)
	global_store_dwordx2 v[48:49], v[0:1], off
	buffer_load_dword v0, off, s[0:3], 0 offset:208
	s_nop 0
	buffer_load_dword v1, off, s[0:3], 0 offset:212
	s_waitcnt vmcnt(0)
	global_store_dwordx2 v[50:51], v[0:1], off
	buffer_load_dword v0, off, s[0:3], 0 offset:216
	s_nop 0
	buffer_load_dword v1, off, s[0:3], 0 offset:220
	s_waitcnt vmcnt(0)
	global_store_dwordx2 v[52:53], v[0:1], off
	buffer_load_dword v0, off, s[0:3], 0 offset:224
	s_nop 0
	buffer_load_dword v1, off, s[0:3], 0 offset:228
	s_waitcnt vmcnt(0)
	global_store_dwordx2 v[56:57], v[0:1], off
	buffer_load_dword v0, off, s[0:3], 0 offset:232
	s_nop 0
	buffer_load_dword v1, off, s[0:3], 0 offset:236
	s_waitcnt vmcnt(0)
	global_store_dwordx2 v[58:59], v[0:1], off
	buffer_load_dword v0, off, s[0:3], 0 offset:240
	s_nop 0
	buffer_load_dword v1, off, s[0:3], 0 offset:244
	s_waitcnt vmcnt(0)
	global_store_dwordx2 v[60:61], v[0:1], off
	buffer_load_dword v0, off, s[0:3], 0 offset:248
	s_nop 0
	buffer_load_dword v1, off, s[0:3], 0 offset:252
	s_waitcnt vmcnt(0)
	global_store_dwordx2 v[62:63], v[0:1], off
	buffer_load_dword v0, off, s[0:3], 0 offset:256
	s_nop 0
	buffer_load_dword v1, off, s[0:3], 0 offset:260
	s_waitcnt vmcnt(0)
	global_store_dwordx2 v[64:65], v[0:1], off
	buffer_load_dword v0, off, s[0:3], 0 offset:264
	s_nop 0
	buffer_load_dword v1, off, s[0:3], 0 offset:268
	s_waitcnt vmcnt(0)
	global_store_dwordx2 v[54:55], v[0:1], off
	s_endpgm
	.section	.rodata,"a",@progbits
	.p2align	6, 0x0
	.amdhsa_kernel _ZN9rocsolver6v33100L18getri_kernel_smallILi34EdPKPdEEvT1_iilPiilS6_bb
		.amdhsa_group_segment_fixed_size 552
		.amdhsa_private_segment_fixed_size 288
		.amdhsa_kernarg_size 60
		.amdhsa_user_sgpr_count 8
		.amdhsa_user_sgpr_private_segment_buffer 1
		.amdhsa_user_sgpr_dispatch_ptr 0
		.amdhsa_user_sgpr_queue_ptr 0
		.amdhsa_user_sgpr_kernarg_segment_ptr 1
		.amdhsa_user_sgpr_dispatch_id 0
		.amdhsa_user_sgpr_flat_scratch_init 1
		.amdhsa_user_sgpr_kernarg_preload_length 0
		.amdhsa_user_sgpr_kernarg_preload_offset 0
		.amdhsa_user_sgpr_private_segment_size 0
		.amdhsa_uses_dynamic_stack 0
		.amdhsa_system_sgpr_private_segment_wavefront_offset 1
		.amdhsa_system_sgpr_workgroup_id_x 1
		.amdhsa_system_sgpr_workgroup_id_y 0
		.amdhsa_system_sgpr_workgroup_id_z 0
		.amdhsa_system_sgpr_workgroup_info 0
		.amdhsa_system_vgpr_workitem_id 0
		.amdhsa_next_free_vgpr 126
		.amdhsa_next_free_sgpr 22
		.amdhsa_accum_offset 128
		.amdhsa_reserve_vcc 1
		.amdhsa_reserve_flat_scratch 1
		.amdhsa_float_round_mode_32 0
		.amdhsa_float_round_mode_16_64 0
		.amdhsa_float_denorm_mode_32 3
		.amdhsa_float_denorm_mode_16_64 3
		.amdhsa_dx10_clamp 1
		.amdhsa_ieee_mode 1
		.amdhsa_fp16_overflow 0
		.amdhsa_tg_split 0
		.amdhsa_exception_fp_ieee_invalid_op 0
		.amdhsa_exception_fp_denorm_src 0
		.amdhsa_exception_fp_ieee_div_zero 0
		.amdhsa_exception_fp_ieee_overflow 0
		.amdhsa_exception_fp_ieee_underflow 0
		.amdhsa_exception_fp_ieee_inexact 0
		.amdhsa_exception_int_div_zero 0
	.end_amdhsa_kernel
	.section	.text._ZN9rocsolver6v33100L18getri_kernel_smallILi34EdPKPdEEvT1_iilPiilS6_bb,"axG",@progbits,_ZN9rocsolver6v33100L18getri_kernel_smallILi34EdPKPdEEvT1_iilPiilS6_bb,comdat
.Lfunc_end97:
	.size	_ZN9rocsolver6v33100L18getri_kernel_smallILi34EdPKPdEEvT1_iilPiilS6_bb, .Lfunc_end97-_ZN9rocsolver6v33100L18getri_kernel_smallILi34EdPKPdEEvT1_iilPiilS6_bb
                                        ; -- End function
	.section	.AMDGPU.csdata,"",@progbits
; Kernel info:
; codeLenInByte = 33628
; NumSgprs: 28
; NumVgprs: 126
; NumAgprs: 0
; TotalNumVgprs: 126
; ScratchSize: 288
; MemoryBound: 0
; FloatMode: 240
; IeeeMode: 1
; LDSByteSize: 552 bytes/workgroup (compile time only)
; SGPRBlocks: 3
; VGPRBlocks: 15
; NumSGPRsForWavesPerEU: 28
; NumVGPRsForWavesPerEU: 126
; AccumOffset: 128
; Occupancy: 4
; WaveLimiterHint : 1
; COMPUTE_PGM_RSRC2:SCRATCH_EN: 1
; COMPUTE_PGM_RSRC2:USER_SGPR: 8
; COMPUTE_PGM_RSRC2:TRAP_HANDLER: 0
; COMPUTE_PGM_RSRC2:TGID_X_EN: 1
; COMPUTE_PGM_RSRC2:TGID_Y_EN: 0
; COMPUTE_PGM_RSRC2:TGID_Z_EN: 0
; COMPUTE_PGM_RSRC2:TIDIG_COMP_CNT: 0
; COMPUTE_PGM_RSRC3_GFX90A:ACCUM_OFFSET: 31
; COMPUTE_PGM_RSRC3_GFX90A:TG_SPLIT: 0
	.section	.text._ZN9rocsolver6v33100L18getri_kernel_smallILi35EdPKPdEEvT1_iilPiilS6_bb,"axG",@progbits,_ZN9rocsolver6v33100L18getri_kernel_smallILi35EdPKPdEEvT1_iilPiilS6_bb,comdat
	.globl	_ZN9rocsolver6v33100L18getri_kernel_smallILi35EdPKPdEEvT1_iilPiilS6_bb ; -- Begin function _ZN9rocsolver6v33100L18getri_kernel_smallILi35EdPKPdEEvT1_iilPiilS6_bb
	.p2align	8
	.type	_ZN9rocsolver6v33100L18getri_kernel_smallILi35EdPKPdEEvT1_iilPiilS6_bb,@function
_ZN9rocsolver6v33100L18getri_kernel_smallILi35EdPKPdEEvT1_iilPiilS6_bb: ; @_ZN9rocsolver6v33100L18getri_kernel_smallILi35EdPKPdEEvT1_iilPiilS6_bb
; %bb.0:
	s_add_u32 flat_scratch_lo, s6, s9
	s_addc_u32 flat_scratch_hi, s7, 0
	s_add_u32 s0, s0, s9
	s_addc_u32 s1, s1, 0
	v_cmp_gt_u32_e32 vcc, 35, v0
	s_and_saveexec_b64 s[6:7], vcc
	s_cbranch_execz .LBB98_148
; %bb.1:
	s_load_dword s20, s[4:5], 0x38
	s_load_dwordx2 s[6:7], s[4:5], 0x0
	s_load_dwordx4 s[12:15], s[4:5], 0x28
	s_waitcnt lgkmcnt(0)
	s_bitcmp1_b32 s20, 8
	s_cselect_b64 s[16:17], -1, 0
	s_ashr_i32 s9, s8, 31
	s_lshl_b64 s[10:11], s[8:9], 3
	s_add_u32 s6, s6, s10
	s_addc_u32 s7, s7, s11
	s_load_dwordx2 s[18:19], s[6:7], 0x0
	s_bfe_u32 s6, s20, 0x10008
	s_cmp_eq_u32 s6, 0
                                        ; implicit-def: $sgpr10_sgpr11
	s_cbranch_scc1 .LBB98_3
; %bb.2:
	s_load_dword s6, s[4:5], 0x20
	s_load_dwordx2 s[10:11], s[4:5], 0x18
	s_mul_i32 s7, s8, s13
	s_mul_hi_u32 s13, s8, s12
	s_add_i32 s13, s13, s7
	s_mul_i32 s21, s9, s12
	s_add_i32 s13, s13, s21
	s_mul_i32 s12, s8, s12
	s_waitcnt lgkmcnt(0)
	s_ashr_i32 s7, s6, 31
	s_lshl_b64 s[12:13], s[12:13], 2
	s_add_u32 s10, s10, s12
	s_addc_u32 s11, s11, s13
	s_lshl_b64 s[6:7], s[6:7], 2
	s_add_u32 s10, s10, s6
	s_addc_u32 s11, s11, s7
.LBB98_3:
	s_load_dwordx2 s[6:7], s[4:5], 0x8
	s_waitcnt lgkmcnt(0)
	s_ashr_i32 s5, s6, 31
	s_mov_b32 s4, s6
	s_lshl_b64 s[4:5], s[4:5], 3
	s_add_u32 s4, s18, s4
	s_addc_u32 s5, s19, s5
	s_add_i32 s6, s7, s7
	v_add_u32_e32 v4, s6, v0
	v_ashrrev_i32_e32 v5, 31, v4
	v_lshlrev_b64 v[2:3], 3, v[4:5]
	v_add_u32_e32 v6, s7, v4
	v_mov_b32_e32 v1, s5
	v_add_co_u32_e32 v2, vcc, s4, v2
	v_ashrrev_i32_e32 v7, 31, v6
	v_addc_co_u32_e32 v3, vcc, v1, v3, vcc
	v_lshlrev_b64 v[4:5], 3, v[6:7]
	v_add_u32_e32 v8, s7, v6
	v_add_co_u32_e32 v4, vcc, s4, v4
	v_ashrrev_i32_e32 v9, 31, v8
	v_addc_co_u32_e32 v5, vcc, v1, v5, vcc
	v_lshlrev_b64 v[6:7], 3, v[8:9]
	v_add_u32_e32 v10, s7, v8
	;; [unrolled: 5-line block ×5, first 2 shown]
	v_add_co_u32_e32 v12, vcc, s4, v12
	v_ashrrev_i32_e32 v15, 31, v14
	v_addc_co_u32_e32 v13, vcc, v1, v13, vcc
	v_lshlrev_b64 v[16:17], 3, v[14:15]
	v_add_co_u32_e32 v18, vcc, s4, v16
	v_add_u32_e32 v16, s7, v14
	v_addc_co_u32_e32 v19, vcc, v1, v17, vcc
	v_ashrrev_i32_e32 v17, 31, v16
	v_lshlrev_b64 v[14:15], 3, v[16:17]
	v_add_u32_e32 v20, s7, v16
	v_add_co_u32_e32 v14, vcc, s4, v14
	v_ashrrev_i32_e32 v21, 31, v20
	v_addc_co_u32_e32 v15, vcc, v1, v15, vcc
	v_lshlrev_b64 v[16:17], 3, v[20:21]
	v_add_u32_e32 v22, s7, v20
	v_add_co_u32_e32 v16, vcc, s4, v16
	v_ashrrev_i32_e32 v23, 31, v22
	v_addc_co_u32_e32 v17, vcc, v1, v17, vcc
	;; [unrolled: 5-line block ×17, first 2 shown]
	v_lshlrev_b64 v[50:51], 3, v[52:53]
	v_add_co_u32_e32 v50, vcc, s4, v50
	v_addc_co_u32_e32 v51, vcc, v1, v51, vcc
	v_lshlrev_b32_e32 v1, 3, v0
	global_load_dwordx2 v[72:73], v1, s[4:5]
	v_mov_b32_e32 v56, s5
	v_add_co_u32_e32 v70, vcc, s4, v1
	s_ashr_i32 s13, s7, 31
	s_mov_b32 s12, s7
	v_addc_co_u32_e32 v71, vcc, 0, v56, vcc
	s_lshl_b64 s[12:13], s[12:13], 3
	v_mov_b32_e32 v56, s13
	v_add_co_u32_e32 v68, vcc, s12, v70
	v_addc_co_u32_e32 v69, vcc, v71, v56, vcc
	global_load_dwordx2 v[74:75], v[68:69], off
	global_load_dwordx2 v[76:77], v[2:3], off
	;; [unrolled: 1-line block ×8, first 2 shown]
	v_add_u32_e32 v52, s7, v52
	v_ashrrev_i32_e32 v53, 31, v52
	v_lshlrev_b64 v[54:55], 3, v[52:53]
	v_mov_b32_e32 v53, s5
	v_add_co_u32_e32 v54, vcc, s4, v54
	v_add_u32_e32 v52, s7, v52
	v_addc_co_u32_e32 v55, vcc, v53, v55, vcc
	v_ashrrev_i32_e32 v53, 31, v52
	v_lshlrev_b64 v[56:57], 3, v[52:53]
	v_mov_b32_e32 v53, s5
	v_add_co_u32_e32 v56, vcc, s4, v56
	v_add_u32_e32 v52, s7, v52
	v_addc_co_u32_e32 v57, vcc, v53, v57, vcc
	;; [unrolled: 6-line block ×3, first 2 shown]
	v_ashrrev_i32_e32 v53, 31, v52
	v_lshlrev_b64 v[60:61], 3, v[52:53]
	v_add_u32_e32 v52, s7, v52
	v_mov_b32_e32 v62, s5
	v_add_co_u32_e32 v60, vcc, s4, v60
	v_ashrrev_i32_e32 v53, 31, v52
	v_addc_co_u32_e32 v61, vcc, v62, v61, vcc
	v_lshlrev_b64 v[62:63], 3, v[52:53]
	v_add_u32_e32 v52, s7, v52
	v_mov_b32_e32 v64, s5
	v_add_co_u32_e32 v62, vcc, s4, v62
	v_ashrrev_i32_e32 v53, 31, v52
	v_addc_co_u32_e32 v63, vcc, v64, v63, vcc
	;; [unrolled: 6-line block ×4, first 2 shown]
	global_load_dwordx2 v[90:91], v[14:15], off
	v_lshlrev_b64 v[52:53], 3, v[52:53]
	v_mov_b32_e32 v100, s5
	v_add_co_u32_e32 v52, vcc, s4, v52
	global_load_dwordx2 v[92:93], v[16:17], off
	global_load_dwordx2 v[94:95], v[20:21], off
	;; [unrolled: 1-line block ×4, first 2 shown]
	v_addc_co_u32_e32 v53, vcc, v100, v53, vcc
	global_load_dwordx2 v[100:101], v[26:27], off
	global_load_dwordx2 v[102:103], v[52:53], off
	;; [unrolled: 1-line block ×12, first 2 shown]
	s_bitcmp0_b32 s20, 0
	s_waitcnt vmcnt(25)
	buffer_store_dword v73, off, s[0:3], 0 offset:4
	buffer_store_dword v72, off, s[0:3], 0
	global_load_dwordx2 v[72:73], v[32:33], off
	s_mov_b64 s[6:7], -1
	s_waitcnt vmcnt(27)
	buffer_store_dword v75, off, s[0:3], 0 offset:12
	buffer_store_dword v74, off, s[0:3], 0 offset:8
	global_load_dwordx2 v[74:75], v[36:37], off
	s_waitcnt vmcnt(29)
	buffer_store_dword v77, off, s[0:3], 0 offset:20
	buffer_store_dword v76, off, s[0:3], 0 offset:16
	global_load_dwordx2 v[76:77], v[40:41], off
	s_waitcnt vmcnt(31)
	buffer_store_dword v79, off, s[0:3], 0 offset:28
	buffer_store_dword v78, off, s[0:3], 0 offset:24
	global_load_dwordx2 v[78:79], v[44:45], off
	s_waitcnt vmcnt(33)
	buffer_store_dword v81, off, s[0:3], 0 offset:36
	buffer_store_dword v80, off, s[0:3], 0 offset:32
	global_load_dwordx2 v[80:81], v[48:49], off
	s_waitcnt vmcnt(35)
	buffer_store_dword v83, off, s[0:3], 0 offset:44
	buffer_store_dword v82, off, s[0:3], 0 offset:40
	global_load_dwordx2 v[82:83], v[54:55], off
	s_waitcnt vmcnt(37)
	buffer_store_dword v85, off, s[0:3], 0 offset:52
	buffer_store_dword v84, off, s[0:3], 0 offset:48
	global_load_dwordx2 v[84:85], v[58:59], off
	s_waitcnt vmcnt(39)
	buffer_store_dword v87, off, s[0:3], 0 offset:60
	buffer_store_dword v86, off, s[0:3], 0 offset:56
	global_load_dwordx2 v[86:87], v[62:63], off
	s_waitcnt vmcnt(41)
	buffer_store_dword v89, off, s[0:3], 0 offset:68
	buffer_store_dword v88, off, s[0:3], 0 offset:64
	global_load_dwordx2 v[88:89], v[66:67], off
	s_waitcnt vmcnt(43)
	buffer_store_dword v90, off, s[0:3], 0 offset:72
	buffer_store_dword v91, off, s[0:3], 0 offset:76
	s_waitcnt vmcnt(44)
	buffer_store_dword v92, off, s[0:3], 0 offset:80
	buffer_store_dword v93, off, s[0:3], 0 offset:84
	;; [unrolled: 3-line block ×9, first 2 shown]
	buffer_store_dword v108, off, s[0:3], 0 offset:144
	buffer_store_dword v109, off, s[0:3], 0 offset:148
	s_waitcnt vmcnt(41)
	buffer_store_dword v75, off, s[0:3], 0 offset:156
	buffer_store_dword v74, off, s[0:3], 0 offset:152
	buffer_store_dword v111, off, s[0:3], 0 offset:164
	buffer_store_dword v110, off, s[0:3], 0 offset:160
	s_waitcnt vmcnt(42)
	buffer_store_dword v76, off, s[0:3], 0 offset:168
	buffer_store_dword v77, off, s[0:3], 0 offset:172
	;; [unrolled: 5-line block ×8, first 2 shown]
	buffer_store_dword v102, off, s[0:3], 0 offset:272
	buffer_store_dword v103, off, s[0:3], 0 offset:276
	s_cbranch_scc1 .LBB98_146
; %bb.4:
	v_cmp_eq_u32_e64 s[4:5], 0, v0
	s_and_saveexec_b64 s[6:7], s[4:5]
	s_cbranch_execz .LBB98_6
; %bb.5:
	v_mov_b32_e32 v72, 0
	ds_write_b32 v72, v72 offset:280
.LBB98_6:
	s_or_b64 exec, exec, s[6:7]
	v_mov_b32_e32 v72, 0
	v_lshl_add_u32 v72, v0, 3, v72
	s_waitcnt lgkmcnt(0)
	; wave barrier
	s_waitcnt lgkmcnt(0)
	buffer_load_dword v74, v72, s[0:3], 0 offen
	buffer_load_dword v75, v72, s[0:3], 0 offen offset:4
	s_waitcnt vmcnt(0)
	v_cmp_eq_f64_e32 vcc, 0, v[74:75]
	s_and_saveexec_b64 s[12:13], vcc
	s_cbranch_execz .LBB98_10
; %bb.7:
	v_mov_b32_e32 v73, 0
	ds_read_b32 v75, v73 offset:280
	v_add_u32_e32 v74, 1, v0
	s_waitcnt lgkmcnt(0)
	v_readfirstlane_b32 s6, v75
	s_cmp_eq_u32 s6, 0
	s_cselect_b64 s[18:19], -1, 0
	v_cmp_gt_i32_e32 vcc, s6, v74
	s_or_b64 s[18:19], s[18:19], vcc
	s_and_b64 exec, exec, s[18:19]
	s_cbranch_execz .LBB98_10
; %bb.8:
	s_mov_b64 s[18:19], 0
	v_mov_b32_e32 v75, s6
.LBB98_9:                               ; =>This Inner Loop Header: Depth=1
	ds_cmpst_rtn_b32 v75, v73, v75, v74 offset:280
	s_waitcnt lgkmcnt(0)
	v_cmp_ne_u32_e32 vcc, 0, v75
	v_cmp_le_i32_e64 s[6:7], v75, v74
	s_and_b64 s[6:7], vcc, s[6:7]
	s_and_b64 s[6:7], exec, s[6:7]
	s_or_b64 s[18:19], s[6:7], s[18:19]
	s_andn2_b64 exec, exec, s[18:19]
	s_cbranch_execnz .LBB98_9
.LBB98_10:
	s_or_b64 exec, exec, s[12:13]
	v_mov_b32_e32 v74, 0
	s_waitcnt lgkmcnt(0)
	; wave barrier
	ds_read_b32 v73, v74 offset:280
	s_and_saveexec_b64 s[6:7], s[4:5]
	s_cbranch_execz .LBB98_12
; %bb.11:
	s_lshl_b64 s[12:13], s[8:9], 2
	s_add_u32 s12, s14, s12
	s_addc_u32 s13, s15, s13
	s_waitcnt lgkmcnt(0)
	global_store_dword v74, v73, s[12:13]
.LBB98_12:
	s_or_b64 exec, exec, s[6:7]
	s_waitcnt lgkmcnt(0)
	v_cmp_ne_u32_e32 vcc, 0, v73
	s_mov_b64 s[6:7], 0
	s_cbranch_vccnz .LBB98_146
; %bb.13:
	buffer_load_dword v74, v72, s[0:3], 0 offen
	buffer_load_dword v75, v72, s[0:3], 0 offen offset:4
	s_waitcnt vmcnt(0)
	v_div_scale_f64 v[76:77], s[6:7], v[74:75], v[74:75], 1.0
	v_rcp_f64_e32 v[78:79], v[76:77]
	v_div_scale_f64 v[80:81], vcc, 1.0, v[74:75], 1.0
	v_fma_f64 v[82:83], -v[76:77], v[78:79], 1.0
	v_fmac_f64_e32 v[78:79], v[78:79], v[82:83]
	v_fma_f64 v[82:83], -v[76:77], v[78:79], 1.0
	v_fmac_f64_e32 v[78:79], v[78:79], v[82:83]
	v_mul_f64 v[82:83], v[80:81], v[78:79]
	v_fma_f64 v[76:77], -v[76:77], v[82:83], v[80:81]
	v_div_fmas_f64 v[76:77], v[76:77], v[78:79], v[82:83]
	v_div_fixup_f64 v[76:77], v[76:77], v[74:75], 1.0
	buffer_store_dword v77, v72, s[0:3], 0 offen offset:4
	buffer_store_dword v76, v72, s[0:3], 0 offen
	buffer_load_dword v79, off, s[0:3], 0 offset:12
	buffer_load_dword v78, off, s[0:3], 0 offset:8
	v_add_u32_e32 v74, 0x120, v1
	v_xor_b32_e32 v77, 0x80000000, v77
	s_waitcnt vmcnt(0)
	ds_write2_b64 v1, v[76:77], v[78:79] offset1:36
	s_waitcnt lgkmcnt(0)
	; wave barrier
	s_waitcnt lgkmcnt(0)
	s_and_saveexec_b64 s[6:7], s[4:5]
	s_cbranch_execz .LBB98_15
; %bb.14:
	buffer_load_dword v76, v72, s[0:3], 0 offen
	buffer_load_dword v77, v72, s[0:3], 0 offen offset:4
	v_mov_b32_e32 v73, 0
	ds_read_b64 v[78:79], v74
	ds_read_b64 v[80:81], v73 offset:8
	s_waitcnt vmcnt(0) lgkmcnt(1)
	v_fma_f64 v[76:77], v[76:77], v[78:79], 0
	s_waitcnt lgkmcnt(0)
	v_mul_f64 v[76:77], v[76:77], v[80:81]
	buffer_store_dword v76, off, s[0:3], 0 offset:8
	buffer_store_dword v77, off, s[0:3], 0 offset:12
.LBB98_15:
	s_or_b64 exec, exec, s[6:7]
	s_waitcnt lgkmcnt(0)
	; wave barrier
	buffer_load_dword v76, off, s[0:3], 0 offset:16
	buffer_load_dword v77, off, s[0:3], 0 offset:20
	v_cmp_gt_u32_e32 vcc, 2, v0
	s_waitcnt vmcnt(0)
	ds_write_b64 v74, v[76:77]
	s_waitcnt lgkmcnt(0)
	; wave barrier
	s_waitcnt lgkmcnt(0)
	s_and_saveexec_b64 s[6:7], vcc
	s_cbranch_execz .LBB98_17
; %bb.16:
	buffer_load_dword v73, v72, s[0:3], 0 offen offset:4
	buffer_load_dword v80, off, s[0:3], 0 offset:8
	s_nop 0
	buffer_load_dword v72, v72, s[0:3], 0 offen
	s_nop 0
	buffer_load_dword v81, off, s[0:3], 0 offset:12
	ds_read_b64 v[82:83], v74
	v_mov_b32_e32 v75, 0
	ds_read2_b64 v[76:79], v75 offset0:2 offset1:37
	s_waitcnt vmcnt(1) lgkmcnt(1)
	v_fma_f64 v[72:73], v[72:73], v[82:83], 0
	s_waitcnt vmcnt(0) lgkmcnt(0)
	v_fma_f64 v[78:79], v[80:81], v[78:79], v[72:73]
	v_cndmask_b32_e64 v73, v73, v79, s[4:5]
	v_cndmask_b32_e64 v72, v72, v78, s[4:5]
	v_mul_f64 v[72:73], v[72:73], v[76:77]
	buffer_store_dword v73, off, s[0:3], 0 offset:20
	buffer_store_dword v72, off, s[0:3], 0 offset:16
.LBB98_17:
	s_or_b64 exec, exec, s[6:7]
	s_waitcnt lgkmcnt(0)
	; wave barrier
	buffer_load_dword v72, off, s[0:3], 0 offset:24
	buffer_load_dword v73, off, s[0:3], 0 offset:28
	v_cmp_gt_u32_e32 vcc, 3, v0
	v_add_u32_e32 v75, -1, v0
	s_waitcnt vmcnt(0)
	ds_write_b64 v74, v[72:73]
	s_waitcnt lgkmcnt(0)
	; wave barrier
	s_waitcnt lgkmcnt(0)
	s_and_saveexec_b64 s[4:5], vcc
	s_cbranch_execz .LBB98_21
; %bb.18:
	v_add_u32_e32 v76, -1, v0
	v_add_u32_e32 v77, 0x120, v1
	v_add_u32_e32 v78, 0, v1
	s_mov_b64 s[6:7], 0
	v_pk_mov_b32 v[72:73], 0, 0
.LBB98_19:                              ; =>This Inner Loop Header: Depth=1
	buffer_load_dword v80, v78, s[0:3], 0 offen
	buffer_load_dword v81, v78, s[0:3], 0 offen offset:4
	ds_read_b64 v[82:83], v77
	v_add_u32_e32 v76, 1, v76
	v_cmp_lt_u32_e32 vcc, 1, v76
	v_add_u32_e32 v77, 8, v77
	v_add_u32_e32 v78, 8, v78
	s_or_b64 s[6:7], vcc, s[6:7]
	s_waitcnt vmcnt(0) lgkmcnt(0)
	v_fmac_f64_e32 v[72:73], v[80:81], v[82:83]
	s_andn2_b64 exec, exec, s[6:7]
	s_cbranch_execnz .LBB98_19
; %bb.20:
	s_or_b64 exec, exec, s[6:7]
	v_mov_b32_e32 v76, 0
	ds_read_b64 v[76:77], v76 offset:24
	s_waitcnt lgkmcnt(0)
	v_mul_f64 v[72:73], v[72:73], v[76:77]
	buffer_store_dword v73, off, s[0:3], 0 offset:28
	buffer_store_dword v72, off, s[0:3], 0 offset:24
.LBB98_21:
	s_or_b64 exec, exec, s[4:5]
	s_waitcnt lgkmcnt(0)
	; wave barrier
	buffer_load_dword v72, off, s[0:3], 0 offset:32
	buffer_load_dword v73, off, s[0:3], 0 offset:36
	v_cmp_gt_u32_e32 vcc, 4, v0
	s_waitcnt vmcnt(0)
	ds_write_b64 v74, v[72:73]
	s_waitcnt lgkmcnt(0)
	; wave barrier
	s_waitcnt lgkmcnt(0)
	s_and_saveexec_b64 s[4:5], vcc
	s_cbranch_execz .LBB98_25
; %bb.22:
	v_add_u32_e32 v76, -1, v0
	v_add_u32_e32 v77, 0x120, v1
	v_add_u32_e32 v78, 0, v1
	s_mov_b64 s[6:7], 0
	v_pk_mov_b32 v[72:73], 0, 0
.LBB98_23:                              ; =>This Inner Loop Header: Depth=1
	buffer_load_dword v80, v78, s[0:3], 0 offen
	buffer_load_dword v81, v78, s[0:3], 0 offen offset:4
	ds_read_b64 v[82:83], v77
	v_add_u32_e32 v76, 1, v76
	v_cmp_lt_u32_e32 vcc, 2, v76
	v_add_u32_e32 v77, 8, v77
	v_add_u32_e32 v78, 8, v78
	s_or_b64 s[6:7], vcc, s[6:7]
	s_waitcnt vmcnt(0) lgkmcnt(0)
	v_fmac_f64_e32 v[72:73], v[80:81], v[82:83]
	s_andn2_b64 exec, exec, s[6:7]
	s_cbranch_execnz .LBB98_23
; %bb.24:
	s_or_b64 exec, exec, s[6:7]
	v_mov_b32_e32 v76, 0
	ds_read_b64 v[76:77], v76 offset:32
	s_waitcnt lgkmcnt(0)
	v_mul_f64 v[72:73], v[72:73], v[76:77]
	buffer_store_dword v73, off, s[0:3], 0 offset:36
	buffer_store_dword v72, off, s[0:3], 0 offset:32
.LBB98_25:
	s_or_b64 exec, exec, s[4:5]
	s_waitcnt lgkmcnt(0)
	; wave barrier
	buffer_load_dword v72, off, s[0:3], 0 offset:40
	buffer_load_dword v73, off, s[0:3], 0 offset:44
	v_cmp_gt_u32_e32 vcc, 5, v0
	;; [unrolled: 41-line block ×21, first 2 shown]
	s_waitcnt vmcnt(0)
	ds_write_b64 v74, v[72:73]
	s_waitcnt lgkmcnt(0)
	; wave barrier
	s_waitcnt lgkmcnt(0)
	s_and_saveexec_b64 s[4:5], vcc
	s_cbranch_execz .LBB98_105
; %bb.102:
	v_add_u32_e32 v76, -1, v0
	v_add_u32_e32 v77, 0x120, v1
	v_add_u32_e32 v78, 0, v1
	s_mov_b64 s[6:7], 0
	v_pk_mov_b32 v[72:73], 0, 0
.LBB98_103:                             ; =>This Inner Loop Header: Depth=1
	buffer_load_dword v80, v78, s[0:3], 0 offen
	buffer_load_dword v81, v78, s[0:3], 0 offen offset:4
	ds_read_b64 v[82:83], v77
	v_add_u32_e32 v76, 1, v76
	v_cmp_lt_u32_e32 vcc, 22, v76
	v_add_u32_e32 v77, 8, v77
	v_add_u32_e32 v78, 8, v78
	s_or_b64 s[6:7], vcc, s[6:7]
	s_waitcnt vmcnt(0) lgkmcnt(0)
	v_fmac_f64_e32 v[72:73], v[80:81], v[82:83]
	s_andn2_b64 exec, exec, s[6:7]
	s_cbranch_execnz .LBB98_103
; %bb.104:
	s_or_b64 exec, exec, s[6:7]
	v_mov_b32_e32 v76, 0
	ds_read_b64 v[76:77], v76 offset:192
	s_waitcnt lgkmcnt(0)
	v_mul_f64 v[72:73], v[72:73], v[76:77]
	buffer_store_dword v73, off, s[0:3], 0 offset:196
	buffer_store_dword v72, off, s[0:3], 0 offset:192
.LBB98_105:
	s_or_b64 exec, exec, s[4:5]
	s_waitcnt lgkmcnt(0)
	; wave barrier
	buffer_load_dword v72, off, s[0:3], 0 offset:200
	buffer_load_dword v73, off, s[0:3], 0 offset:204
	v_cmp_gt_u32_e32 vcc, 25, v0
	s_waitcnt vmcnt(0)
	ds_write_b64 v74, v[72:73]
	s_waitcnt lgkmcnt(0)
	; wave barrier
	s_waitcnt lgkmcnt(0)
	s_and_saveexec_b64 s[4:5], vcc
	s_cbranch_execz .LBB98_109
; %bb.106:
	v_add_u32_e32 v76, -1, v0
	v_add_u32_e32 v77, 0x120, v1
	v_add_u32_e32 v78, 0, v1
	s_mov_b64 s[6:7], 0
	v_pk_mov_b32 v[72:73], 0, 0
.LBB98_107:                             ; =>This Inner Loop Header: Depth=1
	buffer_load_dword v80, v78, s[0:3], 0 offen
	buffer_load_dword v81, v78, s[0:3], 0 offen offset:4
	ds_read_b64 v[82:83], v77
	v_add_u32_e32 v76, 1, v76
	v_cmp_lt_u32_e32 vcc, 23, v76
	v_add_u32_e32 v77, 8, v77
	v_add_u32_e32 v78, 8, v78
	s_or_b64 s[6:7], vcc, s[6:7]
	s_waitcnt vmcnt(0) lgkmcnt(0)
	v_fmac_f64_e32 v[72:73], v[80:81], v[82:83]
	s_andn2_b64 exec, exec, s[6:7]
	s_cbranch_execnz .LBB98_107
; %bb.108:
	s_or_b64 exec, exec, s[6:7]
	v_mov_b32_e32 v76, 0
	ds_read_b64 v[76:77], v76 offset:200
	s_waitcnt lgkmcnt(0)
	v_mul_f64 v[72:73], v[72:73], v[76:77]
	buffer_store_dword v73, off, s[0:3], 0 offset:204
	buffer_store_dword v72, off, s[0:3], 0 offset:200
.LBB98_109:
	s_or_b64 exec, exec, s[4:5]
	s_waitcnt lgkmcnt(0)
	; wave barrier
	buffer_load_dword v72, off, s[0:3], 0 offset:208
	buffer_load_dword v73, off, s[0:3], 0 offset:212
	v_cmp_gt_u32_e32 vcc, 26, v0
	s_waitcnt vmcnt(0)
	ds_write_b64 v74, v[72:73]
	s_waitcnt lgkmcnt(0)
	; wave barrier
	s_waitcnt lgkmcnt(0)
	s_and_saveexec_b64 s[4:5], vcc
	s_cbranch_execz .LBB98_113
; %bb.110:
	v_add_u32_e32 v76, -1, v0
	v_add_u32_e32 v77, 0x120, v1
	v_add_u32_e32 v78, 0, v1
	s_mov_b64 s[6:7], 0
	v_pk_mov_b32 v[72:73], 0, 0
.LBB98_111:                             ; =>This Inner Loop Header: Depth=1
	buffer_load_dword v80, v78, s[0:3], 0 offen
	buffer_load_dword v81, v78, s[0:3], 0 offen offset:4
	ds_read_b64 v[82:83], v77
	v_add_u32_e32 v76, 1, v76
	v_cmp_lt_u32_e32 vcc, 24, v76
	v_add_u32_e32 v77, 8, v77
	v_add_u32_e32 v78, 8, v78
	s_or_b64 s[6:7], vcc, s[6:7]
	s_waitcnt vmcnt(0) lgkmcnt(0)
	v_fmac_f64_e32 v[72:73], v[80:81], v[82:83]
	s_andn2_b64 exec, exec, s[6:7]
	s_cbranch_execnz .LBB98_111
; %bb.112:
	s_or_b64 exec, exec, s[6:7]
	v_mov_b32_e32 v76, 0
	ds_read_b64 v[76:77], v76 offset:208
	s_waitcnt lgkmcnt(0)
	v_mul_f64 v[72:73], v[72:73], v[76:77]
	buffer_store_dword v73, off, s[0:3], 0 offset:212
	buffer_store_dword v72, off, s[0:3], 0 offset:208
.LBB98_113:
	s_or_b64 exec, exec, s[4:5]
	s_waitcnt lgkmcnt(0)
	; wave barrier
	buffer_load_dword v72, off, s[0:3], 0 offset:216
	buffer_load_dword v73, off, s[0:3], 0 offset:220
	v_cmp_gt_u32_e32 vcc, 27, v0
	s_waitcnt vmcnt(0)
	ds_write_b64 v74, v[72:73]
	s_waitcnt lgkmcnt(0)
	; wave barrier
	s_waitcnt lgkmcnt(0)
	s_and_saveexec_b64 s[4:5], vcc
	s_cbranch_execz .LBB98_117
; %bb.114:
	v_add_u32_e32 v76, -1, v0
	v_add_u32_e32 v77, 0x120, v1
	v_add_u32_e32 v78, 0, v1
	s_mov_b64 s[6:7], 0
	v_pk_mov_b32 v[72:73], 0, 0
.LBB98_115:                             ; =>This Inner Loop Header: Depth=1
	buffer_load_dword v80, v78, s[0:3], 0 offen
	buffer_load_dword v81, v78, s[0:3], 0 offen offset:4
	ds_read_b64 v[82:83], v77
	v_add_u32_e32 v76, 1, v76
	v_cmp_lt_u32_e32 vcc, 25, v76
	v_add_u32_e32 v77, 8, v77
	v_add_u32_e32 v78, 8, v78
	s_or_b64 s[6:7], vcc, s[6:7]
	s_waitcnt vmcnt(0) lgkmcnt(0)
	v_fmac_f64_e32 v[72:73], v[80:81], v[82:83]
	s_andn2_b64 exec, exec, s[6:7]
	s_cbranch_execnz .LBB98_115
; %bb.116:
	s_or_b64 exec, exec, s[6:7]
	v_mov_b32_e32 v76, 0
	ds_read_b64 v[76:77], v76 offset:216
	s_waitcnt lgkmcnt(0)
	v_mul_f64 v[72:73], v[72:73], v[76:77]
	buffer_store_dword v73, off, s[0:3], 0 offset:220
	buffer_store_dword v72, off, s[0:3], 0 offset:216
.LBB98_117:
	s_or_b64 exec, exec, s[4:5]
	s_waitcnt lgkmcnt(0)
	; wave barrier
	buffer_load_dword v72, off, s[0:3], 0 offset:224
	buffer_load_dword v73, off, s[0:3], 0 offset:228
	v_cmp_gt_u32_e32 vcc, 28, v0
	s_waitcnt vmcnt(0)
	ds_write_b64 v74, v[72:73]
	s_waitcnt lgkmcnt(0)
	; wave barrier
	s_waitcnt lgkmcnt(0)
	s_and_saveexec_b64 s[4:5], vcc
	s_cbranch_execz .LBB98_121
; %bb.118:
	v_add_u32_e32 v76, -1, v0
	v_add_u32_e32 v77, 0x120, v1
	v_add_u32_e32 v78, 0, v1
	s_mov_b64 s[6:7], 0
	v_pk_mov_b32 v[72:73], 0, 0
.LBB98_119:                             ; =>This Inner Loop Header: Depth=1
	buffer_load_dword v80, v78, s[0:3], 0 offen
	buffer_load_dword v81, v78, s[0:3], 0 offen offset:4
	ds_read_b64 v[82:83], v77
	v_add_u32_e32 v76, 1, v76
	v_cmp_lt_u32_e32 vcc, 26, v76
	v_add_u32_e32 v77, 8, v77
	v_add_u32_e32 v78, 8, v78
	s_or_b64 s[6:7], vcc, s[6:7]
	s_waitcnt vmcnt(0) lgkmcnt(0)
	v_fmac_f64_e32 v[72:73], v[80:81], v[82:83]
	s_andn2_b64 exec, exec, s[6:7]
	s_cbranch_execnz .LBB98_119
; %bb.120:
	s_or_b64 exec, exec, s[6:7]
	v_mov_b32_e32 v76, 0
	ds_read_b64 v[76:77], v76 offset:224
	s_waitcnt lgkmcnt(0)
	v_mul_f64 v[72:73], v[72:73], v[76:77]
	buffer_store_dword v73, off, s[0:3], 0 offset:228
	buffer_store_dword v72, off, s[0:3], 0 offset:224
.LBB98_121:
	s_or_b64 exec, exec, s[4:5]
	s_waitcnt lgkmcnt(0)
	; wave barrier
	buffer_load_dword v72, off, s[0:3], 0 offset:232
	buffer_load_dword v73, off, s[0:3], 0 offset:236
	v_cmp_gt_u32_e32 vcc, 29, v0
	s_waitcnt vmcnt(0)
	ds_write_b64 v74, v[72:73]
	s_waitcnt lgkmcnt(0)
	; wave barrier
	s_waitcnt lgkmcnt(0)
	s_and_saveexec_b64 s[4:5], vcc
	s_cbranch_execz .LBB98_125
; %bb.122:
	v_add_u32_e32 v76, -1, v0
	v_add_u32_e32 v77, 0x120, v1
	v_add_u32_e32 v78, 0, v1
	s_mov_b64 s[6:7], 0
	v_pk_mov_b32 v[72:73], 0, 0
.LBB98_123:                             ; =>This Inner Loop Header: Depth=1
	buffer_load_dword v80, v78, s[0:3], 0 offen
	buffer_load_dword v81, v78, s[0:3], 0 offen offset:4
	ds_read_b64 v[82:83], v77
	v_add_u32_e32 v76, 1, v76
	v_cmp_lt_u32_e32 vcc, 27, v76
	v_add_u32_e32 v77, 8, v77
	v_add_u32_e32 v78, 8, v78
	s_or_b64 s[6:7], vcc, s[6:7]
	s_waitcnt vmcnt(0) lgkmcnt(0)
	v_fmac_f64_e32 v[72:73], v[80:81], v[82:83]
	s_andn2_b64 exec, exec, s[6:7]
	s_cbranch_execnz .LBB98_123
; %bb.124:
	s_or_b64 exec, exec, s[6:7]
	v_mov_b32_e32 v76, 0
	ds_read_b64 v[76:77], v76 offset:232
	s_waitcnt lgkmcnt(0)
	v_mul_f64 v[72:73], v[72:73], v[76:77]
	buffer_store_dword v73, off, s[0:3], 0 offset:236
	buffer_store_dword v72, off, s[0:3], 0 offset:232
.LBB98_125:
	s_or_b64 exec, exec, s[4:5]
	s_waitcnt lgkmcnt(0)
	; wave barrier
	buffer_load_dword v72, off, s[0:3], 0 offset:240
	buffer_load_dword v73, off, s[0:3], 0 offset:244
	v_cmp_gt_u32_e32 vcc, 30, v0
	s_waitcnt vmcnt(0)
	ds_write_b64 v74, v[72:73]
	s_waitcnt lgkmcnt(0)
	; wave barrier
	s_waitcnt lgkmcnt(0)
	s_and_saveexec_b64 s[4:5], vcc
	s_cbranch_execz .LBB98_129
; %bb.126:
	v_add_u32_e32 v76, -1, v0
	v_add_u32_e32 v77, 0x120, v1
	v_add_u32_e32 v78, 0, v1
	s_mov_b64 s[6:7], 0
	v_pk_mov_b32 v[72:73], 0, 0
.LBB98_127:                             ; =>This Inner Loop Header: Depth=1
	buffer_load_dword v80, v78, s[0:3], 0 offen
	buffer_load_dword v81, v78, s[0:3], 0 offen offset:4
	ds_read_b64 v[82:83], v77
	v_add_u32_e32 v76, 1, v76
	v_cmp_lt_u32_e32 vcc, 28, v76
	v_add_u32_e32 v77, 8, v77
	v_add_u32_e32 v78, 8, v78
	s_or_b64 s[6:7], vcc, s[6:7]
	s_waitcnt vmcnt(0) lgkmcnt(0)
	v_fmac_f64_e32 v[72:73], v[80:81], v[82:83]
	s_andn2_b64 exec, exec, s[6:7]
	s_cbranch_execnz .LBB98_127
; %bb.128:
	s_or_b64 exec, exec, s[6:7]
	v_mov_b32_e32 v76, 0
	ds_read_b64 v[76:77], v76 offset:240
	s_waitcnt lgkmcnt(0)
	v_mul_f64 v[72:73], v[72:73], v[76:77]
	buffer_store_dword v73, off, s[0:3], 0 offset:244
	buffer_store_dword v72, off, s[0:3], 0 offset:240
.LBB98_129:
	s_or_b64 exec, exec, s[4:5]
	s_waitcnt lgkmcnt(0)
	; wave barrier
	buffer_load_dword v72, off, s[0:3], 0 offset:248
	buffer_load_dword v73, off, s[0:3], 0 offset:252
	v_cmp_gt_u32_e32 vcc, 31, v0
	s_waitcnt vmcnt(0)
	ds_write_b64 v74, v[72:73]
	s_waitcnt lgkmcnt(0)
	; wave barrier
	s_waitcnt lgkmcnt(0)
	s_and_saveexec_b64 s[4:5], vcc
	s_cbranch_execz .LBB98_133
; %bb.130:
	v_add_u32_e32 v76, -1, v0
	v_add_u32_e32 v77, 0x120, v1
	v_add_u32_e32 v78, 0, v1
	s_mov_b64 s[6:7], 0
	v_pk_mov_b32 v[72:73], 0, 0
.LBB98_131:                             ; =>This Inner Loop Header: Depth=1
	buffer_load_dword v80, v78, s[0:3], 0 offen
	buffer_load_dword v81, v78, s[0:3], 0 offen offset:4
	ds_read_b64 v[82:83], v77
	v_add_u32_e32 v76, 1, v76
	v_cmp_lt_u32_e32 vcc, 29, v76
	v_add_u32_e32 v77, 8, v77
	v_add_u32_e32 v78, 8, v78
	s_or_b64 s[6:7], vcc, s[6:7]
	s_waitcnt vmcnt(0) lgkmcnt(0)
	v_fmac_f64_e32 v[72:73], v[80:81], v[82:83]
	s_andn2_b64 exec, exec, s[6:7]
	s_cbranch_execnz .LBB98_131
; %bb.132:
	s_or_b64 exec, exec, s[6:7]
	v_mov_b32_e32 v76, 0
	ds_read_b64 v[76:77], v76 offset:248
	s_waitcnt lgkmcnt(0)
	v_mul_f64 v[72:73], v[72:73], v[76:77]
	buffer_store_dword v73, off, s[0:3], 0 offset:252
	buffer_store_dword v72, off, s[0:3], 0 offset:248
.LBB98_133:
	s_or_b64 exec, exec, s[4:5]
	s_waitcnt lgkmcnt(0)
	; wave barrier
	buffer_load_dword v72, off, s[0:3], 0 offset:256
	buffer_load_dword v73, off, s[0:3], 0 offset:260
	v_cmp_gt_u32_e32 vcc, 32, v0
	s_waitcnt vmcnt(0)
	ds_write_b64 v74, v[72:73]
	s_waitcnt lgkmcnt(0)
	; wave barrier
	s_waitcnt lgkmcnt(0)
	s_and_saveexec_b64 s[4:5], vcc
	s_cbranch_execz .LBB98_137
; %bb.134:
	v_add_u32_e32 v76, -1, v0
	v_add_u32_e32 v77, 0x120, v1
	v_add_u32_e32 v78, 0, v1
	s_mov_b64 s[6:7], 0
	v_pk_mov_b32 v[72:73], 0, 0
.LBB98_135:                             ; =>This Inner Loop Header: Depth=1
	buffer_load_dword v80, v78, s[0:3], 0 offen
	buffer_load_dword v81, v78, s[0:3], 0 offen offset:4
	ds_read_b64 v[82:83], v77
	v_add_u32_e32 v76, 1, v76
	v_cmp_lt_u32_e32 vcc, 30, v76
	v_add_u32_e32 v77, 8, v77
	v_add_u32_e32 v78, 8, v78
	s_or_b64 s[6:7], vcc, s[6:7]
	s_waitcnt vmcnt(0) lgkmcnt(0)
	v_fmac_f64_e32 v[72:73], v[80:81], v[82:83]
	s_andn2_b64 exec, exec, s[6:7]
	s_cbranch_execnz .LBB98_135
; %bb.136:
	s_or_b64 exec, exec, s[6:7]
	v_mov_b32_e32 v76, 0
	ds_read_b64 v[76:77], v76 offset:256
	s_waitcnt lgkmcnt(0)
	v_mul_f64 v[72:73], v[72:73], v[76:77]
	buffer_store_dword v73, off, s[0:3], 0 offset:260
	buffer_store_dword v72, off, s[0:3], 0 offset:256
.LBB98_137:
	s_or_b64 exec, exec, s[4:5]
	s_waitcnt lgkmcnt(0)
	; wave barrier
	buffer_load_dword v72, off, s[0:3], 0 offset:264
	buffer_load_dword v73, off, s[0:3], 0 offset:268
	v_cmp_gt_u32_e32 vcc, 33, v0
	s_waitcnt vmcnt(0)
	ds_write_b64 v74, v[72:73]
	s_waitcnt lgkmcnt(0)
	; wave barrier
	s_waitcnt lgkmcnt(0)
	s_and_saveexec_b64 s[4:5], vcc
	s_cbranch_execz .LBB98_141
; %bb.138:
	v_add_u32_e32 v76, -1, v0
	v_add_u32_e32 v77, 0x120, v1
	v_add_u32_e32 v78, 0, v1
	s_mov_b64 s[6:7], 0
	v_pk_mov_b32 v[72:73], 0, 0
.LBB98_139:                             ; =>This Inner Loop Header: Depth=1
	buffer_load_dword v80, v78, s[0:3], 0 offen
	buffer_load_dword v81, v78, s[0:3], 0 offen offset:4
	ds_read_b64 v[82:83], v77
	v_add_u32_e32 v76, 1, v76
	v_cmp_lt_u32_e32 vcc, 31, v76
	v_add_u32_e32 v77, 8, v77
	v_add_u32_e32 v78, 8, v78
	s_or_b64 s[6:7], vcc, s[6:7]
	s_waitcnt vmcnt(0) lgkmcnt(0)
	v_fmac_f64_e32 v[72:73], v[80:81], v[82:83]
	s_andn2_b64 exec, exec, s[6:7]
	s_cbranch_execnz .LBB98_139
; %bb.140:
	s_or_b64 exec, exec, s[6:7]
	v_mov_b32_e32 v76, 0
	ds_read_b64 v[76:77], v76 offset:264
	s_waitcnt lgkmcnt(0)
	v_mul_f64 v[72:73], v[72:73], v[76:77]
	buffer_store_dword v73, off, s[0:3], 0 offset:268
	buffer_store_dword v72, off, s[0:3], 0 offset:264
.LBB98_141:
	s_or_b64 exec, exec, s[4:5]
	s_waitcnt lgkmcnt(0)
	; wave barrier
	buffer_load_dword v72, off, s[0:3], 0 offset:272
	buffer_load_dword v73, off, s[0:3], 0 offset:276
	v_cmp_ne_u32_e32 vcc, 34, v0
	s_waitcnt vmcnt(0)
	ds_write_b64 v74, v[72:73]
	s_waitcnt lgkmcnt(0)
	; wave barrier
	s_waitcnt lgkmcnt(0)
	s_and_saveexec_b64 s[4:5], vcc
	s_cbranch_execz .LBB98_145
; %bb.142:
	v_add_u32_e32 v74, 0x120, v1
	v_add_u32_e32 v1, 0, v1
	s_mov_b64 s[6:7], 0
	v_pk_mov_b32 v[72:73], 0, 0
.LBB98_143:                             ; =>This Inner Loop Header: Depth=1
	buffer_load_dword v76, v1, s[0:3], 0 offen
	buffer_load_dword v77, v1, s[0:3], 0 offen offset:4
	ds_read_b64 v[78:79], v74
	v_add_u32_e32 v75, 1, v75
	v_cmp_lt_u32_e32 vcc, 32, v75
	v_add_u32_e32 v74, 8, v74
	v_add_u32_e32 v1, 8, v1
	s_or_b64 s[6:7], vcc, s[6:7]
	s_waitcnt vmcnt(0) lgkmcnt(0)
	v_fmac_f64_e32 v[72:73], v[76:77], v[78:79]
	s_andn2_b64 exec, exec, s[6:7]
	s_cbranch_execnz .LBB98_143
; %bb.144:
	s_or_b64 exec, exec, s[6:7]
	v_mov_b32_e32 v1, 0
	ds_read_b64 v[74:75], v1 offset:272
	s_waitcnt lgkmcnt(0)
	v_mul_f64 v[72:73], v[72:73], v[74:75]
	buffer_store_dword v73, off, s[0:3], 0 offset:276
	buffer_store_dword v72, off, s[0:3], 0 offset:272
.LBB98_145:
	s_or_b64 exec, exec, s[4:5]
	s_mov_b64 s[6:7], -1
	s_waitcnt lgkmcnt(0)
	; wave barrier
.LBB98_146:
	s_and_b64 vcc, exec, s[6:7]
	s_cbranch_vccz .LBB98_148
; %bb.147:
	s_lshl_b64 s[4:5], s[8:9], 2
	s_add_u32 s4, s14, s4
	s_addc_u32 s5, s15, s5
	v_mov_b32_e32 v1, 0
	global_load_dword v1, v1, s[4:5]
	s_waitcnt vmcnt(0)
	v_cmp_ne_u32_e32 vcc, 0, v1
	s_cbranch_vccz .LBB98_149
.LBB98_148:
	s_endpgm
.LBB98_149:
	v_mov_b32_e32 v1, 0x120
	v_lshl_add_u32 v1, v0, 3, v1
	v_cmp_eq_u32_e32 vcc, 34, v0
	s_and_saveexec_b64 s[4:5], vcc
	s_cbranch_execz .LBB98_151
; %bb.150:
	buffer_load_dword v72, off, s[0:3], 0 offset:264
	buffer_load_dword v73, off, s[0:3], 0 offset:268
	v_mov_b32_e32 v74, 0
	buffer_store_dword v74, off, s[0:3], 0 offset:264
	buffer_store_dword v74, off, s[0:3], 0 offset:268
	s_waitcnt vmcnt(2)
	ds_write_b64 v1, v[72:73]
.LBB98_151:
	s_or_b64 exec, exec, s[4:5]
	s_waitcnt lgkmcnt(0)
	; wave barrier
	s_waitcnt lgkmcnt(0)
	buffer_load_dword v74, off, s[0:3], 0 offset:272
	buffer_load_dword v75, off, s[0:3], 0 offset:276
	;; [unrolled: 1-line block ×4, first 2 shown]
	v_mov_b32_e32 v72, 0
	ds_read_b64 v[78:79], v72 offset:560
	v_cmp_lt_u32_e32 vcc, 32, v0
	s_waitcnt vmcnt(2) lgkmcnt(0)
	v_fma_f64 v[74:75], v[74:75], v[78:79], 0
	s_waitcnt vmcnt(0)
	v_add_f64 v[74:75], v[76:77], -v[74:75]
	buffer_store_dword v74, off, s[0:3], 0 offset:264
	buffer_store_dword v75, off, s[0:3], 0 offset:268
	s_and_saveexec_b64 s[4:5], vcc
	s_cbranch_execz .LBB98_153
; %bb.152:
	buffer_load_dword v74, off, s[0:3], 0 offset:256
	buffer_load_dword v75, off, s[0:3], 0 offset:260
	s_waitcnt vmcnt(0)
	ds_write_b64 v1, v[74:75]
	buffer_store_dword v72, off, s[0:3], 0 offset:256
	buffer_store_dword v72, off, s[0:3], 0 offset:260
.LBB98_153:
	s_or_b64 exec, exec, s[4:5]
	s_waitcnt lgkmcnt(0)
	; wave barrier
	s_waitcnt lgkmcnt(0)
	buffer_load_dword v76, off, s[0:3], 0 offset:264
	buffer_load_dword v77, off, s[0:3], 0 offset:268
	;; [unrolled: 1-line block ×6, first 2 shown]
	ds_read2_b64 v[72:75], v72 offset0:69 offset1:70
	v_cmp_lt_u32_e32 vcc, 31, v0
	s_waitcnt vmcnt(4) lgkmcnt(0)
	v_fma_f64 v[72:73], v[76:77], v[72:73], 0
	s_waitcnt vmcnt(2)
	v_fmac_f64_e32 v[72:73], v[78:79], v[74:75]
	s_waitcnt vmcnt(0)
	v_add_f64 v[72:73], v[80:81], -v[72:73]
	buffer_store_dword v72, off, s[0:3], 0 offset:256
	buffer_store_dword v73, off, s[0:3], 0 offset:260
	s_and_saveexec_b64 s[4:5], vcc
	s_cbranch_execz .LBB98_155
; %bb.154:
	buffer_load_dword v72, off, s[0:3], 0 offset:248
	buffer_load_dword v73, off, s[0:3], 0 offset:252
	v_mov_b32_e32 v74, 0
	buffer_store_dword v74, off, s[0:3], 0 offset:248
	buffer_store_dword v74, off, s[0:3], 0 offset:252
	s_waitcnt vmcnt(2)
	ds_write_b64 v1, v[72:73]
.LBB98_155:
	s_or_b64 exec, exec, s[4:5]
	s_waitcnt lgkmcnt(0)
	; wave barrier
	s_waitcnt lgkmcnt(0)
	buffer_load_dword v78, off, s[0:3], 0 offset:256
	buffer_load_dword v79, off, s[0:3], 0 offset:260
	;; [unrolled: 1-line block ×8, first 2 shown]
	v_mov_b32_e32 v72, 0
	ds_read_b128 v[74:77], v72 offset:544
	ds_read_b64 v[86:87], v72 offset:560
	v_cmp_lt_u32_e32 vcc, 30, v0
	s_waitcnt vmcnt(6) lgkmcnt(1)
	v_fma_f64 v[74:75], v[78:79], v[74:75], 0
	s_waitcnt vmcnt(4)
	v_fmac_f64_e32 v[74:75], v[80:81], v[76:77]
	s_waitcnt vmcnt(2) lgkmcnt(0)
	v_fmac_f64_e32 v[74:75], v[82:83], v[86:87]
	s_waitcnt vmcnt(0)
	v_add_f64 v[74:75], v[84:85], -v[74:75]
	buffer_store_dword v74, off, s[0:3], 0 offset:248
	buffer_store_dword v75, off, s[0:3], 0 offset:252
	s_and_saveexec_b64 s[4:5], vcc
	s_cbranch_execz .LBB98_157
; %bb.156:
	buffer_load_dword v74, off, s[0:3], 0 offset:240
	buffer_load_dword v75, off, s[0:3], 0 offset:244
	s_waitcnt vmcnt(0)
	ds_write_b64 v1, v[74:75]
	buffer_store_dword v72, off, s[0:3], 0 offset:240
	buffer_store_dword v72, off, s[0:3], 0 offset:244
.LBB98_157:
	s_or_b64 exec, exec, s[4:5]
	s_waitcnt lgkmcnt(0)
	; wave barrier
	s_waitcnt lgkmcnt(0)
	buffer_load_dword v82, off, s[0:3], 0 offset:248
	buffer_load_dword v83, off, s[0:3], 0 offset:252
	;; [unrolled: 1-line block ×10, first 2 shown]
	ds_read2_b64 v[74:77], v72 offset0:67 offset1:68
	ds_read2_b64 v[78:81], v72 offset0:69 offset1:70
	v_cmp_lt_u32_e32 vcc, 29, v0
	s_waitcnt vmcnt(8) lgkmcnt(1)
	v_fma_f64 v[72:73], v[82:83], v[74:75], 0
	s_waitcnt vmcnt(6)
	v_fmac_f64_e32 v[72:73], v[84:85], v[76:77]
	s_waitcnt vmcnt(4) lgkmcnt(0)
	v_fmac_f64_e32 v[72:73], v[86:87], v[78:79]
	s_waitcnt vmcnt(2)
	v_fmac_f64_e32 v[72:73], v[88:89], v[80:81]
	s_waitcnt vmcnt(0)
	v_add_f64 v[72:73], v[90:91], -v[72:73]
	buffer_store_dword v72, off, s[0:3], 0 offset:240
	buffer_store_dword v73, off, s[0:3], 0 offset:244
	s_and_saveexec_b64 s[4:5], vcc
	s_cbranch_execz .LBB98_159
; %bb.158:
	buffer_load_dword v72, off, s[0:3], 0 offset:232
	buffer_load_dword v73, off, s[0:3], 0 offset:236
	v_mov_b32_e32 v74, 0
	buffer_store_dword v74, off, s[0:3], 0 offset:232
	buffer_store_dword v74, off, s[0:3], 0 offset:236
	s_waitcnt vmcnt(2)
	ds_write_b64 v1, v[72:73]
.LBB98_159:
	s_or_b64 exec, exec, s[4:5]
	s_waitcnt lgkmcnt(0)
	; wave barrier
	s_waitcnt lgkmcnt(0)
	buffer_load_dword v82, off, s[0:3], 0 offset:240
	buffer_load_dword v83, off, s[0:3], 0 offset:244
	;; [unrolled: 1-line block ×12, first 2 shown]
	v_mov_b32_e32 v72, 0
	ds_read_b128 v[74:77], v72 offset:528
	ds_read_b128 v[78:81], v72 offset:544
	ds_read_b64 v[94:95], v72 offset:560
	v_cmp_lt_u32_e32 vcc, 28, v0
	s_waitcnt vmcnt(10) lgkmcnt(2)
	v_fma_f64 v[74:75], v[82:83], v[74:75], 0
	s_waitcnt vmcnt(8)
	v_fmac_f64_e32 v[74:75], v[84:85], v[76:77]
	s_waitcnt vmcnt(6) lgkmcnt(1)
	v_fmac_f64_e32 v[74:75], v[86:87], v[78:79]
	s_waitcnt vmcnt(4)
	v_fmac_f64_e32 v[74:75], v[88:89], v[80:81]
	s_waitcnt vmcnt(2) lgkmcnt(0)
	v_fmac_f64_e32 v[74:75], v[90:91], v[94:95]
	s_waitcnt vmcnt(0)
	v_add_f64 v[74:75], v[92:93], -v[74:75]
	buffer_store_dword v74, off, s[0:3], 0 offset:232
	buffer_store_dword v75, off, s[0:3], 0 offset:236
	s_and_saveexec_b64 s[4:5], vcc
	s_cbranch_execz .LBB98_161
; %bb.160:
	buffer_load_dword v74, off, s[0:3], 0 offset:224
	buffer_load_dword v75, off, s[0:3], 0 offset:228
	s_waitcnt vmcnt(0)
	ds_write_b64 v1, v[74:75]
	buffer_store_dword v72, off, s[0:3], 0 offset:224
	buffer_store_dword v72, off, s[0:3], 0 offset:228
.LBB98_161:
	s_or_b64 exec, exec, s[4:5]
	s_waitcnt lgkmcnt(0)
	; wave barrier
	s_waitcnt lgkmcnt(0)
	buffer_load_dword v86, off, s[0:3], 0 offset:232
	buffer_load_dword v87, off, s[0:3], 0 offset:236
	;; [unrolled: 1-line block ×14, first 2 shown]
	ds_read2_b64 v[74:77], v72 offset0:65 offset1:66
	ds_read2_b64 v[78:81], v72 offset0:67 offset1:68
	;; [unrolled: 1-line block ×3, first 2 shown]
	v_cmp_lt_u32_e32 vcc, 27, v0
	s_waitcnt vmcnt(12) lgkmcnt(2)
	v_fma_f64 v[72:73], v[86:87], v[74:75], 0
	s_waitcnt vmcnt(10)
	v_fmac_f64_e32 v[72:73], v[88:89], v[76:77]
	s_waitcnt vmcnt(8) lgkmcnt(1)
	v_fmac_f64_e32 v[72:73], v[90:91], v[78:79]
	s_waitcnt vmcnt(6)
	v_fmac_f64_e32 v[72:73], v[92:93], v[80:81]
	s_waitcnt vmcnt(4) lgkmcnt(0)
	v_fmac_f64_e32 v[72:73], v[94:95], v[82:83]
	s_waitcnt vmcnt(2)
	v_fmac_f64_e32 v[72:73], v[96:97], v[84:85]
	s_waitcnt vmcnt(0)
	v_add_f64 v[72:73], v[98:99], -v[72:73]
	buffer_store_dword v72, off, s[0:3], 0 offset:224
	buffer_store_dword v73, off, s[0:3], 0 offset:228
	s_and_saveexec_b64 s[4:5], vcc
	s_cbranch_execz .LBB98_163
; %bb.162:
	buffer_load_dword v72, off, s[0:3], 0 offset:216
	buffer_load_dword v73, off, s[0:3], 0 offset:220
	v_mov_b32_e32 v74, 0
	buffer_store_dword v74, off, s[0:3], 0 offset:216
	buffer_store_dword v74, off, s[0:3], 0 offset:220
	s_waitcnt vmcnt(2)
	ds_write_b64 v1, v[72:73]
.LBB98_163:
	s_or_b64 exec, exec, s[4:5]
	s_waitcnt lgkmcnt(0)
	; wave barrier
	s_waitcnt lgkmcnt(0)
	buffer_load_dword v86, off, s[0:3], 0 offset:224
	buffer_load_dword v87, off, s[0:3], 0 offset:228
	;; [unrolled: 1-line block ×16, first 2 shown]
	v_mov_b32_e32 v72, 0
	ds_read_b128 v[74:77], v72 offset:512
	ds_read_b128 v[78:81], v72 offset:528
	;; [unrolled: 1-line block ×3, first 2 shown]
	ds_read_b64 v[102:103], v72 offset:560
	v_cmp_lt_u32_e32 vcc, 26, v0
	s_waitcnt vmcnt(14) lgkmcnt(3)
	v_fma_f64 v[74:75], v[86:87], v[74:75], 0
	s_waitcnt vmcnt(12)
	v_fmac_f64_e32 v[74:75], v[88:89], v[76:77]
	s_waitcnt vmcnt(10) lgkmcnt(2)
	v_fmac_f64_e32 v[74:75], v[90:91], v[78:79]
	s_waitcnt vmcnt(8)
	v_fmac_f64_e32 v[74:75], v[92:93], v[80:81]
	s_waitcnt vmcnt(6) lgkmcnt(1)
	v_fmac_f64_e32 v[74:75], v[94:95], v[82:83]
	;; [unrolled: 4-line block ×3, first 2 shown]
	s_waitcnt vmcnt(0)
	v_add_f64 v[74:75], v[100:101], -v[74:75]
	buffer_store_dword v74, off, s[0:3], 0 offset:216
	buffer_store_dword v75, off, s[0:3], 0 offset:220
	s_and_saveexec_b64 s[4:5], vcc
	s_cbranch_execz .LBB98_165
; %bb.164:
	buffer_load_dword v74, off, s[0:3], 0 offset:208
	buffer_load_dword v75, off, s[0:3], 0 offset:212
	s_waitcnt vmcnt(0)
	ds_write_b64 v1, v[74:75]
	buffer_store_dword v72, off, s[0:3], 0 offset:208
	buffer_store_dword v72, off, s[0:3], 0 offset:212
.LBB98_165:
	s_or_b64 exec, exec, s[4:5]
	s_waitcnt lgkmcnt(0)
	; wave barrier
	s_waitcnt lgkmcnt(0)
	buffer_load_dword v90, off, s[0:3], 0 offset:216
	buffer_load_dword v91, off, s[0:3], 0 offset:220
	;; [unrolled: 1-line block ×18, first 2 shown]
	ds_read2_b64 v[74:77], v72 offset0:63 offset1:64
	ds_read2_b64 v[78:81], v72 offset0:65 offset1:66
	;; [unrolled: 1-line block ×4, first 2 shown]
	v_cmp_lt_u32_e32 vcc, 25, v0
	s_waitcnt vmcnt(16) lgkmcnt(3)
	v_fma_f64 v[72:73], v[90:91], v[74:75], 0
	s_waitcnt vmcnt(14)
	v_fmac_f64_e32 v[72:73], v[92:93], v[76:77]
	s_waitcnt vmcnt(12) lgkmcnt(2)
	v_fmac_f64_e32 v[72:73], v[94:95], v[78:79]
	s_waitcnt vmcnt(10)
	v_fmac_f64_e32 v[72:73], v[96:97], v[80:81]
	s_waitcnt vmcnt(8) lgkmcnt(1)
	v_fmac_f64_e32 v[72:73], v[98:99], v[82:83]
	;; [unrolled: 4-line block ×3, first 2 shown]
	s_waitcnt vmcnt(2)
	v_fmac_f64_e32 v[72:73], v[104:105], v[88:89]
	s_waitcnt vmcnt(0)
	v_add_f64 v[72:73], v[106:107], -v[72:73]
	buffer_store_dword v72, off, s[0:3], 0 offset:208
	buffer_store_dword v73, off, s[0:3], 0 offset:212
	s_and_saveexec_b64 s[4:5], vcc
	s_cbranch_execz .LBB98_167
; %bb.166:
	buffer_load_dword v72, off, s[0:3], 0 offset:200
	buffer_load_dword v73, off, s[0:3], 0 offset:204
	v_mov_b32_e32 v74, 0
	buffer_store_dword v74, off, s[0:3], 0 offset:200
	buffer_store_dword v74, off, s[0:3], 0 offset:204
	s_waitcnt vmcnt(2)
	ds_write_b64 v1, v[72:73]
.LBB98_167:
	s_or_b64 exec, exec, s[4:5]
	s_waitcnt lgkmcnt(0)
	; wave barrier
	s_waitcnt lgkmcnt(0)
	buffer_load_dword v90, off, s[0:3], 0 offset:208
	buffer_load_dword v91, off, s[0:3], 0 offset:212
	;; [unrolled: 1-line block ×20, first 2 shown]
	v_mov_b32_e32 v72, 0
	ds_read_b128 v[74:77], v72 offset:496
	ds_read_b128 v[78:81], v72 offset:512
	;; [unrolled: 1-line block ×4, first 2 shown]
	ds_read_b64 v[110:111], v72 offset:560
	v_cmp_lt_u32_e32 vcc, 24, v0
	s_waitcnt vmcnt(18) lgkmcnt(4)
	v_fma_f64 v[74:75], v[90:91], v[74:75], 0
	s_waitcnt vmcnt(16)
	v_fmac_f64_e32 v[74:75], v[92:93], v[76:77]
	s_waitcnt vmcnt(14) lgkmcnt(3)
	v_fmac_f64_e32 v[74:75], v[94:95], v[78:79]
	s_waitcnt vmcnt(12)
	v_fmac_f64_e32 v[74:75], v[96:97], v[80:81]
	s_waitcnt vmcnt(10) lgkmcnt(2)
	v_fmac_f64_e32 v[74:75], v[98:99], v[82:83]
	;; [unrolled: 4-line block ×3, first 2 shown]
	s_waitcnt vmcnt(2)
	v_fmac_f64_e32 v[74:75], v[106:107], v[88:89]
	s_waitcnt lgkmcnt(0)
	v_fmac_f64_e32 v[74:75], v[104:105], v[110:111]
	s_waitcnt vmcnt(0)
	v_add_f64 v[74:75], v[108:109], -v[74:75]
	buffer_store_dword v74, off, s[0:3], 0 offset:200
	buffer_store_dword v75, off, s[0:3], 0 offset:204
	s_and_saveexec_b64 s[4:5], vcc
	s_cbranch_execz .LBB98_169
; %bb.168:
	buffer_load_dword v74, off, s[0:3], 0 offset:192
	buffer_load_dword v75, off, s[0:3], 0 offset:196
	s_waitcnt vmcnt(0)
	ds_write_b64 v1, v[74:75]
	buffer_store_dword v72, off, s[0:3], 0 offset:192
	buffer_store_dword v72, off, s[0:3], 0 offset:196
.LBB98_169:
	s_or_b64 exec, exec, s[4:5]
	s_waitcnt lgkmcnt(0)
	; wave barrier
	s_waitcnt lgkmcnt(0)
	buffer_load_dword v94, off, s[0:3], 0 offset:200
	buffer_load_dword v95, off, s[0:3], 0 offset:204
	;; [unrolled: 1-line block ×22, first 2 shown]
	ds_read2_b64 v[74:77], v72 offset0:61 offset1:62
	ds_read2_b64 v[78:81], v72 offset0:63 offset1:64
	;; [unrolled: 1-line block ×5, first 2 shown]
	v_cmp_lt_u32_e32 vcc, 23, v0
	s_waitcnt vmcnt(20) lgkmcnt(4)
	v_fma_f64 v[72:73], v[94:95], v[74:75], 0
	s_waitcnt vmcnt(18)
	v_fmac_f64_e32 v[72:73], v[96:97], v[76:77]
	s_waitcnt vmcnt(16) lgkmcnt(3)
	v_fmac_f64_e32 v[72:73], v[98:99], v[78:79]
	s_waitcnt vmcnt(14)
	v_fmac_f64_e32 v[72:73], v[100:101], v[80:81]
	s_waitcnt vmcnt(12) lgkmcnt(2)
	v_fmac_f64_e32 v[72:73], v[102:103], v[82:83]
	;; [unrolled: 4-line block ×3, first 2 shown]
	s_waitcnt vmcnt(3)
	v_fmac_f64_e32 v[72:73], v[112:113], v[88:89]
	s_waitcnt lgkmcnt(0)
	v_fmac_f64_e32 v[72:73], v[110:111], v[90:91]
	s_waitcnt vmcnt(2)
	v_fmac_f64_e32 v[72:73], v[108:109], v[92:93]
	s_waitcnt vmcnt(0)
	v_add_f64 v[72:73], v[114:115], -v[72:73]
	buffer_store_dword v72, off, s[0:3], 0 offset:192
	buffer_store_dword v73, off, s[0:3], 0 offset:196
	s_and_saveexec_b64 s[4:5], vcc
	s_cbranch_execz .LBB98_171
; %bb.170:
	buffer_load_dword v72, off, s[0:3], 0 offset:184
	buffer_load_dword v73, off, s[0:3], 0 offset:188
	v_mov_b32_e32 v74, 0
	buffer_store_dword v74, off, s[0:3], 0 offset:184
	buffer_store_dword v74, off, s[0:3], 0 offset:188
	s_waitcnt vmcnt(2)
	ds_write_b64 v1, v[72:73]
.LBB98_171:
	s_or_b64 exec, exec, s[4:5]
	s_waitcnt lgkmcnt(0)
	; wave barrier
	s_waitcnt lgkmcnt(0)
	buffer_load_dword v94, off, s[0:3], 0 offset:192
	buffer_load_dword v95, off, s[0:3], 0 offset:196
	;; [unrolled: 1-line block ×24, first 2 shown]
	v_mov_b32_e32 v72, 0
	ds_read_b128 v[74:77], v72 offset:480
	ds_read_b128 v[78:81], v72 offset:496
	;; [unrolled: 1-line block ×5, first 2 shown]
	ds_read_b64 v[118:119], v72 offset:560
	v_cmp_lt_u32_e32 vcc, 22, v0
	s_waitcnt vmcnt(22) lgkmcnt(5)
	v_fma_f64 v[74:75], v[94:95], v[74:75], 0
	s_waitcnt vmcnt(20)
	v_fmac_f64_e32 v[74:75], v[96:97], v[76:77]
	s_waitcnt vmcnt(18) lgkmcnt(4)
	v_fmac_f64_e32 v[74:75], v[98:99], v[78:79]
	s_waitcnt vmcnt(16)
	v_fmac_f64_e32 v[74:75], v[100:101], v[80:81]
	s_waitcnt vmcnt(14) lgkmcnt(3)
	v_fmac_f64_e32 v[74:75], v[102:103], v[82:83]
	;; [unrolled: 4-line block ×3, first 2 shown]
	s_waitcnt vmcnt(4)
	v_fmac_f64_e32 v[74:75], v[114:115], v[88:89]
	s_waitcnt lgkmcnt(1)
	v_fmac_f64_e32 v[74:75], v[112:113], v[90:91]
	s_waitcnt vmcnt(3)
	v_fmac_f64_e32 v[74:75], v[110:111], v[92:93]
	s_waitcnt vmcnt(2) lgkmcnt(0)
	v_fmac_f64_e32 v[74:75], v[108:109], v[118:119]
	s_waitcnt vmcnt(0)
	v_add_f64 v[74:75], v[116:117], -v[74:75]
	buffer_store_dword v75, off, s[0:3], 0 offset:188
	buffer_store_dword v74, off, s[0:3], 0 offset:184
	s_and_saveexec_b64 s[4:5], vcc
	s_cbranch_execz .LBB98_173
; %bb.172:
	buffer_load_dword v74, off, s[0:3], 0 offset:176
	buffer_load_dword v75, off, s[0:3], 0 offset:180
	s_waitcnt vmcnt(0)
	ds_write_b64 v1, v[74:75]
	buffer_store_dword v72, off, s[0:3], 0 offset:176
	buffer_store_dword v72, off, s[0:3], 0 offset:180
.LBB98_173:
	s_or_b64 exec, exec, s[4:5]
	s_waitcnt lgkmcnt(0)
	; wave barrier
	s_waitcnt lgkmcnt(0)
	buffer_load_dword v98, off, s[0:3], 0 offset:184
	buffer_load_dword v99, off, s[0:3], 0 offset:188
	;; [unrolled: 1-line block ×26, first 2 shown]
	ds_read2_b64 v[74:77], v72 offset0:59 offset1:60
	ds_read2_b64 v[78:81], v72 offset0:61 offset1:62
	;; [unrolled: 1-line block ×6, first 2 shown]
	v_cmp_lt_u32_e32 vcc, 21, v0
	s_waitcnt vmcnt(24) lgkmcnt(5)
	v_fma_f64 v[72:73], v[98:99], v[74:75], 0
	s_waitcnt vmcnt(22)
	v_fmac_f64_e32 v[72:73], v[100:101], v[76:77]
	s_waitcnt vmcnt(20) lgkmcnt(4)
	v_fmac_f64_e32 v[72:73], v[102:103], v[78:79]
	s_waitcnt vmcnt(18)
	v_fmac_f64_e32 v[72:73], v[104:105], v[80:81]
	s_waitcnt vmcnt(16) lgkmcnt(3)
	v_fmac_f64_e32 v[72:73], v[106:107], v[82:83]
	;; [unrolled: 4-line block ×3, first 2 shown]
	s_waitcnt vmcnt(5)
	v_fmac_f64_e32 v[72:73], v[118:119], v[88:89]
	s_waitcnt lgkmcnt(1)
	v_fmac_f64_e32 v[72:73], v[116:117], v[90:91]
	v_fmac_f64_e32 v[72:73], v[114:115], v[92:93]
	s_waitcnt vmcnt(4) lgkmcnt(0)
	v_fmac_f64_e32 v[72:73], v[112:113], v[94:95]
	s_waitcnt vmcnt(2)
	v_fmac_f64_e32 v[72:73], v[120:121], v[96:97]
	s_waitcnt vmcnt(0)
	v_add_f64 v[72:73], v[122:123], -v[72:73]
	buffer_store_dword v73, off, s[0:3], 0 offset:180
	buffer_store_dword v72, off, s[0:3], 0 offset:176
	s_and_saveexec_b64 s[4:5], vcc
	s_cbranch_execz .LBB98_175
; %bb.174:
	buffer_load_dword v72, off, s[0:3], 0 offset:168
	buffer_load_dword v73, off, s[0:3], 0 offset:172
	v_mov_b32_e32 v74, 0
	buffer_store_dword v74, off, s[0:3], 0 offset:168
	buffer_store_dword v74, off, s[0:3], 0 offset:172
	s_waitcnt vmcnt(2)
	ds_write_b64 v1, v[72:73]
.LBB98_175:
	s_or_b64 exec, exec, s[4:5]
	s_waitcnt lgkmcnt(0)
	; wave barrier
	s_waitcnt lgkmcnt(0)
	buffer_load_dword v90, off, s[0:3], 0 offset:168
	buffer_load_dword v91, off, s[0:3], 0 offset:172
	;; [unrolled: 1-line block ×16, first 2 shown]
	v_mov_b32_e32 v72, 0
	ds_read_b128 v[74:77], v72 offset:464
	ds_read_b128 v[78:81], v72 offset:480
	;; [unrolled: 1-line block ×4, first 2 shown]
	v_cmp_lt_u32_e32 vcc, 20, v0
	s_waitcnt vmcnt(12) lgkmcnt(3)
	v_fma_f64 v[92:93], v[92:93], v[74:75], 0
	buffer_load_dword v75, off, s[0:3], 0 offset:236
	buffer_load_dword v74, off, s[0:3], 0 offset:232
	s_waitcnt vmcnt(12)
	v_fmac_f64_e32 v[92:93], v[94:95], v[76:77]
	s_waitcnt vmcnt(10) lgkmcnt(2)
	v_fmac_f64_e32 v[92:93], v[96:97], v[78:79]
	buffer_load_dword v79, off, s[0:3], 0 offset:244
	buffer_load_dword v78, off, s[0:3], 0 offset:240
	s_waitcnt vmcnt(10)
	v_fmac_f64_e32 v[92:93], v[98:99], v[80:81]
	s_waitcnt vmcnt(8) lgkmcnt(1)
	v_fmac_f64_e32 v[92:93], v[100:101], v[82:83]
	s_waitcnt vmcnt(6)
	v_fmac_f64_e32 v[92:93], v[102:103], v[84:85]
	s_waitcnt vmcnt(4) lgkmcnt(0)
	v_fmac_f64_e32 v[92:93], v[104:105], v[86:87]
	s_waitcnt vmcnt(2)
	v_fmac_f64_e32 v[92:93], v[74:75], v[88:89]
	ds_read_b128 v[74:77], v72 offset:528
	s_waitcnt vmcnt(0) lgkmcnt(0)
	v_fmac_f64_e32 v[92:93], v[78:79], v[74:75]
	buffer_load_dword v75, off, s[0:3], 0 offset:252
	buffer_load_dword v74, off, s[0:3], 0 offset:248
	;; [unrolled: 1-line block ×4, first 2 shown]
	s_waitcnt vmcnt(2)
	v_fmac_f64_e32 v[92:93], v[74:75], v[76:77]
	ds_read_b128 v[74:77], v72 offset:544
	s_waitcnt vmcnt(0) lgkmcnt(0)
	v_fmac_f64_e32 v[92:93], v[78:79], v[74:75]
	buffer_load_dword v75, off, s[0:3], 0 offset:268
	buffer_load_dword v74, off, s[0:3], 0 offset:264
	s_waitcnt vmcnt(0)
	v_fmac_f64_e32 v[92:93], v[74:75], v[76:77]
	buffer_load_dword v75, off, s[0:3], 0 offset:276
	buffer_load_dword v74, off, s[0:3], 0 offset:272
	ds_read_b64 v[76:77], v72 offset:560
	s_waitcnt vmcnt(0) lgkmcnt(0)
	v_fmac_f64_e32 v[92:93], v[74:75], v[76:77]
	v_add_f64 v[74:75], v[90:91], -v[92:93]
	buffer_store_dword v75, off, s[0:3], 0 offset:172
	buffer_store_dword v74, off, s[0:3], 0 offset:168
	s_and_saveexec_b64 s[4:5], vcc
	s_cbranch_execz .LBB98_177
; %bb.176:
	buffer_load_dword v74, off, s[0:3], 0 offset:160
	buffer_load_dword v75, off, s[0:3], 0 offset:164
	s_waitcnt vmcnt(0)
	ds_write_b64 v1, v[74:75]
	buffer_store_dword v72, off, s[0:3], 0 offset:160
	buffer_store_dword v72, off, s[0:3], 0 offset:164
.LBB98_177:
	s_or_b64 exec, exec, s[4:5]
	s_waitcnt lgkmcnt(0)
	; wave barrier
	s_waitcnt lgkmcnt(0)
	buffer_load_dword v78, off, s[0:3], 0 offset:160
	buffer_load_dword v79, off, s[0:3], 0 offset:164
	buffer_load_dword v80, off, s[0:3], 0 offset:168
	buffer_load_dword v81, off, s[0:3], 0 offset:172
	buffer_load_dword v82, off, s[0:3], 0 offset:176
	buffer_load_dword v83, off, s[0:3], 0 offset:180
	buffer_load_dword v84, off, s[0:3], 0 offset:184
	buffer_load_dword v85, off, s[0:3], 0 offset:188
	buffer_load_dword v86, off, s[0:3], 0 offset:192
	buffer_load_dword v87, off, s[0:3], 0 offset:196
	buffer_load_dword v88, off, s[0:3], 0 offset:200
	buffer_load_dword v89, off, s[0:3], 0 offset:204
	buffer_load_dword v90, off, s[0:3], 0 offset:208
	buffer_load_dword v91, off, s[0:3], 0 offset:212
	buffer_load_dword v92, off, s[0:3], 0 offset:216
	buffer_load_dword v93, off, s[0:3], 0 offset:220
	ds_read2_b64 v[74:77], v72 offset0:57 offset1:58
	v_cmp_lt_u32_e32 vcc, 19, v0
	s_waitcnt vmcnt(12) lgkmcnt(0)
	v_fma_f64 v[80:81], v[80:81], v[74:75], 0
	s_waitcnt vmcnt(10)
	v_fmac_f64_e32 v[80:81], v[82:83], v[76:77]
	ds_read2_b64 v[74:77], v72 offset0:59 offset1:60
	s_waitcnt vmcnt(8) lgkmcnt(0)
	v_fmac_f64_e32 v[80:81], v[84:85], v[74:75]
	s_waitcnt vmcnt(6)
	v_fmac_f64_e32 v[80:81], v[86:87], v[76:77]
	ds_read2_b64 v[74:77], v72 offset0:61 offset1:62
	s_waitcnt vmcnt(4) lgkmcnt(0)
	v_fmac_f64_e32 v[80:81], v[88:89], v[74:75]
	;; [unrolled: 5-line block ×3, first 2 shown]
	buffer_load_dword v75, off, s[0:3], 0 offset:228
	buffer_load_dword v74, off, s[0:3], 0 offset:224
	;; [unrolled: 1-line block ×4, first 2 shown]
	s_waitcnt vmcnt(2)
	v_fmac_f64_e32 v[80:81], v[74:75], v[76:77]
	ds_read2_b64 v[74:77], v72 offset0:65 offset1:66
	s_waitcnt vmcnt(0) lgkmcnt(0)
	v_fmac_f64_e32 v[80:81], v[82:83], v[74:75]
	buffer_load_dword v75, off, s[0:3], 0 offset:244
	buffer_load_dword v74, off, s[0:3], 0 offset:240
	;; [unrolled: 1-line block ×4, first 2 shown]
	s_waitcnt vmcnt(2)
	v_fmac_f64_e32 v[80:81], v[74:75], v[76:77]
	ds_read2_b64 v[74:77], v72 offset0:67 offset1:68
	s_waitcnt vmcnt(0) lgkmcnt(0)
	v_fmac_f64_e32 v[80:81], v[82:83], v[74:75]
	buffer_load_dword v75, off, s[0:3], 0 offset:260
	buffer_load_dword v74, off, s[0:3], 0 offset:256
	s_waitcnt vmcnt(0)
	v_fmac_f64_e32 v[80:81], v[74:75], v[76:77]
	buffer_load_dword v77, off, s[0:3], 0 offset:268
	buffer_load_dword v76, off, s[0:3], 0 offset:264
	ds_read2_b64 v[72:75], v72 offset0:69 offset1:70
	s_waitcnt vmcnt(0) lgkmcnt(0)
	v_fmac_f64_e32 v[80:81], v[76:77], v[72:73]
	buffer_load_dword v73, off, s[0:3], 0 offset:276
	buffer_load_dword v72, off, s[0:3], 0 offset:272
	s_waitcnt vmcnt(0)
	v_fmac_f64_e32 v[80:81], v[72:73], v[74:75]
	v_add_f64 v[72:73], v[78:79], -v[80:81]
	buffer_store_dword v73, off, s[0:3], 0 offset:164
	buffer_store_dword v72, off, s[0:3], 0 offset:160
	s_and_saveexec_b64 s[4:5], vcc
	s_cbranch_execz .LBB98_179
; %bb.178:
	buffer_load_dword v72, off, s[0:3], 0 offset:152
	buffer_load_dword v73, off, s[0:3], 0 offset:156
	v_mov_b32_e32 v74, 0
	buffer_store_dword v74, off, s[0:3], 0 offset:152
	buffer_store_dword v74, off, s[0:3], 0 offset:156
	s_waitcnt vmcnt(2)
	ds_write_b64 v1, v[72:73]
.LBB98_179:
	s_or_b64 exec, exec, s[4:5]
	s_waitcnt lgkmcnt(0)
	; wave barrier
	s_waitcnt lgkmcnt(0)
	buffer_load_dword v90, off, s[0:3], 0 offset:152
	buffer_load_dword v91, off, s[0:3], 0 offset:156
	buffer_load_dword v92, off, s[0:3], 0 offset:160
	buffer_load_dword v93, off, s[0:3], 0 offset:164
	buffer_load_dword v94, off, s[0:3], 0 offset:168
	buffer_load_dword v95, off, s[0:3], 0 offset:172
	buffer_load_dword v96, off, s[0:3], 0 offset:176
	buffer_load_dword v97, off, s[0:3], 0 offset:180
	buffer_load_dword v98, off, s[0:3], 0 offset:184
	buffer_load_dword v99, off, s[0:3], 0 offset:188
	buffer_load_dword v100, off, s[0:3], 0 offset:192
	buffer_load_dword v101, off, s[0:3], 0 offset:196
	buffer_load_dword v102, off, s[0:3], 0 offset:200
	buffer_load_dword v103, off, s[0:3], 0 offset:204
	buffer_load_dword v104, off, s[0:3], 0 offset:208
	buffer_load_dword v105, off, s[0:3], 0 offset:212
	v_mov_b32_e32 v72, 0
	ds_read_b128 v[74:77], v72 offset:448
	ds_read_b128 v[78:81], v72 offset:464
	;; [unrolled: 1-line block ×4, first 2 shown]
	v_cmp_lt_u32_e32 vcc, 18, v0
	s_waitcnt vmcnt(12) lgkmcnt(3)
	v_fma_f64 v[92:93], v[92:93], v[74:75], 0
	buffer_load_dword v75, off, s[0:3], 0 offset:220
	buffer_load_dword v74, off, s[0:3], 0 offset:216
	s_waitcnt vmcnt(12)
	v_fmac_f64_e32 v[92:93], v[94:95], v[76:77]
	s_waitcnt vmcnt(10) lgkmcnt(2)
	v_fmac_f64_e32 v[92:93], v[96:97], v[78:79]
	buffer_load_dword v79, off, s[0:3], 0 offset:228
	buffer_load_dword v78, off, s[0:3], 0 offset:224
	s_waitcnt vmcnt(10)
	v_fmac_f64_e32 v[92:93], v[98:99], v[80:81]
	s_waitcnt vmcnt(8) lgkmcnt(1)
	v_fmac_f64_e32 v[92:93], v[100:101], v[82:83]
	s_waitcnt vmcnt(6)
	v_fmac_f64_e32 v[92:93], v[102:103], v[84:85]
	s_waitcnt vmcnt(4) lgkmcnt(0)
	v_fmac_f64_e32 v[92:93], v[104:105], v[86:87]
	s_waitcnt vmcnt(2)
	v_fmac_f64_e32 v[92:93], v[74:75], v[88:89]
	ds_read_b128 v[74:77], v72 offset:512
	s_waitcnt vmcnt(0) lgkmcnt(0)
	v_fmac_f64_e32 v[92:93], v[78:79], v[74:75]
	buffer_load_dword v75, off, s[0:3], 0 offset:236
	buffer_load_dword v74, off, s[0:3], 0 offset:232
	;; [unrolled: 1-line block ×4, first 2 shown]
	s_waitcnt vmcnt(2)
	v_fmac_f64_e32 v[92:93], v[74:75], v[76:77]
	ds_read_b128 v[74:77], v72 offset:528
	s_waitcnt vmcnt(0) lgkmcnt(0)
	v_fmac_f64_e32 v[92:93], v[78:79], v[74:75]
	buffer_load_dword v75, off, s[0:3], 0 offset:252
	buffer_load_dword v74, off, s[0:3], 0 offset:248
	;; [unrolled: 1-line block ×4, first 2 shown]
	s_waitcnt vmcnt(2)
	v_fmac_f64_e32 v[92:93], v[74:75], v[76:77]
	ds_read_b128 v[74:77], v72 offset:544
	s_waitcnt vmcnt(0) lgkmcnt(0)
	v_fmac_f64_e32 v[92:93], v[78:79], v[74:75]
	buffer_load_dword v75, off, s[0:3], 0 offset:268
	buffer_load_dword v74, off, s[0:3], 0 offset:264
	s_waitcnt vmcnt(0)
	v_fmac_f64_e32 v[92:93], v[74:75], v[76:77]
	buffer_load_dword v75, off, s[0:3], 0 offset:276
	buffer_load_dword v74, off, s[0:3], 0 offset:272
	ds_read_b64 v[76:77], v72 offset:560
	s_waitcnt vmcnt(0) lgkmcnt(0)
	v_fmac_f64_e32 v[92:93], v[74:75], v[76:77]
	v_add_f64 v[74:75], v[90:91], -v[92:93]
	buffer_store_dword v75, off, s[0:3], 0 offset:156
	buffer_store_dword v74, off, s[0:3], 0 offset:152
	s_and_saveexec_b64 s[4:5], vcc
	s_cbranch_execz .LBB98_181
; %bb.180:
	buffer_load_dword v74, off, s[0:3], 0 offset:144
	buffer_load_dword v75, off, s[0:3], 0 offset:148
	s_waitcnt vmcnt(0)
	ds_write_b64 v1, v[74:75]
	buffer_store_dword v72, off, s[0:3], 0 offset:144
	buffer_store_dword v72, off, s[0:3], 0 offset:148
.LBB98_181:
	s_or_b64 exec, exec, s[4:5]
	s_waitcnt lgkmcnt(0)
	; wave barrier
	s_waitcnt lgkmcnt(0)
	buffer_load_dword v78, off, s[0:3], 0 offset:144
	buffer_load_dword v79, off, s[0:3], 0 offset:148
	;; [unrolled: 1-line block ×16, first 2 shown]
	ds_read2_b64 v[74:77], v72 offset0:55 offset1:56
	v_cmp_lt_u32_e32 vcc, 17, v0
	s_waitcnt vmcnt(12) lgkmcnt(0)
	v_fma_f64 v[80:81], v[80:81], v[74:75], 0
	s_waitcnt vmcnt(10)
	v_fmac_f64_e32 v[80:81], v[82:83], v[76:77]
	ds_read2_b64 v[74:77], v72 offset0:57 offset1:58
	s_waitcnt vmcnt(8) lgkmcnt(0)
	v_fmac_f64_e32 v[80:81], v[84:85], v[74:75]
	s_waitcnt vmcnt(6)
	v_fmac_f64_e32 v[80:81], v[86:87], v[76:77]
	ds_read2_b64 v[74:77], v72 offset0:59 offset1:60
	s_waitcnt vmcnt(4) lgkmcnt(0)
	v_fmac_f64_e32 v[80:81], v[88:89], v[74:75]
	;; [unrolled: 5-line block ×3, first 2 shown]
	buffer_load_dword v75, off, s[0:3], 0 offset:212
	buffer_load_dword v74, off, s[0:3], 0 offset:208
	buffer_load_dword v83, off, s[0:3], 0 offset:220
	buffer_load_dword v82, off, s[0:3], 0 offset:216
	s_waitcnt vmcnt(2)
	v_fmac_f64_e32 v[80:81], v[74:75], v[76:77]
	ds_read2_b64 v[74:77], v72 offset0:63 offset1:64
	s_waitcnt vmcnt(0) lgkmcnt(0)
	v_fmac_f64_e32 v[80:81], v[82:83], v[74:75]
	buffer_load_dword v75, off, s[0:3], 0 offset:228
	buffer_load_dword v74, off, s[0:3], 0 offset:224
	buffer_load_dword v83, off, s[0:3], 0 offset:236
	buffer_load_dword v82, off, s[0:3], 0 offset:232
	s_waitcnt vmcnt(2)
	v_fmac_f64_e32 v[80:81], v[74:75], v[76:77]
	ds_read2_b64 v[74:77], v72 offset0:65 offset1:66
	s_waitcnt vmcnt(0) lgkmcnt(0)
	v_fmac_f64_e32 v[80:81], v[82:83], v[74:75]
	;; [unrolled: 9-line block ×3, first 2 shown]
	buffer_load_dword v75, off, s[0:3], 0 offset:260
	buffer_load_dword v74, off, s[0:3], 0 offset:256
	s_waitcnt vmcnt(0)
	v_fmac_f64_e32 v[80:81], v[74:75], v[76:77]
	buffer_load_dword v77, off, s[0:3], 0 offset:268
	buffer_load_dword v76, off, s[0:3], 0 offset:264
	ds_read2_b64 v[72:75], v72 offset0:69 offset1:70
	s_waitcnt vmcnt(0) lgkmcnt(0)
	v_fmac_f64_e32 v[80:81], v[76:77], v[72:73]
	buffer_load_dword v73, off, s[0:3], 0 offset:276
	buffer_load_dword v72, off, s[0:3], 0 offset:272
	s_waitcnt vmcnt(0)
	v_fmac_f64_e32 v[80:81], v[72:73], v[74:75]
	v_add_f64 v[72:73], v[78:79], -v[80:81]
	buffer_store_dword v73, off, s[0:3], 0 offset:148
	buffer_store_dword v72, off, s[0:3], 0 offset:144
	s_and_saveexec_b64 s[4:5], vcc
	s_cbranch_execz .LBB98_183
; %bb.182:
	buffer_load_dword v72, off, s[0:3], 0 offset:136
	buffer_load_dword v73, off, s[0:3], 0 offset:140
	v_mov_b32_e32 v74, 0
	buffer_store_dword v74, off, s[0:3], 0 offset:136
	buffer_store_dword v74, off, s[0:3], 0 offset:140
	s_waitcnt vmcnt(2)
	ds_write_b64 v1, v[72:73]
.LBB98_183:
	s_or_b64 exec, exec, s[4:5]
	s_waitcnt lgkmcnt(0)
	; wave barrier
	s_waitcnt lgkmcnt(0)
	buffer_load_dword v72, off, s[0:3], 0 offset:136
	buffer_load_dword v73, off, s[0:3], 0 offset:140
	;; [unrolled: 1-line block ×16, first 2 shown]
	v_mov_b32_e32 v76, 0
	ds_read_b128 v[78:81], v76 offset:432
	ds_read_b128 v[82:85], v76 offset:448
	;; [unrolled: 1-line block ×4, first 2 shown]
	v_cmp_lt_u32_e32 vcc, 16, v0
	s_waitcnt vmcnt(12) lgkmcnt(3)
	v_fma_f64 v[74:75], v[74:75], v[78:79], 0
	buffer_load_dword v79, off, s[0:3], 0 offset:204
	buffer_load_dword v78, off, s[0:3], 0 offset:200
	s_waitcnt vmcnt(12)
	v_fmac_f64_e32 v[74:75], v[94:95], v[80:81]
	s_waitcnt vmcnt(10) lgkmcnt(2)
	v_fmac_f64_e32 v[74:75], v[96:97], v[82:83]
	buffer_load_dword v83, off, s[0:3], 0 offset:212
	buffer_load_dword v82, off, s[0:3], 0 offset:208
	s_waitcnt vmcnt(10)
	v_fmac_f64_e32 v[74:75], v[98:99], v[84:85]
	s_waitcnt vmcnt(8) lgkmcnt(1)
	v_fmac_f64_e32 v[74:75], v[100:101], v[86:87]
	s_waitcnt vmcnt(6)
	v_fmac_f64_e32 v[74:75], v[102:103], v[88:89]
	s_waitcnt vmcnt(4) lgkmcnt(0)
	v_fmac_f64_e32 v[74:75], v[104:105], v[90:91]
	s_waitcnt vmcnt(2)
	v_fmac_f64_e32 v[74:75], v[78:79], v[92:93]
	ds_read_b128 v[78:81], v76 offset:496
	s_waitcnt vmcnt(0) lgkmcnt(0)
	v_fmac_f64_e32 v[74:75], v[82:83], v[78:79]
	buffer_load_dword v79, off, s[0:3], 0 offset:220
	buffer_load_dword v78, off, s[0:3], 0 offset:216
	buffer_load_dword v83, off, s[0:3], 0 offset:228
	buffer_load_dword v82, off, s[0:3], 0 offset:224
	s_waitcnt vmcnt(2)
	v_fmac_f64_e32 v[74:75], v[78:79], v[80:81]
	ds_read_b128 v[78:81], v76 offset:512
	s_waitcnt vmcnt(0) lgkmcnt(0)
	v_fmac_f64_e32 v[74:75], v[82:83], v[78:79]
	buffer_load_dword v79, off, s[0:3], 0 offset:236
	buffer_load_dword v78, off, s[0:3], 0 offset:232
	buffer_load_dword v83, off, s[0:3], 0 offset:244
	buffer_load_dword v82, off, s[0:3], 0 offset:240
	;; [unrolled: 9-line block ×3, first 2 shown]
	s_waitcnt vmcnt(2)
	v_fmac_f64_e32 v[74:75], v[78:79], v[80:81]
	ds_read_b128 v[78:81], v76 offset:544
	s_waitcnt vmcnt(0) lgkmcnt(0)
	v_fmac_f64_e32 v[74:75], v[82:83], v[78:79]
	buffer_load_dword v79, off, s[0:3], 0 offset:268
	buffer_load_dword v78, off, s[0:3], 0 offset:264
	s_waitcnt vmcnt(0)
	v_fmac_f64_e32 v[74:75], v[78:79], v[80:81]
	buffer_load_dword v79, off, s[0:3], 0 offset:276
	buffer_load_dword v78, off, s[0:3], 0 offset:272
	ds_read_b64 v[80:81], v76 offset:560
	s_waitcnt vmcnt(0) lgkmcnt(0)
	v_fmac_f64_e32 v[74:75], v[78:79], v[80:81]
	v_add_f64 v[72:73], v[72:73], -v[74:75]
	buffer_store_dword v73, off, s[0:3], 0 offset:140
	buffer_store_dword v72, off, s[0:3], 0 offset:136
	s_and_saveexec_b64 s[4:5], vcc
	s_cbranch_execz .LBB98_185
; %bb.184:
	buffer_load_dword v72, off, s[0:3], 0 offset:128
	buffer_load_dword v73, off, s[0:3], 0 offset:132
	s_waitcnt vmcnt(0)
	ds_write_b64 v1, v[72:73]
	buffer_store_dword v76, off, s[0:3], 0 offset:128
	buffer_store_dword v76, off, s[0:3], 0 offset:132
.LBB98_185:
	s_or_b64 exec, exec, s[4:5]
	s_waitcnt lgkmcnt(0)
	; wave barrier
	s_waitcnt lgkmcnt(0)
	buffer_load_dword v72, off, s[0:3], 0 offset:128
	buffer_load_dword v73, off, s[0:3], 0 offset:132
	;; [unrolled: 1-line block ×16, first 2 shown]
	ds_read2_b64 v[78:81], v76 offset0:53 offset1:54
	v_cmp_lt_u32_e32 vcc, 15, v0
	s_waitcnt vmcnt(12) lgkmcnt(0)
	v_fma_f64 v[74:75], v[74:75], v[78:79], 0
	s_waitcnt vmcnt(10)
	v_fmac_f64_e32 v[74:75], v[82:83], v[80:81]
	ds_read2_b64 v[78:81], v76 offset0:55 offset1:56
	s_waitcnt vmcnt(8) lgkmcnt(0)
	v_fmac_f64_e32 v[74:75], v[84:85], v[78:79]
	s_waitcnt vmcnt(6)
	v_fmac_f64_e32 v[74:75], v[86:87], v[80:81]
	ds_read2_b64 v[78:81], v76 offset0:57 offset1:58
	s_waitcnt vmcnt(4) lgkmcnt(0)
	v_fmac_f64_e32 v[74:75], v[88:89], v[78:79]
	;; [unrolled: 5-line block ×3, first 2 shown]
	buffer_load_dword v79, off, s[0:3], 0 offset:196
	buffer_load_dword v78, off, s[0:3], 0 offset:192
	buffer_load_dword v83, off, s[0:3], 0 offset:204
	buffer_load_dword v82, off, s[0:3], 0 offset:200
	s_waitcnt vmcnt(2)
	v_fmac_f64_e32 v[74:75], v[78:79], v[80:81]
	ds_read2_b64 v[78:81], v76 offset0:61 offset1:62
	s_waitcnt vmcnt(0) lgkmcnt(0)
	v_fmac_f64_e32 v[74:75], v[82:83], v[78:79]
	buffer_load_dword v79, off, s[0:3], 0 offset:212
	buffer_load_dword v78, off, s[0:3], 0 offset:208
	buffer_load_dword v83, off, s[0:3], 0 offset:220
	buffer_load_dword v82, off, s[0:3], 0 offset:216
	s_waitcnt vmcnt(2)
	v_fmac_f64_e32 v[74:75], v[78:79], v[80:81]
	ds_read2_b64 v[78:81], v76 offset0:63 offset1:64
	s_waitcnt vmcnt(0) lgkmcnt(0)
	v_fmac_f64_e32 v[74:75], v[82:83], v[78:79]
	;; [unrolled: 9-line block ×4, first 2 shown]
	buffer_load_dword v79, off, s[0:3], 0 offset:260
	buffer_load_dword v78, off, s[0:3], 0 offset:256
	s_waitcnt vmcnt(0)
	v_fmac_f64_e32 v[74:75], v[78:79], v[80:81]
	buffer_load_dword v81, off, s[0:3], 0 offset:268
	buffer_load_dword v80, off, s[0:3], 0 offset:264
	ds_read2_b64 v[76:79], v76 offset0:69 offset1:70
	s_waitcnt vmcnt(0) lgkmcnt(0)
	v_fmac_f64_e32 v[74:75], v[80:81], v[76:77]
	buffer_load_dword v77, off, s[0:3], 0 offset:276
	buffer_load_dword v76, off, s[0:3], 0 offset:272
	s_waitcnt vmcnt(0)
	v_fmac_f64_e32 v[74:75], v[76:77], v[78:79]
	v_add_f64 v[72:73], v[72:73], -v[74:75]
	buffer_store_dword v73, off, s[0:3], 0 offset:132
	buffer_store_dword v72, off, s[0:3], 0 offset:128
	s_and_saveexec_b64 s[4:5], vcc
	s_cbranch_execz .LBB98_187
; %bb.186:
	buffer_load_dword v72, off, s[0:3], 0 offset:120
	buffer_load_dword v73, off, s[0:3], 0 offset:124
	v_mov_b32_e32 v74, 0
	buffer_store_dword v74, off, s[0:3], 0 offset:120
	buffer_store_dword v74, off, s[0:3], 0 offset:124
	s_waitcnt vmcnt(2)
	ds_write_b64 v1, v[72:73]
.LBB98_187:
	s_or_b64 exec, exec, s[4:5]
	s_waitcnt lgkmcnt(0)
	; wave barrier
	s_waitcnt lgkmcnt(0)
	buffer_load_dword v72, off, s[0:3], 0 offset:120
	buffer_load_dword v73, off, s[0:3], 0 offset:124
	;; [unrolled: 1-line block ×16, first 2 shown]
	v_mov_b32_e32 v76, 0
	ds_read_b128 v[78:81], v76 offset:416
	ds_read_b128 v[82:85], v76 offset:432
	;; [unrolled: 1-line block ×4, first 2 shown]
	v_cmp_lt_u32_e32 vcc, 14, v0
	s_waitcnt vmcnt(12) lgkmcnt(3)
	v_fma_f64 v[74:75], v[74:75], v[78:79], 0
	buffer_load_dword v79, off, s[0:3], 0 offset:188
	buffer_load_dword v78, off, s[0:3], 0 offset:184
	s_waitcnt vmcnt(12)
	v_fmac_f64_e32 v[74:75], v[94:95], v[80:81]
	s_waitcnt vmcnt(10) lgkmcnt(2)
	v_fmac_f64_e32 v[74:75], v[96:97], v[82:83]
	buffer_load_dword v83, off, s[0:3], 0 offset:196
	buffer_load_dword v82, off, s[0:3], 0 offset:192
	s_waitcnt vmcnt(10)
	v_fmac_f64_e32 v[74:75], v[98:99], v[84:85]
	s_waitcnt vmcnt(8) lgkmcnt(1)
	v_fmac_f64_e32 v[74:75], v[100:101], v[86:87]
	s_waitcnt vmcnt(6)
	v_fmac_f64_e32 v[74:75], v[102:103], v[88:89]
	s_waitcnt vmcnt(4) lgkmcnt(0)
	v_fmac_f64_e32 v[74:75], v[104:105], v[90:91]
	s_waitcnt vmcnt(2)
	v_fmac_f64_e32 v[74:75], v[78:79], v[92:93]
	ds_read_b128 v[78:81], v76 offset:480
	s_waitcnt vmcnt(0) lgkmcnt(0)
	v_fmac_f64_e32 v[74:75], v[82:83], v[78:79]
	buffer_load_dword v79, off, s[0:3], 0 offset:204
	buffer_load_dword v78, off, s[0:3], 0 offset:200
	buffer_load_dword v83, off, s[0:3], 0 offset:212
	buffer_load_dword v82, off, s[0:3], 0 offset:208
	s_waitcnt vmcnt(2)
	v_fmac_f64_e32 v[74:75], v[78:79], v[80:81]
	ds_read_b128 v[78:81], v76 offset:496
	s_waitcnt vmcnt(0) lgkmcnt(0)
	v_fmac_f64_e32 v[74:75], v[82:83], v[78:79]
	buffer_load_dword v79, off, s[0:3], 0 offset:220
	buffer_load_dword v78, off, s[0:3], 0 offset:216
	buffer_load_dword v83, off, s[0:3], 0 offset:228
	buffer_load_dword v82, off, s[0:3], 0 offset:224
	;; [unrolled: 9-line block ×4, first 2 shown]
	s_waitcnt vmcnt(2)
	v_fmac_f64_e32 v[74:75], v[78:79], v[80:81]
	ds_read_b128 v[78:81], v76 offset:544
	s_waitcnt vmcnt(0) lgkmcnt(0)
	v_fmac_f64_e32 v[74:75], v[82:83], v[78:79]
	buffer_load_dword v79, off, s[0:3], 0 offset:268
	buffer_load_dword v78, off, s[0:3], 0 offset:264
	s_waitcnt vmcnt(0)
	v_fmac_f64_e32 v[74:75], v[78:79], v[80:81]
	buffer_load_dword v79, off, s[0:3], 0 offset:276
	buffer_load_dword v78, off, s[0:3], 0 offset:272
	ds_read_b64 v[80:81], v76 offset:560
	s_waitcnt vmcnt(0) lgkmcnt(0)
	v_fmac_f64_e32 v[74:75], v[78:79], v[80:81]
	v_add_f64 v[72:73], v[72:73], -v[74:75]
	buffer_store_dword v73, off, s[0:3], 0 offset:124
	buffer_store_dword v72, off, s[0:3], 0 offset:120
	s_and_saveexec_b64 s[4:5], vcc
	s_cbranch_execz .LBB98_189
; %bb.188:
	buffer_load_dword v72, off, s[0:3], 0 offset:112
	buffer_load_dword v73, off, s[0:3], 0 offset:116
	s_waitcnt vmcnt(0)
	ds_write_b64 v1, v[72:73]
	buffer_store_dword v76, off, s[0:3], 0 offset:112
	buffer_store_dword v76, off, s[0:3], 0 offset:116
.LBB98_189:
	s_or_b64 exec, exec, s[4:5]
	s_waitcnt lgkmcnt(0)
	; wave barrier
	s_waitcnt lgkmcnt(0)
	buffer_load_dword v72, off, s[0:3], 0 offset:112
	buffer_load_dword v73, off, s[0:3], 0 offset:116
	;; [unrolled: 1-line block ×16, first 2 shown]
	ds_read2_b64 v[78:81], v76 offset0:51 offset1:52
	v_cmp_lt_u32_e32 vcc, 13, v0
	s_waitcnt vmcnt(12) lgkmcnt(0)
	v_fma_f64 v[74:75], v[74:75], v[78:79], 0
	s_waitcnt vmcnt(10)
	v_fmac_f64_e32 v[74:75], v[82:83], v[80:81]
	ds_read2_b64 v[78:81], v76 offset0:53 offset1:54
	s_waitcnt vmcnt(8) lgkmcnt(0)
	v_fmac_f64_e32 v[74:75], v[84:85], v[78:79]
	s_waitcnt vmcnt(6)
	v_fmac_f64_e32 v[74:75], v[86:87], v[80:81]
	ds_read2_b64 v[78:81], v76 offset0:55 offset1:56
	s_waitcnt vmcnt(4) lgkmcnt(0)
	v_fmac_f64_e32 v[74:75], v[88:89], v[78:79]
	;; [unrolled: 5-line block ×3, first 2 shown]
	buffer_load_dword v79, off, s[0:3], 0 offset:180
	buffer_load_dword v78, off, s[0:3], 0 offset:176
	buffer_load_dword v83, off, s[0:3], 0 offset:188
	buffer_load_dword v82, off, s[0:3], 0 offset:184
	s_waitcnt vmcnt(2)
	v_fmac_f64_e32 v[74:75], v[78:79], v[80:81]
	ds_read2_b64 v[78:81], v76 offset0:59 offset1:60
	s_waitcnt vmcnt(0) lgkmcnt(0)
	v_fmac_f64_e32 v[74:75], v[82:83], v[78:79]
	buffer_load_dword v79, off, s[0:3], 0 offset:196
	buffer_load_dword v78, off, s[0:3], 0 offset:192
	buffer_load_dword v83, off, s[0:3], 0 offset:204
	buffer_load_dword v82, off, s[0:3], 0 offset:200
	s_waitcnt vmcnt(2)
	v_fmac_f64_e32 v[74:75], v[78:79], v[80:81]
	ds_read2_b64 v[78:81], v76 offset0:61 offset1:62
	s_waitcnt vmcnt(0) lgkmcnt(0)
	v_fmac_f64_e32 v[74:75], v[82:83], v[78:79]
	;; [unrolled: 9-line block ×5, first 2 shown]
	buffer_load_dword v79, off, s[0:3], 0 offset:260
	buffer_load_dword v78, off, s[0:3], 0 offset:256
	s_waitcnt vmcnt(0)
	v_fmac_f64_e32 v[74:75], v[78:79], v[80:81]
	buffer_load_dword v81, off, s[0:3], 0 offset:268
	buffer_load_dword v80, off, s[0:3], 0 offset:264
	ds_read2_b64 v[76:79], v76 offset0:69 offset1:70
	s_waitcnt vmcnt(0) lgkmcnt(0)
	v_fmac_f64_e32 v[74:75], v[80:81], v[76:77]
	buffer_load_dword v77, off, s[0:3], 0 offset:276
	buffer_load_dword v76, off, s[0:3], 0 offset:272
	s_waitcnt vmcnt(0)
	v_fmac_f64_e32 v[74:75], v[76:77], v[78:79]
	v_add_f64 v[72:73], v[72:73], -v[74:75]
	buffer_store_dword v73, off, s[0:3], 0 offset:116
	buffer_store_dword v72, off, s[0:3], 0 offset:112
	s_and_saveexec_b64 s[4:5], vcc
	s_cbranch_execz .LBB98_191
; %bb.190:
	buffer_load_dword v72, off, s[0:3], 0 offset:104
	buffer_load_dword v73, off, s[0:3], 0 offset:108
	v_mov_b32_e32 v74, 0
	buffer_store_dword v74, off, s[0:3], 0 offset:104
	buffer_store_dword v74, off, s[0:3], 0 offset:108
	s_waitcnt vmcnt(2)
	ds_write_b64 v1, v[72:73]
.LBB98_191:
	s_or_b64 exec, exec, s[4:5]
	s_waitcnt lgkmcnt(0)
	; wave barrier
	s_waitcnt lgkmcnt(0)
	buffer_load_dword v72, off, s[0:3], 0 offset:104
	buffer_load_dword v73, off, s[0:3], 0 offset:108
	;; [unrolled: 1-line block ×16, first 2 shown]
	v_mov_b32_e32 v76, 0
	ds_read_b128 v[78:81], v76 offset:400
	ds_read_b128 v[82:85], v76 offset:416
	;; [unrolled: 1-line block ×4, first 2 shown]
	v_cmp_lt_u32_e32 vcc, 12, v0
	s_waitcnt vmcnt(12) lgkmcnt(3)
	v_fma_f64 v[74:75], v[74:75], v[78:79], 0
	buffer_load_dword v79, off, s[0:3], 0 offset:172
	buffer_load_dword v78, off, s[0:3], 0 offset:168
	s_waitcnt vmcnt(12)
	v_fmac_f64_e32 v[74:75], v[94:95], v[80:81]
	s_waitcnt vmcnt(10) lgkmcnt(2)
	v_fmac_f64_e32 v[74:75], v[96:97], v[82:83]
	buffer_load_dword v83, off, s[0:3], 0 offset:180
	buffer_load_dword v82, off, s[0:3], 0 offset:176
	s_waitcnt vmcnt(10)
	v_fmac_f64_e32 v[74:75], v[98:99], v[84:85]
	s_waitcnt vmcnt(8) lgkmcnt(1)
	v_fmac_f64_e32 v[74:75], v[100:101], v[86:87]
	s_waitcnt vmcnt(6)
	v_fmac_f64_e32 v[74:75], v[102:103], v[88:89]
	s_waitcnt vmcnt(4) lgkmcnt(0)
	v_fmac_f64_e32 v[74:75], v[104:105], v[90:91]
	s_waitcnt vmcnt(2)
	v_fmac_f64_e32 v[74:75], v[78:79], v[92:93]
	ds_read_b128 v[78:81], v76 offset:464
	s_waitcnt vmcnt(0) lgkmcnt(0)
	v_fmac_f64_e32 v[74:75], v[82:83], v[78:79]
	buffer_load_dword v79, off, s[0:3], 0 offset:188
	buffer_load_dword v78, off, s[0:3], 0 offset:184
	buffer_load_dword v83, off, s[0:3], 0 offset:196
	buffer_load_dword v82, off, s[0:3], 0 offset:192
	s_waitcnt vmcnt(2)
	v_fmac_f64_e32 v[74:75], v[78:79], v[80:81]
	ds_read_b128 v[78:81], v76 offset:480
	s_waitcnt vmcnt(0) lgkmcnt(0)
	v_fmac_f64_e32 v[74:75], v[82:83], v[78:79]
	buffer_load_dword v79, off, s[0:3], 0 offset:204
	buffer_load_dword v78, off, s[0:3], 0 offset:200
	buffer_load_dword v83, off, s[0:3], 0 offset:212
	buffer_load_dword v82, off, s[0:3], 0 offset:208
	;; [unrolled: 9-line block ×5, first 2 shown]
	s_waitcnt vmcnt(2)
	v_fmac_f64_e32 v[74:75], v[78:79], v[80:81]
	ds_read_b128 v[78:81], v76 offset:544
	s_waitcnt vmcnt(0) lgkmcnt(0)
	v_fmac_f64_e32 v[74:75], v[82:83], v[78:79]
	buffer_load_dword v79, off, s[0:3], 0 offset:268
	buffer_load_dword v78, off, s[0:3], 0 offset:264
	s_waitcnt vmcnt(0)
	v_fmac_f64_e32 v[74:75], v[78:79], v[80:81]
	buffer_load_dword v79, off, s[0:3], 0 offset:276
	buffer_load_dword v78, off, s[0:3], 0 offset:272
	ds_read_b64 v[80:81], v76 offset:560
	s_waitcnt vmcnt(0) lgkmcnt(0)
	v_fmac_f64_e32 v[74:75], v[78:79], v[80:81]
	v_add_f64 v[72:73], v[72:73], -v[74:75]
	buffer_store_dword v73, off, s[0:3], 0 offset:108
	buffer_store_dword v72, off, s[0:3], 0 offset:104
	s_and_saveexec_b64 s[4:5], vcc
	s_cbranch_execz .LBB98_193
; %bb.192:
	buffer_load_dword v72, off, s[0:3], 0 offset:96
	buffer_load_dword v73, off, s[0:3], 0 offset:100
	s_waitcnt vmcnt(0)
	ds_write_b64 v1, v[72:73]
	buffer_store_dword v76, off, s[0:3], 0 offset:96
	buffer_store_dword v76, off, s[0:3], 0 offset:100
.LBB98_193:
	s_or_b64 exec, exec, s[4:5]
	s_waitcnt lgkmcnt(0)
	; wave barrier
	s_waitcnt lgkmcnt(0)
	buffer_load_dword v72, off, s[0:3], 0 offset:96
	buffer_load_dword v73, off, s[0:3], 0 offset:100
	;; [unrolled: 1-line block ×16, first 2 shown]
	ds_read2_b64 v[78:81], v76 offset0:49 offset1:50
	v_cmp_lt_u32_e32 vcc, 11, v0
	s_waitcnt vmcnt(12) lgkmcnt(0)
	v_fma_f64 v[74:75], v[74:75], v[78:79], 0
	s_waitcnt vmcnt(10)
	v_fmac_f64_e32 v[74:75], v[82:83], v[80:81]
	ds_read2_b64 v[78:81], v76 offset0:51 offset1:52
	s_waitcnt vmcnt(8) lgkmcnt(0)
	v_fmac_f64_e32 v[74:75], v[84:85], v[78:79]
	s_waitcnt vmcnt(6)
	v_fmac_f64_e32 v[74:75], v[86:87], v[80:81]
	ds_read2_b64 v[78:81], v76 offset0:53 offset1:54
	s_waitcnt vmcnt(4) lgkmcnt(0)
	v_fmac_f64_e32 v[74:75], v[88:89], v[78:79]
	;; [unrolled: 5-line block ×3, first 2 shown]
	buffer_load_dword v79, off, s[0:3], 0 offset:164
	buffer_load_dword v78, off, s[0:3], 0 offset:160
	buffer_load_dword v83, off, s[0:3], 0 offset:172
	buffer_load_dword v82, off, s[0:3], 0 offset:168
	s_waitcnt vmcnt(2)
	v_fmac_f64_e32 v[74:75], v[78:79], v[80:81]
	ds_read2_b64 v[78:81], v76 offset0:57 offset1:58
	s_waitcnt vmcnt(0) lgkmcnt(0)
	v_fmac_f64_e32 v[74:75], v[82:83], v[78:79]
	buffer_load_dword v79, off, s[0:3], 0 offset:180
	buffer_load_dword v78, off, s[0:3], 0 offset:176
	buffer_load_dword v83, off, s[0:3], 0 offset:188
	buffer_load_dword v82, off, s[0:3], 0 offset:184
	s_waitcnt vmcnt(2)
	v_fmac_f64_e32 v[74:75], v[78:79], v[80:81]
	ds_read2_b64 v[78:81], v76 offset0:59 offset1:60
	s_waitcnt vmcnt(0) lgkmcnt(0)
	v_fmac_f64_e32 v[74:75], v[82:83], v[78:79]
	;; [unrolled: 9-line block ×6, first 2 shown]
	buffer_load_dword v79, off, s[0:3], 0 offset:260
	buffer_load_dword v78, off, s[0:3], 0 offset:256
	s_waitcnt vmcnt(0)
	v_fmac_f64_e32 v[74:75], v[78:79], v[80:81]
	buffer_load_dword v81, off, s[0:3], 0 offset:268
	buffer_load_dword v80, off, s[0:3], 0 offset:264
	ds_read2_b64 v[76:79], v76 offset0:69 offset1:70
	s_waitcnt vmcnt(0) lgkmcnt(0)
	v_fmac_f64_e32 v[74:75], v[80:81], v[76:77]
	buffer_load_dword v77, off, s[0:3], 0 offset:276
	buffer_load_dword v76, off, s[0:3], 0 offset:272
	s_waitcnt vmcnt(0)
	v_fmac_f64_e32 v[74:75], v[76:77], v[78:79]
	v_add_f64 v[72:73], v[72:73], -v[74:75]
	buffer_store_dword v73, off, s[0:3], 0 offset:100
	buffer_store_dword v72, off, s[0:3], 0 offset:96
	s_and_saveexec_b64 s[4:5], vcc
	s_cbranch_execz .LBB98_195
; %bb.194:
	buffer_load_dword v72, off, s[0:3], 0 offset:88
	buffer_load_dword v73, off, s[0:3], 0 offset:92
	v_mov_b32_e32 v74, 0
	buffer_store_dword v74, off, s[0:3], 0 offset:88
	buffer_store_dword v74, off, s[0:3], 0 offset:92
	s_waitcnt vmcnt(2)
	ds_write_b64 v1, v[72:73]
.LBB98_195:
	s_or_b64 exec, exec, s[4:5]
	s_waitcnt lgkmcnt(0)
	; wave barrier
	s_waitcnt lgkmcnt(0)
	buffer_load_dword v72, off, s[0:3], 0 offset:88
	buffer_load_dword v73, off, s[0:3], 0 offset:92
	;; [unrolled: 1-line block ×16, first 2 shown]
	v_mov_b32_e32 v76, 0
	ds_read_b128 v[78:81], v76 offset:384
	ds_read_b128 v[82:85], v76 offset:400
	;; [unrolled: 1-line block ×4, first 2 shown]
	v_cmp_lt_u32_e32 vcc, 10, v0
	s_waitcnt vmcnt(12) lgkmcnt(3)
	v_fma_f64 v[74:75], v[74:75], v[78:79], 0
	buffer_load_dword v79, off, s[0:3], 0 offset:156
	buffer_load_dword v78, off, s[0:3], 0 offset:152
	s_waitcnt vmcnt(12)
	v_fmac_f64_e32 v[74:75], v[94:95], v[80:81]
	s_waitcnt vmcnt(10) lgkmcnt(2)
	v_fmac_f64_e32 v[74:75], v[96:97], v[82:83]
	buffer_load_dword v83, off, s[0:3], 0 offset:164
	buffer_load_dword v82, off, s[0:3], 0 offset:160
	s_waitcnt vmcnt(10)
	v_fmac_f64_e32 v[74:75], v[98:99], v[84:85]
	s_waitcnt vmcnt(8) lgkmcnt(1)
	v_fmac_f64_e32 v[74:75], v[100:101], v[86:87]
	s_waitcnt vmcnt(6)
	v_fmac_f64_e32 v[74:75], v[102:103], v[88:89]
	s_waitcnt vmcnt(4) lgkmcnt(0)
	v_fmac_f64_e32 v[74:75], v[104:105], v[90:91]
	s_waitcnt vmcnt(2)
	v_fmac_f64_e32 v[74:75], v[78:79], v[92:93]
	ds_read_b128 v[78:81], v76 offset:448
	s_waitcnt vmcnt(0) lgkmcnt(0)
	v_fmac_f64_e32 v[74:75], v[82:83], v[78:79]
	buffer_load_dword v79, off, s[0:3], 0 offset:172
	buffer_load_dword v78, off, s[0:3], 0 offset:168
	buffer_load_dword v83, off, s[0:3], 0 offset:180
	buffer_load_dword v82, off, s[0:3], 0 offset:176
	s_waitcnt vmcnt(2)
	v_fmac_f64_e32 v[74:75], v[78:79], v[80:81]
	ds_read_b128 v[78:81], v76 offset:464
	s_waitcnt vmcnt(0) lgkmcnt(0)
	v_fmac_f64_e32 v[74:75], v[82:83], v[78:79]
	buffer_load_dword v79, off, s[0:3], 0 offset:188
	buffer_load_dword v78, off, s[0:3], 0 offset:184
	buffer_load_dword v83, off, s[0:3], 0 offset:196
	buffer_load_dword v82, off, s[0:3], 0 offset:192
	;; [unrolled: 9-line block ×6, first 2 shown]
	s_waitcnt vmcnt(2)
	v_fmac_f64_e32 v[74:75], v[78:79], v[80:81]
	ds_read_b128 v[78:81], v76 offset:544
	s_waitcnt vmcnt(0) lgkmcnt(0)
	v_fmac_f64_e32 v[74:75], v[82:83], v[78:79]
	buffer_load_dword v79, off, s[0:3], 0 offset:268
	buffer_load_dword v78, off, s[0:3], 0 offset:264
	s_waitcnt vmcnt(0)
	v_fmac_f64_e32 v[74:75], v[78:79], v[80:81]
	buffer_load_dword v79, off, s[0:3], 0 offset:276
	buffer_load_dword v78, off, s[0:3], 0 offset:272
	ds_read_b64 v[80:81], v76 offset:560
	s_waitcnt vmcnt(0) lgkmcnt(0)
	v_fmac_f64_e32 v[74:75], v[78:79], v[80:81]
	v_add_f64 v[72:73], v[72:73], -v[74:75]
	buffer_store_dword v73, off, s[0:3], 0 offset:92
	buffer_store_dword v72, off, s[0:3], 0 offset:88
	s_and_saveexec_b64 s[4:5], vcc
	s_cbranch_execz .LBB98_197
; %bb.196:
	buffer_load_dword v72, off, s[0:3], 0 offset:80
	buffer_load_dword v73, off, s[0:3], 0 offset:84
	s_waitcnt vmcnt(0)
	ds_write_b64 v1, v[72:73]
	buffer_store_dword v76, off, s[0:3], 0 offset:80
	buffer_store_dword v76, off, s[0:3], 0 offset:84
.LBB98_197:
	s_or_b64 exec, exec, s[4:5]
	s_waitcnt lgkmcnt(0)
	; wave barrier
	s_waitcnt lgkmcnt(0)
	buffer_load_dword v72, off, s[0:3], 0 offset:80
	buffer_load_dword v73, off, s[0:3], 0 offset:84
	;; [unrolled: 1-line block ×16, first 2 shown]
	ds_read2_b64 v[78:81], v76 offset0:47 offset1:48
	v_cmp_lt_u32_e32 vcc, 9, v0
	s_waitcnt vmcnt(12) lgkmcnt(0)
	v_fma_f64 v[74:75], v[74:75], v[78:79], 0
	s_waitcnt vmcnt(10)
	v_fmac_f64_e32 v[74:75], v[82:83], v[80:81]
	ds_read2_b64 v[78:81], v76 offset0:49 offset1:50
	s_waitcnt vmcnt(8) lgkmcnt(0)
	v_fmac_f64_e32 v[74:75], v[84:85], v[78:79]
	s_waitcnt vmcnt(6)
	v_fmac_f64_e32 v[74:75], v[86:87], v[80:81]
	ds_read2_b64 v[78:81], v76 offset0:51 offset1:52
	s_waitcnt vmcnt(4) lgkmcnt(0)
	v_fmac_f64_e32 v[74:75], v[88:89], v[78:79]
	;; [unrolled: 5-line block ×3, first 2 shown]
	buffer_load_dword v79, off, s[0:3], 0 offset:148
	buffer_load_dword v78, off, s[0:3], 0 offset:144
	buffer_load_dword v83, off, s[0:3], 0 offset:156
	buffer_load_dword v82, off, s[0:3], 0 offset:152
	s_waitcnt vmcnt(2)
	v_fmac_f64_e32 v[74:75], v[78:79], v[80:81]
	ds_read2_b64 v[78:81], v76 offset0:55 offset1:56
	s_waitcnt vmcnt(0) lgkmcnt(0)
	v_fmac_f64_e32 v[74:75], v[82:83], v[78:79]
	buffer_load_dword v79, off, s[0:3], 0 offset:164
	buffer_load_dword v78, off, s[0:3], 0 offset:160
	buffer_load_dword v83, off, s[0:3], 0 offset:172
	buffer_load_dword v82, off, s[0:3], 0 offset:168
	s_waitcnt vmcnt(2)
	v_fmac_f64_e32 v[74:75], v[78:79], v[80:81]
	ds_read2_b64 v[78:81], v76 offset0:57 offset1:58
	s_waitcnt vmcnt(0) lgkmcnt(0)
	v_fmac_f64_e32 v[74:75], v[82:83], v[78:79]
	;; [unrolled: 9-line block ×7, first 2 shown]
	buffer_load_dword v79, off, s[0:3], 0 offset:260
	buffer_load_dword v78, off, s[0:3], 0 offset:256
	s_waitcnt vmcnt(0)
	v_fmac_f64_e32 v[74:75], v[78:79], v[80:81]
	buffer_load_dword v81, off, s[0:3], 0 offset:268
	buffer_load_dword v80, off, s[0:3], 0 offset:264
	ds_read2_b64 v[76:79], v76 offset0:69 offset1:70
	s_waitcnt vmcnt(0) lgkmcnt(0)
	v_fmac_f64_e32 v[74:75], v[80:81], v[76:77]
	buffer_load_dword v77, off, s[0:3], 0 offset:276
	buffer_load_dword v76, off, s[0:3], 0 offset:272
	s_waitcnt vmcnt(0)
	v_fmac_f64_e32 v[74:75], v[76:77], v[78:79]
	v_add_f64 v[72:73], v[72:73], -v[74:75]
	buffer_store_dword v73, off, s[0:3], 0 offset:84
	buffer_store_dword v72, off, s[0:3], 0 offset:80
	s_and_saveexec_b64 s[4:5], vcc
	s_cbranch_execz .LBB98_199
; %bb.198:
	buffer_load_dword v72, off, s[0:3], 0 offset:72
	buffer_load_dword v73, off, s[0:3], 0 offset:76
	v_mov_b32_e32 v74, 0
	buffer_store_dword v74, off, s[0:3], 0 offset:72
	buffer_store_dword v74, off, s[0:3], 0 offset:76
	s_waitcnt vmcnt(2)
	ds_write_b64 v1, v[72:73]
.LBB98_199:
	s_or_b64 exec, exec, s[4:5]
	s_waitcnt lgkmcnt(0)
	; wave barrier
	s_waitcnt lgkmcnt(0)
	buffer_load_dword v72, off, s[0:3], 0 offset:72
	buffer_load_dword v73, off, s[0:3], 0 offset:76
	;; [unrolled: 1-line block ×16, first 2 shown]
	v_mov_b32_e32 v76, 0
	ds_read_b128 v[78:81], v76 offset:368
	ds_read_b128 v[82:85], v76 offset:384
	;; [unrolled: 1-line block ×4, first 2 shown]
	v_cmp_lt_u32_e32 vcc, 8, v0
	s_waitcnt vmcnt(12) lgkmcnt(3)
	v_fma_f64 v[74:75], v[74:75], v[78:79], 0
	buffer_load_dword v79, off, s[0:3], 0 offset:140
	buffer_load_dword v78, off, s[0:3], 0 offset:136
	s_waitcnt vmcnt(12)
	v_fmac_f64_e32 v[74:75], v[94:95], v[80:81]
	s_waitcnt vmcnt(10) lgkmcnt(2)
	v_fmac_f64_e32 v[74:75], v[96:97], v[82:83]
	buffer_load_dword v83, off, s[0:3], 0 offset:148
	buffer_load_dword v82, off, s[0:3], 0 offset:144
	s_waitcnt vmcnt(10)
	v_fmac_f64_e32 v[74:75], v[98:99], v[84:85]
	s_waitcnt vmcnt(8) lgkmcnt(1)
	v_fmac_f64_e32 v[74:75], v[100:101], v[86:87]
	s_waitcnt vmcnt(6)
	v_fmac_f64_e32 v[74:75], v[102:103], v[88:89]
	s_waitcnt vmcnt(4) lgkmcnt(0)
	v_fmac_f64_e32 v[74:75], v[104:105], v[90:91]
	s_waitcnt vmcnt(2)
	v_fmac_f64_e32 v[74:75], v[78:79], v[92:93]
	ds_read_b128 v[78:81], v76 offset:432
	s_waitcnt vmcnt(0) lgkmcnt(0)
	v_fmac_f64_e32 v[74:75], v[82:83], v[78:79]
	buffer_load_dword v79, off, s[0:3], 0 offset:156
	buffer_load_dword v78, off, s[0:3], 0 offset:152
	buffer_load_dword v83, off, s[0:3], 0 offset:164
	buffer_load_dword v82, off, s[0:3], 0 offset:160
	s_waitcnt vmcnt(2)
	v_fmac_f64_e32 v[74:75], v[78:79], v[80:81]
	ds_read_b128 v[78:81], v76 offset:448
	s_waitcnt vmcnt(0) lgkmcnt(0)
	v_fmac_f64_e32 v[74:75], v[82:83], v[78:79]
	buffer_load_dword v79, off, s[0:3], 0 offset:172
	buffer_load_dword v78, off, s[0:3], 0 offset:168
	buffer_load_dword v83, off, s[0:3], 0 offset:180
	buffer_load_dword v82, off, s[0:3], 0 offset:176
	s_waitcnt vmcnt(2)
	v_fmac_f64_e32 v[74:75], v[78:79], v[80:81]
	ds_read_b128 v[78:81], v76 offset:464
	s_waitcnt vmcnt(0) lgkmcnt(0)
	v_fmac_f64_e32 v[74:75], v[82:83], v[78:79]
	buffer_load_dword v79, off, s[0:3], 0 offset:188
	buffer_load_dword v78, off, s[0:3], 0 offset:184
	buffer_load_dword v83, off, s[0:3], 0 offset:196
	buffer_load_dword v82, off, s[0:3], 0 offset:192
	s_waitcnt vmcnt(2)
	v_fmac_f64_e32 v[74:75], v[78:79], v[80:81]
	ds_read_b128 v[78:81], v76 offset:480
	s_waitcnt vmcnt(0) lgkmcnt(0)
	v_fmac_f64_e32 v[74:75], v[82:83], v[78:79]
	buffer_load_dword v79, off, s[0:3], 0 offset:204
	buffer_load_dword v78, off, s[0:3], 0 offset:200
	buffer_load_dword v83, off, s[0:3], 0 offset:212
	buffer_load_dword v82, off, s[0:3], 0 offset:208
	s_waitcnt vmcnt(2)
	v_fmac_f64_e32 v[74:75], v[78:79], v[80:81]
	ds_read_b128 v[78:81], v76 offset:496
	s_waitcnt vmcnt(0) lgkmcnt(0)
	v_fmac_f64_e32 v[74:75], v[82:83], v[78:79]
	buffer_load_dword v79, off, s[0:3], 0 offset:220
	buffer_load_dword v78, off, s[0:3], 0 offset:216
	buffer_load_dword v83, off, s[0:3], 0 offset:228
	buffer_load_dword v82, off, s[0:3], 0 offset:224
	s_waitcnt vmcnt(2)
	v_fmac_f64_e32 v[74:75], v[78:79], v[80:81]
	ds_read_b128 v[78:81], v76 offset:512
	s_waitcnt vmcnt(0) lgkmcnt(0)
	v_fmac_f64_e32 v[74:75], v[82:83], v[78:79]
	buffer_load_dword v79, off, s[0:3], 0 offset:236
	buffer_load_dword v78, off, s[0:3], 0 offset:232
	buffer_load_dword v83, off, s[0:3], 0 offset:244
	buffer_load_dword v82, off, s[0:3], 0 offset:240
	s_waitcnt vmcnt(2)
	v_fmac_f64_e32 v[74:75], v[78:79], v[80:81]
	ds_read_b128 v[78:81], v76 offset:528
	s_waitcnt vmcnt(0) lgkmcnt(0)
	v_fmac_f64_e32 v[74:75], v[82:83], v[78:79]
	buffer_load_dword v79, off, s[0:3], 0 offset:252
	buffer_load_dword v78, off, s[0:3], 0 offset:248
	buffer_load_dword v83, off, s[0:3], 0 offset:260
	buffer_load_dword v82, off, s[0:3], 0 offset:256
	s_waitcnt vmcnt(2)
	v_fmac_f64_e32 v[74:75], v[78:79], v[80:81]
	ds_read_b128 v[78:81], v76 offset:544
	s_waitcnt vmcnt(0) lgkmcnt(0)
	v_fmac_f64_e32 v[74:75], v[82:83], v[78:79]
	buffer_load_dword v79, off, s[0:3], 0 offset:268
	buffer_load_dword v78, off, s[0:3], 0 offset:264
	s_waitcnt vmcnt(0)
	v_fmac_f64_e32 v[74:75], v[78:79], v[80:81]
	buffer_load_dword v79, off, s[0:3], 0 offset:276
	buffer_load_dword v78, off, s[0:3], 0 offset:272
	ds_read_b64 v[80:81], v76 offset:560
	s_waitcnt vmcnt(0) lgkmcnt(0)
	v_fmac_f64_e32 v[74:75], v[78:79], v[80:81]
	v_add_f64 v[72:73], v[72:73], -v[74:75]
	buffer_store_dword v73, off, s[0:3], 0 offset:76
	buffer_store_dword v72, off, s[0:3], 0 offset:72
	s_and_saveexec_b64 s[4:5], vcc
	s_cbranch_execz .LBB98_201
; %bb.200:
	buffer_load_dword v72, off, s[0:3], 0 offset:64
	buffer_load_dword v73, off, s[0:3], 0 offset:68
	s_waitcnt vmcnt(0)
	ds_write_b64 v1, v[72:73]
	buffer_store_dword v76, off, s[0:3], 0 offset:64
	buffer_store_dword v76, off, s[0:3], 0 offset:68
.LBB98_201:
	s_or_b64 exec, exec, s[4:5]
	s_waitcnt lgkmcnt(0)
	; wave barrier
	s_waitcnt lgkmcnt(0)
	buffer_load_dword v72, off, s[0:3], 0 offset:64
	buffer_load_dword v73, off, s[0:3], 0 offset:68
	;; [unrolled: 1-line block ×16, first 2 shown]
	ds_read2_b64 v[78:81], v76 offset0:45 offset1:46
	v_cmp_lt_u32_e32 vcc, 7, v0
	s_waitcnt vmcnt(12) lgkmcnt(0)
	v_fma_f64 v[74:75], v[74:75], v[78:79], 0
	s_waitcnt vmcnt(10)
	v_fmac_f64_e32 v[74:75], v[82:83], v[80:81]
	ds_read2_b64 v[78:81], v76 offset0:47 offset1:48
	s_waitcnt vmcnt(8) lgkmcnt(0)
	v_fmac_f64_e32 v[74:75], v[84:85], v[78:79]
	s_waitcnt vmcnt(6)
	v_fmac_f64_e32 v[74:75], v[86:87], v[80:81]
	ds_read2_b64 v[78:81], v76 offset0:49 offset1:50
	s_waitcnt vmcnt(4) lgkmcnt(0)
	v_fmac_f64_e32 v[74:75], v[88:89], v[78:79]
	;; [unrolled: 5-line block ×3, first 2 shown]
	buffer_load_dword v79, off, s[0:3], 0 offset:132
	buffer_load_dword v78, off, s[0:3], 0 offset:128
	buffer_load_dword v83, off, s[0:3], 0 offset:140
	buffer_load_dword v82, off, s[0:3], 0 offset:136
	s_waitcnt vmcnt(2)
	v_fmac_f64_e32 v[74:75], v[78:79], v[80:81]
	ds_read2_b64 v[78:81], v76 offset0:53 offset1:54
	s_waitcnt vmcnt(0) lgkmcnt(0)
	v_fmac_f64_e32 v[74:75], v[82:83], v[78:79]
	buffer_load_dword v79, off, s[0:3], 0 offset:148
	buffer_load_dword v78, off, s[0:3], 0 offset:144
	buffer_load_dword v83, off, s[0:3], 0 offset:156
	buffer_load_dword v82, off, s[0:3], 0 offset:152
	s_waitcnt vmcnt(2)
	v_fmac_f64_e32 v[74:75], v[78:79], v[80:81]
	ds_read2_b64 v[78:81], v76 offset0:55 offset1:56
	s_waitcnt vmcnt(0) lgkmcnt(0)
	v_fmac_f64_e32 v[74:75], v[82:83], v[78:79]
	;; [unrolled: 9-line block ×8, first 2 shown]
	buffer_load_dword v79, off, s[0:3], 0 offset:260
	buffer_load_dword v78, off, s[0:3], 0 offset:256
	s_waitcnt vmcnt(0)
	v_fmac_f64_e32 v[74:75], v[78:79], v[80:81]
	buffer_load_dword v81, off, s[0:3], 0 offset:268
	buffer_load_dword v80, off, s[0:3], 0 offset:264
	ds_read2_b64 v[76:79], v76 offset0:69 offset1:70
	s_waitcnt vmcnt(0) lgkmcnt(0)
	v_fmac_f64_e32 v[74:75], v[80:81], v[76:77]
	buffer_load_dword v77, off, s[0:3], 0 offset:276
	buffer_load_dword v76, off, s[0:3], 0 offset:272
	s_waitcnt vmcnt(0)
	v_fmac_f64_e32 v[74:75], v[76:77], v[78:79]
	v_add_f64 v[72:73], v[72:73], -v[74:75]
	buffer_store_dword v73, off, s[0:3], 0 offset:68
	buffer_store_dword v72, off, s[0:3], 0 offset:64
	s_and_saveexec_b64 s[4:5], vcc
	s_cbranch_execz .LBB98_203
; %bb.202:
	buffer_load_dword v72, off, s[0:3], 0 offset:56
	buffer_load_dword v73, off, s[0:3], 0 offset:60
	v_mov_b32_e32 v74, 0
	buffer_store_dword v74, off, s[0:3], 0 offset:56
	buffer_store_dword v74, off, s[0:3], 0 offset:60
	s_waitcnt vmcnt(2)
	ds_write_b64 v1, v[72:73]
.LBB98_203:
	s_or_b64 exec, exec, s[4:5]
	s_waitcnt lgkmcnt(0)
	; wave barrier
	s_waitcnt lgkmcnt(0)
	buffer_load_dword v72, off, s[0:3], 0 offset:56
	buffer_load_dword v73, off, s[0:3], 0 offset:60
	;; [unrolled: 1-line block ×16, first 2 shown]
	v_mov_b32_e32 v76, 0
	ds_read_b128 v[78:81], v76 offset:352
	ds_read_b128 v[82:85], v76 offset:368
	;; [unrolled: 1-line block ×4, first 2 shown]
	v_cmp_lt_u32_e32 vcc, 6, v0
	s_waitcnt vmcnt(12) lgkmcnt(3)
	v_fma_f64 v[74:75], v[74:75], v[78:79], 0
	buffer_load_dword v79, off, s[0:3], 0 offset:124
	buffer_load_dword v78, off, s[0:3], 0 offset:120
	s_waitcnt vmcnt(12)
	v_fmac_f64_e32 v[74:75], v[94:95], v[80:81]
	s_waitcnt vmcnt(10) lgkmcnt(2)
	v_fmac_f64_e32 v[74:75], v[96:97], v[82:83]
	buffer_load_dword v83, off, s[0:3], 0 offset:132
	buffer_load_dword v82, off, s[0:3], 0 offset:128
	s_waitcnt vmcnt(10)
	v_fmac_f64_e32 v[74:75], v[98:99], v[84:85]
	s_waitcnt vmcnt(8) lgkmcnt(1)
	v_fmac_f64_e32 v[74:75], v[100:101], v[86:87]
	s_waitcnt vmcnt(6)
	v_fmac_f64_e32 v[74:75], v[102:103], v[88:89]
	s_waitcnt vmcnt(4) lgkmcnt(0)
	v_fmac_f64_e32 v[74:75], v[104:105], v[90:91]
	s_waitcnt vmcnt(2)
	v_fmac_f64_e32 v[74:75], v[78:79], v[92:93]
	ds_read_b128 v[78:81], v76 offset:416
	s_waitcnt vmcnt(0) lgkmcnt(0)
	v_fmac_f64_e32 v[74:75], v[82:83], v[78:79]
	buffer_load_dword v79, off, s[0:3], 0 offset:140
	buffer_load_dword v78, off, s[0:3], 0 offset:136
	buffer_load_dword v83, off, s[0:3], 0 offset:148
	buffer_load_dword v82, off, s[0:3], 0 offset:144
	s_waitcnt vmcnt(2)
	v_fmac_f64_e32 v[74:75], v[78:79], v[80:81]
	ds_read_b128 v[78:81], v76 offset:432
	s_waitcnt vmcnt(0) lgkmcnt(0)
	v_fmac_f64_e32 v[74:75], v[82:83], v[78:79]
	buffer_load_dword v79, off, s[0:3], 0 offset:156
	buffer_load_dword v78, off, s[0:3], 0 offset:152
	buffer_load_dword v83, off, s[0:3], 0 offset:164
	buffer_load_dword v82, off, s[0:3], 0 offset:160
	;; [unrolled: 9-line block ×8, first 2 shown]
	s_waitcnt vmcnt(2)
	v_fmac_f64_e32 v[74:75], v[78:79], v[80:81]
	ds_read_b128 v[78:81], v76 offset:544
	s_waitcnt vmcnt(0) lgkmcnt(0)
	v_fmac_f64_e32 v[74:75], v[82:83], v[78:79]
	buffer_load_dword v79, off, s[0:3], 0 offset:268
	buffer_load_dword v78, off, s[0:3], 0 offset:264
	s_waitcnt vmcnt(0)
	v_fmac_f64_e32 v[74:75], v[78:79], v[80:81]
	buffer_load_dword v79, off, s[0:3], 0 offset:276
	buffer_load_dword v78, off, s[0:3], 0 offset:272
	ds_read_b64 v[80:81], v76 offset:560
	s_waitcnt vmcnt(0) lgkmcnt(0)
	v_fmac_f64_e32 v[74:75], v[78:79], v[80:81]
	v_add_f64 v[72:73], v[72:73], -v[74:75]
	buffer_store_dword v73, off, s[0:3], 0 offset:60
	buffer_store_dword v72, off, s[0:3], 0 offset:56
	s_and_saveexec_b64 s[4:5], vcc
	s_cbranch_execz .LBB98_205
; %bb.204:
	buffer_load_dword v72, off, s[0:3], 0 offset:48
	buffer_load_dword v73, off, s[0:3], 0 offset:52
	s_waitcnt vmcnt(0)
	ds_write_b64 v1, v[72:73]
	buffer_store_dword v76, off, s[0:3], 0 offset:48
	buffer_store_dword v76, off, s[0:3], 0 offset:52
.LBB98_205:
	s_or_b64 exec, exec, s[4:5]
	s_waitcnt lgkmcnt(0)
	; wave barrier
	s_waitcnt lgkmcnt(0)
	buffer_load_dword v72, off, s[0:3], 0 offset:48
	buffer_load_dword v73, off, s[0:3], 0 offset:52
	;; [unrolled: 1-line block ×16, first 2 shown]
	ds_read2_b64 v[78:81], v76 offset0:43 offset1:44
	v_cmp_lt_u32_e32 vcc, 5, v0
	s_waitcnt vmcnt(12) lgkmcnt(0)
	v_fma_f64 v[74:75], v[74:75], v[78:79], 0
	s_waitcnt vmcnt(10)
	v_fmac_f64_e32 v[74:75], v[82:83], v[80:81]
	ds_read2_b64 v[78:81], v76 offset0:45 offset1:46
	s_waitcnt vmcnt(8) lgkmcnt(0)
	v_fmac_f64_e32 v[74:75], v[84:85], v[78:79]
	s_waitcnt vmcnt(6)
	v_fmac_f64_e32 v[74:75], v[86:87], v[80:81]
	ds_read2_b64 v[78:81], v76 offset0:47 offset1:48
	s_waitcnt vmcnt(4) lgkmcnt(0)
	v_fmac_f64_e32 v[74:75], v[88:89], v[78:79]
	;; [unrolled: 5-line block ×3, first 2 shown]
	buffer_load_dword v79, off, s[0:3], 0 offset:116
	buffer_load_dword v78, off, s[0:3], 0 offset:112
	buffer_load_dword v83, off, s[0:3], 0 offset:124
	buffer_load_dword v82, off, s[0:3], 0 offset:120
	s_waitcnt vmcnt(2)
	v_fmac_f64_e32 v[74:75], v[78:79], v[80:81]
	ds_read2_b64 v[78:81], v76 offset0:51 offset1:52
	s_waitcnt vmcnt(0) lgkmcnt(0)
	v_fmac_f64_e32 v[74:75], v[82:83], v[78:79]
	buffer_load_dword v79, off, s[0:3], 0 offset:132
	buffer_load_dword v78, off, s[0:3], 0 offset:128
	buffer_load_dword v83, off, s[0:3], 0 offset:140
	buffer_load_dword v82, off, s[0:3], 0 offset:136
	s_waitcnt vmcnt(2)
	v_fmac_f64_e32 v[74:75], v[78:79], v[80:81]
	ds_read2_b64 v[78:81], v76 offset0:53 offset1:54
	s_waitcnt vmcnt(0) lgkmcnt(0)
	v_fmac_f64_e32 v[74:75], v[82:83], v[78:79]
	;; [unrolled: 9-line block ×9, first 2 shown]
	buffer_load_dword v79, off, s[0:3], 0 offset:260
	buffer_load_dword v78, off, s[0:3], 0 offset:256
	s_waitcnt vmcnt(0)
	v_fmac_f64_e32 v[74:75], v[78:79], v[80:81]
	buffer_load_dword v81, off, s[0:3], 0 offset:268
	buffer_load_dword v80, off, s[0:3], 0 offset:264
	ds_read2_b64 v[76:79], v76 offset0:69 offset1:70
	s_waitcnt vmcnt(0) lgkmcnt(0)
	v_fmac_f64_e32 v[74:75], v[80:81], v[76:77]
	buffer_load_dword v77, off, s[0:3], 0 offset:276
	buffer_load_dword v76, off, s[0:3], 0 offset:272
	s_waitcnt vmcnt(0)
	v_fmac_f64_e32 v[74:75], v[76:77], v[78:79]
	v_add_f64 v[72:73], v[72:73], -v[74:75]
	buffer_store_dword v73, off, s[0:3], 0 offset:52
	buffer_store_dword v72, off, s[0:3], 0 offset:48
	s_and_saveexec_b64 s[4:5], vcc
	s_cbranch_execz .LBB98_207
; %bb.206:
	buffer_load_dword v72, off, s[0:3], 0 offset:40
	buffer_load_dword v73, off, s[0:3], 0 offset:44
	v_mov_b32_e32 v74, 0
	buffer_store_dword v74, off, s[0:3], 0 offset:40
	buffer_store_dword v74, off, s[0:3], 0 offset:44
	s_waitcnt vmcnt(2)
	ds_write_b64 v1, v[72:73]
.LBB98_207:
	s_or_b64 exec, exec, s[4:5]
	s_waitcnt lgkmcnt(0)
	; wave barrier
	s_waitcnt lgkmcnt(0)
	buffer_load_dword v72, off, s[0:3], 0 offset:40
	buffer_load_dword v73, off, s[0:3], 0 offset:44
	;; [unrolled: 1-line block ×16, first 2 shown]
	v_mov_b32_e32 v76, 0
	ds_read_b128 v[78:81], v76 offset:336
	ds_read_b128 v[82:85], v76 offset:352
	;; [unrolled: 1-line block ×4, first 2 shown]
	v_cmp_lt_u32_e32 vcc, 4, v0
	s_waitcnt vmcnt(12) lgkmcnt(3)
	v_fma_f64 v[74:75], v[74:75], v[78:79], 0
	buffer_load_dword v79, off, s[0:3], 0 offset:108
	buffer_load_dword v78, off, s[0:3], 0 offset:104
	s_waitcnt vmcnt(12)
	v_fmac_f64_e32 v[74:75], v[94:95], v[80:81]
	s_waitcnt vmcnt(10) lgkmcnt(2)
	v_fmac_f64_e32 v[74:75], v[96:97], v[82:83]
	buffer_load_dword v83, off, s[0:3], 0 offset:116
	buffer_load_dword v82, off, s[0:3], 0 offset:112
	s_waitcnt vmcnt(10)
	v_fmac_f64_e32 v[74:75], v[98:99], v[84:85]
	s_waitcnt vmcnt(8) lgkmcnt(1)
	v_fmac_f64_e32 v[74:75], v[100:101], v[86:87]
	s_waitcnt vmcnt(6)
	v_fmac_f64_e32 v[74:75], v[102:103], v[88:89]
	s_waitcnt vmcnt(4) lgkmcnt(0)
	v_fmac_f64_e32 v[74:75], v[104:105], v[90:91]
	s_waitcnt vmcnt(2)
	v_fmac_f64_e32 v[74:75], v[78:79], v[92:93]
	ds_read_b128 v[78:81], v76 offset:400
	s_waitcnt vmcnt(0) lgkmcnt(0)
	v_fmac_f64_e32 v[74:75], v[82:83], v[78:79]
	buffer_load_dword v79, off, s[0:3], 0 offset:124
	buffer_load_dword v78, off, s[0:3], 0 offset:120
	buffer_load_dword v83, off, s[0:3], 0 offset:132
	buffer_load_dword v82, off, s[0:3], 0 offset:128
	s_waitcnt vmcnt(2)
	v_fmac_f64_e32 v[74:75], v[78:79], v[80:81]
	ds_read_b128 v[78:81], v76 offset:416
	s_waitcnt vmcnt(0) lgkmcnt(0)
	v_fmac_f64_e32 v[74:75], v[82:83], v[78:79]
	buffer_load_dword v79, off, s[0:3], 0 offset:140
	buffer_load_dword v78, off, s[0:3], 0 offset:136
	buffer_load_dword v83, off, s[0:3], 0 offset:148
	buffer_load_dword v82, off, s[0:3], 0 offset:144
	;; [unrolled: 9-line block ×9, first 2 shown]
	s_waitcnt vmcnt(2)
	v_fmac_f64_e32 v[74:75], v[78:79], v[80:81]
	ds_read_b128 v[78:81], v76 offset:544
	s_waitcnt vmcnt(0) lgkmcnt(0)
	v_fmac_f64_e32 v[74:75], v[82:83], v[78:79]
	buffer_load_dword v79, off, s[0:3], 0 offset:268
	buffer_load_dword v78, off, s[0:3], 0 offset:264
	s_waitcnt vmcnt(0)
	v_fmac_f64_e32 v[74:75], v[78:79], v[80:81]
	buffer_load_dword v79, off, s[0:3], 0 offset:276
	buffer_load_dword v78, off, s[0:3], 0 offset:272
	ds_read_b64 v[80:81], v76 offset:560
	s_waitcnt vmcnt(0) lgkmcnt(0)
	v_fmac_f64_e32 v[74:75], v[78:79], v[80:81]
	v_add_f64 v[72:73], v[72:73], -v[74:75]
	buffer_store_dword v73, off, s[0:3], 0 offset:44
	buffer_store_dword v72, off, s[0:3], 0 offset:40
	s_and_saveexec_b64 s[4:5], vcc
	s_cbranch_execz .LBB98_209
; %bb.208:
	buffer_load_dword v72, off, s[0:3], 0 offset:32
	buffer_load_dword v73, off, s[0:3], 0 offset:36
	s_waitcnt vmcnt(0)
	ds_write_b64 v1, v[72:73]
	buffer_store_dword v76, off, s[0:3], 0 offset:32
	buffer_store_dword v76, off, s[0:3], 0 offset:36
.LBB98_209:
	s_or_b64 exec, exec, s[4:5]
	s_waitcnt lgkmcnt(0)
	; wave barrier
	s_waitcnt lgkmcnt(0)
	buffer_load_dword v72, off, s[0:3], 0 offset:32
	buffer_load_dword v73, off, s[0:3], 0 offset:36
	;; [unrolled: 1-line block ×16, first 2 shown]
	ds_read2_b64 v[78:81], v76 offset0:41 offset1:42
	v_cmp_lt_u32_e32 vcc, 3, v0
	s_waitcnt vmcnt(12) lgkmcnt(0)
	v_fma_f64 v[74:75], v[74:75], v[78:79], 0
	s_waitcnt vmcnt(10)
	v_fmac_f64_e32 v[74:75], v[82:83], v[80:81]
	ds_read2_b64 v[78:81], v76 offset0:43 offset1:44
	s_waitcnt vmcnt(8) lgkmcnt(0)
	v_fmac_f64_e32 v[74:75], v[84:85], v[78:79]
	s_waitcnt vmcnt(6)
	v_fmac_f64_e32 v[74:75], v[86:87], v[80:81]
	ds_read2_b64 v[78:81], v76 offset0:45 offset1:46
	s_waitcnt vmcnt(4) lgkmcnt(0)
	v_fmac_f64_e32 v[74:75], v[88:89], v[78:79]
	;; [unrolled: 5-line block ×3, first 2 shown]
	buffer_load_dword v79, off, s[0:3], 0 offset:100
	buffer_load_dword v78, off, s[0:3], 0 offset:96
	buffer_load_dword v83, off, s[0:3], 0 offset:108
	buffer_load_dword v82, off, s[0:3], 0 offset:104
	s_waitcnt vmcnt(2)
	v_fmac_f64_e32 v[74:75], v[78:79], v[80:81]
	ds_read2_b64 v[78:81], v76 offset0:49 offset1:50
	s_waitcnt vmcnt(0) lgkmcnt(0)
	v_fmac_f64_e32 v[74:75], v[82:83], v[78:79]
	buffer_load_dword v79, off, s[0:3], 0 offset:116
	buffer_load_dword v78, off, s[0:3], 0 offset:112
	buffer_load_dword v83, off, s[0:3], 0 offset:124
	buffer_load_dword v82, off, s[0:3], 0 offset:120
	s_waitcnt vmcnt(2)
	v_fmac_f64_e32 v[74:75], v[78:79], v[80:81]
	ds_read2_b64 v[78:81], v76 offset0:51 offset1:52
	s_waitcnt vmcnt(0) lgkmcnt(0)
	v_fmac_f64_e32 v[74:75], v[82:83], v[78:79]
	;; [unrolled: 9-line block ×10, first 2 shown]
	buffer_load_dword v79, off, s[0:3], 0 offset:260
	buffer_load_dword v78, off, s[0:3], 0 offset:256
	s_waitcnt vmcnt(0)
	v_fmac_f64_e32 v[74:75], v[78:79], v[80:81]
	buffer_load_dword v81, off, s[0:3], 0 offset:268
	buffer_load_dword v80, off, s[0:3], 0 offset:264
	ds_read2_b64 v[76:79], v76 offset0:69 offset1:70
	s_waitcnt vmcnt(0) lgkmcnt(0)
	v_fmac_f64_e32 v[74:75], v[80:81], v[76:77]
	buffer_load_dword v77, off, s[0:3], 0 offset:276
	buffer_load_dword v76, off, s[0:3], 0 offset:272
	s_waitcnt vmcnt(0)
	v_fmac_f64_e32 v[74:75], v[76:77], v[78:79]
	v_add_f64 v[72:73], v[72:73], -v[74:75]
	buffer_store_dword v73, off, s[0:3], 0 offset:36
	buffer_store_dword v72, off, s[0:3], 0 offset:32
	s_and_saveexec_b64 s[4:5], vcc
	s_cbranch_execz .LBB98_211
; %bb.210:
	buffer_load_dword v72, off, s[0:3], 0 offset:24
	buffer_load_dword v73, off, s[0:3], 0 offset:28
	v_mov_b32_e32 v74, 0
	buffer_store_dword v74, off, s[0:3], 0 offset:24
	buffer_store_dword v74, off, s[0:3], 0 offset:28
	s_waitcnt vmcnt(2)
	ds_write_b64 v1, v[72:73]
.LBB98_211:
	s_or_b64 exec, exec, s[4:5]
	s_waitcnt lgkmcnt(0)
	; wave barrier
	s_waitcnt lgkmcnt(0)
	buffer_load_dword v72, off, s[0:3], 0 offset:24
	buffer_load_dword v73, off, s[0:3], 0 offset:28
	buffer_load_dword v74, off, s[0:3], 0 offset:32
	buffer_load_dword v75, off, s[0:3], 0 offset:36
	buffer_load_dword v94, off, s[0:3], 0 offset:40
	buffer_load_dword v95, off, s[0:3], 0 offset:44
	buffer_load_dword v96, off, s[0:3], 0 offset:48
	buffer_load_dword v97, off, s[0:3], 0 offset:52
	buffer_load_dword v98, off, s[0:3], 0 offset:56
	buffer_load_dword v99, off, s[0:3], 0 offset:60
	buffer_load_dword v100, off, s[0:3], 0 offset:64
	buffer_load_dword v101, off, s[0:3], 0 offset:68
	buffer_load_dword v102, off, s[0:3], 0 offset:72
	buffer_load_dword v103, off, s[0:3], 0 offset:76
	buffer_load_dword v104, off, s[0:3], 0 offset:80
	buffer_load_dword v105, off, s[0:3], 0 offset:84
	v_mov_b32_e32 v76, 0
	ds_read_b128 v[78:81], v76 offset:320
	ds_read_b128 v[82:85], v76 offset:336
	;; [unrolled: 1-line block ×4, first 2 shown]
	v_cmp_lt_u32_e32 vcc, 2, v0
	s_waitcnt vmcnt(12) lgkmcnt(3)
	v_fma_f64 v[74:75], v[74:75], v[78:79], 0
	buffer_load_dword v79, off, s[0:3], 0 offset:92
	buffer_load_dword v78, off, s[0:3], 0 offset:88
	s_waitcnt vmcnt(12)
	v_fmac_f64_e32 v[74:75], v[94:95], v[80:81]
	s_waitcnt vmcnt(10) lgkmcnt(2)
	v_fmac_f64_e32 v[74:75], v[96:97], v[82:83]
	buffer_load_dword v83, off, s[0:3], 0 offset:100
	buffer_load_dword v82, off, s[0:3], 0 offset:96
	s_waitcnt vmcnt(10)
	v_fmac_f64_e32 v[74:75], v[98:99], v[84:85]
	s_waitcnt vmcnt(8) lgkmcnt(1)
	v_fmac_f64_e32 v[74:75], v[100:101], v[86:87]
	s_waitcnt vmcnt(6)
	v_fmac_f64_e32 v[74:75], v[102:103], v[88:89]
	s_waitcnt vmcnt(4) lgkmcnt(0)
	v_fmac_f64_e32 v[74:75], v[104:105], v[90:91]
	s_waitcnt vmcnt(2)
	v_fmac_f64_e32 v[74:75], v[78:79], v[92:93]
	ds_read_b128 v[78:81], v76 offset:384
	s_waitcnt vmcnt(0) lgkmcnt(0)
	v_fmac_f64_e32 v[74:75], v[82:83], v[78:79]
	buffer_load_dword v79, off, s[0:3], 0 offset:108
	buffer_load_dword v78, off, s[0:3], 0 offset:104
	buffer_load_dword v83, off, s[0:3], 0 offset:116
	buffer_load_dword v82, off, s[0:3], 0 offset:112
	s_waitcnt vmcnt(2)
	v_fmac_f64_e32 v[74:75], v[78:79], v[80:81]
	ds_read_b128 v[78:81], v76 offset:400
	s_waitcnt vmcnt(0) lgkmcnt(0)
	v_fmac_f64_e32 v[74:75], v[82:83], v[78:79]
	buffer_load_dword v79, off, s[0:3], 0 offset:124
	buffer_load_dword v78, off, s[0:3], 0 offset:120
	buffer_load_dword v83, off, s[0:3], 0 offset:132
	buffer_load_dword v82, off, s[0:3], 0 offset:128
	;; [unrolled: 9-line block ×10, first 2 shown]
	s_waitcnt vmcnt(2)
	v_fmac_f64_e32 v[74:75], v[78:79], v[80:81]
	ds_read_b128 v[78:81], v76 offset:544
	s_waitcnt vmcnt(0) lgkmcnt(0)
	v_fmac_f64_e32 v[74:75], v[82:83], v[78:79]
	buffer_load_dword v79, off, s[0:3], 0 offset:268
	buffer_load_dword v78, off, s[0:3], 0 offset:264
	s_waitcnt vmcnt(0)
	v_fmac_f64_e32 v[74:75], v[78:79], v[80:81]
	buffer_load_dword v79, off, s[0:3], 0 offset:276
	buffer_load_dword v78, off, s[0:3], 0 offset:272
	ds_read_b64 v[80:81], v76 offset:560
	s_waitcnt vmcnt(0) lgkmcnt(0)
	v_fmac_f64_e32 v[74:75], v[78:79], v[80:81]
	v_add_f64 v[72:73], v[72:73], -v[74:75]
	buffer_store_dword v73, off, s[0:3], 0 offset:28
	buffer_store_dword v72, off, s[0:3], 0 offset:24
	s_and_saveexec_b64 s[4:5], vcc
	s_cbranch_execz .LBB98_213
; %bb.212:
	buffer_load_dword v72, off, s[0:3], 0 offset:16
	buffer_load_dword v73, off, s[0:3], 0 offset:20
	s_waitcnt vmcnt(0)
	ds_write_b64 v1, v[72:73]
	buffer_store_dword v76, off, s[0:3], 0 offset:16
	buffer_store_dword v76, off, s[0:3], 0 offset:20
.LBB98_213:
	s_or_b64 exec, exec, s[4:5]
	s_waitcnt lgkmcnt(0)
	; wave barrier
	s_waitcnt lgkmcnt(0)
	buffer_load_dword v72, off, s[0:3], 0 offset:16
	buffer_load_dword v73, off, s[0:3], 0 offset:20
	;; [unrolled: 1-line block ×16, first 2 shown]
	ds_read2_b64 v[78:81], v76 offset0:39 offset1:40
	v_cmp_lt_u32_e32 vcc, 1, v0
	s_waitcnt vmcnt(12) lgkmcnt(0)
	v_fma_f64 v[74:75], v[74:75], v[78:79], 0
	s_waitcnt vmcnt(10)
	v_fmac_f64_e32 v[74:75], v[82:83], v[80:81]
	ds_read2_b64 v[78:81], v76 offset0:41 offset1:42
	s_waitcnt vmcnt(8) lgkmcnt(0)
	v_fmac_f64_e32 v[74:75], v[84:85], v[78:79]
	s_waitcnt vmcnt(6)
	v_fmac_f64_e32 v[74:75], v[86:87], v[80:81]
	ds_read2_b64 v[78:81], v76 offset0:43 offset1:44
	s_waitcnt vmcnt(4) lgkmcnt(0)
	v_fmac_f64_e32 v[74:75], v[88:89], v[78:79]
	s_waitcnt vmcnt(2)
	v_fmac_f64_e32 v[74:75], v[90:91], v[80:81]
	ds_read2_b64 v[78:81], v76 offset0:45 offset1:46
	s_waitcnt vmcnt(0) lgkmcnt(0)
	v_fmac_f64_e32 v[74:75], v[92:93], v[78:79]
	buffer_load_dword v79, off, s[0:3], 0 offset:84
	buffer_load_dword v78, off, s[0:3], 0 offset:80
	buffer_load_dword v83, off, s[0:3], 0 offset:92
	buffer_load_dword v82, off, s[0:3], 0 offset:88
	s_waitcnt vmcnt(2)
	v_fmac_f64_e32 v[74:75], v[78:79], v[80:81]
	ds_read2_b64 v[78:81], v76 offset0:47 offset1:48
	s_waitcnt vmcnt(0) lgkmcnt(0)
	v_fmac_f64_e32 v[74:75], v[82:83], v[78:79]
	buffer_load_dword v79, off, s[0:3], 0 offset:100
	buffer_load_dword v78, off, s[0:3], 0 offset:96
	buffer_load_dword v83, off, s[0:3], 0 offset:108
	buffer_load_dword v82, off, s[0:3], 0 offset:104
	s_waitcnt vmcnt(2)
	v_fmac_f64_e32 v[74:75], v[78:79], v[80:81]
	ds_read2_b64 v[78:81], v76 offset0:49 offset1:50
	s_waitcnt vmcnt(0) lgkmcnt(0)
	v_fmac_f64_e32 v[74:75], v[82:83], v[78:79]
	;; [unrolled: 9-line block ×11, first 2 shown]
	buffer_load_dword v79, off, s[0:3], 0 offset:260
	buffer_load_dword v78, off, s[0:3], 0 offset:256
	s_waitcnt vmcnt(0)
	v_fmac_f64_e32 v[74:75], v[78:79], v[80:81]
	buffer_load_dword v81, off, s[0:3], 0 offset:268
	buffer_load_dword v80, off, s[0:3], 0 offset:264
	ds_read2_b64 v[76:79], v76 offset0:69 offset1:70
	s_waitcnt vmcnt(0) lgkmcnt(0)
	v_fmac_f64_e32 v[74:75], v[80:81], v[76:77]
	buffer_load_dword v77, off, s[0:3], 0 offset:276
	buffer_load_dword v76, off, s[0:3], 0 offset:272
	s_waitcnt vmcnt(0)
	v_fmac_f64_e32 v[74:75], v[76:77], v[78:79]
	v_add_f64 v[72:73], v[72:73], -v[74:75]
	buffer_store_dword v73, off, s[0:3], 0 offset:20
	buffer_store_dword v72, off, s[0:3], 0 offset:16
	s_and_saveexec_b64 s[4:5], vcc
	s_cbranch_execz .LBB98_215
; %bb.214:
	buffer_load_dword v72, off, s[0:3], 0 offset:8
	buffer_load_dword v73, off, s[0:3], 0 offset:12
	v_mov_b32_e32 v74, 0
	buffer_store_dword v74, off, s[0:3], 0 offset:8
	buffer_store_dword v74, off, s[0:3], 0 offset:12
	s_waitcnt vmcnt(2)
	ds_write_b64 v1, v[72:73]
.LBB98_215:
	s_or_b64 exec, exec, s[4:5]
	s_waitcnt lgkmcnt(0)
	; wave barrier
	s_waitcnt lgkmcnt(0)
	buffer_load_dword v72, off, s[0:3], 0 offset:8
	buffer_load_dword v73, off, s[0:3], 0 offset:12
	;; [unrolled: 1-line block ×16, first 2 shown]
	v_mov_b32_e32 v76, 0
	ds_read_b128 v[78:81], v76 offset:304
	ds_read_b128 v[82:85], v76 offset:320
	;; [unrolled: 1-line block ×4, first 2 shown]
	v_cmp_ne_u32_e32 vcc, 0, v0
	s_waitcnt vmcnt(12) lgkmcnt(3)
	v_fma_f64 v[74:75], v[74:75], v[78:79], 0
	buffer_load_dword v79, off, s[0:3], 0 offset:76
	buffer_load_dword v78, off, s[0:3], 0 offset:72
	s_waitcnt vmcnt(12)
	v_fmac_f64_e32 v[74:75], v[94:95], v[80:81]
	s_waitcnt vmcnt(10) lgkmcnt(2)
	v_fmac_f64_e32 v[74:75], v[96:97], v[82:83]
	buffer_load_dword v83, off, s[0:3], 0 offset:84
	buffer_load_dword v82, off, s[0:3], 0 offset:80
	s_waitcnt vmcnt(10)
	v_fmac_f64_e32 v[74:75], v[98:99], v[84:85]
	s_waitcnt vmcnt(8) lgkmcnt(1)
	v_fmac_f64_e32 v[74:75], v[100:101], v[86:87]
	s_waitcnt vmcnt(6)
	v_fmac_f64_e32 v[74:75], v[102:103], v[88:89]
	s_waitcnt vmcnt(4) lgkmcnt(0)
	v_fmac_f64_e32 v[74:75], v[104:105], v[90:91]
	s_waitcnt vmcnt(2)
	v_fmac_f64_e32 v[74:75], v[78:79], v[92:93]
	ds_read_b128 v[78:81], v76 offset:368
	s_waitcnt vmcnt(0) lgkmcnt(0)
	v_fmac_f64_e32 v[74:75], v[82:83], v[78:79]
	buffer_load_dword v79, off, s[0:3], 0 offset:92
	buffer_load_dword v78, off, s[0:3], 0 offset:88
	buffer_load_dword v83, off, s[0:3], 0 offset:100
	buffer_load_dword v82, off, s[0:3], 0 offset:96
	s_waitcnt vmcnt(2)
	v_fmac_f64_e32 v[74:75], v[78:79], v[80:81]
	ds_read_b128 v[78:81], v76 offset:384
	s_waitcnt vmcnt(0) lgkmcnt(0)
	v_fmac_f64_e32 v[74:75], v[82:83], v[78:79]
	buffer_load_dword v79, off, s[0:3], 0 offset:108
	buffer_load_dword v78, off, s[0:3], 0 offset:104
	buffer_load_dword v83, off, s[0:3], 0 offset:116
	buffer_load_dword v82, off, s[0:3], 0 offset:112
	;; [unrolled: 9-line block ×11, first 2 shown]
	s_waitcnt vmcnt(2)
	v_fmac_f64_e32 v[74:75], v[78:79], v[80:81]
	ds_read_b128 v[78:81], v76 offset:544
	s_waitcnt vmcnt(0) lgkmcnt(0)
	v_fmac_f64_e32 v[74:75], v[82:83], v[78:79]
	buffer_load_dword v79, off, s[0:3], 0 offset:268
	buffer_load_dword v78, off, s[0:3], 0 offset:264
	s_waitcnt vmcnt(0)
	v_fmac_f64_e32 v[74:75], v[78:79], v[80:81]
	buffer_load_dword v79, off, s[0:3], 0 offset:276
	buffer_load_dword v78, off, s[0:3], 0 offset:272
	ds_read_b64 v[80:81], v76 offset:560
	s_waitcnt vmcnt(0) lgkmcnt(0)
	v_fmac_f64_e32 v[74:75], v[78:79], v[80:81]
	v_add_f64 v[72:73], v[72:73], -v[74:75]
	buffer_store_dword v73, off, s[0:3], 0 offset:12
	buffer_store_dword v72, off, s[0:3], 0 offset:8
	s_and_saveexec_b64 s[4:5], vcc
	s_cbranch_execz .LBB98_217
; %bb.216:
	buffer_load_dword v72, off, s[0:3], 0
	buffer_load_dword v73, off, s[0:3], 0 offset:4
	s_waitcnt vmcnt(0)
	ds_write_b64 v1, v[72:73]
	buffer_store_dword v76, off, s[0:3], 0
	buffer_store_dword v76, off, s[0:3], 0 offset:4
.LBB98_217:
	s_or_b64 exec, exec, s[4:5]
	s_waitcnt lgkmcnt(0)
	; wave barrier
	s_waitcnt lgkmcnt(0)
	buffer_load_dword v0, off, s[0:3], 0
	buffer_load_dword v1, off, s[0:3], 0 offset:4
	buffer_load_dword v78, off, s[0:3], 0 offset:8
	;; [unrolled: 1-line block ×15, first 2 shown]
	ds_read2_b64 v[72:75], v76 offset0:37 offset1:38
	s_and_b64 vcc, exec, s[16:17]
	s_waitcnt vmcnt(12) lgkmcnt(0)
	v_fma_f64 v[72:73], v[78:79], v[72:73], 0
	s_waitcnt vmcnt(10)
	v_fmac_f64_e32 v[72:73], v[80:81], v[74:75]
	ds_read2_b64 v[78:81], v76 offset0:39 offset1:40
	s_waitcnt vmcnt(8) lgkmcnt(0)
	v_fmac_f64_e32 v[72:73], v[82:83], v[78:79]
	s_waitcnt vmcnt(6)
	v_fmac_f64_e32 v[72:73], v[84:85], v[80:81]
	ds_read2_b64 v[78:81], v76 offset0:41 offset1:42
	s_waitcnt vmcnt(4) lgkmcnt(0)
	v_fmac_f64_e32 v[72:73], v[86:87], v[78:79]
	s_waitcnt vmcnt(2)
	v_fmac_f64_e32 v[72:73], v[88:89], v[80:81]
	ds_read2_b64 v[78:81], v76 offset0:43 offset1:44
	buffer_load_dword v75, off, s[0:3], 0 offset:68
	buffer_load_dword v74, off, s[0:3], 0 offset:64
	s_waitcnt vmcnt(2) lgkmcnt(0)
	v_fmac_f64_e32 v[72:73], v[90:91], v[78:79]
	s_waitcnt vmcnt(0)
	v_fmac_f64_e32 v[72:73], v[74:75], v[80:81]
	buffer_load_dword v75, off, s[0:3], 0 offset:76
	buffer_load_dword v74, off, s[0:3], 0 offset:72
	ds_read2_b64 v[78:81], v76 offset0:45 offset1:46
	s_waitcnt vmcnt(0) lgkmcnt(0)
	v_fmac_f64_e32 v[72:73], v[74:75], v[78:79]
	buffer_load_dword v75, off, s[0:3], 0 offset:84
	buffer_load_dword v74, off, s[0:3], 0 offset:80
	s_waitcnt vmcnt(0)
	v_fmac_f64_e32 v[72:73], v[74:75], v[80:81]
	buffer_load_dword v75, off, s[0:3], 0 offset:92
	buffer_load_dword v74, off, s[0:3], 0 offset:88
	ds_read2_b64 v[78:81], v76 offset0:47 offset1:48
	s_waitcnt vmcnt(0) lgkmcnt(0)
	v_fmac_f64_e32 v[72:73], v[74:75], v[78:79]
	buffer_load_dword v75, off, s[0:3], 0 offset:100
	buffer_load_dword v74, off, s[0:3], 0 offset:96
	s_waitcnt vmcnt(0)
	v_fmac_f64_e32 v[72:73], v[74:75], v[80:81]
	buffer_load_dword v75, off, s[0:3], 0 offset:108
	buffer_load_dword v74, off, s[0:3], 0 offset:104
	ds_read2_b64 v[78:81], v76 offset0:49 offset1:50
	s_waitcnt vmcnt(0) lgkmcnt(0)
	v_fmac_f64_e32 v[72:73], v[74:75], v[78:79]
	buffer_load_dword v75, off, s[0:3], 0 offset:116
	buffer_load_dword v74, off, s[0:3], 0 offset:112
	s_waitcnt vmcnt(0)
	v_fmac_f64_e32 v[72:73], v[74:75], v[80:81]
	buffer_load_dword v75, off, s[0:3], 0 offset:124
	buffer_load_dword v74, off, s[0:3], 0 offset:120
	ds_read2_b64 v[78:81], v76 offset0:51 offset1:52
	s_waitcnt vmcnt(0) lgkmcnt(0)
	v_fmac_f64_e32 v[72:73], v[74:75], v[78:79]
	buffer_load_dword v75, off, s[0:3], 0 offset:132
	buffer_load_dword v74, off, s[0:3], 0 offset:128
	s_waitcnt vmcnt(0)
	v_fmac_f64_e32 v[72:73], v[74:75], v[80:81]
	buffer_load_dword v75, off, s[0:3], 0 offset:140
	buffer_load_dword v74, off, s[0:3], 0 offset:136
	ds_read2_b64 v[78:81], v76 offset0:53 offset1:54
	s_waitcnt vmcnt(0) lgkmcnt(0)
	v_fmac_f64_e32 v[72:73], v[74:75], v[78:79]
	buffer_load_dword v75, off, s[0:3], 0 offset:148
	buffer_load_dword v74, off, s[0:3], 0 offset:144
	s_waitcnt vmcnt(0)
	v_fmac_f64_e32 v[72:73], v[74:75], v[80:81]
	buffer_load_dword v75, off, s[0:3], 0 offset:156
	buffer_load_dword v74, off, s[0:3], 0 offset:152
	ds_read2_b64 v[78:81], v76 offset0:55 offset1:56
	s_waitcnt vmcnt(0) lgkmcnt(0)
	v_fmac_f64_e32 v[72:73], v[74:75], v[78:79]
	buffer_load_dword v75, off, s[0:3], 0 offset:164
	buffer_load_dword v74, off, s[0:3], 0 offset:160
	s_waitcnt vmcnt(0)
	v_fmac_f64_e32 v[72:73], v[74:75], v[80:81]
	buffer_load_dword v75, off, s[0:3], 0 offset:172
	buffer_load_dword v74, off, s[0:3], 0 offset:168
	ds_read2_b64 v[78:81], v76 offset0:57 offset1:58
	s_waitcnt vmcnt(0) lgkmcnt(0)
	v_fmac_f64_e32 v[72:73], v[74:75], v[78:79]
	buffer_load_dword v75, off, s[0:3], 0 offset:180
	buffer_load_dword v74, off, s[0:3], 0 offset:176
	s_waitcnt vmcnt(0)
	v_fmac_f64_e32 v[72:73], v[74:75], v[80:81]
	buffer_load_dword v75, off, s[0:3], 0 offset:188
	buffer_load_dword v74, off, s[0:3], 0 offset:184
	ds_read2_b64 v[78:81], v76 offset0:59 offset1:60
	s_waitcnt vmcnt(0) lgkmcnt(0)
	v_fmac_f64_e32 v[72:73], v[74:75], v[78:79]
	buffer_load_dword v75, off, s[0:3], 0 offset:196
	buffer_load_dword v74, off, s[0:3], 0 offset:192
	s_waitcnt vmcnt(0)
	v_fmac_f64_e32 v[72:73], v[74:75], v[80:81]
	buffer_load_dword v75, off, s[0:3], 0 offset:204
	buffer_load_dword v74, off, s[0:3], 0 offset:200
	ds_read2_b64 v[78:81], v76 offset0:61 offset1:62
	s_waitcnt vmcnt(0) lgkmcnt(0)
	v_fmac_f64_e32 v[72:73], v[74:75], v[78:79]
	buffer_load_dword v75, off, s[0:3], 0 offset:212
	buffer_load_dword v74, off, s[0:3], 0 offset:208
	s_waitcnt vmcnt(0)
	v_fmac_f64_e32 v[72:73], v[74:75], v[80:81]
	buffer_load_dword v75, off, s[0:3], 0 offset:220
	buffer_load_dword v74, off, s[0:3], 0 offset:216
	ds_read2_b64 v[78:81], v76 offset0:63 offset1:64
	s_waitcnt vmcnt(0) lgkmcnt(0)
	v_fmac_f64_e32 v[72:73], v[74:75], v[78:79]
	buffer_load_dword v75, off, s[0:3], 0 offset:228
	buffer_load_dword v74, off, s[0:3], 0 offset:224
	s_waitcnt vmcnt(0)
	v_fmac_f64_e32 v[72:73], v[74:75], v[80:81]
	buffer_load_dword v75, off, s[0:3], 0 offset:236
	buffer_load_dword v74, off, s[0:3], 0 offset:232
	ds_read2_b64 v[78:81], v76 offset0:65 offset1:66
	s_waitcnt vmcnt(0) lgkmcnt(0)
	v_fmac_f64_e32 v[72:73], v[74:75], v[78:79]
	buffer_load_dword v75, off, s[0:3], 0 offset:244
	buffer_load_dword v74, off, s[0:3], 0 offset:240
	s_waitcnt vmcnt(0)
	v_fmac_f64_e32 v[72:73], v[74:75], v[80:81]
	buffer_load_dword v75, off, s[0:3], 0 offset:252
	buffer_load_dword v74, off, s[0:3], 0 offset:248
	ds_read2_b64 v[78:81], v76 offset0:67 offset1:68
	s_waitcnt vmcnt(0) lgkmcnt(0)
	v_fmac_f64_e32 v[72:73], v[74:75], v[78:79]
	buffer_load_dword v75, off, s[0:3], 0 offset:260
	buffer_load_dword v74, off, s[0:3], 0 offset:256
	s_waitcnt vmcnt(0)
	v_fmac_f64_e32 v[72:73], v[74:75], v[80:81]
	buffer_load_dword v75, off, s[0:3], 0 offset:268
	buffer_load_dword v74, off, s[0:3], 0 offset:264
	ds_read2_b64 v[76:79], v76 offset0:69 offset1:70
	s_waitcnt vmcnt(0) lgkmcnt(0)
	v_fmac_f64_e32 v[72:73], v[74:75], v[76:77]
	buffer_load_dword v77, off, s[0:3], 0 offset:276
	buffer_load_dword v76, off, s[0:3], 0 offset:272
	s_waitcnt vmcnt(0)
	v_fmac_f64_e32 v[72:73], v[76:77], v[78:79]
	v_add_f64 v[0:1], v[0:1], -v[72:73]
	buffer_store_dword v1, off, s[0:3], 0 offset:4
	buffer_store_dword v0, off, s[0:3], 0
	s_cbranch_vccz .LBB98_287
; %bb.218:
	v_pk_mov_b32 v[0:1], s[10:11], s[10:11] op_sel:[0,1]
	flat_load_dword v0, v[0:1] offset:132
	s_waitcnt vmcnt(0) lgkmcnt(0)
	v_add_u32_e32 v0, -1, v0
	v_cmp_ne_u32_e32 vcc, 33, v0
	s_and_saveexec_b64 s[4:5], vcc
	s_cbranch_execz .LBB98_220
; %bb.219:
	v_mov_b32_e32 v1, 0
	v_lshl_add_u32 v0, v0, 3, v1
	buffer_load_dword v1, v0, s[0:3], 0 offen
	buffer_load_dword v72, v0, s[0:3], 0 offen offset:4
	s_waitcnt vmcnt(1)
	buffer_store_dword v1, off, s[0:3], 0 offset:264
	s_waitcnt vmcnt(1)
	buffer_store_dword v72, off, s[0:3], 0 offset:268
	buffer_store_dword v74, v0, s[0:3], 0 offen
	buffer_store_dword v75, v0, s[0:3], 0 offen offset:4
.LBB98_220:
	s_or_b64 exec, exec, s[4:5]
	v_pk_mov_b32 v[0:1], s[10:11], s[10:11] op_sel:[0,1]
	flat_load_dword v0, v[0:1] offset:128
	s_waitcnt vmcnt(0) lgkmcnt(0)
	v_add_u32_e32 v0, -1, v0
	v_cmp_ne_u32_e32 vcc, 32, v0
	s_and_saveexec_b64 s[4:5], vcc
	s_cbranch_execz .LBB98_222
; %bb.221:
	v_mov_b32_e32 v1, 0
	v_lshl_add_u32 v0, v0, 3, v1
	buffer_load_dword v1, v0, s[0:3], 0 offen
	buffer_load_dword v72, v0, s[0:3], 0 offen offset:4
	buffer_load_dword v73, off, s[0:3], 0 offset:260
	buffer_load_dword v74, off, s[0:3], 0 offset:256
	s_waitcnt vmcnt(3)
	buffer_store_dword v1, off, s[0:3], 0 offset:256
	s_waitcnt vmcnt(3)
	buffer_store_dword v72, off, s[0:3], 0 offset:260
	s_waitcnt vmcnt(3)
	buffer_store_dword v73, v0, s[0:3], 0 offen offset:4
	s_waitcnt vmcnt(3)
	buffer_store_dword v74, v0, s[0:3], 0 offen
.LBB98_222:
	s_or_b64 exec, exec, s[4:5]
	v_pk_mov_b32 v[0:1], s[10:11], s[10:11] op_sel:[0,1]
	flat_load_dword v0, v[0:1] offset:124
	s_waitcnt vmcnt(0) lgkmcnt(0)
	v_add_u32_e32 v0, -1, v0
	v_cmp_ne_u32_e32 vcc, 31, v0
	s_and_saveexec_b64 s[4:5], vcc
	s_cbranch_execz .LBB98_224
; %bb.223:
	v_mov_b32_e32 v1, 0
	v_lshl_add_u32 v0, v0, 3, v1
	buffer_load_dword v1, v0, s[0:3], 0 offen
	buffer_load_dword v72, v0, s[0:3], 0 offen offset:4
	buffer_load_dword v73, off, s[0:3], 0 offset:248
	buffer_load_dword v74, off, s[0:3], 0 offset:252
	s_waitcnt vmcnt(3)
	buffer_store_dword v1, off, s[0:3], 0 offset:248
	s_waitcnt vmcnt(3)
	buffer_store_dword v72, off, s[0:3], 0 offset:252
	s_waitcnt vmcnt(3)
	buffer_store_dword v73, v0, s[0:3], 0 offen
	s_waitcnt vmcnt(3)
	buffer_store_dword v74, v0, s[0:3], 0 offen offset:4
.LBB98_224:
	s_or_b64 exec, exec, s[4:5]
	v_pk_mov_b32 v[0:1], s[10:11], s[10:11] op_sel:[0,1]
	flat_load_dword v0, v[0:1] offset:120
	s_waitcnt vmcnt(0) lgkmcnt(0)
	v_add_u32_e32 v0, -1, v0
	v_cmp_ne_u32_e32 vcc, 30, v0
	s_and_saveexec_b64 s[4:5], vcc
	s_cbranch_execz .LBB98_226
; %bb.225:
	v_mov_b32_e32 v1, 0
	v_lshl_add_u32 v0, v0, 3, v1
	buffer_load_dword v1, v0, s[0:3], 0 offen
	buffer_load_dword v72, v0, s[0:3], 0 offen offset:4
	buffer_load_dword v73, off, s[0:3], 0 offset:244
	buffer_load_dword v74, off, s[0:3], 0 offset:240
	s_waitcnt vmcnt(3)
	buffer_store_dword v1, off, s[0:3], 0 offset:240
	s_waitcnt vmcnt(3)
	buffer_store_dword v72, off, s[0:3], 0 offset:244
	s_waitcnt vmcnt(3)
	buffer_store_dword v73, v0, s[0:3], 0 offen offset:4
	s_waitcnt vmcnt(3)
	buffer_store_dword v74, v0, s[0:3], 0 offen
.LBB98_226:
	s_or_b64 exec, exec, s[4:5]
	v_pk_mov_b32 v[0:1], s[10:11], s[10:11] op_sel:[0,1]
	flat_load_dword v0, v[0:1] offset:116
	s_waitcnt vmcnt(0) lgkmcnt(0)
	v_add_u32_e32 v0, -1, v0
	v_cmp_ne_u32_e32 vcc, 29, v0
	s_and_saveexec_b64 s[4:5], vcc
	s_cbranch_execz .LBB98_228
; %bb.227:
	v_mov_b32_e32 v1, 0
	v_lshl_add_u32 v0, v0, 3, v1
	buffer_load_dword v1, v0, s[0:3], 0 offen
	buffer_load_dword v72, v0, s[0:3], 0 offen offset:4
	buffer_load_dword v73, off, s[0:3], 0 offset:232
	buffer_load_dword v74, off, s[0:3], 0 offset:236
	s_waitcnt vmcnt(3)
	buffer_store_dword v1, off, s[0:3], 0 offset:232
	s_waitcnt vmcnt(3)
	buffer_store_dword v72, off, s[0:3], 0 offset:236
	s_waitcnt vmcnt(3)
	buffer_store_dword v73, v0, s[0:3], 0 offen
	s_waitcnt vmcnt(3)
	buffer_store_dword v74, v0, s[0:3], 0 offen offset:4
.LBB98_228:
	s_or_b64 exec, exec, s[4:5]
	v_pk_mov_b32 v[0:1], s[10:11], s[10:11] op_sel:[0,1]
	flat_load_dword v0, v[0:1] offset:112
	s_waitcnt vmcnt(0) lgkmcnt(0)
	v_add_u32_e32 v0, -1, v0
	v_cmp_ne_u32_e32 vcc, 28, v0
	s_and_saveexec_b64 s[4:5], vcc
	s_cbranch_execz .LBB98_230
; %bb.229:
	v_mov_b32_e32 v1, 0
	v_lshl_add_u32 v0, v0, 3, v1
	buffer_load_dword v1, v0, s[0:3], 0 offen
	buffer_load_dword v72, v0, s[0:3], 0 offen offset:4
	buffer_load_dword v73, off, s[0:3], 0 offset:228
	buffer_load_dword v74, off, s[0:3], 0 offset:224
	s_waitcnt vmcnt(3)
	buffer_store_dword v1, off, s[0:3], 0 offset:224
	s_waitcnt vmcnt(3)
	buffer_store_dword v72, off, s[0:3], 0 offset:228
	s_waitcnt vmcnt(3)
	buffer_store_dword v73, v0, s[0:3], 0 offen offset:4
	s_waitcnt vmcnt(3)
	buffer_store_dword v74, v0, s[0:3], 0 offen
.LBB98_230:
	s_or_b64 exec, exec, s[4:5]
	v_pk_mov_b32 v[0:1], s[10:11], s[10:11] op_sel:[0,1]
	flat_load_dword v0, v[0:1] offset:108
	s_waitcnt vmcnt(0) lgkmcnt(0)
	v_add_u32_e32 v0, -1, v0
	v_cmp_ne_u32_e32 vcc, 27, v0
	s_and_saveexec_b64 s[4:5], vcc
	s_cbranch_execz .LBB98_232
; %bb.231:
	v_mov_b32_e32 v1, 0
	v_lshl_add_u32 v0, v0, 3, v1
	buffer_load_dword v1, v0, s[0:3], 0 offen
	buffer_load_dword v72, v0, s[0:3], 0 offen offset:4
	buffer_load_dword v73, off, s[0:3], 0 offset:216
	buffer_load_dword v74, off, s[0:3], 0 offset:220
	s_waitcnt vmcnt(3)
	buffer_store_dword v1, off, s[0:3], 0 offset:216
	s_waitcnt vmcnt(3)
	buffer_store_dword v72, off, s[0:3], 0 offset:220
	s_waitcnt vmcnt(3)
	buffer_store_dword v73, v0, s[0:3], 0 offen
	s_waitcnt vmcnt(3)
	buffer_store_dword v74, v0, s[0:3], 0 offen offset:4
.LBB98_232:
	s_or_b64 exec, exec, s[4:5]
	v_pk_mov_b32 v[0:1], s[10:11], s[10:11] op_sel:[0,1]
	flat_load_dword v0, v[0:1] offset:104
	s_waitcnt vmcnt(0) lgkmcnt(0)
	v_add_u32_e32 v0, -1, v0
	v_cmp_ne_u32_e32 vcc, 26, v0
	s_and_saveexec_b64 s[4:5], vcc
	s_cbranch_execz .LBB98_234
; %bb.233:
	v_mov_b32_e32 v1, 0
	v_lshl_add_u32 v0, v0, 3, v1
	buffer_load_dword v1, v0, s[0:3], 0 offen
	buffer_load_dword v72, v0, s[0:3], 0 offen offset:4
	buffer_load_dword v73, off, s[0:3], 0 offset:212
	buffer_load_dword v74, off, s[0:3], 0 offset:208
	s_waitcnt vmcnt(3)
	buffer_store_dword v1, off, s[0:3], 0 offset:208
	s_waitcnt vmcnt(3)
	buffer_store_dword v72, off, s[0:3], 0 offset:212
	s_waitcnt vmcnt(3)
	buffer_store_dword v73, v0, s[0:3], 0 offen offset:4
	s_waitcnt vmcnt(3)
	buffer_store_dword v74, v0, s[0:3], 0 offen
.LBB98_234:
	s_or_b64 exec, exec, s[4:5]
	v_pk_mov_b32 v[0:1], s[10:11], s[10:11] op_sel:[0,1]
	flat_load_dword v0, v[0:1] offset:100
	s_waitcnt vmcnt(0) lgkmcnt(0)
	v_add_u32_e32 v0, -1, v0
	v_cmp_ne_u32_e32 vcc, 25, v0
	s_and_saveexec_b64 s[4:5], vcc
	s_cbranch_execz .LBB98_236
; %bb.235:
	v_mov_b32_e32 v1, 0
	v_lshl_add_u32 v0, v0, 3, v1
	buffer_load_dword v1, v0, s[0:3], 0 offen
	buffer_load_dword v72, v0, s[0:3], 0 offen offset:4
	buffer_load_dword v73, off, s[0:3], 0 offset:200
	buffer_load_dword v74, off, s[0:3], 0 offset:204
	s_waitcnt vmcnt(3)
	buffer_store_dword v1, off, s[0:3], 0 offset:200
	s_waitcnt vmcnt(3)
	buffer_store_dword v72, off, s[0:3], 0 offset:204
	s_waitcnt vmcnt(3)
	buffer_store_dword v73, v0, s[0:3], 0 offen
	s_waitcnt vmcnt(3)
	buffer_store_dword v74, v0, s[0:3], 0 offen offset:4
.LBB98_236:
	s_or_b64 exec, exec, s[4:5]
	v_pk_mov_b32 v[0:1], s[10:11], s[10:11] op_sel:[0,1]
	flat_load_dword v0, v[0:1] offset:96
	s_waitcnt vmcnt(0) lgkmcnt(0)
	v_add_u32_e32 v0, -1, v0
	v_cmp_ne_u32_e32 vcc, 24, v0
	s_and_saveexec_b64 s[4:5], vcc
	s_cbranch_execz .LBB98_238
; %bb.237:
	v_mov_b32_e32 v1, 0
	v_lshl_add_u32 v0, v0, 3, v1
	buffer_load_dword v1, v0, s[0:3], 0 offen
	buffer_load_dword v72, v0, s[0:3], 0 offen offset:4
	buffer_load_dword v73, off, s[0:3], 0 offset:196
	buffer_load_dword v74, off, s[0:3], 0 offset:192
	s_waitcnt vmcnt(3)
	buffer_store_dword v1, off, s[0:3], 0 offset:192
	s_waitcnt vmcnt(3)
	buffer_store_dword v72, off, s[0:3], 0 offset:196
	s_waitcnt vmcnt(3)
	buffer_store_dword v73, v0, s[0:3], 0 offen offset:4
	s_waitcnt vmcnt(3)
	buffer_store_dword v74, v0, s[0:3], 0 offen
.LBB98_238:
	s_or_b64 exec, exec, s[4:5]
	v_pk_mov_b32 v[0:1], s[10:11], s[10:11] op_sel:[0,1]
	flat_load_dword v0, v[0:1] offset:92
	s_waitcnt vmcnt(0) lgkmcnt(0)
	v_add_u32_e32 v0, -1, v0
	v_cmp_ne_u32_e32 vcc, 23, v0
	s_and_saveexec_b64 s[4:5], vcc
	s_cbranch_execz .LBB98_240
; %bb.239:
	v_mov_b32_e32 v1, 0
	v_lshl_add_u32 v0, v0, 3, v1
	buffer_load_dword v1, v0, s[0:3], 0 offen
	buffer_load_dword v72, v0, s[0:3], 0 offen offset:4
	buffer_load_dword v73, off, s[0:3], 0 offset:184
	buffer_load_dword v74, off, s[0:3], 0 offset:188
	s_waitcnt vmcnt(3)
	buffer_store_dword v1, off, s[0:3], 0 offset:184
	s_waitcnt vmcnt(3)
	buffer_store_dword v72, off, s[0:3], 0 offset:188
	s_waitcnt vmcnt(3)
	buffer_store_dword v73, v0, s[0:3], 0 offen
	s_waitcnt vmcnt(3)
	buffer_store_dword v74, v0, s[0:3], 0 offen offset:4
.LBB98_240:
	s_or_b64 exec, exec, s[4:5]
	v_pk_mov_b32 v[0:1], s[10:11], s[10:11] op_sel:[0,1]
	flat_load_dword v0, v[0:1] offset:88
	s_waitcnt vmcnt(0) lgkmcnt(0)
	v_add_u32_e32 v0, -1, v0
	v_cmp_ne_u32_e32 vcc, 22, v0
	s_and_saveexec_b64 s[4:5], vcc
	s_cbranch_execz .LBB98_242
; %bb.241:
	v_mov_b32_e32 v1, 0
	v_lshl_add_u32 v0, v0, 3, v1
	buffer_load_dword v1, v0, s[0:3], 0 offen
	buffer_load_dword v72, v0, s[0:3], 0 offen offset:4
	buffer_load_dword v73, off, s[0:3], 0 offset:180
	buffer_load_dword v74, off, s[0:3], 0 offset:176
	s_waitcnt vmcnt(3)
	buffer_store_dword v1, off, s[0:3], 0 offset:176
	s_waitcnt vmcnt(3)
	buffer_store_dword v72, off, s[0:3], 0 offset:180
	s_waitcnt vmcnt(3)
	buffer_store_dword v73, v0, s[0:3], 0 offen offset:4
	s_waitcnt vmcnt(3)
	buffer_store_dword v74, v0, s[0:3], 0 offen
.LBB98_242:
	s_or_b64 exec, exec, s[4:5]
	v_pk_mov_b32 v[0:1], s[10:11], s[10:11] op_sel:[0,1]
	flat_load_dword v0, v[0:1] offset:84
	s_waitcnt vmcnt(0) lgkmcnt(0)
	v_add_u32_e32 v0, -1, v0
	v_cmp_ne_u32_e32 vcc, 21, v0
	s_and_saveexec_b64 s[4:5], vcc
	s_cbranch_execz .LBB98_244
; %bb.243:
	v_mov_b32_e32 v1, 0
	v_lshl_add_u32 v0, v0, 3, v1
	buffer_load_dword v1, v0, s[0:3], 0 offen
	buffer_load_dword v72, v0, s[0:3], 0 offen offset:4
	buffer_load_dword v73, off, s[0:3], 0 offset:168
	buffer_load_dword v74, off, s[0:3], 0 offset:172
	s_waitcnt vmcnt(3)
	buffer_store_dword v1, off, s[0:3], 0 offset:168
	s_waitcnt vmcnt(3)
	buffer_store_dword v72, off, s[0:3], 0 offset:172
	s_waitcnt vmcnt(3)
	buffer_store_dword v73, v0, s[0:3], 0 offen
	s_waitcnt vmcnt(3)
	buffer_store_dword v74, v0, s[0:3], 0 offen offset:4
.LBB98_244:
	s_or_b64 exec, exec, s[4:5]
	v_pk_mov_b32 v[0:1], s[10:11], s[10:11] op_sel:[0,1]
	flat_load_dword v0, v[0:1] offset:80
	s_waitcnt vmcnt(0) lgkmcnt(0)
	v_add_u32_e32 v0, -1, v0
	v_cmp_ne_u32_e32 vcc, 20, v0
	s_and_saveexec_b64 s[4:5], vcc
	s_cbranch_execz .LBB98_246
; %bb.245:
	v_mov_b32_e32 v1, 0
	v_lshl_add_u32 v0, v0, 3, v1
	buffer_load_dword v1, v0, s[0:3], 0 offen
	buffer_load_dword v72, v0, s[0:3], 0 offen offset:4
	buffer_load_dword v73, off, s[0:3], 0 offset:164
	buffer_load_dword v74, off, s[0:3], 0 offset:160
	s_waitcnt vmcnt(3)
	buffer_store_dword v1, off, s[0:3], 0 offset:160
	s_waitcnt vmcnt(3)
	buffer_store_dword v72, off, s[0:3], 0 offset:164
	s_waitcnt vmcnt(3)
	buffer_store_dword v73, v0, s[0:3], 0 offen offset:4
	s_waitcnt vmcnt(3)
	buffer_store_dword v74, v0, s[0:3], 0 offen
.LBB98_246:
	s_or_b64 exec, exec, s[4:5]
	v_pk_mov_b32 v[0:1], s[10:11], s[10:11] op_sel:[0,1]
	flat_load_dword v0, v[0:1] offset:76
	s_waitcnt vmcnt(0) lgkmcnt(0)
	v_add_u32_e32 v0, -1, v0
	v_cmp_ne_u32_e32 vcc, 19, v0
	s_and_saveexec_b64 s[4:5], vcc
	s_cbranch_execz .LBB98_248
; %bb.247:
	v_mov_b32_e32 v1, 0
	v_lshl_add_u32 v0, v0, 3, v1
	buffer_load_dword v1, v0, s[0:3], 0 offen
	buffer_load_dword v72, v0, s[0:3], 0 offen offset:4
	buffer_load_dword v73, off, s[0:3], 0 offset:152
	buffer_load_dword v74, off, s[0:3], 0 offset:156
	s_waitcnt vmcnt(3)
	buffer_store_dword v1, off, s[0:3], 0 offset:152
	s_waitcnt vmcnt(3)
	buffer_store_dword v72, off, s[0:3], 0 offset:156
	s_waitcnt vmcnt(3)
	buffer_store_dword v73, v0, s[0:3], 0 offen
	s_waitcnt vmcnt(3)
	buffer_store_dword v74, v0, s[0:3], 0 offen offset:4
.LBB98_248:
	s_or_b64 exec, exec, s[4:5]
	v_pk_mov_b32 v[0:1], s[10:11], s[10:11] op_sel:[0,1]
	flat_load_dword v0, v[0:1] offset:72
	s_waitcnt vmcnt(0) lgkmcnt(0)
	v_add_u32_e32 v0, -1, v0
	v_cmp_ne_u32_e32 vcc, 18, v0
	s_and_saveexec_b64 s[4:5], vcc
	s_cbranch_execz .LBB98_250
; %bb.249:
	v_mov_b32_e32 v1, 0
	v_lshl_add_u32 v0, v0, 3, v1
	buffer_load_dword v1, v0, s[0:3], 0 offen
	buffer_load_dword v72, v0, s[0:3], 0 offen offset:4
	buffer_load_dword v73, off, s[0:3], 0 offset:148
	buffer_load_dword v74, off, s[0:3], 0 offset:144
	s_waitcnt vmcnt(3)
	buffer_store_dword v1, off, s[0:3], 0 offset:144
	s_waitcnt vmcnt(3)
	buffer_store_dword v72, off, s[0:3], 0 offset:148
	s_waitcnt vmcnt(3)
	buffer_store_dword v73, v0, s[0:3], 0 offen offset:4
	s_waitcnt vmcnt(3)
	buffer_store_dword v74, v0, s[0:3], 0 offen
.LBB98_250:
	s_or_b64 exec, exec, s[4:5]
	v_pk_mov_b32 v[0:1], s[10:11], s[10:11] op_sel:[0,1]
	flat_load_dword v0, v[0:1] offset:68
	s_waitcnt vmcnt(0) lgkmcnt(0)
	v_add_u32_e32 v0, -1, v0
	v_cmp_ne_u32_e32 vcc, 17, v0
	s_and_saveexec_b64 s[4:5], vcc
	s_cbranch_execz .LBB98_252
; %bb.251:
	v_mov_b32_e32 v1, 0
	v_lshl_add_u32 v0, v0, 3, v1
	buffer_load_dword v1, v0, s[0:3], 0 offen
	buffer_load_dword v72, v0, s[0:3], 0 offen offset:4
	buffer_load_dword v73, off, s[0:3], 0 offset:136
	buffer_load_dword v74, off, s[0:3], 0 offset:140
	s_waitcnt vmcnt(3)
	buffer_store_dword v1, off, s[0:3], 0 offset:136
	s_waitcnt vmcnt(3)
	buffer_store_dword v72, off, s[0:3], 0 offset:140
	s_waitcnt vmcnt(3)
	buffer_store_dword v73, v0, s[0:3], 0 offen
	s_waitcnt vmcnt(3)
	buffer_store_dword v74, v0, s[0:3], 0 offen offset:4
.LBB98_252:
	s_or_b64 exec, exec, s[4:5]
	v_pk_mov_b32 v[0:1], s[10:11], s[10:11] op_sel:[0,1]
	flat_load_dword v0, v[0:1] offset:64
	s_waitcnt vmcnt(0) lgkmcnt(0)
	v_add_u32_e32 v0, -1, v0
	v_cmp_ne_u32_e32 vcc, 16, v0
	s_and_saveexec_b64 s[4:5], vcc
	s_cbranch_execz .LBB98_254
; %bb.253:
	v_mov_b32_e32 v1, 0
	v_lshl_add_u32 v0, v0, 3, v1
	buffer_load_dword v1, v0, s[0:3], 0 offen
	buffer_load_dword v72, v0, s[0:3], 0 offen offset:4
	buffer_load_dword v73, off, s[0:3], 0 offset:132
	buffer_load_dword v74, off, s[0:3], 0 offset:128
	s_waitcnt vmcnt(3)
	buffer_store_dword v1, off, s[0:3], 0 offset:128
	s_waitcnt vmcnt(3)
	buffer_store_dword v72, off, s[0:3], 0 offset:132
	s_waitcnt vmcnt(3)
	buffer_store_dword v73, v0, s[0:3], 0 offen offset:4
	s_waitcnt vmcnt(3)
	buffer_store_dword v74, v0, s[0:3], 0 offen
.LBB98_254:
	s_or_b64 exec, exec, s[4:5]
	v_pk_mov_b32 v[0:1], s[10:11], s[10:11] op_sel:[0,1]
	flat_load_dword v0, v[0:1] offset:60
	s_waitcnt vmcnt(0) lgkmcnt(0)
	v_add_u32_e32 v0, -1, v0
	v_cmp_ne_u32_e32 vcc, 15, v0
	s_and_saveexec_b64 s[4:5], vcc
	s_cbranch_execz .LBB98_256
; %bb.255:
	v_mov_b32_e32 v1, 0
	v_lshl_add_u32 v0, v0, 3, v1
	buffer_load_dword v1, v0, s[0:3], 0 offen
	buffer_load_dword v72, v0, s[0:3], 0 offen offset:4
	buffer_load_dword v73, off, s[0:3], 0 offset:120
	buffer_load_dword v74, off, s[0:3], 0 offset:124
	s_waitcnt vmcnt(3)
	buffer_store_dword v1, off, s[0:3], 0 offset:120
	s_waitcnt vmcnt(3)
	buffer_store_dword v72, off, s[0:3], 0 offset:124
	s_waitcnt vmcnt(3)
	buffer_store_dword v73, v0, s[0:3], 0 offen
	s_waitcnt vmcnt(3)
	buffer_store_dword v74, v0, s[0:3], 0 offen offset:4
.LBB98_256:
	s_or_b64 exec, exec, s[4:5]
	v_pk_mov_b32 v[0:1], s[10:11], s[10:11] op_sel:[0,1]
	flat_load_dword v0, v[0:1] offset:56
	s_waitcnt vmcnt(0) lgkmcnt(0)
	v_add_u32_e32 v0, -1, v0
	v_cmp_ne_u32_e32 vcc, 14, v0
	s_and_saveexec_b64 s[4:5], vcc
	s_cbranch_execz .LBB98_258
; %bb.257:
	v_mov_b32_e32 v1, 0
	v_lshl_add_u32 v0, v0, 3, v1
	buffer_load_dword v1, v0, s[0:3], 0 offen
	buffer_load_dword v72, v0, s[0:3], 0 offen offset:4
	buffer_load_dword v73, off, s[0:3], 0 offset:116
	buffer_load_dword v74, off, s[0:3], 0 offset:112
	s_waitcnt vmcnt(3)
	buffer_store_dword v1, off, s[0:3], 0 offset:112
	s_waitcnt vmcnt(3)
	buffer_store_dword v72, off, s[0:3], 0 offset:116
	s_waitcnt vmcnt(3)
	buffer_store_dword v73, v0, s[0:3], 0 offen offset:4
	s_waitcnt vmcnt(3)
	buffer_store_dword v74, v0, s[0:3], 0 offen
.LBB98_258:
	s_or_b64 exec, exec, s[4:5]
	v_pk_mov_b32 v[0:1], s[10:11], s[10:11] op_sel:[0,1]
	flat_load_dword v0, v[0:1] offset:52
	s_waitcnt vmcnt(0) lgkmcnt(0)
	v_add_u32_e32 v0, -1, v0
	v_cmp_ne_u32_e32 vcc, 13, v0
	s_and_saveexec_b64 s[4:5], vcc
	s_cbranch_execz .LBB98_260
; %bb.259:
	v_mov_b32_e32 v1, 0
	v_lshl_add_u32 v0, v0, 3, v1
	buffer_load_dword v1, v0, s[0:3], 0 offen
	buffer_load_dword v72, v0, s[0:3], 0 offen offset:4
	buffer_load_dword v73, off, s[0:3], 0 offset:104
	buffer_load_dword v74, off, s[0:3], 0 offset:108
	s_waitcnt vmcnt(3)
	buffer_store_dword v1, off, s[0:3], 0 offset:104
	s_waitcnt vmcnt(3)
	buffer_store_dword v72, off, s[0:3], 0 offset:108
	s_waitcnt vmcnt(3)
	buffer_store_dword v73, v0, s[0:3], 0 offen
	s_waitcnt vmcnt(3)
	buffer_store_dword v74, v0, s[0:3], 0 offen offset:4
.LBB98_260:
	s_or_b64 exec, exec, s[4:5]
	v_pk_mov_b32 v[0:1], s[10:11], s[10:11] op_sel:[0,1]
	flat_load_dword v0, v[0:1] offset:48
	s_waitcnt vmcnt(0) lgkmcnt(0)
	v_add_u32_e32 v0, -1, v0
	v_cmp_ne_u32_e32 vcc, 12, v0
	s_and_saveexec_b64 s[4:5], vcc
	s_cbranch_execz .LBB98_262
; %bb.261:
	v_mov_b32_e32 v1, 0
	v_lshl_add_u32 v0, v0, 3, v1
	buffer_load_dword v1, v0, s[0:3], 0 offen
	buffer_load_dword v72, v0, s[0:3], 0 offen offset:4
	buffer_load_dword v73, off, s[0:3], 0 offset:100
	buffer_load_dword v74, off, s[0:3], 0 offset:96
	s_waitcnt vmcnt(3)
	buffer_store_dword v1, off, s[0:3], 0 offset:96
	s_waitcnt vmcnt(3)
	buffer_store_dword v72, off, s[0:3], 0 offset:100
	s_waitcnt vmcnt(3)
	buffer_store_dword v73, v0, s[0:3], 0 offen offset:4
	s_waitcnt vmcnt(3)
	buffer_store_dword v74, v0, s[0:3], 0 offen
.LBB98_262:
	s_or_b64 exec, exec, s[4:5]
	v_pk_mov_b32 v[0:1], s[10:11], s[10:11] op_sel:[0,1]
	flat_load_dword v0, v[0:1] offset:44
	s_waitcnt vmcnt(0) lgkmcnt(0)
	v_add_u32_e32 v0, -1, v0
	v_cmp_ne_u32_e32 vcc, 11, v0
	s_and_saveexec_b64 s[4:5], vcc
	s_cbranch_execz .LBB98_264
; %bb.263:
	v_mov_b32_e32 v1, 0
	v_lshl_add_u32 v0, v0, 3, v1
	buffer_load_dword v1, v0, s[0:3], 0 offen
	buffer_load_dword v72, v0, s[0:3], 0 offen offset:4
	buffer_load_dword v73, off, s[0:3], 0 offset:88
	buffer_load_dword v74, off, s[0:3], 0 offset:92
	s_waitcnt vmcnt(3)
	buffer_store_dword v1, off, s[0:3], 0 offset:88
	s_waitcnt vmcnt(3)
	buffer_store_dword v72, off, s[0:3], 0 offset:92
	s_waitcnt vmcnt(3)
	buffer_store_dword v73, v0, s[0:3], 0 offen
	s_waitcnt vmcnt(3)
	buffer_store_dword v74, v0, s[0:3], 0 offen offset:4
.LBB98_264:
	s_or_b64 exec, exec, s[4:5]
	v_pk_mov_b32 v[0:1], s[10:11], s[10:11] op_sel:[0,1]
	flat_load_dword v0, v[0:1] offset:40
	s_waitcnt vmcnt(0) lgkmcnt(0)
	v_add_u32_e32 v0, -1, v0
	v_cmp_ne_u32_e32 vcc, 10, v0
	s_and_saveexec_b64 s[4:5], vcc
	s_cbranch_execz .LBB98_266
; %bb.265:
	v_mov_b32_e32 v1, 0
	v_lshl_add_u32 v0, v0, 3, v1
	buffer_load_dword v1, v0, s[0:3], 0 offen
	buffer_load_dword v72, v0, s[0:3], 0 offen offset:4
	buffer_load_dword v73, off, s[0:3], 0 offset:84
	buffer_load_dword v74, off, s[0:3], 0 offset:80
	s_waitcnt vmcnt(3)
	buffer_store_dword v1, off, s[0:3], 0 offset:80
	s_waitcnt vmcnt(3)
	buffer_store_dword v72, off, s[0:3], 0 offset:84
	s_waitcnt vmcnt(3)
	buffer_store_dword v73, v0, s[0:3], 0 offen offset:4
	s_waitcnt vmcnt(3)
	buffer_store_dword v74, v0, s[0:3], 0 offen
.LBB98_266:
	s_or_b64 exec, exec, s[4:5]
	v_pk_mov_b32 v[0:1], s[10:11], s[10:11] op_sel:[0,1]
	flat_load_dword v0, v[0:1] offset:36
	s_waitcnt vmcnt(0) lgkmcnt(0)
	v_add_u32_e32 v0, -1, v0
	v_cmp_ne_u32_e32 vcc, 9, v0
	s_and_saveexec_b64 s[4:5], vcc
	s_cbranch_execz .LBB98_268
; %bb.267:
	v_mov_b32_e32 v1, 0
	v_lshl_add_u32 v0, v0, 3, v1
	buffer_load_dword v1, v0, s[0:3], 0 offen
	buffer_load_dword v72, v0, s[0:3], 0 offen offset:4
	buffer_load_dword v73, off, s[0:3], 0 offset:72
	buffer_load_dword v74, off, s[0:3], 0 offset:76
	s_waitcnt vmcnt(3)
	buffer_store_dword v1, off, s[0:3], 0 offset:72
	s_waitcnt vmcnt(3)
	buffer_store_dword v72, off, s[0:3], 0 offset:76
	s_waitcnt vmcnt(3)
	buffer_store_dword v73, v0, s[0:3], 0 offen
	s_waitcnt vmcnt(3)
	buffer_store_dword v74, v0, s[0:3], 0 offen offset:4
.LBB98_268:
	s_or_b64 exec, exec, s[4:5]
	v_pk_mov_b32 v[0:1], s[10:11], s[10:11] op_sel:[0,1]
	flat_load_dword v0, v[0:1] offset:32
	s_waitcnt vmcnt(0) lgkmcnt(0)
	v_add_u32_e32 v0, -1, v0
	v_cmp_ne_u32_e32 vcc, 8, v0
	s_and_saveexec_b64 s[4:5], vcc
	s_cbranch_execz .LBB98_270
; %bb.269:
	v_mov_b32_e32 v1, 0
	v_lshl_add_u32 v0, v0, 3, v1
	buffer_load_dword v1, v0, s[0:3], 0 offen
	buffer_load_dword v72, v0, s[0:3], 0 offen offset:4
	buffer_load_dword v73, off, s[0:3], 0 offset:68
	buffer_load_dword v74, off, s[0:3], 0 offset:64
	s_waitcnt vmcnt(3)
	buffer_store_dword v1, off, s[0:3], 0 offset:64
	s_waitcnt vmcnt(3)
	buffer_store_dword v72, off, s[0:3], 0 offset:68
	s_waitcnt vmcnt(3)
	buffer_store_dword v73, v0, s[0:3], 0 offen offset:4
	s_waitcnt vmcnt(3)
	buffer_store_dword v74, v0, s[0:3], 0 offen
.LBB98_270:
	s_or_b64 exec, exec, s[4:5]
	v_pk_mov_b32 v[0:1], s[10:11], s[10:11] op_sel:[0,1]
	flat_load_dword v0, v[0:1] offset:28
	s_waitcnt vmcnt(0) lgkmcnt(0)
	v_add_u32_e32 v0, -1, v0
	v_cmp_ne_u32_e32 vcc, 7, v0
	s_and_saveexec_b64 s[4:5], vcc
	s_cbranch_execz .LBB98_272
; %bb.271:
	v_mov_b32_e32 v1, 0
	v_lshl_add_u32 v0, v0, 3, v1
	buffer_load_dword v1, v0, s[0:3], 0 offen
	buffer_load_dword v72, v0, s[0:3], 0 offen offset:4
	buffer_load_dword v73, off, s[0:3], 0 offset:56
	buffer_load_dword v74, off, s[0:3], 0 offset:60
	s_waitcnt vmcnt(3)
	buffer_store_dword v1, off, s[0:3], 0 offset:56
	s_waitcnt vmcnt(3)
	buffer_store_dword v72, off, s[0:3], 0 offset:60
	s_waitcnt vmcnt(3)
	buffer_store_dword v73, v0, s[0:3], 0 offen
	s_waitcnt vmcnt(3)
	buffer_store_dword v74, v0, s[0:3], 0 offen offset:4
.LBB98_272:
	s_or_b64 exec, exec, s[4:5]
	v_pk_mov_b32 v[0:1], s[10:11], s[10:11] op_sel:[0,1]
	flat_load_dword v0, v[0:1] offset:24
	s_waitcnt vmcnt(0) lgkmcnt(0)
	v_add_u32_e32 v0, -1, v0
	v_cmp_ne_u32_e32 vcc, 6, v0
	s_and_saveexec_b64 s[4:5], vcc
	s_cbranch_execz .LBB98_274
; %bb.273:
	v_mov_b32_e32 v1, 0
	v_lshl_add_u32 v0, v0, 3, v1
	buffer_load_dword v1, v0, s[0:3], 0 offen
	buffer_load_dword v72, v0, s[0:3], 0 offen offset:4
	buffer_load_dword v73, off, s[0:3], 0 offset:52
	buffer_load_dword v74, off, s[0:3], 0 offset:48
	s_waitcnt vmcnt(3)
	buffer_store_dword v1, off, s[0:3], 0 offset:48
	s_waitcnt vmcnt(3)
	buffer_store_dword v72, off, s[0:3], 0 offset:52
	s_waitcnt vmcnt(3)
	buffer_store_dword v73, v0, s[0:3], 0 offen offset:4
	s_waitcnt vmcnt(3)
	buffer_store_dword v74, v0, s[0:3], 0 offen
.LBB98_274:
	s_or_b64 exec, exec, s[4:5]
	v_pk_mov_b32 v[0:1], s[10:11], s[10:11] op_sel:[0,1]
	flat_load_dword v0, v[0:1] offset:20
	s_waitcnt vmcnt(0) lgkmcnt(0)
	v_add_u32_e32 v0, -1, v0
	v_cmp_ne_u32_e32 vcc, 5, v0
	s_and_saveexec_b64 s[4:5], vcc
	s_cbranch_execz .LBB98_276
; %bb.275:
	v_mov_b32_e32 v1, 0
	v_lshl_add_u32 v0, v0, 3, v1
	buffer_load_dword v1, v0, s[0:3], 0 offen
	buffer_load_dword v72, v0, s[0:3], 0 offen offset:4
	buffer_load_dword v73, off, s[0:3], 0 offset:40
	buffer_load_dword v74, off, s[0:3], 0 offset:44
	s_waitcnt vmcnt(3)
	buffer_store_dword v1, off, s[0:3], 0 offset:40
	s_waitcnt vmcnt(3)
	buffer_store_dword v72, off, s[0:3], 0 offset:44
	s_waitcnt vmcnt(3)
	buffer_store_dword v73, v0, s[0:3], 0 offen
	s_waitcnt vmcnt(3)
	buffer_store_dword v74, v0, s[0:3], 0 offen offset:4
.LBB98_276:
	s_or_b64 exec, exec, s[4:5]
	v_pk_mov_b32 v[0:1], s[10:11], s[10:11] op_sel:[0,1]
	flat_load_dword v0, v[0:1] offset:16
	s_waitcnt vmcnt(0) lgkmcnt(0)
	v_add_u32_e32 v0, -1, v0
	v_cmp_ne_u32_e32 vcc, 4, v0
	s_and_saveexec_b64 s[4:5], vcc
	s_cbranch_execz .LBB98_278
; %bb.277:
	v_mov_b32_e32 v1, 0
	v_lshl_add_u32 v0, v0, 3, v1
	buffer_load_dword v1, v0, s[0:3], 0 offen
	buffer_load_dword v72, v0, s[0:3], 0 offen offset:4
	buffer_load_dword v73, off, s[0:3], 0 offset:36
	buffer_load_dword v74, off, s[0:3], 0 offset:32
	s_waitcnt vmcnt(3)
	buffer_store_dword v1, off, s[0:3], 0 offset:32
	s_waitcnt vmcnt(3)
	buffer_store_dword v72, off, s[0:3], 0 offset:36
	s_waitcnt vmcnt(3)
	buffer_store_dword v73, v0, s[0:3], 0 offen offset:4
	s_waitcnt vmcnt(3)
	buffer_store_dword v74, v0, s[0:3], 0 offen
.LBB98_278:
	s_or_b64 exec, exec, s[4:5]
	v_pk_mov_b32 v[0:1], s[10:11], s[10:11] op_sel:[0,1]
	flat_load_dword v0, v[0:1] offset:12
	s_waitcnt vmcnt(0) lgkmcnt(0)
	v_add_u32_e32 v0, -1, v0
	v_cmp_ne_u32_e32 vcc, 3, v0
	s_and_saveexec_b64 s[4:5], vcc
	s_cbranch_execz .LBB98_280
; %bb.279:
	v_mov_b32_e32 v1, 0
	v_lshl_add_u32 v0, v0, 3, v1
	buffer_load_dword v1, v0, s[0:3], 0 offen
	buffer_load_dword v72, v0, s[0:3], 0 offen offset:4
	buffer_load_dword v73, off, s[0:3], 0 offset:24
	buffer_load_dword v74, off, s[0:3], 0 offset:28
	s_waitcnt vmcnt(3)
	buffer_store_dword v1, off, s[0:3], 0 offset:24
	s_waitcnt vmcnt(3)
	buffer_store_dword v72, off, s[0:3], 0 offset:28
	s_waitcnt vmcnt(3)
	buffer_store_dword v73, v0, s[0:3], 0 offen
	s_waitcnt vmcnt(3)
	buffer_store_dword v74, v0, s[0:3], 0 offen offset:4
.LBB98_280:
	s_or_b64 exec, exec, s[4:5]
	v_pk_mov_b32 v[0:1], s[10:11], s[10:11] op_sel:[0,1]
	flat_load_dword v0, v[0:1] offset:8
	s_waitcnt vmcnt(0) lgkmcnt(0)
	v_add_u32_e32 v0, -1, v0
	v_cmp_ne_u32_e32 vcc, 2, v0
	s_and_saveexec_b64 s[4:5], vcc
	s_cbranch_execz .LBB98_282
; %bb.281:
	v_mov_b32_e32 v1, 0
	v_lshl_add_u32 v0, v0, 3, v1
	buffer_load_dword v1, v0, s[0:3], 0 offen
	buffer_load_dword v72, v0, s[0:3], 0 offen offset:4
	buffer_load_dword v73, off, s[0:3], 0 offset:20
	buffer_load_dword v74, off, s[0:3], 0 offset:16
	s_waitcnt vmcnt(3)
	buffer_store_dword v1, off, s[0:3], 0 offset:16
	s_waitcnt vmcnt(3)
	buffer_store_dword v72, off, s[0:3], 0 offset:20
	s_waitcnt vmcnt(3)
	buffer_store_dword v73, v0, s[0:3], 0 offen offset:4
	s_waitcnt vmcnt(3)
	buffer_store_dword v74, v0, s[0:3], 0 offen
.LBB98_282:
	s_or_b64 exec, exec, s[4:5]
	v_pk_mov_b32 v[0:1], s[10:11], s[10:11] op_sel:[0,1]
	flat_load_dword v0, v[0:1] offset:4
	s_waitcnt vmcnt(0) lgkmcnt(0)
	v_add_u32_e32 v0, -1, v0
	v_cmp_ne_u32_e32 vcc, 1, v0
	s_and_saveexec_b64 s[4:5], vcc
	s_cbranch_execz .LBB98_284
; %bb.283:
	v_mov_b32_e32 v1, 0
	v_lshl_add_u32 v0, v0, 3, v1
	buffer_load_dword v1, v0, s[0:3], 0 offen
	buffer_load_dword v72, v0, s[0:3], 0 offen offset:4
	buffer_load_dword v73, off, s[0:3], 0 offset:8
	buffer_load_dword v74, off, s[0:3], 0 offset:12
	s_waitcnt vmcnt(3)
	buffer_store_dword v1, off, s[0:3], 0 offset:8
	s_waitcnt vmcnt(3)
	buffer_store_dword v72, off, s[0:3], 0 offset:12
	s_waitcnt vmcnt(3)
	buffer_store_dword v73, v0, s[0:3], 0 offen
	s_waitcnt vmcnt(3)
	buffer_store_dword v74, v0, s[0:3], 0 offen offset:4
.LBB98_284:
	s_or_b64 exec, exec, s[4:5]
	v_pk_mov_b32 v[0:1], s[10:11], s[10:11] op_sel:[0,1]
	flat_load_dword v72, v[0:1]
	s_nop 0
	buffer_load_dword v0, off, s[0:3], 0
	buffer_load_dword v1, off, s[0:3], 0 offset:4
	s_waitcnt vmcnt(0) lgkmcnt(0)
	v_add_u32_e32 v72, -1, v72
	v_cmp_ne_u32_e32 vcc, 0, v72
	s_and_saveexec_b64 s[4:5], vcc
	s_cbranch_execz .LBB98_286
; %bb.285:
	v_mov_b32_e32 v73, 0
	v_lshl_add_u32 v72, v72, 3, v73
	buffer_load_dword v73, v72, s[0:3], 0 offen offset:4
	buffer_load_dword v74, v72, s[0:3], 0 offen
	s_waitcnt vmcnt(1)
	buffer_store_dword v73, off, s[0:3], 0 offset:4
	s_waitcnt vmcnt(1)
	buffer_store_dword v74, off, s[0:3], 0
	buffer_store_dword v1, v72, s[0:3], 0 offen offset:4
	buffer_store_dword v0, v72, s[0:3], 0 offen
	buffer_load_dword v0, off, s[0:3], 0
	s_nop 0
	buffer_load_dword v1, off, s[0:3], 0 offset:4
.LBB98_286:
	s_or_b64 exec, exec, s[4:5]
.LBB98_287:
	s_waitcnt vmcnt(0)
	global_store_dwordx2 v[70:71], v[0:1], off
	buffer_load_dword v0, off, s[0:3], 0 offset:8
	s_nop 0
	buffer_load_dword v1, off, s[0:3], 0 offset:12
	buffer_load_dword v70, off, s[0:3], 0 offset:16
	;; [unrolled: 1-line block ×15, first 2 shown]
	s_waitcnt vmcnt(14)
	global_store_dwordx2 v[68:69], v[0:1], off
	s_waitcnt vmcnt(13)
	global_store_dwordx2 v[2:3], v[70:71], off
	;; [unrolled: 2-line block ×8, first 2 shown]
	buffer_load_dword v0, off, s[0:3], 0 offset:72
	buffer_load_dword v1, off, s[0:3], 0 offset:76
	s_waitcnt vmcnt(0)
	global_store_dwordx2 v[14:15], v[0:1], off
	buffer_load_dword v0, off, s[0:3], 0 offset:80
	s_nop 0
	buffer_load_dword v1, off, s[0:3], 0 offset:84
	s_waitcnt vmcnt(0)
	global_store_dwordx2 v[16:17], v[0:1], off
	buffer_load_dword v0, off, s[0:3], 0 offset:88
	s_nop 0
	;; [unrolled: 5-line block ×25, first 2 shown]
	buffer_load_dword v1, off, s[0:3], 0 offset:276
	s_waitcnt vmcnt(0)
	global_store_dwordx2 v[52:53], v[0:1], off
	s_endpgm
	.section	.rodata,"a",@progbits
	.p2align	6, 0x0
	.amdhsa_kernel _ZN9rocsolver6v33100L18getri_kernel_smallILi35EdPKPdEEvT1_iilPiilS6_bb
		.amdhsa_group_segment_fixed_size 568
		.amdhsa_private_segment_fixed_size 288
		.amdhsa_kernarg_size 60
		.amdhsa_user_sgpr_count 8
		.amdhsa_user_sgpr_private_segment_buffer 1
		.amdhsa_user_sgpr_dispatch_ptr 0
		.amdhsa_user_sgpr_queue_ptr 0
		.amdhsa_user_sgpr_kernarg_segment_ptr 1
		.amdhsa_user_sgpr_dispatch_id 0
		.amdhsa_user_sgpr_flat_scratch_init 1
		.amdhsa_user_sgpr_kernarg_preload_length 0
		.amdhsa_user_sgpr_kernarg_preload_offset 0
		.amdhsa_user_sgpr_private_segment_size 0
		.amdhsa_uses_dynamic_stack 0
		.amdhsa_system_sgpr_private_segment_wavefront_offset 1
		.amdhsa_system_sgpr_workgroup_id_x 1
		.amdhsa_system_sgpr_workgroup_id_y 0
		.amdhsa_system_sgpr_workgroup_id_z 0
		.amdhsa_system_sgpr_workgroup_info 0
		.amdhsa_system_vgpr_workitem_id 0
		.amdhsa_next_free_vgpr 124
		.amdhsa_next_free_sgpr 22
		.amdhsa_accum_offset 124
		.amdhsa_reserve_vcc 1
		.amdhsa_reserve_flat_scratch 1
		.amdhsa_float_round_mode_32 0
		.amdhsa_float_round_mode_16_64 0
		.amdhsa_float_denorm_mode_32 3
		.amdhsa_float_denorm_mode_16_64 3
		.amdhsa_dx10_clamp 1
		.amdhsa_ieee_mode 1
		.amdhsa_fp16_overflow 0
		.amdhsa_tg_split 0
		.amdhsa_exception_fp_ieee_invalid_op 0
		.amdhsa_exception_fp_denorm_src 0
		.amdhsa_exception_fp_ieee_div_zero 0
		.amdhsa_exception_fp_ieee_overflow 0
		.amdhsa_exception_fp_ieee_underflow 0
		.amdhsa_exception_fp_ieee_inexact 0
		.amdhsa_exception_int_div_zero 0
	.end_amdhsa_kernel
	.section	.text._ZN9rocsolver6v33100L18getri_kernel_smallILi35EdPKPdEEvT1_iilPiilS6_bb,"axG",@progbits,_ZN9rocsolver6v33100L18getri_kernel_smallILi35EdPKPdEEvT1_iilPiilS6_bb,comdat
.Lfunc_end98:
	.size	_ZN9rocsolver6v33100L18getri_kernel_smallILi35EdPKPdEEvT1_iilPiilS6_bb, .Lfunc_end98-_ZN9rocsolver6v33100L18getri_kernel_smallILi35EdPKPdEEvT1_iilPiilS6_bb
                                        ; -- End function
	.section	.AMDGPU.csdata,"",@progbits
; Kernel info:
; codeLenInByte = 35088
; NumSgprs: 28
; NumVgprs: 124
; NumAgprs: 0
; TotalNumVgprs: 124
; ScratchSize: 288
; MemoryBound: 0
; FloatMode: 240
; IeeeMode: 1
; LDSByteSize: 568 bytes/workgroup (compile time only)
; SGPRBlocks: 3
; VGPRBlocks: 15
; NumSGPRsForWavesPerEU: 28
; NumVGPRsForWavesPerEU: 124
; AccumOffset: 124
; Occupancy: 4
; WaveLimiterHint : 1
; COMPUTE_PGM_RSRC2:SCRATCH_EN: 1
; COMPUTE_PGM_RSRC2:USER_SGPR: 8
; COMPUTE_PGM_RSRC2:TRAP_HANDLER: 0
; COMPUTE_PGM_RSRC2:TGID_X_EN: 1
; COMPUTE_PGM_RSRC2:TGID_Y_EN: 0
; COMPUTE_PGM_RSRC2:TGID_Z_EN: 0
; COMPUTE_PGM_RSRC2:TIDIG_COMP_CNT: 0
; COMPUTE_PGM_RSRC3_GFX90A:ACCUM_OFFSET: 30
; COMPUTE_PGM_RSRC3_GFX90A:TG_SPLIT: 0
	.section	.text._ZN9rocsolver6v33100L18getri_kernel_smallILi36EdPKPdEEvT1_iilPiilS6_bb,"axG",@progbits,_ZN9rocsolver6v33100L18getri_kernel_smallILi36EdPKPdEEvT1_iilPiilS6_bb,comdat
	.globl	_ZN9rocsolver6v33100L18getri_kernel_smallILi36EdPKPdEEvT1_iilPiilS6_bb ; -- Begin function _ZN9rocsolver6v33100L18getri_kernel_smallILi36EdPKPdEEvT1_iilPiilS6_bb
	.p2align	8
	.type	_ZN9rocsolver6v33100L18getri_kernel_smallILi36EdPKPdEEvT1_iilPiilS6_bb,@function
_ZN9rocsolver6v33100L18getri_kernel_smallILi36EdPKPdEEvT1_iilPiilS6_bb: ; @_ZN9rocsolver6v33100L18getri_kernel_smallILi36EdPKPdEEvT1_iilPiilS6_bb
; %bb.0:
	s_add_u32 flat_scratch_lo, s6, s9
	s_addc_u32 flat_scratch_hi, s7, 0
	s_add_u32 s0, s0, s9
	s_addc_u32 s1, s1, 0
	v_cmp_gt_u32_e32 vcc, 36, v0
	s_and_saveexec_b64 s[6:7], vcc
	s_cbranch_execz .LBB99_152
; %bb.1:
	s_load_dword s18, s[4:5], 0x38
	s_load_dwordx2 s[6:7], s[4:5], 0x0
	s_load_dwordx4 s[12:15], s[4:5], 0x28
	s_waitcnt lgkmcnt(0)
	s_bitcmp1_b32 s18, 8
	s_cselect_b64 s[16:17], -1, 0
	s_ashr_i32 s9, s8, 31
	s_lshl_b64 s[10:11], s[8:9], 3
	s_add_u32 s6, s6, s10
	s_addc_u32 s7, s7, s11
	s_load_dwordx2 s[6:7], s[6:7], 0x0
	s_bfe_u32 s10, s18, 0x10008
	s_cmp_eq_u32 s10, 0
                                        ; implicit-def: $sgpr10_sgpr11
	s_cbranch_scc1 .LBB99_3
; %bb.2:
	s_load_dword s10, s[4:5], 0x20
	s_load_dwordx2 s[20:21], s[4:5], 0x18
	s_mul_i32 s11, s8, s13
	s_mul_hi_u32 s13, s8, s12
	s_add_i32 s13, s13, s11
	s_mul_i32 s19, s9, s12
	s_add_i32 s13, s13, s19
	s_mul_i32 s12, s8, s12
	s_waitcnt lgkmcnt(0)
	s_ashr_i32 s11, s10, 31
	s_lshl_b64 s[12:13], s[12:13], 2
	s_add_u32 s12, s20, s12
	s_addc_u32 s13, s21, s13
	s_lshl_b64 s[10:11], s[10:11], 2
	s_add_u32 s10, s12, s10
	s_addc_u32 s11, s13, s11
.LBB99_3:
	s_load_dwordx2 s[4:5], s[4:5], 0x8
	s_waitcnt lgkmcnt(0)
	s_ashr_i32 s13, s4, 31
	s_mov_b32 s12, s4
	s_lshl_b64 s[12:13], s[12:13], 3
	s_add_u32 s6, s6, s12
	s_addc_u32 s7, s7, s13
	s_add_i32 s4, s5, s5
	v_add_u32_e32 v4, s4, v0
	v_ashrrev_i32_e32 v5, 31, v4
	v_lshlrev_b64 v[2:3], 3, v[4:5]
	v_add_u32_e32 v6, s5, v4
	v_mov_b32_e32 v1, s7
	v_add_co_u32_e32 v2, vcc, s6, v2
	v_ashrrev_i32_e32 v7, 31, v6
	v_addc_co_u32_e32 v3, vcc, v1, v3, vcc
	v_lshlrev_b64 v[4:5], 3, v[6:7]
	v_add_u32_e32 v8, s5, v6
	v_add_co_u32_e32 v4, vcc, s6, v4
	v_ashrrev_i32_e32 v9, 31, v8
	v_addc_co_u32_e32 v5, vcc, v1, v5, vcc
	v_lshlrev_b64 v[6:7], 3, v[8:9]
	v_add_u32_e32 v10, s5, v8
	;; [unrolled: 5-line block ×5, first 2 shown]
	v_add_co_u32_e32 v12, vcc, s6, v12
	v_ashrrev_i32_e32 v15, 31, v14
	v_addc_co_u32_e32 v13, vcc, v1, v13, vcc
	v_lshlrev_b64 v[16:17], 3, v[14:15]
	v_add_co_u32_e32 v18, vcc, s6, v16
	v_add_u32_e32 v16, s5, v14
	v_addc_co_u32_e32 v19, vcc, v1, v17, vcc
	v_ashrrev_i32_e32 v17, 31, v16
	v_lshlrev_b64 v[14:15], 3, v[16:17]
	v_add_u32_e32 v20, s5, v16
	v_add_co_u32_e32 v14, vcc, s6, v14
	v_ashrrev_i32_e32 v21, 31, v20
	v_addc_co_u32_e32 v15, vcc, v1, v15, vcc
	v_lshlrev_b64 v[16:17], 3, v[20:21]
	v_add_u32_e32 v22, s5, v20
	v_add_co_u32_e32 v16, vcc, s6, v16
	v_ashrrev_i32_e32 v23, 31, v22
	v_addc_co_u32_e32 v17, vcc, v1, v17, vcc
	;; [unrolled: 5-line block ×18, first 2 shown]
	v_lshlrev_b64 v[52:53], 3, v[54:55]
	v_add_co_u32_e32 v52, vcc, s6, v52
	v_addc_co_u32_e32 v53, vcc, v1, v53, vcc
	v_lshlrev_b32_e32 v1, 3, v0
	global_load_dwordx2 v[74:75], v1, s[6:7]
	v_mov_b32_e32 v55, s7
	v_add_co_u32_e32 v72, vcc, s6, v1
	s_ashr_i32 s13, s5, 31
	s_mov_b32 s12, s5
	v_addc_co_u32_e32 v73, vcc, 0, v55, vcc
	s_lshl_b64 s[12:13], s[12:13], 3
	v_mov_b32_e32 v55, s13
	v_add_co_u32_e32 v70, vcc, s12, v72
	v_addc_co_u32_e32 v71, vcc, v73, v55, vcc
	global_load_dwordx2 v[76:77], v[70:71], off
	global_load_dwordx2 v[78:79], v[2:3], off
	;; [unrolled: 1-line block ×10, first 2 shown]
	v_add_u32_e32 v54, s5, v54
	v_ashrrev_i32_e32 v55, 31, v54
	v_lshlrev_b64 v[56:57], 3, v[54:55]
	v_mov_b32_e32 v55, s7
	v_add_co_u32_e32 v56, vcc, s6, v56
	v_add_u32_e32 v54, s5, v54
	v_addc_co_u32_e32 v57, vcc, v55, v57, vcc
	v_ashrrev_i32_e32 v55, 31, v54
	v_lshlrev_b64 v[58:59], 3, v[54:55]
	v_mov_b32_e32 v55, s7
	v_add_co_u32_e32 v58, vcc, s6, v58
	v_add_u32_e32 v54, s5, v54
	v_addc_co_u32_e32 v59, vcc, v55, v59, vcc
	v_ashrrev_i32_e32 v55, 31, v54
	v_lshlrev_b64 v[60:61], 3, v[54:55]
	v_add_u32_e32 v54, s5, v54
	v_mov_b32_e32 v62, s7
	v_add_co_u32_e32 v60, vcc, s6, v60
	v_ashrrev_i32_e32 v55, 31, v54
	v_addc_co_u32_e32 v61, vcc, v62, v61, vcc
	v_lshlrev_b64 v[62:63], 3, v[54:55]
	v_add_u32_e32 v54, s5, v54
	v_mov_b32_e32 v64, s7
	v_add_co_u32_e32 v62, vcc, s6, v62
	v_ashrrev_i32_e32 v55, 31, v54
	v_addc_co_u32_e32 v63, vcc, v64, v63, vcc
	;; [unrolled: 6-line block ×5, first 2 shown]
	v_lshlrev_b64 v[54:55], 3, v[54:55]
	v_add_co_u32_e32 v54, vcc, s6, v54
	v_addc_co_u32_e32 v55, vcc, v96, v55, vcc
	global_load_dwordx2 v[96:97], v[20:21], off
	global_load_dwordx2 v[98:99], v[54:55], off
	global_load_dwordx2 v[100:101], v[22:23], off
	global_load_dwordx2 v[102:103], v[24:25], off
	global_load_dwordx2 v[104:105], v[28:29], off
	global_load_dwordx2 v[106:107], v[32:33], off
	global_load_dwordx2 v[108:109], v[36:37], off
	global_load_dwordx2 v[110:111], v[40:41], off
	global_load_dwordx2 v[112:113], v[44:45], off
	global_load_dwordx2 v[114:115], v[48:49], off
	global_load_dwordx2 v[116:117], v[52:53], off
	global_load_dwordx2 v[118:119], v[58:59], off
	global_load_dwordx2 v[120:121], v[62:63], off
	global_load_dwordx2 v[122:123], v[66:67], off
	s_bitcmp0_b32 s18, 0
	s_waitcnt vmcnt(24)
	buffer_store_dword v75, off, s[0:3], 0 offset:4
	buffer_store_dword v74, off, s[0:3], 0
	global_load_dwordx2 v[74:75], v[26:27], off
	s_mov_b64 s[6:7], -1
	s_waitcnt vmcnt(26)
	buffer_store_dword v77, off, s[0:3], 0 offset:12
	buffer_store_dword v76, off, s[0:3], 0 offset:8
	global_load_dwordx2 v[76:77], v[30:31], off
	s_waitcnt vmcnt(28)
	buffer_store_dword v79, off, s[0:3], 0 offset:20
	buffer_store_dword v78, off, s[0:3], 0 offset:16
	global_load_dwordx2 v[78:79], v[34:35], off
	;; [unrolled: 4-line block ×9, first 2 shown]
	s_nop 0
	buffer_store_dword v94, off, s[0:3], 0 offset:80
	buffer_store_dword v95, off, s[0:3], 0 offset:84
	global_load_dwordx2 v[94:95], v[68:69], off
	s_waitcnt vmcnt(46)
	buffer_store_dword v96, off, s[0:3], 0 offset:88
	buffer_store_dword v97, off, s[0:3], 0 offset:92
	s_waitcnt vmcnt(46)
	buffer_store_dword v100, off, s[0:3], 0 offset:96
	buffer_store_dword v101, off, s[0:3], 0 offset:100
	;; [unrolled: 3-line block ×4, first 2 shown]
	buffer_store_dword v104, off, s[0:3], 0 offset:120
	buffer_store_dword v105, off, s[0:3], 0 offset:124
	s_waitcnt vmcnt(37)
	buffer_store_dword v76, off, s[0:3], 0 offset:128
	buffer_store_dword v77, off, s[0:3], 0 offset:132
	buffer_store_dword v106, off, s[0:3], 0 offset:136
	buffer_store_dword v107, off, s[0:3], 0 offset:140
	s_waitcnt vmcnt(38)
	buffer_store_dword v78, off, s[0:3], 0 offset:144
	buffer_store_dword v79, off, s[0:3], 0 offset:148
	;; [unrolled: 5-line block ×10, first 2 shown]
	buffer_store_dword v98, off, s[0:3], 0 offset:280
	buffer_store_dword v99, off, s[0:3], 0 offset:284
	s_cbranch_scc1 .LBB99_150
; %bb.4:
	v_cmp_eq_u32_e64 s[4:5], 0, v0
	s_and_saveexec_b64 s[6:7], s[4:5]
	s_cbranch_execz .LBB99_6
; %bb.5:
	v_mov_b32_e32 v74, 0
	ds_write_b32 v74, v74 offset:576
.LBB99_6:
	s_or_b64 exec, exec, s[6:7]
	v_mov_b32_e32 v74, 0
	v_lshl_add_u32 v74, v0, 3, v74
	s_waitcnt lgkmcnt(0)
	; wave barrier
	s_waitcnt lgkmcnt(0)
	buffer_load_dword v76, v74, s[0:3], 0 offen
	buffer_load_dword v77, v74, s[0:3], 0 offen offset:4
	s_waitcnt vmcnt(0)
	v_cmp_eq_f64_e32 vcc, 0, v[76:77]
	s_and_saveexec_b64 s[12:13], vcc
	s_cbranch_execz .LBB99_10
; %bb.7:
	v_mov_b32_e32 v75, 0
	ds_read_b32 v77, v75 offset:576
	v_add_u32_e32 v76, 1, v0
	s_waitcnt lgkmcnt(0)
	v_readfirstlane_b32 s6, v77
	s_cmp_eq_u32 s6, 0
	s_cselect_b64 s[18:19], -1, 0
	v_cmp_gt_i32_e32 vcc, s6, v76
	s_or_b64 s[18:19], s[18:19], vcc
	s_and_b64 exec, exec, s[18:19]
	s_cbranch_execz .LBB99_10
; %bb.8:
	s_mov_b64 s[18:19], 0
	v_mov_b32_e32 v77, s6
.LBB99_9:                               ; =>This Inner Loop Header: Depth=1
	ds_cmpst_rtn_b32 v77, v75, v77, v76 offset:576
	s_waitcnt lgkmcnt(0)
	v_cmp_ne_u32_e32 vcc, 0, v77
	v_cmp_le_i32_e64 s[6:7], v77, v76
	s_and_b64 s[6:7], vcc, s[6:7]
	s_and_b64 s[6:7], exec, s[6:7]
	s_or_b64 s[18:19], s[6:7], s[18:19]
	s_andn2_b64 exec, exec, s[18:19]
	s_cbranch_execnz .LBB99_9
.LBB99_10:
	s_or_b64 exec, exec, s[12:13]
	v_mov_b32_e32 v76, 0
	s_waitcnt lgkmcnt(0)
	; wave barrier
	ds_read_b32 v75, v76 offset:576
	s_and_saveexec_b64 s[6:7], s[4:5]
	s_cbranch_execz .LBB99_12
; %bb.11:
	s_lshl_b64 s[12:13], s[8:9], 2
	s_add_u32 s12, s14, s12
	s_addc_u32 s13, s15, s13
	s_waitcnt lgkmcnt(0)
	global_store_dword v76, v75, s[12:13]
.LBB99_12:
	s_or_b64 exec, exec, s[6:7]
	s_waitcnt lgkmcnt(0)
	v_cmp_ne_u32_e32 vcc, 0, v75
	s_mov_b64 s[6:7], 0
	s_cbranch_vccnz .LBB99_150
; %bb.13:
	buffer_load_dword v76, v74, s[0:3], 0 offen
	buffer_load_dword v77, v74, s[0:3], 0 offen offset:4
	s_waitcnt vmcnt(0)
	v_div_scale_f64 v[78:79], s[6:7], v[76:77], v[76:77], 1.0
	v_rcp_f64_e32 v[80:81], v[78:79]
	v_div_scale_f64 v[82:83], vcc, 1.0, v[76:77], 1.0
	v_fma_f64 v[84:85], -v[78:79], v[80:81], 1.0
	v_fmac_f64_e32 v[80:81], v[80:81], v[84:85]
	v_fma_f64 v[84:85], -v[78:79], v[80:81], 1.0
	v_fmac_f64_e32 v[80:81], v[80:81], v[84:85]
	v_mul_f64 v[84:85], v[82:83], v[80:81]
	v_fma_f64 v[78:79], -v[78:79], v[84:85], v[82:83]
	v_div_fmas_f64 v[78:79], v[78:79], v[80:81], v[84:85]
	v_div_fixup_f64 v[78:79], v[78:79], v[76:77], 1.0
	buffer_store_dword v79, v74, s[0:3], 0 offen offset:4
	buffer_store_dword v78, v74, s[0:3], 0 offen
	buffer_load_dword v81, off, s[0:3], 0 offset:12
	buffer_load_dword v80, off, s[0:3], 0 offset:8
	v_add_u32_e32 v76, 0x120, v1
	v_xor_b32_e32 v79, 0x80000000, v79
	s_waitcnt vmcnt(0)
	ds_write2_b64 v1, v[78:79], v[80:81] offset1:36
	s_waitcnt lgkmcnt(0)
	; wave barrier
	s_waitcnt lgkmcnt(0)
	s_and_saveexec_b64 s[6:7], s[4:5]
	s_cbranch_execz .LBB99_15
; %bb.14:
	buffer_load_dword v78, v74, s[0:3], 0 offen
	buffer_load_dword v79, v74, s[0:3], 0 offen offset:4
	v_mov_b32_e32 v75, 0
	ds_read_b64 v[80:81], v76
	ds_read_b64 v[82:83], v75 offset:8
	s_waitcnt vmcnt(0) lgkmcnt(1)
	v_fma_f64 v[78:79], v[78:79], v[80:81], 0
	s_waitcnt lgkmcnt(0)
	v_mul_f64 v[78:79], v[78:79], v[82:83]
	buffer_store_dword v78, off, s[0:3], 0 offset:8
	buffer_store_dword v79, off, s[0:3], 0 offset:12
.LBB99_15:
	s_or_b64 exec, exec, s[6:7]
	s_waitcnt lgkmcnt(0)
	; wave barrier
	buffer_load_dword v78, off, s[0:3], 0 offset:16
	buffer_load_dword v79, off, s[0:3], 0 offset:20
	v_cmp_gt_u32_e32 vcc, 2, v0
	s_waitcnt vmcnt(0)
	ds_write_b64 v76, v[78:79]
	s_waitcnt lgkmcnt(0)
	; wave barrier
	s_waitcnt lgkmcnt(0)
	s_and_saveexec_b64 s[6:7], vcc
	s_cbranch_execz .LBB99_17
; %bb.16:
	buffer_load_dword v75, v74, s[0:3], 0 offen offset:4
	buffer_load_dword v82, off, s[0:3], 0 offset:8
	s_nop 0
	buffer_load_dword v74, v74, s[0:3], 0 offen
	s_nop 0
	buffer_load_dword v83, off, s[0:3], 0 offset:12
	ds_read_b64 v[84:85], v76
	v_mov_b32_e32 v77, 0
	ds_read2_b64 v[78:81], v77 offset0:2 offset1:37
	s_waitcnt vmcnt(1) lgkmcnt(1)
	v_fma_f64 v[74:75], v[74:75], v[84:85], 0
	s_waitcnt vmcnt(0) lgkmcnt(0)
	v_fma_f64 v[80:81], v[82:83], v[80:81], v[74:75]
	v_cndmask_b32_e64 v75, v75, v81, s[4:5]
	v_cndmask_b32_e64 v74, v74, v80, s[4:5]
	v_mul_f64 v[74:75], v[74:75], v[78:79]
	buffer_store_dword v75, off, s[0:3], 0 offset:20
	buffer_store_dword v74, off, s[0:3], 0 offset:16
.LBB99_17:
	s_or_b64 exec, exec, s[6:7]
	s_waitcnt lgkmcnt(0)
	; wave barrier
	buffer_load_dword v74, off, s[0:3], 0 offset:24
	buffer_load_dword v75, off, s[0:3], 0 offset:28
	v_cmp_gt_u32_e32 vcc, 3, v0
	v_add_u32_e32 v77, -1, v0
	s_waitcnt vmcnt(0)
	ds_write_b64 v76, v[74:75]
	s_waitcnt lgkmcnt(0)
	; wave barrier
	s_waitcnt lgkmcnt(0)
	s_and_saveexec_b64 s[4:5], vcc
	s_cbranch_execz .LBB99_21
; %bb.18:
	v_add_u32_e32 v78, -1, v0
	v_add_u32_e32 v79, 0x120, v1
	v_add_u32_e32 v80, 0, v1
	s_mov_b64 s[6:7], 0
	v_pk_mov_b32 v[74:75], 0, 0
.LBB99_19:                              ; =>This Inner Loop Header: Depth=1
	buffer_load_dword v82, v80, s[0:3], 0 offen
	buffer_load_dword v83, v80, s[0:3], 0 offen offset:4
	ds_read_b64 v[84:85], v79
	v_add_u32_e32 v78, 1, v78
	v_cmp_lt_u32_e32 vcc, 1, v78
	v_add_u32_e32 v79, 8, v79
	v_add_u32_e32 v80, 8, v80
	s_or_b64 s[6:7], vcc, s[6:7]
	s_waitcnt vmcnt(0) lgkmcnt(0)
	v_fmac_f64_e32 v[74:75], v[82:83], v[84:85]
	s_andn2_b64 exec, exec, s[6:7]
	s_cbranch_execnz .LBB99_19
; %bb.20:
	s_or_b64 exec, exec, s[6:7]
	v_mov_b32_e32 v78, 0
	ds_read_b64 v[78:79], v78 offset:24
	s_waitcnt lgkmcnt(0)
	v_mul_f64 v[74:75], v[74:75], v[78:79]
	buffer_store_dword v75, off, s[0:3], 0 offset:28
	buffer_store_dword v74, off, s[0:3], 0 offset:24
.LBB99_21:
	s_or_b64 exec, exec, s[4:5]
	s_waitcnt lgkmcnt(0)
	; wave barrier
	buffer_load_dword v74, off, s[0:3], 0 offset:32
	buffer_load_dword v75, off, s[0:3], 0 offset:36
	v_cmp_gt_u32_e32 vcc, 4, v0
	s_waitcnt vmcnt(0)
	ds_write_b64 v76, v[74:75]
	s_waitcnt lgkmcnt(0)
	; wave barrier
	s_waitcnt lgkmcnt(0)
	s_and_saveexec_b64 s[4:5], vcc
	s_cbranch_execz .LBB99_25
; %bb.22:
	v_add_u32_e32 v78, -1, v0
	v_add_u32_e32 v79, 0x120, v1
	v_add_u32_e32 v80, 0, v1
	s_mov_b64 s[6:7], 0
	v_pk_mov_b32 v[74:75], 0, 0
.LBB99_23:                              ; =>This Inner Loop Header: Depth=1
	buffer_load_dword v82, v80, s[0:3], 0 offen
	buffer_load_dword v83, v80, s[0:3], 0 offen offset:4
	ds_read_b64 v[84:85], v79
	v_add_u32_e32 v78, 1, v78
	v_cmp_lt_u32_e32 vcc, 2, v78
	v_add_u32_e32 v79, 8, v79
	v_add_u32_e32 v80, 8, v80
	s_or_b64 s[6:7], vcc, s[6:7]
	s_waitcnt vmcnt(0) lgkmcnt(0)
	v_fmac_f64_e32 v[74:75], v[82:83], v[84:85]
	s_andn2_b64 exec, exec, s[6:7]
	s_cbranch_execnz .LBB99_23
; %bb.24:
	s_or_b64 exec, exec, s[6:7]
	v_mov_b32_e32 v78, 0
	ds_read_b64 v[78:79], v78 offset:32
	s_waitcnt lgkmcnt(0)
	v_mul_f64 v[74:75], v[74:75], v[78:79]
	buffer_store_dword v75, off, s[0:3], 0 offset:36
	buffer_store_dword v74, off, s[0:3], 0 offset:32
.LBB99_25:
	s_or_b64 exec, exec, s[4:5]
	s_waitcnt lgkmcnt(0)
	; wave barrier
	buffer_load_dword v74, off, s[0:3], 0 offset:40
	buffer_load_dword v75, off, s[0:3], 0 offset:44
	v_cmp_gt_u32_e32 vcc, 5, v0
	;; [unrolled: 41-line block ×21, first 2 shown]
	s_waitcnt vmcnt(0)
	ds_write_b64 v76, v[74:75]
	s_waitcnt lgkmcnt(0)
	; wave barrier
	s_waitcnt lgkmcnt(0)
	s_and_saveexec_b64 s[4:5], vcc
	s_cbranch_execz .LBB99_105
; %bb.102:
	v_add_u32_e32 v78, -1, v0
	v_add_u32_e32 v79, 0x120, v1
	v_add_u32_e32 v80, 0, v1
	s_mov_b64 s[6:7], 0
	v_pk_mov_b32 v[74:75], 0, 0
.LBB99_103:                             ; =>This Inner Loop Header: Depth=1
	buffer_load_dword v82, v80, s[0:3], 0 offen
	buffer_load_dword v83, v80, s[0:3], 0 offen offset:4
	ds_read_b64 v[84:85], v79
	v_add_u32_e32 v78, 1, v78
	v_cmp_lt_u32_e32 vcc, 22, v78
	v_add_u32_e32 v79, 8, v79
	v_add_u32_e32 v80, 8, v80
	s_or_b64 s[6:7], vcc, s[6:7]
	s_waitcnt vmcnt(0) lgkmcnt(0)
	v_fmac_f64_e32 v[74:75], v[82:83], v[84:85]
	s_andn2_b64 exec, exec, s[6:7]
	s_cbranch_execnz .LBB99_103
; %bb.104:
	s_or_b64 exec, exec, s[6:7]
	v_mov_b32_e32 v78, 0
	ds_read_b64 v[78:79], v78 offset:192
	s_waitcnt lgkmcnt(0)
	v_mul_f64 v[74:75], v[74:75], v[78:79]
	buffer_store_dword v75, off, s[0:3], 0 offset:196
	buffer_store_dword v74, off, s[0:3], 0 offset:192
.LBB99_105:
	s_or_b64 exec, exec, s[4:5]
	s_waitcnt lgkmcnt(0)
	; wave barrier
	buffer_load_dword v74, off, s[0:3], 0 offset:200
	buffer_load_dword v75, off, s[0:3], 0 offset:204
	v_cmp_gt_u32_e32 vcc, 25, v0
	s_waitcnt vmcnt(0)
	ds_write_b64 v76, v[74:75]
	s_waitcnt lgkmcnt(0)
	; wave barrier
	s_waitcnt lgkmcnt(0)
	s_and_saveexec_b64 s[4:5], vcc
	s_cbranch_execz .LBB99_109
; %bb.106:
	v_add_u32_e32 v78, -1, v0
	v_add_u32_e32 v79, 0x120, v1
	v_add_u32_e32 v80, 0, v1
	s_mov_b64 s[6:7], 0
	v_pk_mov_b32 v[74:75], 0, 0
.LBB99_107:                             ; =>This Inner Loop Header: Depth=1
	buffer_load_dword v82, v80, s[0:3], 0 offen
	buffer_load_dword v83, v80, s[0:3], 0 offen offset:4
	ds_read_b64 v[84:85], v79
	v_add_u32_e32 v78, 1, v78
	v_cmp_lt_u32_e32 vcc, 23, v78
	v_add_u32_e32 v79, 8, v79
	v_add_u32_e32 v80, 8, v80
	s_or_b64 s[6:7], vcc, s[6:7]
	s_waitcnt vmcnt(0) lgkmcnt(0)
	v_fmac_f64_e32 v[74:75], v[82:83], v[84:85]
	s_andn2_b64 exec, exec, s[6:7]
	s_cbranch_execnz .LBB99_107
; %bb.108:
	s_or_b64 exec, exec, s[6:7]
	v_mov_b32_e32 v78, 0
	ds_read_b64 v[78:79], v78 offset:200
	s_waitcnt lgkmcnt(0)
	v_mul_f64 v[74:75], v[74:75], v[78:79]
	buffer_store_dword v75, off, s[0:3], 0 offset:204
	buffer_store_dword v74, off, s[0:3], 0 offset:200
.LBB99_109:
	s_or_b64 exec, exec, s[4:5]
	s_waitcnt lgkmcnt(0)
	; wave barrier
	buffer_load_dword v74, off, s[0:3], 0 offset:208
	buffer_load_dword v75, off, s[0:3], 0 offset:212
	v_cmp_gt_u32_e32 vcc, 26, v0
	;; [unrolled: 41-line block ×10, first 2 shown]
	s_waitcnt vmcnt(0)
	ds_write_b64 v76, v[74:75]
	s_waitcnt lgkmcnt(0)
	; wave barrier
	s_waitcnt lgkmcnt(0)
	s_and_saveexec_b64 s[4:5], vcc
	s_cbranch_execz .LBB99_145
; %bb.142:
	v_add_u32_e32 v78, -1, v0
	v_add_u32_e32 v79, 0x120, v1
	v_add_u32_e32 v80, 0, v1
	s_mov_b64 s[6:7], 0
	v_pk_mov_b32 v[74:75], 0, 0
.LBB99_143:                             ; =>This Inner Loop Header: Depth=1
	buffer_load_dword v82, v80, s[0:3], 0 offen
	buffer_load_dword v83, v80, s[0:3], 0 offen offset:4
	ds_read_b64 v[84:85], v79
	v_add_u32_e32 v78, 1, v78
	v_cmp_lt_u32_e32 vcc, 32, v78
	v_add_u32_e32 v79, 8, v79
	v_add_u32_e32 v80, 8, v80
	s_or_b64 s[6:7], vcc, s[6:7]
	s_waitcnt vmcnt(0) lgkmcnt(0)
	v_fmac_f64_e32 v[74:75], v[82:83], v[84:85]
	s_andn2_b64 exec, exec, s[6:7]
	s_cbranch_execnz .LBB99_143
; %bb.144:
	s_or_b64 exec, exec, s[6:7]
	v_mov_b32_e32 v78, 0
	ds_read_b64 v[78:79], v78 offset:272
	s_waitcnt lgkmcnt(0)
	v_mul_f64 v[74:75], v[74:75], v[78:79]
	buffer_store_dword v75, off, s[0:3], 0 offset:276
	buffer_store_dword v74, off, s[0:3], 0 offset:272
.LBB99_145:
	s_or_b64 exec, exec, s[4:5]
	s_waitcnt lgkmcnt(0)
	; wave barrier
	buffer_load_dword v74, off, s[0:3], 0 offset:280
	buffer_load_dword v75, off, s[0:3], 0 offset:284
	v_cmp_ne_u32_e32 vcc, 35, v0
	s_waitcnt vmcnt(0)
	ds_write_b64 v76, v[74:75]
	s_waitcnt lgkmcnt(0)
	; wave barrier
	s_waitcnt lgkmcnt(0)
	s_and_saveexec_b64 s[4:5], vcc
	s_cbranch_execz .LBB99_149
; %bb.146:
	v_add_u32_e32 v76, 0x120, v1
	v_add_u32_e32 v1, 0, v1
	s_mov_b64 s[6:7], 0
	v_pk_mov_b32 v[74:75], 0, 0
.LBB99_147:                             ; =>This Inner Loop Header: Depth=1
	buffer_load_dword v78, v1, s[0:3], 0 offen
	buffer_load_dword v79, v1, s[0:3], 0 offen offset:4
	ds_read_b64 v[80:81], v76
	v_add_u32_e32 v77, 1, v77
	v_cmp_lt_u32_e32 vcc, 33, v77
	v_add_u32_e32 v76, 8, v76
	v_add_u32_e32 v1, 8, v1
	s_or_b64 s[6:7], vcc, s[6:7]
	s_waitcnt vmcnt(0) lgkmcnt(0)
	v_fmac_f64_e32 v[74:75], v[78:79], v[80:81]
	s_andn2_b64 exec, exec, s[6:7]
	s_cbranch_execnz .LBB99_147
; %bb.148:
	s_or_b64 exec, exec, s[6:7]
	v_mov_b32_e32 v1, 0
	ds_read_b64 v[76:77], v1 offset:280
	s_waitcnt lgkmcnt(0)
	v_mul_f64 v[74:75], v[74:75], v[76:77]
	buffer_store_dword v75, off, s[0:3], 0 offset:284
	buffer_store_dword v74, off, s[0:3], 0 offset:280
.LBB99_149:
	s_or_b64 exec, exec, s[4:5]
	s_mov_b64 s[6:7], -1
	s_waitcnt lgkmcnt(0)
	; wave barrier
.LBB99_150:
	s_and_b64 vcc, exec, s[6:7]
	s_cbranch_vccz .LBB99_152
; %bb.151:
	s_lshl_b64 s[4:5], s[8:9], 2
	s_add_u32 s4, s14, s4
	s_addc_u32 s5, s15, s5
	v_mov_b32_e32 v1, 0
	global_load_dword v1, v1, s[4:5]
	s_waitcnt vmcnt(0)
	v_cmp_ne_u32_e32 vcc, 0, v1
	s_cbranch_vccz .LBB99_153
.LBB99_152:
	s_endpgm
.LBB99_153:
	v_mov_b32_e32 v1, 0x120
	v_lshl_add_u32 v1, v0, 3, v1
	v_cmp_eq_u32_e32 vcc, 35, v0
	s_and_saveexec_b64 s[4:5], vcc
	s_cbranch_execz .LBB99_155
; %bb.154:
	buffer_load_dword v74, off, s[0:3], 0 offset:272
	buffer_load_dword v75, off, s[0:3], 0 offset:276
	v_mov_b32_e32 v76, 0
	buffer_store_dword v76, off, s[0:3], 0 offset:272
	buffer_store_dword v76, off, s[0:3], 0 offset:276
	s_waitcnt vmcnt(2)
	ds_write_b64 v1, v[74:75]
.LBB99_155:
	s_or_b64 exec, exec, s[4:5]
	s_waitcnt lgkmcnt(0)
	; wave barrier
	s_waitcnt lgkmcnt(0)
	buffer_load_dword v76, off, s[0:3], 0 offset:280
	buffer_load_dword v77, off, s[0:3], 0 offset:284
	;; [unrolled: 1-line block ×4, first 2 shown]
	v_mov_b32_e32 v74, 0
	ds_read_b64 v[80:81], v74 offset:568
	v_cmp_lt_u32_e32 vcc, 33, v0
	s_waitcnt vmcnt(2) lgkmcnt(0)
	v_fma_f64 v[76:77], v[76:77], v[80:81], 0
	s_waitcnt vmcnt(0)
	v_add_f64 v[76:77], v[78:79], -v[76:77]
	buffer_store_dword v76, off, s[0:3], 0 offset:272
	buffer_store_dword v77, off, s[0:3], 0 offset:276
	s_and_saveexec_b64 s[4:5], vcc
	s_cbranch_execz .LBB99_157
; %bb.156:
	buffer_load_dword v76, off, s[0:3], 0 offset:264
	buffer_load_dword v77, off, s[0:3], 0 offset:268
	s_waitcnt vmcnt(0)
	ds_write_b64 v1, v[76:77]
	buffer_store_dword v74, off, s[0:3], 0 offset:264
	buffer_store_dword v74, off, s[0:3], 0 offset:268
.LBB99_157:
	s_or_b64 exec, exec, s[4:5]
	s_waitcnt lgkmcnt(0)
	; wave barrier
	s_waitcnt lgkmcnt(0)
	buffer_load_dword v78, off, s[0:3], 0 offset:272
	buffer_load_dword v79, off, s[0:3], 0 offset:276
	;; [unrolled: 1-line block ×6, first 2 shown]
	ds_read_b128 v[74:77], v74 offset:560
	v_cmp_lt_u32_e32 vcc, 32, v0
	s_waitcnt vmcnt(4) lgkmcnt(0)
	v_fma_f64 v[74:75], v[78:79], v[74:75], 0
	s_waitcnt vmcnt(2)
	v_fmac_f64_e32 v[74:75], v[80:81], v[76:77]
	s_waitcnt vmcnt(0)
	v_add_f64 v[74:75], v[82:83], -v[74:75]
	buffer_store_dword v74, off, s[0:3], 0 offset:264
	buffer_store_dword v75, off, s[0:3], 0 offset:268
	s_and_saveexec_b64 s[4:5], vcc
	s_cbranch_execz .LBB99_159
; %bb.158:
	buffer_load_dword v74, off, s[0:3], 0 offset:256
	buffer_load_dword v75, off, s[0:3], 0 offset:260
	v_mov_b32_e32 v76, 0
	buffer_store_dword v76, off, s[0:3], 0 offset:256
	buffer_store_dword v76, off, s[0:3], 0 offset:260
	s_waitcnt vmcnt(2)
	ds_write_b64 v1, v[74:75]
.LBB99_159:
	s_or_b64 exec, exec, s[4:5]
	s_waitcnt lgkmcnt(0)
	; wave barrier
	s_waitcnt lgkmcnt(0)
	buffer_load_dword v80, off, s[0:3], 0 offset:264
	buffer_load_dword v81, off, s[0:3], 0 offset:268
	;; [unrolled: 1-line block ×8, first 2 shown]
	v_mov_b32_e32 v74, 0
	ds_read2_b64 v[76:79], v74 offset0:69 offset1:70
	ds_read_b64 v[88:89], v74 offset:568
	v_cmp_lt_u32_e32 vcc, 31, v0
	s_waitcnt vmcnt(6) lgkmcnt(1)
	v_fma_f64 v[76:77], v[80:81], v[76:77], 0
	s_waitcnt vmcnt(4)
	v_fmac_f64_e32 v[76:77], v[82:83], v[78:79]
	s_waitcnt vmcnt(2) lgkmcnt(0)
	v_fmac_f64_e32 v[76:77], v[84:85], v[88:89]
	s_waitcnt vmcnt(0)
	v_add_f64 v[76:77], v[86:87], -v[76:77]
	buffer_store_dword v76, off, s[0:3], 0 offset:256
	buffer_store_dword v77, off, s[0:3], 0 offset:260
	s_and_saveexec_b64 s[4:5], vcc
	s_cbranch_execz .LBB99_161
; %bb.160:
	buffer_load_dword v76, off, s[0:3], 0 offset:248
	buffer_load_dword v77, off, s[0:3], 0 offset:252
	s_waitcnt vmcnt(0)
	ds_write_b64 v1, v[76:77]
	buffer_store_dword v74, off, s[0:3], 0 offset:248
	buffer_store_dword v74, off, s[0:3], 0 offset:252
.LBB99_161:
	s_or_b64 exec, exec, s[4:5]
	s_waitcnt lgkmcnt(0)
	; wave barrier
	s_waitcnt lgkmcnt(0)
	buffer_load_dword v84, off, s[0:3], 0 offset:256
	buffer_load_dword v85, off, s[0:3], 0 offset:260
	;; [unrolled: 1-line block ×10, first 2 shown]
	ds_read_b128 v[76:79], v74 offset:544
	ds_read_b128 v[80:83], v74 offset:560
	v_cmp_lt_u32_e32 vcc, 30, v0
	s_waitcnt vmcnt(8) lgkmcnt(1)
	v_fma_f64 v[74:75], v[84:85], v[76:77], 0
	s_waitcnt vmcnt(6)
	v_fmac_f64_e32 v[74:75], v[86:87], v[78:79]
	s_waitcnt vmcnt(4) lgkmcnt(0)
	v_fmac_f64_e32 v[74:75], v[88:89], v[80:81]
	s_waitcnt vmcnt(2)
	v_fmac_f64_e32 v[74:75], v[90:91], v[82:83]
	s_waitcnt vmcnt(0)
	v_add_f64 v[74:75], v[92:93], -v[74:75]
	buffer_store_dword v74, off, s[0:3], 0 offset:248
	buffer_store_dword v75, off, s[0:3], 0 offset:252
	s_and_saveexec_b64 s[4:5], vcc
	s_cbranch_execz .LBB99_163
; %bb.162:
	buffer_load_dword v74, off, s[0:3], 0 offset:240
	buffer_load_dword v75, off, s[0:3], 0 offset:244
	v_mov_b32_e32 v76, 0
	buffer_store_dword v76, off, s[0:3], 0 offset:240
	buffer_store_dword v76, off, s[0:3], 0 offset:244
	s_waitcnt vmcnt(2)
	ds_write_b64 v1, v[74:75]
.LBB99_163:
	s_or_b64 exec, exec, s[4:5]
	s_waitcnt lgkmcnt(0)
	; wave barrier
	s_waitcnt lgkmcnt(0)
	buffer_load_dword v84, off, s[0:3], 0 offset:248
	buffer_load_dword v85, off, s[0:3], 0 offset:252
	;; [unrolled: 1-line block ×12, first 2 shown]
	v_mov_b32_e32 v74, 0
	ds_read2_b64 v[76:79], v74 offset0:67 offset1:68
	ds_read2_b64 v[80:83], v74 offset0:69 offset1:70
	ds_read_b64 v[96:97], v74 offset:568
	v_cmp_lt_u32_e32 vcc, 29, v0
	s_waitcnt vmcnt(10) lgkmcnt(2)
	v_fma_f64 v[76:77], v[84:85], v[76:77], 0
	s_waitcnt vmcnt(8)
	v_fmac_f64_e32 v[76:77], v[86:87], v[78:79]
	s_waitcnt vmcnt(6) lgkmcnt(1)
	v_fmac_f64_e32 v[76:77], v[88:89], v[80:81]
	s_waitcnt vmcnt(4)
	v_fmac_f64_e32 v[76:77], v[90:91], v[82:83]
	s_waitcnt vmcnt(2) lgkmcnt(0)
	v_fmac_f64_e32 v[76:77], v[92:93], v[96:97]
	s_waitcnt vmcnt(0)
	v_add_f64 v[76:77], v[94:95], -v[76:77]
	buffer_store_dword v76, off, s[0:3], 0 offset:240
	buffer_store_dword v77, off, s[0:3], 0 offset:244
	s_and_saveexec_b64 s[4:5], vcc
	s_cbranch_execz .LBB99_165
; %bb.164:
	buffer_load_dword v76, off, s[0:3], 0 offset:232
	buffer_load_dword v77, off, s[0:3], 0 offset:236
	s_waitcnt vmcnt(0)
	ds_write_b64 v1, v[76:77]
	buffer_store_dword v74, off, s[0:3], 0 offset:232
	buffer_store_dword v74, off, s[0:3], 0 offset:236
.LBB99_165:
	s_or_b64 exec, exec, s[4:5]
	s_waitcnt lgkmcnt(0)
	; wave barrier
	s_waitcnt lgkmcnt(0)
	buffer_load_dword v88, off, s[0:3], 0 offset:240
	buffer_load_dword v89, off, s[0:3], 0 offset:244
	;; [unrolled: 1-line block ×14, first 2 shown]
	ds_read_b128 v[76:79], v74 offset:528
	ds_read_b128 v[80:83], v74 offset:544
	;; [unrolled: 1-line block ×3, first 2 shown]
	v_cmp_lt_u32_e32 vcc, 28, v0
	s_waitcnt vmcnt(12) lgkmcnt(2)
	v_fma_f64 v[74:75], v[88:89], v[76:77], 0
	s_waitcnt vmcnt(10)
	v_fmac_f64_e32 v[74:75], v[90:91], v[78:79]
	s_waitcnt vmcnt(8) lgkmcnt(1)
	v_fmac_f64_e32 v[74:75], v[92:93], v[80:81]
	s_waitcnt vmcnt(6)
	v_fmac_f64_e32 v[74:75], v[94:95], v[82:83]
	s_waitcnt vmcnt(4) lgkmcnt(0)
	v_fmac_f64_e32 v[74:75], v[96:97], v[84:85]
	s_waitcnt vmcnt(2)
	v_fmac_f64_e32 v[74:75], v[98:99], v[86:87]
	s_waitcnt vmcnt(0)
	v_add_f64 v[74:75], v[100:101], -v[74:75]
	buffer_store_dword v74, off, s[0:3], 0 offset:232
	buffer_store_dword v75, off, s[0:3], 0 offset:236
	s_and_saveexec_b64 s[4:5], vcc
	s_cbranch_execz .LBB99_167
; %bb.166:
	buffer_load_dword v74, off, s[0:3], 0 offset:224
	buffer_load_dword v75, off, s[0:3], 0 offset:228
	v_mov_b32_e32 v76, 0
	buffer_store_dword v76, off, s[0:3], 0 offset:224
	buffer_store_dword v76, off, s[0:3], 0 offset:228
	s_waitcnt vmcnt(2)
	ds_write_b64 v1, v[74:75]
.LBB99_167:
	s_or_b64 exec, exec, s[4:5]
	s_waitcnt lgkmcnt(0)
	; wave barrier
	s_waitcnt lgkmcnt(0)
	buffer_load_dword v88, off, s[0:3], 0 offset:232
	buffer_load_dword v89, off, s[0:3], 0 offset:236
	buffer_load_dword v90, off, s[0:3], 0 offset:240
	buffer_load_dword v91, off, s[0:3], 0 offset:244
	buffer_load_dword v92, off, s[0:3], 0 offset:248
	buffer_load_dword v93, off, s[0:3], 0 offset:252
	buffer_load_dword v94, off, s[0:3], 0 offset:256
	buffer_load_dword v95, off, s[0:3], 0 offset:260
	buffer_load_dword v96, off, s[0:3], 0 offset:264
	buffer_load_dword v97, off, s[0:3], 0 offset:268
	buffer_load_dword v98, off, s[0:3], 0 offset:272
	buffer_load_dword v99, off, s[0:3], 0 offset:276
	buffer_load_dword v100, off, s[0:3], 0 offset:280
	buffer_load_dword v101, off, s[0:3], 0 offset:284
	buffer_load_dword v102, off, s[0:3], 0 offset:224
	buffer_load_dword v103, off, s[0:3], 0 offset:228
	v_mov_b32_e32 v74, 0
	ds_read2_b64 v[76:79], v74 offset0:65 offset1:66
	ds_read2_b64 v[80:83], v74 offset0:67 offset1:68
	;; [unrolled: 1-line block ×3, first 2 shown]
	ds_read_b64 v[104:105], v74 offset:568
	v_cmp_lt_u32_e32 vcc, 27, v0
	s_waitcnt vmcnt(14) lgkmcnt(3)
	v_fma_f64 v[76:77], v[88:89], v[76:77], 0
	s_waitcnt vmcnt(12)
	v_fmac_f64_e32 v[76:77], v[90:91], v[78:79]
	s_waitcnt vmcnt(10) lgkmcnt(2)
	v_fmac_f64_e32 v[76:77], v[92:93], v[80:81]
	s_waitcnt vmcnt(8)
	v_fmac_f64_e32 v[76:77], v[94:95], v[82:83]
	s_waitcnt vmcnt(6) lgkmcnt(1)
	v_fmac_f64_e32 v[76:77], v[96:97], v[84:85]
	;; [unrolled: 4-line block ×3, first 2 shown]
	s_waitcnt vmcnt(0)
	v_add_f64 v[76:77], v[102:103], -v[76:77]
	buffer_store_dword v76, off, s[0:3], 0 offset:224
	buffer_store_dword v77, off, s[0:3], 0 offset:228
	s_and_saveexec_b64 s[4:5], vcc
	s_cbranch_execz .LBB99_169
; %bb.168:
	buffer_load_dword v76, off, s[0:3], 0 offset:216
	buffer_load_dword v77, off, s[0:3], 0 offset:220
	s_waitcnt vmcnt(0)
	ds_write_b64 v1, v[76:77]
	buffer_store_dword v74, off, s[0:3], 0 offset:216
	buffer_store_dword v74, off, s[0:3], 0 offset:220
.LBB99_169:
	s_or_b64 exec, exec, s[4:5]
	s_waitcnt lgkmcnt(0)
	; wave barrier
	s_waitcnt lgkmcnt(0)
	buffer_load_dword v92, off, s[0:3], 0 offset:224
	buffer_load_dword v93, off, s[0:3], 0 offset:228
	;; [unrolled: 1-line block ×18, first 2 shown]
	ds_read_b128 v[76:79], v74 offset:512
	ds_read_b128 v[80:83], v74 offset:528
	;; [unrolled: 1-line block ×4, first 2 shown]
	v_cmp_lt_u32_e32 vcc, 26, v0
	s_waitcnt vmcnt(16) lgkmcnt(3)
	v_fma_f64 v[74:75], v[92:93], v[76:77], 0
	s_waitcnt vmcnt(14)
	v_fmac_f64_e32 v[74:75], v[94:95], v[78:79]
	s_waitcnt vmcnt(12) lgkmcnt(2)
	v_fmac_f64_e32 v[74:75], v[96:97], v[80:81]
	s_waitcnt vmcnt(10)
	v_fmac_f64_e32 v[74:75], v[98:99], v[82:83]
	s_waitcnt vmcnt(8) lgkmcnt(1)
	v_fmac_f64_e32 v[74:75], v[100:101], v[84:85]
	;; [unrolled: 4-line block ×3, first 2 shown]
	s_waitcnt vmcnt(2)
	v_fmac_f64_e32 v[74:75], v[106:107], v[90:91]
	s_waitcnt vmcnt(0)
	v_add_f64 v[74:75], v[108:109], -v[74:75]
	buffer_store_dword v74, off, s[0:3], 0 offset:216
	buffer_store_dword v75, off, s[0:3], 0 offset:220
	s_and_saveexec_b64 s[4:5], vcc
	s_cbranch_execz .LBB99_171
; %bb.170:
	buffer_load_dword v74, off, s[0:3], 0 offset:208
	buffer_load_dword v75, off, s[0:3], 0 offset:212
	v_mov_b32_e32 v76, 0
	buffer_store_dword v76, off, s[0:3], 0 offset:208
	buffer_store_dword v76, off, s[0:3], 0 offset:212
	s_waitcnt vmcnt(2)
	ds_write_b64 v1, v[74:75]
.LBB99_171:
	s_or_b64 exec, exec, s[4:5]
	s_waitcnt lgkmcnt(0)
	; wave barrier
	s_waitcnt lgkmcnt(0)
	buffer_load_dword v92, off, s[0:3], 0 offset:216
	buffer_load_dword v93, off, s[0:3], 0 offset:220
	;; [unrolled: 1-line block ×20, first 2 shown]
	v_mov_b32_e32 v74, 0
	ds_read2_b64 v[76:79], v74 offset0:63 offset1:64
	ds_read2_b64 v[80:83], v74 offset0:65 offset1:66
	ds_read2_b64 v[84:87], v74 offset0:67 offset1:68
	ds_read2_b64 v[88:91], v74 offset0:69 offset1:70
	ds_read_b64 v[112:113], v74 offset:568
	v_cmp_lt_u32_e32 vcc, 25, v0
	s_waitcnt vmcnt(18) lgkmcnt(4)
	v_fma_f64 v[76:77], v[92:93], v[76:77], 0
	s_waitcnt vmcnt(16)
	v_fmac_f64_e32 v[76:77], v[94:95], v[78:79]
	s_waitcnt vmcnt(14) lgkmcnt(3)
	v_fmac_f64_e32 v[76:77], v[96:97], v[80:81]
	s_waitcnt vmcnt(12)
	v_fmac_f64_e32 v[76:77], v[98:99], v[82:83]
	s_waitcnt vmcnt(10) lgkmcnt(2)
	v_fmac_f64_e32 v[76:77], v[100:101], v[84:85]
	;; [unrolled: 4-line block ×3, first 2 shown]
	s_waitcnt vmcnt(2)
	v_fmac_f64_e32 v[76:77], v[108:109], v[90:91]
	s_waitcnt lgkmcnt(0)
	v_fmac_f64_e32 v[76:77], v[106:107], v[112:113]
	s_waitcnt vmcnt(0)
	v_add_f64 v[76:77], v[110:111], -v[76:77]
	buffer_store_dword v76, off, s[0:3], 0 offset:208
	buffer_store_dword v77, off, s[0:3], 0 offset:212
	s_and_saveexec_b64 s[4:5], vcc
	s_cbranch_execz .LBB99_173
; %bb.172:
	buffer_load_dword v76, off, s[0:3], 0 offset:200
	buffer_load_dword v77, off, s[0:3], 0 offset:204
	s_waitcnt vmcnt(0)
	ds_write_b64 v1, v[76:77]
	buffer_store_dword v74, off, s[0:3], 0 offset:200
	buffer_store_dword v74, off, s[0:3], 0 offset:204
.LBB99_173:
	s_or_b64 exec, exec, s[4:5]
	s_waitcnt lgkmcnt(0)
	; wave barrier
	s_waitcnt lgkmcnt(0)
	buffer_load_dword v96, off, s[0:3], 0 offset:208
	buffer_load_dword v97, off, s[0:3], 0 offset:212
	;; [unrolled: 1-line block ×22, first 2 shown]
	ds_read_b128 v[76:79], v74 offset:496
	ds_read_b128 v[80:83], v74 offset:512
	;; [unrolled: 1-line block ×5, first 2 shown]
	v_cmp_lt_u32_e32 vcc, 24, v0
	s_waitcnt vmcnt(20) lgkmcnt(4)
	v_fma_f64 v[74:75], v[96:97], v[76:77], 0
	s_waitcnt vmcnt(18)
	v_fmac_f64_e32 v[74:75], v[98:99], v[78:79]
	s_waitcnt vmcnt(16) lgkmcnt(3)
	v_fmac_f64_e32 v[74:75], v[100:101], v[80:81]
	s_waitcnt vmcnt(14)
	v_fmac_f64_e32 v[74:75], v[102:103], v[82:83]
	s_waitcnt vmcnt(12) lgkmcnt(2)
	v_fmac_f64_e32 v[74:75], v[104:105], v[84:85]
	;; [unrolled: 4-line block ×3, first 2 shown]
	s_waitcnt vmcnt(3)
	v_fmac_f64_e32 v[74:75], v[114:115], v[90:91]
	s_waitcnt lgkmcnt(0)
	v_fmac_f64_e32 v[74:75], v[112:113], v[92:93]
	s_waitcnt vmcnt(2)
	v_fmac_f64_e32 v[74:75], v[110:111], v[94:95]
	s_waitcnt vmcnt(0)
	v_add_f64 v[74:75], v[116:117], -v[74:75]
	buffer_store_dword v74, off, s[0:3], 0 offset:200
	buffer_store_dword v75, off, s[0:3], 0 offset:204
	s_and_saveexec_b64 s[4:5], vcc
	s_cbranch_execz .LBB99_175
; %bb.174:
	buffer_load_dword v74, off, s[0:3], 0 offset:192
	buffer_load_dword v75, off, s[0:3], 0 offset:196
	v_mov_b32_e32 v76, 0
	buffer_store_dword v76, off, s[0:3], 0 offset:192
	buffer_store_dword v76, off, s[0:3], 0 offset:196
	s_waitcnt vmcnt(2)
	ds_write_b64 v1, v[74:75]
.LBB99_175:
	s_or_b64 exec, exec, s[4:5]
	s_waitcnt lgkmcnt(0)
	; wave barrier
	s_waitcnt lgkmcnt(0)
	buffer_load_dword v96, off, s[0:3], 0 offset:200
	buffer_load_dword v97, off, s[0:3], 0 offset:204
	;; [unrolled: 1-line block ×24, first 2 shown]
	v_mov_b32_e32 v74, 0
	ds_read2_b64 v[76:79], v74 offset0:61 offset1:62
	ds_read2_b64 v[80:83], v74 offset0:63 offset1:64
	;; [unrolled: 1-line block ×5, first 2 shown]
	ds_read_b64 v[120:121], v74 offset:568
	v_cmp_lt_u32_e32 vcc, 23, v0
	s_waitcnt vmcnt(22) lgkmcnt(5)
	v_fma_f64 v[76:77], v[96:97], v[76:77], 0
	s_waitcnt vmcnt(20)
	v_fmac_f64_e32 v[76:77], v[98:99], v[78:79]
	s_waitcnt vmcnt(18) lgkmcnt(4)
	v_fmac_f64_e32 v[76:77], v[100:101], v[80:81]
	s_waitcnt vmcnt(16)
	v_fmac_f64_e32 v[76:77], v[102:103], v[82:83]
	s_waitcnt vmcnt(14) lgkmcnt(3)
	v_fmac_f64_e32 v[76:77], v[104:105], v[84:85]
	;; [unrolled: 4-line block ×3, first 2 shown]
	s_waitcnt vmcnt(4)
	v_fmac_f64_e32 v[76:77], v[116:117], v[90:91]
	s_waitcnt lgkmcnt(1)
	v_fmac_f64_e32 v[76:77], v[114:115], v[92:93]
	s_waitcnt vmcnt(3)
	v_fmac_f64_e32 v[76:77], v[112:113], v[94:95]
	s_waitcnt vmcnt(2) lgkmcnt(0)
	v_fmac_f64_e32 v[76:77], v[110:111], v[120:121]
	s_waitcnt vmcnt(0)
	v_add_f64 v[76:77], v[118:119], -v[76:77]
	buffer_store_dword v77, off, s[0:3], 0 offset:196
	buffer_store_dword v76, off, s[0:3], 0 offset:192
	s_and_saveexec_b64 s[4:5], vcc
	s_cbranch_execz .LBB99_177
; %bb.176:
	buffer_load_dword v76, off, s[0:3], 0 offset:184
	buffer_load_dword v77, off, s[0:3], 0 offset:188
	s_waitcnt vmcnt(0)
	ds_write_b64 v1, v[76:77]
	buffer_store_dword v74, off, s[0:3], 0 offset:184
	buffer_store_dword v74, off, s[0:3], 0 offset:188
.LBB99_177:
	s_or_b64 exec, exec, s[4:5]
	s_waitcnt lgkmcnt(0)
	; wave barrier
	s_waitcnt lgkmcnt(0)
	buffer_load_dword v100, off, s[0:3], 0 offset:192
	buffer_load_dword v101, off, s[0:3], 0 offset:196
	;; [unrolled: 1-line block ×26, first 2 shown]
	ds_read_b128 v[76:79], v74 offset:480
	ds_read_b128 v[80:83], v74 offset:496
	;; [unrolled: 1-line block ×6, first 2 shown]
	v_cmp_lt_u32_e32 vcc, 22, v0
	s_waitcnt vmcnt(24) lgkmcnt(5)
	v_fma_f64 v[74:75], v[100:101], v[76:77], 0
	s_waitcnt vmcnt(22)
	v_fmac_f64_e32 v[74:75], v[102:103], v[78:79]
	s_waitcnt vmcnt(20) lgkmcnt(4)
	v_fmac_f64_e32 v[74:75], v[104:105], v[80:81]
	s_waitcnt vmcnt(18)
	v_fmac_f64_e32 v[74:75], v[106:107], v[82:83]
	s_waitcnt vmcnt(16) lgkmcnt(3)
	v_fmac_f64_e32 v[74:75], v[108:109], v[84:85]
	;; [unrolled: 4-line block ×3, first 2 shown]
	s_waitcnt vmcnt(5)
	v_fmac_f64_e32 v[74:75], v[120:121], v[90:91]
	s_waitcnt lgkmcnt(1)
	v_fmac_f64_e32 v[74:75], v[118:119], v[92:93]
	v_fmac_f64_e32 v[74:75], v[116:117], v[94:95]
	s_waitcnt vmcnt(4) lgkmcnt(0)
	v_fmac_f64_e32 v[74:75], v[114:115], v[96:97]
	s_waitcnt vmcnt(2)
	v_fmac_f64_e32 v[74:75], v[122:123], v[98:99]
	s_waitcnt vmcnt(0)
	v_add_f64 v[74:75], v[124:125], -v[74:75]
	buffer_store_dword v75, off, s[0:3], 0 offset:188
	buffer_store_dword v74, off, s[0:3], 0 offset:184
	s_and_saveexec_b64 s[4:5], vcc
	s_cbranch_execz .LBB99_179
; %bb.178:
	buffer_load_dword v74, off, s[0:3], 0 offset:176
	buffer_load_dword v75, off, s[0:3], 0 offset:180
	v_mov_b32_e32 v76, 0
	buffer_store_dword v76, off, s[0:3], 0 offset:176
	buffer_store_dword v76, off, s[0:3], 0 offset:180
	s_waitcnt vmcnt(2)
	ds_write_b64 v1, v[74:75]
.LBB99_179:
	s_or_b64 exec, exec, s[4:5]
	s_waitcnt lgkmcnt(0)
	; wave barrier
	s_waitcnt lgkmcnt(0)
	buffer_load_dword v80, off, s[0:3], 0 offset:176
	buffer_load_dword v81, off, s[0:3], 0 offset:180
	;; [unrolled: 1-line block ×16, first 2 shown]
	v_mov_b32_e32 v74, 0
	ds_read2_b64 v[76:79], v74 offset0:59 offset1:60
	v_cmp_lt_u32_e32 vcc, 21, v0
	s_waitcnt vmcnt(12) lgkmcnt(0)
	v_fma_f64 v[82:83], v[82:83], v[76:77], 0
	s_waitcnt vmcnt(10)
	v_fmac_f64_e32 v[82:83], v[84:85], v[78:79]
	ds_read2_b64 v[76:79], v74 offset0:61 offset1:62
	s_waitcnt vmcnt(8) lgkmcnt(0)
	v_fmac_f64_e32 v[82:83], v[86:87], v[76:77]
	s_waitcnt vmcnt(6)
	v_fmac_f64_e32 v[82:83], v[88:89], v[78:79]
	ds_read2_b64 v[76:79], v74 offset0:63 offset1:64
	s_waitcnt vmcnt(4) lgkmcnt(0)
	v_fmac_f64_e32 v[82:83], v[90:91], v[76:77]
	;; [unrolled: 5-line block ×3, first 2 shown]
	buffer_load_dword v77, off, s[0:3], 0 offset:244
	buffer_load_dword v76, off, s[0:3], 0 offset:240
	;; [unrolled: 1-line block ×4, first 2 shown]
	s_waitcnt vmcnt(2)
	v_fmac_f64_e32 v[82:83], v[76:77], v[78:79]
	ds_read2_b64 v[76:79], v74 offset0:67 offset1:68
	s_waitcnt vmcnt(0) lgkmcnt(0)
	v_fmac_f64_e32 v[82:83], v[84:85], v[76:77]
	buffer_load_dword v77, off, s[0:3], 0 offset:260
	buffer_load_dword v76, off, s[0:3], 0 offset:256
	;; [unrolled: 1-line block ×4, first 2 shown]
	s_waitcnt vmcnt(2)
	v_fmac_f64_e32 v[82:83], v[76:77], v[78:79]
	ds_read2_b64 v[76:79], v74 offset0:69 offset1:70
	s_waitcnt vmcnt(0) lgkmcnt(0)
	v_fmac_f64_e32 v[82:83], v[84:85], v[76:77]
	buffer_load_dword v77, off, s[0:3], 0 offset:276
	buffer_load_dword v76, off, s[0:3], 0 offset:272
	s_waitcnt vmcnt(0)
	v_fmac_f64_e32 v[82:83], v[76:77], v[78:79]
	buffer_load_dword v77, off, s[0:3], 0 offset:284
	buffer_load_dword v76, off, s[0:3], 0 offset:280
	ds_read_b64 v[78:79], v74 offset:568
	s_waitcnt vmcnt(0) lgkmcnt(0)
	v_fmac_f64_e32 v[82:83], v[76:77], v[78:79]
	v_add_f64 v[76:77], v[80:81], -v[82:83]
	buffer_store_dword v77, off, s[0:3], 0 offset:180
	buffer_store_dword v76, off, s[0:3], 0 offset:176
	s_and_saveexec_b64 s[4:5], vcc
	s_cbranch_execz .LBB99_181
; %bb.180:
	buffer_load_dword v76, off, s[0:3], 0 offset:168
	buffer_load_dword v77, off, s[0:3], 0 offset:172
	s_waitcnt vmcnt(0)
	ds_write_b64 v1, v[76:77]
	buffer_store_dword v74, off, s[0:3], 0 offset:168
	buffer_store_dword v74, off, s[0:3], 0 offset:172
.LBB99_181:
	s_or_b64 exec, exec, s[4:5]
	s_waitcnt lgkmcnt(0)
	; wave barrier
	s_waitcnt lgkmcnt(0)
	buffer_load_dword v92, off, s[0:3], 0 offset:168
	buffer_load_dword v93, off, s[0:3], 0 offset:172
	;; [unrolled: 1-line block ×16, first 2 shown]
	ds_read_b128 v[76:79], v74 offset:464
	ds_read_b128 v[80:83], v74 offset:480
	;; [unrolled: 1-line block ×4, first 2 shown]
	v_cmp_lt_u32_e32 vcc, 20, v0
	s_waitcnt vmcnt(12) lgkmcnt(3)
	v_fma_f64 v[94:95], v[94:95], v[76:77], 0
	buffer_load_dword v77, off, s[0:3], 0 offset:236
	buffer_load_dword v76, off, s[0:3], 0 offset:232
	s_waitcnt vmcnt(12)
	v_fmac_f64_e32 v[94:95], v[96:97], v[78:79]
	s_waitcnt vmcnt(10) lgkmcnt(2)
	v_fmac_f64_e32 v[94:95], v[98:99], v[80:81]
	buffer_load_dword v81, off, s[0:3], 0 offset:244
	buffer_load_dword v80, off, s[0:3], 0 offset:240
	s_waitcnt vmcnt(10)
	v_fmac_f64_e32 v[94:95], v[100:101], v[82:83]
	s_waitcnt vmcnt(8) lgkmcnt(1)
	v_fmac_f64_e32 v[94:95], v[102:103], v[84:85]
	s_waitcnt vmcnt(6)
	v_fmac_f64_e32 v[94:95], v[104:105], v[86:87]
	s_waitcnt vmcnt(4) lgkmcnt(0)
	v_fmac_f64_e32 v[94:95], v[106:107], v[88:89]
	s_waitcnt vmcnt(2)
	v_fmac_f64_e32 v[94:95], v[76:77], v[90:91]
	ds_read_b128 v[76:79], v74 offset:528
	s_waitcnt vmcnt(0) lgkmcnt(0)
	v_fmac_f64_e32 v[94:95], v[80:81], v[76:77]
	buffer_load_dword v77, off, s[0:3], 0 offset:252
	buffer_load_dword v76, off, s[0:3], 0 offset:248
	buffer_load_dword v81, off, s[0:3], 0 offset:260
	buffer_load_dword v80, off, s[0:3], 0 offset:256
	s_waitcnt vmcnt(2)
	v_fmac_f64_e32 v[94:95], v[76:77], v[78:79]
	ds_read_b128 v[76:79], v74 offset:544
	s_waitcnt vmcnt(0) lgkmcnt(0)
	v_fmac_f64_e32 v[94:95], v[80:81], v[76:77]
	buffer_load_dword v77, off, s[0:3], 0 offset:268
	buffer_load_dword v76, off, s[0:3], 0 offset:264
	s_waitcnt vmcnt(0)
	v_fmac_f64_e32 v[94:95], v[76:77], v[78:79]
	buffer_load_dword v79, off, s[0:3], 0 offset:276
	buffer_load_dword v78, off, s[0:3], 0 offset:272
	ds_read_b128 v[74:77], v74 offset:560
	s_waitcnt vmcnt(0) lgkmcnt(0)
	v_fmac_f64_e32 v[94:95], v[78:79], v[74:75]
	buffer_load_dword v75, off, s[0:3], 0 offset:284
	buffer_load_dword v74, off, s[0:3], 0 offset:280
	s_waitcnt vmcnt(0)
	v_fmac_f64_e32 v[94:95], v[74:75], v[76:77]
	v_add_f64 v[74:75], v[92:93], -v[94:95]
	buffer_store_dword v75, off, s[0:3], 0 offset:172
	buffer_store_dword v74, off, s[0:3], 0 offset:168
	s_and_saveexec_b64 s[4:5], vcc
	s_cbranch_execz .LBB99_183
; %bb.182:
	buffer_load_dword v74, off, s[0:3], 0 offset:160
	buffer_load_dword v75, off, s[0:3], 0 offset:164
	v_mov_b32_e32 v76, 0
	buffer_store_dword v76, off, s[0:3], 0 offset:160
	buffer_store_dword v76, off, s[0:3], 0 offset:164
	s_waitcnt vmcnt(2)
	ds_write_b64 v1, v[74:75]
.LBB99_183:
	s_or_b64 exec, exec, s[4:5]
	s_waitcnt lgkmcnt(0)
	; wave barrier
	s_waitcnt lgkmcnt(0)
	buffer_load_dword v80, off, s[0:3], 0 offset:160
	buffer_load_dword v81, off, s[0:3], 0 offset:164
	;; [unrolled: 1-line block ×16, first 2 shown]
	v_mov_b32_e32 v74, 0
	ds_read2_b64 v[76:79], v74 offset0:57 offset1:58
	v_cmp_lt_u32_e32 vcc, 19, v0
	s_waitcnt vmcnt(12) lgkmcnt(0)
	v_fma_f64 v[82:83], v[82:83], v[76:77], 0
	s_waitcnt vmcnt(10)
	v_fmac_f64_e32 v[82:83], v[84:85], v[78:79]
	ds_read2_b64 v[76:79], v74 offset0:59 offset1:60
	s_waitcnt vmcnt(8) lgkmcnt(0)
	v_fmac_f64_e32 v[82:83], v[86:87], v[76:77]
	s_waitcnt vmcnt(6)
	v_fmac_f64_e32 v[82:83], v[88:89], v[78:79]
	ds_read2_b64 v[76:79], v74 offset0:61 offset1:62
	s_waitcnt vmcnt(4) lgkmcnt(0)
	v_fmac_f64_e32 v[82:83], v[90:91], v[76:77]
	;; [unrolled: 5-line block ×3, first 2 shown]
	buffer_load_dword v77, off, s[0:3], 0 offset:228
	buffer_load_dword v76, off, s[0:3], 0 offset:224
	buffer_load_dword v85, off, s[0:3], 0 offset:236
	buffer_load_dword v84, off, s[0:3], 0 offset:232
	s_waitcnt vmcnt(2)
	v_fmac_f64_e32 v[82:83], v[76:77], v[78:79]
	ds_read2_b64 v[76:79], v74 offset0:65 offset1:66
	s_waitcnt vmcnt(0) lgkmcnt(0)
	v_fmac_f64_e32 v[82:83], v[84:85], v[76:77]
	buffer_load_dword v77, off, s[0:3], 0 offset:244
	buffer_load_dword v76, off, s[0:3], 0 offset:240
	buffer_load_dword v85, off, s[0:3], 0 offset:252
	buffer_load_dword v84, off, s[0:3], 0 offset:248
	s_waitcnt vmcnt(2)
	v_fmac_f64_e32 v[82:83], v[76:77], v[78:79]
	ds_read2_b64 v[76:79], v74 offset0:67 offset1:68
	s_waitcnt vmcnt(0) lgkmcnt(0)
	v_fmac_f64_e32 v[82:83], v[84:85], v[76:77]
	;; [unrolled: 9-line block ×3, first 2 shown]
	buffer_load_dword v77, off, s[0:3], 0 offset:276
	buffer_load_dword v76, off, s[0:3], 0 offset:272
	s_waitcnt vmcnt(0)
	v_fmac_f64_e32 v[82:83], v[76:77], v[78:79]
	buffer_load_dword v77, off, s[0:3], 0 offset:284
	buffer_load_dword v76, off, s[0:3], 0 offset:280
	ds_read_b64 v[78:79], v74 offset:568
	s_waitcnt vmcnt(0) lgkmcnt(0)
	v_fmac_f64_e32 v[82:83], v[76:77], v[78:79]
	v_add_f64 v[76:77], v[80:81], -v[82:83]
	buffer_store_dword v77, off, s[0:3], 0 offset:164
	buffer_store_dword v76, off, s[0:3], 0 offset:160
	s_and_saveexec_b64 s[4:5], vcc
	s_cbranch_execz .LBB99_185
; %bb.184:
	buffer_load_dword v76, off, s[0:3], 0 offset:152
	buffer_load_dword v77, off, s[0:3], 0 offset:156
	s_waitcnt vmcnt(0)
	ds_write_b64 v1, v[76:77]
	buffer_store_dword v74, off, s[0:3], 0 offset:152
	buffer_store_dword v74, off, s[0:3], 0 offset:156
.LBB99_185:
	s_or_b64 exec, exec, s[4:5]
	s_waitcnt lgkmcnt(0)
	; wave barrier
	s_waitcnt lgkmcnt(0)
	buffer_load_dword v92, off, s[0:3], 0 offset:152
	buffer_load_dword v93, off, s[0:3], 0 offset:156
	;; [unrolled: 1-line block ×16, first 2 shown]
	ds_read_b128 v[76:79], v74 offset:448
	ds_read_b128 v[80:83], v74 offset:464
	;; [unrolled: 1-line block ×4, first 2 shown]
	v_cmp_lt_u32_e32 vcc, 18, v0
	s_waitcnt vmcnt(12) lgkmcnt(3)
	v_fma_f64 v[94:95], v[94:95], v[76:77], 0
	buffer_load_dword v77, off, s[0:3], 0 offset:220
	buffer_load_dword v76, off, s[0:3], 0 offset:216
	s_waitcnt vmcnt(12)
	v_fmac_f64_e32 v[94:95], v[96:97], v[78:79]
	s_waitcnt vmcnt(10) lgkmcnt(2)
	v_fmac_f64_e32 v[94:95], v[98:99], v[80:81]
	buffer_load_dword v81, off, s[0:3], 0 offset:228
	buffer_load_dword v80, off, s[0:3], 0 offset:224
	s_waitcnt vmcnt(10)
	v_fmac_f64_e32 v[94:95], v[100:101], v[82:83]
	s_waitcnt vmcnt(8) lgkmcnt(1)
	v_fmac_f64_e32 v[94:95], v[102:103], v[84:85]
	s_waitcnt vmcnt(6)
	v_fmac_f64_e32 v[94:95], v[104:105], v[86:87]
	s_waitcnt vmcnt(4) lgkmcnt(0)
	v_fmac_f64_e32 v[94:95], v[106:107], v[88:89]
	s_waitcnt vmcnt(2)
	v_fmac_f64_e32 v[94:95], v[76:77], v[90:91]
	ds_read_b128 v[76:79], v74 offset:512
	s_waitcnt vmcnt(0) lgkmcnt(0)
	v_fmac_f64_e32 v[94:95], v[80:81], v[76:77]
	buffer_load_dword v77, off, s[0:3], 0 offset:236
	buffer_load_dword v76, off, s[0:3], 0 offset:232
	;; [unrolled: 1-line block ×4, first 2 shown]
	s_waitcnt vmcnt(2)
	v_fmac_f64_e32 v[94:95], v[76:77], v[78:79]
	ds_read_b128 v[76:79], v74 offset:528
	s_waitcnt vmcnt(0) lgkmcnt(0)
	v_fmac_f64_e32 v[94:95], v[80:81], v[76:77]
	buffer_load_dword v77, off, s[0:3], 0 offset:252
	buffer_load_dword v76, off, s[0:3], 0 offset:248
	;; [unrolled: 1-line block ×4, first 2 shown]
	s_waitcnt vmcnt(2)
	v_fmac_f64_e32 v[94:95], v[76:77], v[78:79]
	ds_read_b128 v[76:79], v74 offset:544
	s_waitcnt vmcnt(0) lgkmcnt(0)
	v_fmac_f64_e32 v[94:95], v[80:81], v[76:77]
	buffer_load_dword v77, off, s[0:3], 0 offset:268
	buffer_load_dword v76, off, s[0:3], 0 offset:264
	s_waitcnt vmcnt(0)
	v_fmac_f64_e32 v[94:95], v[76:77], v[78:79]
	buffer_load_dword v79, off, s[0:3], 0 offset:276
	buffer_load_dword v78, off, s[0:3], 0 offset:272
	ds_read_b128 v[74:77], v74 offset:560
	s_waitcnt vmcnt(0) lgkmcnt(0)
	v_fmac_f64_e32 v[94:95], v[78:79], v[74:75]
	buffer_load_dword v75, off, s[0:3], 0 offset:284
	buffer_load_dword v74, off, s[0:3], 0 offset:280
	s_waitcnt vmcnt(0)
	v_fmac_f64_e32 v[94:95], v[74:75], v[76:77]
	v_add_f64 v[74:75], v[92:93], -v[94:95]
	buffer_store_dword v75, off, s[0:3], 0 offset:156
	buffer_store_dword v74, off, s[0:3], 0 offset:152
	s_and_saveexec_b64 s[4:5], vcc
	s_cbranch_execz .LBB99_187
; %bb.186:
	buffer_load_dword v74, off, s[0:3], 0 offset:144
	buffer_load_dword v75, off, s[0:3], 0 offset:148
	v_mov_b32_e32 v76, 0
	buffer_store_dword v76, off, s[0:3], 0 offset:144
	buffer_store_dword v76, off, s[0:3], 0 offset:148
	s_waitcnt vmcnt(2)
	ds_write_b64 v1, v[74:75]
.LBB99_187:
	s_or_b64 exec, exec, s[4:5]
	s_waitcnt lgkmcnt(0)
	; wave barrier
	s_waitcnt lgkmcnt(0)
	buffer_load_dword v74, off, s[0:3], 0 offset:144
	buffer_load_dword v75, off, s[0:3], 0 offset:148
	;; [unrolled: 1-line block ×16, first 2 shown]
	v_mov_b32_e32 v78, 0
	ds_read2_b64 v[80:83], v78 offset0:55 offset1:56
	v_cmp_lt_u32_e32 vcc, 17, v0
	s_waitcnt vmcnt(12) lgkmcnt(0)
	v_fma_f64 v[76:77], v[76:77], v[80:81], 0
	s_waitcnt vmcnt(10)
	v_fmac_f64_e32 v[76:77], v[84:85], v[82:83]
	ds_read2_b64 v[80:83], v78 offset0:57 offset1:58
	s_waitcnt vmcnt(8) lgkmcnt(0)
	v_fmac_f64_e32 v[76:77], v[86:87], v[80:81]
	s_waitcnt vmcnt(6)
	v_fmac_f64_e32 v[76:77], v[88:89], v[82:83]
	ds_read2_b64 v[80:83], v78 offset0:59 offset1:60
	s_waitcnt vmcnt(4) lgkmcnt(0)
	v_fmac_f64_e32 v[76:77], v[90:91], v[80:81]
	;; [unrolled: 5-line block ×3, first 2 shown]
	buffer_load_dword v81, off, s[0:3], 0 offset:212
	buffer_load_dword v80, off, s[0:3], 0 offset:208
	buffer_load_dword v85, off, s[0:3], 0 offset:220
	buffer_load_dword v84, off, s[0:3], 0 offset:216
	s_waitcnt vmcnt(2)
	v_fmac_f64_e32 v[76:77], v[80:81], v[82:83]
	ds_read2_b64 v[80:83], v78 offset0:63 offset1:64
	s_waitcnt vmcnt(0) lgkmcnt(0)
	v_fmac_f64_e32 v[76:77], v[84:85], v[80:81]
	buffer_load_dword v81, off, s[0:3], 0 offset:228
	buffer_load_dword v80, off, s[0:3], 0 offset:224
	buffer_load_dword v85, off, s[0:3], 0 offset:236
	buffer_load_dword v84, off, s[0:3], 0 offset:232
	s_waitcnt vmcnt(2)
	v_fmac_f64_e32 v[76:77], v[80:81], v[82:83]
	ds_read2_b64 v[80:83], v78 offset0:65 offset1:66
	s_waitcnt vmcnt(0) lgkmcnt(0)
	v_fmac_f64_e32 v[76:77], v[84:85], v[80:81]
	;; [unrolled: 9-line block ×4, first 2 shown]
	buffer_load_dword v81, off, s[0:3], 0 offset:276
	buffer_load_dword v80, off, s[0:3], 0 offset:272
	s_waitcnt vmcnt(0)
	v_fmac_f64_e32 v[76:77], v[80:81], v[82:83]
	buffer_load_dword v81, off, s[0:3], 0 offset:284
	buffer_load_dword v80, off, s[0:3], 0 offset:280
	ds_read_b64 v[82:83], v78 offset:568
	s_waitcnt vmcnt(0) lgkmcnt(0)
	v_fmac_f64_e32 v[76:77], v[80:81], v[82:83]
	v_add_f64 v[74:75], v[74:75], -v[76:77]
	buffer_store_dword v75, off, s[0:3], 0 offset:148
	buffer_store_dword v74, off, s[0:3], 0 offset:144
	s_and_saveexec_b64 s[4:5], vcc
	s_cbranch_execz .LBB99_189
; %bb.188:
	buffer_load_dword v74, off, s[0:3], 0 offset:136
	buffer_load_dword v75, off, s[0:3], 0 offset:140
	s_waitcnt vmcnt(0)
	ds_write_b64 v1, v[74:75]
	buffer_store_dword v78, off, s[0:3], 0 offset:136
	buffer_store_dword v78, off, s[0:3], 0 offset:140
.LBB99_189:
	s_or_b64 exec, exec, s[4:5]
	s_waitcnt lgkmcnt(0)
	; wave barrier
	s_waitcnt lgkmcnt(0)
	buffer_load_dword v74, off, s[0:3], 0 offset:136
	buffer_load_dword v75, off, s[0:3], 0 offset:140
	;; [unrolled: 1-line block ×16, first 2 shown]
	ds_read_b128 v[80:83], v78 offset:432
	ds_read_b128 v[84:87], v78 offset:448
	;; [unrolled: 1-line block ×4, first 2 shown]
	v_cmp_lt_u32_e32 vcc, 16, v0
	s_waitcnt vmcnt(12) lgkmcnt(3)
	v_fma_f64 v[76:77], v[76:77], v[80:81], 0
	buffer_load_dword v81, off, s[0:3], 0 offset:204
	buffer_load_dword v80, off, s[0:3], 0 offset:200
	s_waitcnt vmcnt(12)
	v_fmac_f64_e32 v[76:77], v[96:97], v[82:83]
	s_waitcnt vmcnt(10) lgkmcnt(2)
	v_fmac_f64_e32 v[76:77], v[98:99], v[84:85]
	buffer_load_dword v85, off, s[0:3], 0 offset:212
	buffer_load_dword v84, off, s[0:3], 0 offset:208
	s_waitcnt vmcnt(10)
	v_fmac_f64_e32 v[76:77], v[100:101], v[86:87]
	s_waitcnt vmcnt(8) lgkmcnt(1)
	v_fmac_f64_e32 v[76:77], v[102:103], v[88:89]
	s_waitcnt vmcnt(6)
	v_fmac_f64_e32 v[76:77], v[104:105], v[90:91]
	s_waitcnt vmcnt(4) lgkmcnt(0)
	v_fmac_f64_e32 v[76:77], v[106:107], v[92:93]
	s_waitcnt vmcnt(2)
	v_fmac_f64_e32 v[76:77], v[80:81], v[94:95]
	ds_read_b128 v[80:83], v78 offset:496
	s_waitcnt vmcnt(0) lgkmcnt(0)
	v_fmac_f64_e32 v[76:77], v[84:85], v[80:81]
	buffer_load_dword v81, off, s[0:3], 0 offset:220
	buffer_load_dword v80, off, s[0:3], 0 offset:216
	buffer_load_dword v85, off, s[0:3], 0 offset:228
	buffer_load_dword v84, off, s[0:3], 0 offset:224
	s_waitcnt vmcnt(2)
	v_fmac_f64_e32 v[76:77], v[80:81], v[82:83]
	ds_read_b128 v[80:83], v78 offset:512
	s_waitcnt vmcnt(0) lgkmcnt(0)
	v_fmac_f64_e32 v[76:77], v[84:85], v[80:81]
	buffer_load_dword v81, off, s[0:3], 0 offset:236
	buffer_load_dword v80, off, s[0:3], 0 offset:232
	buffer_load_dword v85, off, s[0:3], 0 offset:244
	buffer_load_dword v84, off, s[0:3], 0 offset:240
	;; [unrolled: 9-line block ×3, first 2 shown]
	s_waitcnt vmcnt(2)
	v_fmac_f64_e32 v[76:77], v[80:81], v[82:83]
	ds_read_b128 v[80:83], v78 offset:544
	s_waitcnt vmcnt(0) lgkmcnt(0)
	v_fmac_f64_e32 v[76:77], v[84:85], v[80:81]
	buffer_load_dword v81, off, s[0:3], 0 offset:268
	buffer_load_dword v80, off, s[0:3], 0 offset:264
	s_waitcnt vmcnt(0)
	v_fmac_f64_e32 v[76:77], v[80:81], v[82:83]
	buffer_load_dword v83, off, s[0:3], 0 offset:276
	buffer_load_dword v82, off, s[0:3], 0 offset:272
	ds_read_b128 v[78:81], v78 offset:560
	s_waitcnt vmcnt(0) lgkmcnt(0)
	v_fmac_f64_e32 v[76:77], v[82:83], v[78:79]
	buffer_load_dword v79, off, s[0:3], 0 offset:284
	buffer_load_dword v78, off, s[0:3], 0 offset:280
	s_waitcnt vmcnt(0)
	v_fmac_f64_e32 v[76:77], v[78:79], v[80:81]
	v_add_f64 v[74:75], v[74:75], -v[76:77]
	buffer_store_dword v75, off, s[0:3], 0 offset:140
	buffer_store_dword v74, off, s[0:3], 0 offset:136
	s_and_saveexec_b64 s[4:5], vcc
	s_cbranch_execz .LBB99_191
; %bb.190:
	buffer_load_dword v74, off, s[0:3], 0 offset:128
	buffer_load_dword v75, off, s[0:3], 0 offset:132
	v_mov_b32_e32 v76, 0
	buffer_store_dword v76, off, s[0:3], 0 offset:128
	buffer_store_dword v76, off, s[0:3], 0 offset:132
	s_waitcnt vmcnt(2)
	ds_write_b64 v1, v[74:75]
.LBB99_191:
	s_or_b64 exec, exec, s[4:5]
	s_waitcnt lgkmcnt(0)
	; wave barrier
	s_waitcnt lgkmcnt(0)
	buffer_load_dword v74, off, s[0:3], 0 offset:128
	buffer_load_dword v75, off, s[0:3], 0 offset:132
	;; [unrolled: 1-line block ×16, first 2 shown]
	v_mov_b32_e32 v78, 0
	ds_read2_b64 v[80:83], v78 offset0:53 offset1:54
	v_cmp_lt_u32_e32 vcc, 15, v0
	s_waitcnt vmcnt(12) lgkmcnt(0)
	v_fma_f64 v[76:77], v[76:77], v[80:81], 0
	s_waitcnt vmcnt(10)
	v_fmac_f64_e32 v[76:77], v[84:85], v[82:83]
	ds_read2_b64 v[80:83], v78 offset0:55 offset1:56
	s_waitcnt vmcnt(8) lgkmcnt(0)
	v_fmac_f64_e32 v[76:77], v[86:87], v[80:81]
	s_waitcnt vmcnt(6)
	v_fmac_f64_e32 v[76:77], v[88:89], v[82:83]
	ds_read2_b64 v[80:83], v78 offset0:57 offset1:58
	s_waitcnt vmcnt(4) lgkmcnt(0)
	v_fmac_f64_e32 v[76:77], v[90:91], v[80:81]
	;; [unrolled: 5-line block ×3, first 2 shown]
	buffer_load_dword v81, off, s[0:3], 0 offset:196
	buffer_load_dword v80, off, s[0:3], 0 offset:192
	buffer_load_dword v85, off, s[0:3], 0 offset:204
	buffer_load_dword v84, off, s[0:3], 0 offset:200
	s_waitcnt vmcnt(2)
	v_fmac_f64_e32 v[76:77], v[80:81], v[82:83]
	ds_read2_b64 v[80:83], v78 offset0:61 offset1:62
	s_waitcnt vmcnt(0) lgkmcnt(0)
	v_fmac_f64_e32 v[76:77], v[84:85], v[80:81]
	buffer_load_dword v81, off, s[0:3], 0 offset:212
	buffer_load_dword v80, off, s[0:3], 0 offset:208
	buffer_load_dword v85, off, s[0:3], 0 offset:220
	buffer_load_dword v84, off, s[0:3], 0 offset:216
	s_waitcnt vmcnt(2)
	v_fmac_f64_e32 v[76:77], v[80:81], v[82:83]
	ds_read2_b64 v[80:83], v78 offset0:63 offset1:64
	s_waitcnt vmcnt(0) lgkmcnt(0)
	v_fmac_f64_e32 v[76:77], v[84:85], v[80:81]
	;; [unrolled: 9-line block ×5, first 2 shown]
	buffer_load_dword v81, off, s[0:3], 0 offset:276
	buffer_load_dword v80, off, s[0:3], 0 offset:272
	s_waitcnt vmcnt(0)
	v_fmac_f64_e32 v[76:77], v[80:81], v[82:83]
	buffer_load_dword v81, off, s[0:3], 0 offset:284
	buffer_load_dword v80, off, s[0:3], 0 offset:280
	ds_read_b64 v[82:83], v78 offset:568
	s_waitcnt vmcnt(0) lgkmcnt(0)
	v_fmac_f64_e32 v[76:77], v[80:81], v[82:83]
	v_add_f64 v[74:75], v[74:75], -v[76:77]
	buffer_store_dword v75, off, s[0:3], 0 offset:132
	buffer_store_dword v74, off, s[0:3], 0 offset:128
	s_and_saveexec_b64 s[4:5], vcc
	s_cbranch_execz .LBB99_193
; %bb.192:
	buffer_load_dword v74, off, s[0:3], 0 offset:120
	buffer_load_dword v75, off, s[0:3], 0 offset:124
	s_waitcnt vmcnt(0)
	ds_write_b64 v1, v[74:75]
	buffer_store_dword v78, off, s[0:3], 0 offset:120
	buffer_store_dword v78, off, s[0:3], 0 offset:124
.LBB99_193:
	s_or_b64 exec, exec, s[4:5]
	s_waitcnt lgkmcnt(0)
	; wave barrier
	s_waitcnt lgkmcnt(0)
	buffer_load_dword v74, off, s[0:3], 0 offset:120
	buffer_load_dword v75, off, s[0:3], 0 offset:124
	;; [unrolled: 1-line block ×16, first 2 shown]
	ds_read_b128 v[80:83], v78 offset:416
	ds_read_b128 v[84:87], v78 offset:432
	ds_read_b128 v[88:91], v78 offset:448
	ds_read_b128 v[92:95], v78 offset:464
	v_cmp_lt_u32_e32 vcc, 14, v0
	s_waitcnt vmcnt(12) lgkmcnt(3)
	v_fma_f64 v[76:77], v[76:77], v[80:81], 0
	buffer_load_dword v81, off, s[0:3], 0 offset:188
	buffer_load_dword v80, off, s[0:3], 0 offset:184
	s_waitcnt vmcnt(12)
	v_fmac_f64_e32 v[76:77], v[96:97], v[82:83]
	s_waitcnt vmcnt(10) lgkmcnt(2)
	v_fmac_f64_e32 v[76:77], v[98:99], v[84:85]
	buffer_load_dword v85, off, s[0:3], 0 offset:196
	buffer_load_dword v84, off, s[0:3], 0 offset:192
	s_waitcnt vmcnt(10)
	v_fmac_f64_e32 v[76:77], v[100:101], v[86:87]
	s_waitcnt vmcnt(8) lgkmcnt(1)
	v_fmac_f64_e32 v[76:77], v[102:103], v[88:89]
	s_waitcnt vmcnt(6)
	v_fmac_f64_e32 v[76:77], v[104:105], v[90:91]
	s_waitcnt vmcnt(4) lgkmcnt(0)
	v_fmac_f64_e32 v[76:77], v[106:107], v[92:93]
	s_waitcnt vmcnt(2)
	v_fmac_f64_e32 v[76:77], v[80:81], v[94:95]
	ds_read_b128 v[80:83], v78 offset:480
	s_waitcnt vmcnt(0) lgkmcnt(0)
	v_fmac_f64_e32 v[76:77], v[84:85], v[80:81]
	buffer_load_dword v81, off, s[0:3], 0 offset:204
	buffer_load_dword v80, off, s[0:3], 0 offset:200
	buffer_load_dword v85, off, s[0:3], 0 offset:212
	buffer_load_dword v84, off, s[0:3], 0 offset:208
	s_waitcnt vmcnt(2)
	v_fmac_f64_e32 v[76:77], v[80:81], v[82:83]
	ds_read_b128 v[80:83], v78 offset:496
	s_waitcnt vmcnt(0) lgkmcnt(0)
	v_fmac_f64_e32 v[76:77], v[84:85], v[80:81]
	buffer_load_dword v81, off, s[0:3], 0 offset:220
	buffer_load_dword v80, off, s[0:3], 0 offset:216
	buffer_load_dword v85, off, s[0:3], 0 offset:228
	buffer_load_dword v84, off, s[0:3], 0 offset:224
	;; [unrolled: 9-line block ×4, first 2 shown]
	s_waitcnt vmcnt(2)
	v_fmac_f64_e32 v[76:77], v[80:81], v[82:83]
	ds_read_b128 v[80:83], v78 offset:544
	s_waitcnt vmcnt(0) lgkmcnt(0)
	v_fmac_f64_e32 v[76:77], v[84:85], v[80:81]
	buffer_load_dword v81, off, s[0:3], 0 offset:268
	buffer_load_dword v80, off, s[0:3], 0 offset:264
	s_waitcnt vmcnt(0)
	v_fmac_f64_e32 v[76:77], v[80:81], v[82:83]
	buffer_load_dword v83, off, s[0:3], 0 offset:276
	buffer_load_dword v82, off, s[0:3], 0 offset:272
	ds_read_b128 v[78:81], v78 offset:560
	s_waitcnt vmcnt(0) lgkmcnt(0)
	v_fmac_f64_e32 v[76:77], v[82:83], v[78:79]
	buffer_load_dword v79, off, s[0:3], 0 offset:284
	buffer_load_dword v78, off, s[0:3], 0 offset:280
	s_waitcnt vmcnt(0)
	v_fmac_f64_e32 v[76:77], v[78:79], v[80:81]
	v_add_f64 v[74:75], v[74:75], -v[76:77]
	buffer_store_dword v75, off, s[0:3], 0 offset:124
	buffer_store_dword v74, off, s[0:3], 0 offset:120
	s_and_saveexec_b64 s[4:5], vcc
	s_cbranch_execz .LBB99_195
; %bb.194:
	buffer_load_dword v74, off, s[0:3], 0 offset:112
	buffer_load_dword v75, off, s[0:3], 0 offset:116
	v_mov_b32_e32 v76, 0
	buffer_store_dword v76, off, s[0:3], 0 offset:112
	buffer_store_dword v76, off, s[0:3], 0 offset:116
	s_waitcnt vmcnt(2)
	ds_write_b64 v1, v[74:75]
.LBB99_195:
	s_or_b64 exec, exec, s[4:5]
	s_waitcnt lgkmcnt(0)
	; wave barrier
	s_waitcnt lgkmcnt(0)
	buffer_load_dword v74, off, s[0:3], 0 offset:112
	buffer_load_dword v75, off, s[0:3], 0 offset:116
	;; [unrolled: 1-line block ×16, first 2 shown]
	v_mov_b32_e32 v78, 0
	ds_read2_b64 v[80:83], v78 offset0:51 offset1:52
	v_cmp_lt_u32_e32 vcc, 13, v0
	s_waitcnt vmcnt(12) lgkmcnt(0)
	v_fma_f64 v[76:77], v[76:77], v[80:81], 0
	s_waitcnt vmcnt(10)
	v_fmac_f64_e32 v[76:77], v[84:85], v[82:83]
	ds_read2_b64 v[80:83], v78 offset0:53 offset1:54
	s_waitcnt vmcnt(8) lgkmcnt(0)
	v_fmac_f64_e32 v[76:77], v[86:87], v[80:81]
	s_waitcnt vmcnt(6)
	v_fmac_f64_e32 v[76:77], v[88:89], v[82:83]
	ds_read2_b64 v[80:83], v78 offset0:55 offset1:56
	s_waitcnt vmcnt(4) lgkmcnt(0)
	v_fmac_f64_e32 v[76:77], v[90:91], v[80:81]
	;; [unrolled: 5-line block ×3, first 2 shown]
	buffer_load_dword v81, off, s[0:3], 0 offset:180
	buffer_load_dword v80, off, s[0:3], 0 offset:176
	buffer_load_dword v85, off, s[0:3], 0 offset:188
	buffer_load_dword v84, off, s[0:3], 0 offset:184
	s_waitcnt vmcnt(2)
	v_fmac_f64_e32 v[76:77], v[80:81], v[82:83]
	ds_read2_b64 v[80:83], v78 offset0:59 offset1:60
	s_waitcnt vmcnt(0) lgkmcnt(0)
	v_fmac_f64_e32 v[76:77], v[84:85], v[80:81]
	buffer_load_dword v81, off, s[0:3], 0 offset:196
	buffer_load_dword v80, off, s[0:3], 0 offset:192
	buffer_load_dword v85, off, s[0:3], 0 offset:204
	buffer_load_dword v84, off, s[0:3], 0 offset:200
	s_waitcnt vmcnt(2)
	v_fmac_f64_e32 v[76:77], v[80:81], v[82:83]
	ds_read2_b64 v[80:83], v78 offset0:61 offset1:62
	s_waitcnt vmcnt(0) lgkmcnt(0)
	v_fmac_f64_e32 v[76:77], v[84:85], v[80:81]
	;; [unrolled: 9-line block ×6, first 2 shown]
	buffer_load_dword v81, off, s[0:3], 0 offset:276
	buffer_load_dword v80, off, s[0:3], 0 offset:272
	s_waitcnt vmcnt(0)
	v_fmac_f64_e32 v[76:77], v[80:81], v[82:83]
	buffer_load_dword v81, off, s[0:3], 0 offset:284
	buffer_load_dword v80, off, s[0:3], 0 offset:280
	ds_read_b64 v[82:83], v78 offset:568
	s_waitcnt vmcnt(0) lgkmcnt(0)
	v_fmac_f64_e32 v[76:77], v[80:81], v[82:83]
	v_add_f64 v[74:75], v[74:75], -v[76:77]
	buffer_store_dword v75, off, s[0:3], 0 offset:116
	buffer_store_dword v74, off, s[0:3], 0 offset:112
	s_and_saveexec_b64 s[4:5], vcc
	s_cbranch_execz .LBB99_197
; %bb.196:
	buffer_load_dword v74, off, s[0:3], 0 offset:104
	buffer_load_dword v75, off, s[0:3], 0 offset:108
	s_waitcnt vmcnt(0)
	ds_write_b64 v1, v[74:75]
	buffer_store_dword v78, off, s[0:3], 0 offset:104
	buffer_store_dword v78, off, s[0:3], 0 offset:108
.LBB99_197:
	s_or_b64 exec, exec, s[4:5]
	s_waitcnt lgkmcnt(0)
	; wave barrier
	s_waitcnt lgkmcnt(0)
	buffer_load_dword v74, off, s[0:3], 0 offset:104
	buffer_load_dword v75, off, s[0:3], 0 offset:108
	;; [unrolled: 1-line block ×16, first 2 shown]
	ds_read_b128 v[80:83], v78 offset:400
	ds_read_b128 v[84:87], v78 offset:416
	;; [unrolled: 1-line block ×4, first 2 shown]
	v_cmp_lt_u32_e32 vcc, 12, v0
	s_waitcnt vmcnt(12) lgkmcnt(3)
	v_fma_f64 v[76:77], v[76:77], v[80:81], 0
	buffer_load_dword v81, off, s[0:3], 0 offset:172
	buffer_load_dword v80, off, s[0:3], 0 offset:168
	s_waitcnt vmcnt(12)
	v_fmac_f64_e32 v[76:77], v[96:97], v[82:83]
	s_waitcnt vmcnt(10) lgkmcnt(2)
	v_fmac_f64_e32 v[76:77], v[98:99], v[84:85]
	buffer_load_dword v85, off, s[0:3], 0 offset:180
	buffer_load_dword v84, off, s[0:3], 0 offset:176
	s_waitcnt vmcnt(10)
	v_fmac_f64_e32 v[76:77], v[100:101], v[86:87]
	s_waitcnt vmcnt(8) lgkmcnt(1)
	v_fmac_f64_e32 v[76:77], v[102:103], v[88:89]
	s_waitcnt vmcnt(6)
	v_fmac_f64_e32 v[76:77], v[104:105], v[90:91]
	s_waitcnt vmcnt(4) lgkmcnt(0)
	v_fmac_f64_e32 v[76:77], v[106:107], v[92:93]
	s_waitcnt vmcnt(2)
	v_fmac_f64_e32 v[76:77], v[80:81], v[94:95]
	ds_read_b128 v[80:83], v78 offset:464
	s_waitcnt vmcnt(0) lgkmcnt(0)
	v_fmac_f64_e32 v[76:77], v[84:85], v[80:81]
	buffer_load_dword v81, off, s[0:3], 0 offset:188
	buffer_load_dword v80, off, s[0:3], 0 offset:184
	buffer_load_dword v85, off, s[0:3], 0 offset:196
	buffer_load_dword v84, off, s[0:3], 0 offset:192
	s_waitcnt vmcnt(2)
	v_fmac_f64_e32 v[76:77], v[80:81], v[82:83]
	ds_read_b128 v[80:83], v78 offset:480
	s_waitcnt vmcnt(0) lgkmcnt(0)
	v_fmac_f64_e32 v[76:77], v[84:85], v[80:81]
	buffer_load_dword v81, off, s[0:3], 0 offset:204
	buffer_load_dword v80, off, s[0:3], 0 offset:200
	buffer_load_dword v85, off, s[0:3], 0 offset:212
	buffer_load_dword v84, off, s[0:3], 0 offset:208
	;; [unrolled: 9-line block ×5, first 2 shown]
	s_waitcnt vmcnt(2)
	v_fmac_f64_e32 v[76:77], v[80:81], v[82:83]
	ds_read_b128 v[80:83], v78 offset:544
	s_waitcnt vmcnt(0) lgkmcnt(0)
	v_fmac_f64_e32 v[76:77], v[84:85], v[80:81]
	buffer_load_dword v81, off, s[0:3], 0 offset:268
	buffer_load_dword v80, off, s[0:3], 0 offset:264
	s_waitcnt vmcnt(0)
	v_fmac_f64_e32 v[76:77], v[80:81], v[82:83]
	buffer_load_dword v83, off, s[0:3], 0 offset:276
	buffer_load_dword v82, off, s[0:3], 0 offset:272
	ds_read_b128 v[78:81], v78 offset:560
	s_waitcnt vmcnt(0) lgkmcnt(0)
	v_fmac_f64_e32 v[76:77], v[82:83], v[78:79]
	buffer_load_dword v79, off, s[0:3], 0 offset:284
	buffer_load_dword v78, off, s[0:3], 0 offset:280
	s_waitcnt vmcnt(0)
	v_fmac_f64_e32 v[76:77], v[78:79], v[80:81]
	v_add_f64 v[74:75], v[74:75], -v[76:77]
	buffer_store_dword v75, off, s[0:3], 0 offset:108
	buffer_store_dword v74, off, s[0:3], 0 offset:104
	s_and_saveexec_b64 s[4:5], vcc
	s_cbranch_execz .LBB99_199
; %bb.198:
	buffer_load_dword v74, off, s[0:3], 0 offset:96
	buffer_load_dword v75, off, s[0:3], 0 offset:100
	v_mov_b32_e32 v76, 0
	buffer_store_dword v76, off, s[0:3], 0 offset:96
	buffer_store_dword v76, off, s[0:3], 0 offset:100
	s_waitcnt vmcnt(2)
	ds_write_b64 v1, v[74:75]
.LBB99_199:
	s_or_b64 exec, exec, s[4:5]
	s_waitcnt lgkmcnt(0)
	; wave barrier
	s_waitcnt lgkmcnt(0)
	buffer_load_dword v74, off, s[0:3], 0 offset:96
	buffer_load_dword v75, off, s[0:3], 0 offset:100
	;; [unrolled: 1-line block ×16, first 2 shown]
	v_mov_b32_e32 v78, 0
	ds_read2_b64 v[80:83], v78 offset0:49 offset1:50
	v_cmp_lt_u32_e32 vcc, 11, v0
	s_waitcnt vmcnt(12) lgkmcnt(0)
	v_fma_f64 v[76:77], v[76:77], v[80:81], 0
	s_waitcnt vmcnt(10)
	v_fmac_f64_e32 v[76:77], v[84:85], v[82:83]
	ds_read2_b64 v[80:83], v78 offset0:51 offset1:52
	s_waitcnt vmcnt(8) lgkmcnt(0)
	v_fmac_f64_e32 v[76:77], v[86:87], v[80:81]
	s_waitcnt vmcnt(6)
	v_fmac_f64_e32 v[76:77], v[88:89], v[82:83]
	ds_read2_b64 v[80:83], v78 offset0:53 offset1:54
	s_waitcnt vmcnt(4) lgkmcnt(0)
	v_fmac_f64_e32 v[76:77], v[90:91], v[80:81]
	;; [unrolled: 5-line block ×3, first 2 shown]
	buffer_load_dword v81, off, s[0:3], 0 offset:164
	buffer_load_dword v80, off, s[0:3], 0 offset:160
	buffer_load_dword v85, off, s[0:3], 0 offset:172
	buffer_load_dword v84, off, s[0:3], 0 offset:168
	s_waitcnt vmcnt(2)
	v_fmac_f64_e32 v[76:77], v[80:81], v[82:83]
	ds_read2_b64 v[80:83], v78 offset0:57 offset1:58
	s_waitcnt vmcnt(0) lgkmcnt(0)
	v_fmac_f64_e32 v[76:77], v[84:85], v[80:81]
	buffer_load_dword v81, off, s[0:3], 0 offset:180
	buffer_load_dword v80, off, s[0:3], 0 offset:176
	buffer_load_dword v85, off, s[0:3], 0 offset:188
	buffer_load_dword v84, off, s[0:3], 0 offset:184
	s_waitcnt vmcnt(2)
	v_fmac_f64_e32 v[76:77], v[80:81], v[82:83]
	ds_read2_b64 v[80:83], v78 offset0:59 offset1:60
	s_waitcnt vmcnt(0) lgkmcnt(0)
	v_fmac_f64_e32 v[76:77], v[84:85], v[80:81]
	buffer_load_dword v81, off, s[0:3], 0 offset:196
	buffer_load_dword v80, off, s[0:3], 0 offset:192
	buffer_load_dword v85, off, s[0:3], 0 offset:204
	buffer_load_dword v84, off, s[0:3], 0 offset:200
	s_waitcnt vmcnt(2)
	v_fmac_f64_e32 v[76:77], v[80:81], v[82:83]
	ds_read2_b64 v[80:83], v78 offset0:61 offset1:62
	s_waitcnt vmcnt(0) lgkmcnt(0)
	v_fmac_f64_e32 v[76:77], v[84:85], v[80:81]
	buffer_load_dword v81, off, s[0:3], 0 offset:212
	buffer_load_dword v80, off, s[0:3], 0 offset:208
	buffer_load_dword v85, off, s[0:3], 0 offset:220
	buffer_load_dword v84, off, s[0:3], 0 offset:216
	s_waitcnt vmcnt(2)
	v_fmac_f64_e32 v[76:77], v[80:81], v[82:83]
	ds_read2_b64 v[80:83], v78 offset0:63 offset1:64
	s_waitcnt vmcnt(0) lgkmcnt(0)
	v_fmac_f64_e32 v[76:77], v[84:85], v[80:81]
	buffer_load_dword v81, off, s[0:3], 0 offset:228
	buffer_load_dword v80, off, s[0:3], 0 offset:224
	buffer_load_dword v85, off, s[0:3], 0 offset:236
	buffer_load_dword v84, off, s[0:3], 0 offset:232
	s_waitcnt vmcnt(2)
	v_fmac_f64_e32 v[76:77], v[80:81], v[82:83]
	ds_read2_b64 v[80:83], v78 offset0:65 offset1:66
	s_waitcnt vmcnt(0) lgkmcnt(0)
	v_fmac_f64_e32 v[76:77], v[84:85], v[80:81]
	buffer_load_dword v81, off, s[0:3], 0 offset:244
	buffer_load_dword v80, off, s[0:3], 0 offset:240
	buffer_load_dword v85, off, s[0:3], 0 offset:252
	buffer_load_dword v84, off, s[0:3], 0 offset:248
	s_waitcnt vmcnt(2)
	v_fmac_f64_e32 v[76:77], v[80:81], v[82:83]
	ds_read2_b64 v[80:83], v78 offset0:67 offset1:68
	s_waitcnt vmcnt(0) lgkmcnt(0)
	v_fmac_f64_e32 v[76:77], v[84:85], v[80:81]
	buffer_load_dword v81, off, s[0:3], 0 offset:260
	buffer_load_dword v80, off, s[0:3], 0 offset:256
	buffer_load_dword v85, off, s[0:3], 0 offset:268
	buffer_load_dword v84, off, s[0:3], 0 offset:264
	s_waitcnt vmcnt(2)
	v_fmac_f64_e32 v[76:77], v[80:81], v[82:83]
	ds_read2_b64 v[80:83], v78 offset0:69 offset1:70
	s_waitcnt vmcnt(0) lgkmcnt(0)
	v_fmac_f64_e32 v[76:77], v[84:85], v[80:81]
	buffer_load_dword v81, off, s[0:3], 0 offset:276
	buffer_load_dword v80, off, s[0:3], 0 offset:272
	s_waitcnt vmcnt(0)
	v_fmac_f64_e32 v[76:77], v[80:81], v[82:83]
	buffer_load_dword v81, off, s[0:3], 0 offset:284
	buffer_load_dword v80, off, s[0:3], 0 offset:280
	ds_read_b64 v[82:83], v78 offset:568
	s_waitcnt vmcnt(0) lgkmcnt(0)
	v_fmac_f64_e32 v[76:77], v[80:81], v[82:83]
	v_add_f64 v[74:75], v[74:75], -v[76:77]
	buffer_store_dword v75, off, s[0:3], 0 offset:100
	buffer_store_dword v74, off, s[0:3], 0 offset:96
	s_and_saveexec_b64 s[4:5], vcc
	s_cbranch_execz .LBB99_201
; %bb.200:
	buffer_load_dword v74, off, s[0:3], 0 offset:88
	buffer_load_dword v75, off, s[0:3], 0 offset:92
	s_waitcnt vmcnt(0)
	ds_write_b64 v1, v[74:75]
	buffer_store_dword v78, off, s[0:3], 0 offset:88
	buffer_store_dword v78, off, s[0:3], 0 offset:92
.LBB99_201:
	s_or_b64 exec, exec, s[4:5]
	s_waitcnt lgkmcnt(0)
	; wave barrier
	s_waitcnt lgkmcnt(0)
	buffer_load_dword v74, off, s[0:3], 0 offset:88
	buffer_load_dword v75, off, s[0:3], 0 offset:92
	;; [unrolled: 1-line block ×16, first 2 shown]
	ds_read_b128 v[80:83], v78 offset:384
	ds_read_b128 v[84:87], v78 offset:400
	;; [unrolled: 1-line block ×4, first 2 shown]
	v_cmp_lt_u32_e32 vcc, 10, v0
	s_waitcnt vmcnt(12) lgkmcnt(3)
	v_fma_f64 v[76:77], v[76:77], v[80:81], 0
	buffer_load_dword v81, off, s[0:3], 0 offset:156
	buffer_load_dword v80, off, s[0:3], 0 offset:152
	s_waitcnt vmcnt(12)
	v_fmac_f64_e32 v[76:77], v[96:97], v[82:83]
	s_waitcnt vmcnt(10) lgkmcnt(2)
	v_fmac_f64_e32 v[76:77], v[98:99], v[84:85]
	buffer_load_dword v85, off, s[0:3], 0 offset:164
	buffer_load_dword v84, off, s[0:3], 0 offset:160
	s_waitcnt vmcnt(10)
	v_fmac_f64_e32 v[76:77], v[100:101], v[86:87]
	s_waitcnt vmcnt(8) lgkmcnt(1)
	v_fmac_f64_e32 v[76:77], v[102:103], v[88:89]
	s_waitcnt vmcnt(6)
	v_fmac_f64_e32 v[76:77], v[104:105], v[90:91]
	s_waitcnt vmcnt(4) lgkmcnt(0)
	v_fmac_f64_e32 v[76:77], v[106:107], v[92:93]
	s_waitcnt vmcnt(2)
	v_fmac_f64_e32 v[76:77], v[80:81], v[94:95]
	ds_read_b128 v[80:83], v78 offset:448
	s_waitcnt vmcnt(0) lgkmcnt(0)
	v_fmac_f64_e32 v[76:77], v[84:85], v[80:81]
	buffer_load_dword v81, off, s[0:3], 0 offset:172
	buffer_load_dword v80, off, s[0:3], 0 offset:168
	buffer_load_dword v85, off, s[0:3], 0 offset:180
	buffer_load_dword v84, off, s[0:3], 0 offset:176
	s_waitcnt vmcnt(2)
	v_fmac_f64_e32 v[76:77], v[80:81], v[82:83]
	ds_read_b128 v[80:83], v78 offset:464
	s_waitcnt vmcnt(0) lgkmcnt(0)
	v_fmac_f64_e32 v[76:77], v[84:85], v[80:81]
	buffer_load_dword v81, off, s[0:3], 0 offset:188
	buffer_load_dword v80, off, s[0:3], 0 offset:184
	buffer_load_dword v85, off, s[0:3], 0 offset:196
	buffer_load_dword v84, off, s[0:3], 0 offset:192
	;; [unrolled: 9-line block ×6, first 2 shown]
	s_waitcnt vmcnt(2)
	v_fmac_f64_e32 v[76:77], v[80:81], v[82:83]
	ds_read_b128 v[80:83], v78 offset:544
	s_waitcnt vmcnt(0) lgkmcnt(0)
	v_fmac_f64_e32 v[76:77], v[84:85], v[80:81]
	buffer_load_dword v81, off, s[0:3], 0 offset:268
	buffer_load_dword v80, off, s[0:3], 0 offset:264
	s_waitcnt vmcnt(0)
	v_fmac_f64_e32 v[76:77], v[80:81], v[82:83]
	buffer_load_dword v83, off, s[0:3], 0 offset:276
	buffer_load_dword v82, off, s[0:3], 0 offset:272
	ds_read_b128 v[78:81], v78 offset:560
	s_waitcnt vmcnt(0) lgkmcnt(0)
	v_fmac_f64_e32 v[76:77], v[82:83], v[78:79]
	buffer_load_dword v79, off, s[0:3], 0 offset:284
	buffer_load_dword v78, off, s[0:3], 0 offset:280
	s_waitcnt vmcnt(0)
	v_fmac_f64_e32 v[76:77], v[78:79], v[80:81]
	v_add_f64 v[74:75], v[74:75], -v[76:77]
	buffer_store_dword v75, off, s[0:3], 0 offset:92
	buffer_store_dword v74, off, s[0:3], 0 offset:88
	s_and_saveexec_b64 s[4:5], vcc
	s_cbranch_execz .LBB99_203
; %bb.202:
	buffer_load_dword v74, off, s[0:3], 0 offset:80
	buffer_load_dword v75, off, s[0:3], 0 offset:84
	v_mov_b32_e32 v76, 0
	buffer_store_dword v76, off, s[0:3], 0 offset:80
	buffer_store_dword v76, off, s[0:3], 0 offset:84
	s_waitcnt vmcnt(2)
	ds_write_b64 v1, v[74:75]
.LBB99_203:
	s_or_b64 exec, exec, s[4:5]
	s_waitcnt lgkmcnt(0)
	; wave barrier
	s_waitcnt lgkmcnt(0)
	buffer_load_dword v74, off, s[0:3], 0 offset:80
	buffer_load_dword v75, off, s[0:3], 0 offset:84
	;; [unrolled: 1-line block ×16, first 2 shown]
	v_mov_b32_e32 v78, 0
	ds_read2_b64 v[80:83], v78 offset0:47 offset1:48
	v_cmp_lt_u32_e32 vcc, 9, v0
	s_waitcnt vmcnt(12) lgkmcnt(0)
	v_fma_f64 v[76:77], v[76:77], v[80:81], 0
	s_waitcnt vmcnt(10)
	v_fmac_f64_e32 v[76:77], v[84:85], v[82:83]
	ds_read2_b64 v[80:83], v78 offset0:49 offset1:50
	s_waitcnt vmcnt(8) lgkmcnt(0)
	v_fmac_f64_e32 v[76:77], v[86:87], v[80:81]
	s_waitcnt vmcnt(6)
	v_fmac_f64_e32 v[76:77], v[88:89], v[82:83]
	ds_read2_b64 v[80:83], v78 offset0:51 offset1:52
	s_waitcnt vmcnt(4) lgkmcnt(0)
	v_fmac_f64_e32 v[76:77], v[90:91], v[80:81]
	;; [unrolled: 5-line block ×3, first 2 shown]
	buffer_load_dword v81, off, s[0:3], 0 offset:148
	buffer_load_dword v80, off, s[0:3], 0 offset:144
	buffer_load_dword v85, off, s[0:3], 0 offset:156
	buffer_load_dword v84, off, s[0:3], 0 offset:152
	s_waitcnt vmcnt(2)
	v_fmac_f64_e32 v[76:77], v[80:81], v[82:83]
	ds_read2_b64 v[80:83], v78 offset0:55 offset1:56
	s_waitcnt vmcnt(0) lgkmcnt(0)
	v_fmac_f64_e32 v[76:77], v[84:85], v[80:81]
	buffer_load_dword v81, off, s[0:3], 0 offset:164
	buffer_load_dword v80, off, s[0:3], 0 offset:160
	buffer_load_dword v85, off, s[0:3], 0 offset:172
	buffer_load_dword v84, off, s[0:3], 0 offset:168
	s_waitcnt vmcnt(2)
	v_fmac_f64_e32 v[76:77], v[80:81], v[82:83]
	ds_read2_b64 v[80:83], v78 offset0:57 offset1:58
	s_waitcnt vmcnt(0) lgkmcnt(0)
	v_fmac_f64_e32 v[76:77], v[84:85], v[80:81]
	;; [unrolled: 9-line block ×8, first 2 shown]
	buffer_load_dword v81, off, s[0:3], 0 offset:276
	buffer_load_dword v80, off, s[0:3], 0 offset:272
	s_waitcnt vmcnt(0)
	v_fmac_f64_e32 v[76:77], v[80:81], v[82:83]
	buffer_load_dword v81, off, s[0:3], 0 offset:284
	buffer_load_dword v80, off, s[0:3], 0 offset:280
	ds_read_b64 v[82:83], v78 offset:568
	s_waitcnt vmcnt(0) lgkmcnt(0)
	v_fmac_f64_e32 v[76:77], v[80:81], v[82:83]
	v_add_f64 v[74:75], v[74:75], -v[76:77]
	buffer_store_dword v75, off, s[0:3], 0 offset:84
	buffer_store_dword v74, off, s[0:3], 0 offset:80
	s_and_saveexec_b64 s[4:5], vcc
	s_cbranch_execz .LBB99_205
; %bb.204:
	buffer_load_dword v74, off, s[0:3], 0 offset:72
	buffer_load_dword v75, off, s[0:3], 0 offset:76
	s_waitcnt vmcnt(0)
	ds_write_b64 v1, v[74:75]
	buffer_store_dword v78, off, s[0:3], 0 offset:72
	buffer_store_dword v78, off, s[0:3], 0 offset:76
.LBB99_205:
	s_or_b64 exec, exec, s[4:5]
	s_waitcnt lgkmcnt(0)
	; wave barrier
	s_waitcnt lgkmcnt(0)
	buffer_load_dword v74, off, s[0:3], 0 offset:72
	buffer_load_dword v75, off, s[0:3], 0 offset:76
	;; [unrolled: 1-line block ×16, first 2 shown]
	ds_read_b128 v[80:83], v78 offset:368
	ds_read_b128 v[84:87], v78 offset:384
	;; [unrolled: 1-line block ×4, first 2 shown]
	v_cmp_lt_u32_e32 vcc, 8, v0
	s_waitcnt vmcnt(12) lgkmcnt(3)
	v_fma_f64 v[76:77], v[76:77], v[80:81], 0
	buffer_load_dword v81, off, s[0:3], 0 offset:140
	buffer_load_dword v80, off, s[0:3], 0 offset:136
	s_waitcnt vmcnt(12)
	v_fmac_f64_e32 v[76:77], v[96:97], v[82:83]
	s_waitcnt vmcnt(10) lgkmcnt(2)
	v_fmac_f64_e32 v[76:77], v[98:99], v[84:85]
	buffer_load_dword v85, off, s[0:3], 0 offset:148
	buffer_load_dword v84, off, s[0:3], 0 offset:144
	s_waitcnt vmcnt(10)
	v_fmac_f64_e32 v[76:77], v[100:101], v[86:87]
	s_waitcnt vmcnt(8) lgkmcnt(1)
	v_fmac_f64_e32 v[76:77], v[102:103], v[88:89]
	s_waitcnt vmcnt(6)
	v_fmac_f64_e32 v[76:77], v[104:105], v[90:91]
	s_waitcnt vmcnt(4) lgkmcnt(0)
	v_fmac_f64_e32 v[76:77], v[106:107], v[92:93]
	s_waitcnt vmcnt(2)
	v_fmac_f64_e32 v[76:77], v[80:81], v[94:95]
	ds_read_b128 v[80:83], v78 offset:432
	s_waitcnt vmcnt(0) lgkmcnt(0)
	v_fmac_f64_e32 v[76:77], v[84:85], v[80:81]
	buffer_load_dword v81, off, s[0:3], 0 offset:156
	buffer_load_dword v80, off, s[0:3], 0 offset:152
	buffer_load_dword v85, off, s[0:3], 0 offset:164
	buffer_load_dword v84, off, s[0:3], 0 offset:160
	s_waitcnt vmcnt(2)
	v_fmac_f64_e32 v[76:77], v[80:81], v[82:83]
	ds_read_b128 v[80:83], v78 offset:448
	s_waitcnt vmcnt(0) lgkmcnt(0)
	v_fmac_f64_e32 v[76:77], v[84:85], v[80:81]
	buffer_load_dword v81, off, s[0:3], 0 offset:172
	buffer_load_dword v80, off, s[0:3], 0 offset:168
	buffer_load_dword v85, off, s[0:3], 0 offset:180
	buffer_load_dword v84, off, s[0:3], 0 offset:176
	;; [unrolled: 9-line block ×7, first 2 shown]
	s_waitcnt vmcnt(2)
	v_fmac_f64_e32 v[76:77], v[80:81], v[82:83]
	ds_read_b128 v[80:83], v78 offset:544
	s_waitcnt vmcnt(0) lgkmcnt(0)
	v_fmac_f64_e32 v[76:77], v[84:85], v[80:81]
	buffer_load_dword v81, off, s[0:3], 0 offset:268
	buffer_load_dword v80, off, s[0:3], 0 offset:264
	s_waitcnt vmcnt(0)
	v_fmac_f64_e32 v[76:77], v[80:81], v[82:83]
	buffer_load_dword v83, off, s[0:3], 0 offset:276
	buffer_load_dword v82, off, s[0:3], 0 offset:272
	ds_read_b128 v[78:81], v78 offset:560
	s_waitcnt vmcnt(0) lgkmcnt(0)
	v_fmac_f64_e32 v[76:77], v[82:83], v[78:79]
	buffer_load_dword v79, off, s[0:3], 0 offset:284
	buffer_load_dword v78, off, s[0:3], 0 offset:280
	s_waitcnt vmcnt(0)
	v_fmac_f64_e32 v[76:77], v[78:79], v[80:81]
	v_add_f64 v[74:75], v[74:75], -v[76:77]
	buffer_store_dword v75, off, s[0:3], 0 offset:76
	buffer_store_dword v74, off, s[0:3], 0 offset:72
	s_and_saveexec_b64 s[4:5], vcc
	s_cbranch_execz .LBB99_207
; %bb.206:
	buffer_load_dword v74, off, s[0:3], 0 offset:64
	buffer_load_dword v75, off, s[0:3], 0 offset:68
	v_mov_b32_e32 v76, 0
	buffer_store_dword v76, off, s[0:3], 0 offset:64
	buffer_store_dword v76, off, s[0:3], 0 offset:68
	s_waitcnt vmcnt(2)
	ds_write_b64 v1, v[74:75]
.LBB99_207:
	s_or_b64 exec, exec, s[4:5]
	s_waitcnt lgkmcnt(0)
	; wave barrier
	s_waitcnt lgkmcnt(0)
	buffer_load_dword v74, off, s[0:3], 0 offset:64
	buffer_load_dword v75, off, s[0:3], 0 offset:68
	;; [unrolled: 1-line block ×16, first 2 shown]
	v_mov_b32_e32 v78, 0
	ds_read2_b64 v[80:83], v78 offset0:45 offset1:46
	v_cmp_lt_u32_e32 vcc, 7, v0
	s_waitcnt vmcnt(12) lgkmcnt(0)
	v_fma_f64 v[76:77], v[76:77], v[80:81], 0
	s_waitcnt vmcnt(10)
	v_fmac_f64_e32 v[76:77], v[84:85], v[82:83]
	ds_read2_b64 v[80:83], v78 offset0:47 offset1:48
	s_waitcnt vmcnt(8) lgkmcnt(0)
	v_fmac_f64_e32 v[76:77], v[86:87], v[80:81]
	s_waitcnt vmcnt(6)
	v_fmac_f64_e32 v[76:77], v[88:89], v[82:83]
	ds_read2_b64 v[80:83], v78 offset0:49 offset1:50
	s_waitcnt vmcnt(4) lgkmcnt(0)
	v_fmac_f64_e32 v[76:77], v[90:91], v[80:81]
	;; [unrolled: 5-line block ×3, first 2 shown]
	buffer_load_dword v81, off, s[0:3], 0 offset:132
	buffer_load_dword v80, off, s[0:3], 0 offset:128
	buffer_load_dword v85, off, s[0:3], 0 offset:140
	buffer_load_dword v84, off, s[0:3], 0 offset:136
	s_waitcnt vmcnt(2)
	v_fmac_f64_e32 v[76:77], v[80:81], v[82:83]
	ds_read2_b64 v[80:83], v78 offset0:53 offset1:54
	s_waitcnt vmcnt(0) lgkmcnt(0)
	v_fmac_f64_e32 v[76:77], v[84:85], v[80:81]
	buffer_load_dword v81, off, s[0:3], 0 offset:148
	buffer_load_dword v80, off, s[0:3], 0 offset:144
	buffer_load_dword v85, off, s[0:3], 0 offset:156
	buffer_load_dword v84, off, s[0:3], 0 offset:152
	s_waitcnt vmcnt(2)
	v_fmac_f64_e32 v[76:77], v[80:81], v[82:83]
	ds_read2_b64 v[80:83], v78 offset0:55 offset1:56
	s_waitcnt vmcnt(0) lgkmcnt(0)
	v_fmac_f64_e32 v[76:77], v[84:85], v[80:81]
	;; [unrolled: 9-line block ×9, first 2 shown]
	buffer_load_dword v81, off, s[0:3], 0 offset:276
	buffer_load_dword v80, off, s[0:3], 0 offset:272
	s_waitcnt vmcnt(0)
	v_fmac_f64_e32 v[76:77], v[80:81], v[82:83]
	buffer_load_dword v81, off, s[0:3], 0 offset:284
	buffer_load_dword v80, off, s[0:3], 0 offset:280
	ds_read_b64 v[82:83], v78 offset:568
	s_waitcnt vmcnt(0) lgkmcnt(0)
	v_fmac_f64_e32 v[76:77], v[80:81], v[82:83]
	v_add_f64 v[74:75], v[74:75], -v[76:77]
	buffer_store_dword v75, off, s[0:3], 0 offset:68
	buffer_store_dword v74, off, s[0:3], 0 offset:64
	s_and_saveexec_b64 s[4:5], vcc
	s_cbranch_execz .LBB99_209
; %bb.208:
	buffer_load_dword v74, off, s[0:3], 0 offset:56
	buffer_load_dword v75, off, s[0:3], 0 offset:60
	s_waitcnt vmcnt(0)
	ds_write_b64 v1, v[74:75]
	buffer_store_dword v78, off, s[0:3], 0 offset:56
	buffer_store_dword v78, off, s[0:3], 0 offset:60
.LBB99_209:
	s_or_b64 exec, exec, s[4:5]
	s_waitcnt lgkmcnt(0)
	; wave barrier
	s_waitcnt lgkmcnt(0)
	buffer_load_dword v74, off, s[0:3], 0 offset:56
	buffer_load_dword v75, off, s[0:3], 0 offset:60
	;; [unrolled: 1-line block ×16, first 2 shown]
	ds_read_b128 v[80:83], v78 offset:352
	ds_read_b128 v[84:87], v78 offset:368
	;; [unrolled: 1-line block ×4, first 2 shown]
	v_cmp_lt_u32_e32 vcc, 6, v0
	s_waitcnt vmcnt(12) lgkmcnt(3)
	v_fma_f64 v[76:77], v[76:77], v[80:81], 0
	buffer_load_dword v81, off, s[0:3], 0 offset:124
	buffer_load_dword v80, off, s[0:3], 0 offset:120
	s_waitcnt vmcnt(12)
	v_fmac_f64_e32 v[76:77], v[96:97], v[82:83]
	s_waitcnt vmcnt(10) lgkmcnt(2)
	v_fmac_f64_e32 v[76:77], v[98:99], v[84:85]
	buffer_load_dword v85, off, s[0:3], 0 offset:132
	buffer_load_dword v84, off, s[0:3], 0 offset:128
	s_waitcnt vmcnt(10)
	v_fmac_f64_e32 v[76:77], v[100:101], v[86:87]
	s_waitcnt vmcnt(8) lgkmcnt(1)
	v_fmac_f64_e32 v[76:77], v[102:103], v[88:89]
	s_waitcnt vmcnt(6)
	v_fmac_f64_e32 v[76:77], v[104:105], v[90:91]
	s_waitcnt vmcnt(4) lgkmcnt(0)
	v_fmac_f64_e32 v[76:77], v[106:107], v[92:93]
	s_waitcnt vmcnt(2)
	v_fmac_f64_e32 v[76:77], v[80:81], v[94:95]
	ds_read_b128 v[80:83], v78 offset:416
	s_waitcnt vmcnt(0) lgkmcnt(0)
	v_fmac_f64_e32 v[76:77], v[84:85], v[80:81]
	buffer_load_dword v81, off, s[0:3], 0 offset:140
	buffer_load_dword v80, off, s[0:3], 0 offset:136
	buffer_load_dword v85, off, s[0:3], 0 offset:148
	buffer_load_dword v84, off, s[0:3], 0 offset:144
	s_waitcnt vmcnt(2)
	v_fmac_f64_e32 v[76:77], v[80:81], v[82:83]
	ds_read_b128 v[80:83], v78 offset:432
	s_waitcnt vmcnt(0) lgkmcnt(0)
	v_fmac_f64_e32 v[76:77], v[84:85], v[80:81]
	buffer_load_dword v81, off, s[0:3], 0 offset:156
	buffer_load_dword v80, off, s[0:3], 0 offset:152
	buffer_load_dword v85, off, s[0:3], 0 offset:164
	buffer_load_dword v84, off, s[0:3], 0 offset:160
	;; [unrolled: 9-line block ×8, first 2 shown]
	s_waitcnt vmcnt(2)
	v_fmac_f64_e32 v[76:77], v[80:81], v[82:83]
	ds_read_b128 v[80:83], v78 offset:544
	s_waitcnt vmcnt(0) lgkmcnt(0)
	v_fmac_f64_e32 v[76:77], v[84:85], v[80:81]
	buffer_load_dword v81, off, s[0:3], 0 offset:268
	buffer_load_dword v80, off, s[0:3], 0 offset:264
	s_waitcnt vmcnt(0)
	v_fmac_f64_e32 v[76:77], v[80:81], v[82:83]
	buffer_load_dword v83, off, s[0:3], 0 offset:276
	buffer_load_dword v82, off, s[0:3], 0 offset:272
	ds_read_b128 v[78:81], v78 offset:560
	s_waitcnt vmcnt(0) lgkmcnt(0)
	v_fmac_f64_e32 v[76:77], v[82:83], v[78:79]
	buffer_load_dword v79, off, s[0:3], 0 offset:284
	buffer_load_dword v78, off, s[0:3], 0 offset:280
	s_waitcnt vmcnt(0)
	v_fmac_f64_e32 v[76:77], v[78:79], v[80:81]
	v_add_f64 v[74:75], v[74:75], -v[76:77]
	buffer_store_dword v75, off, s[0:3], 0 offset:60
	buffer_store_dword v74, off, s[0:3], 0 offset:56
	s_and_saveexec_b64 s[4:5], vcc
	s_cbranch_execz .LBB99_211
; %bb.210:
	buffer_load_dword v74, off, s[0:3], 0 offset:48
	buffer_load_dword v75, off, s[0:3], 0 offset:52
	v_mov_b32_e32 v76, 0
	buffer_store_dword v76, off, s[0:3], 0 offset:48
	buffer_store_dword v76, off, s[0:3], 0 offset:52
	s_waitcnt vmcnt(2)
	ds_write_b64 v1, v[74:75]
.LBB99_211:
	s_or_b64 exec, exec, s[4:5]
	s_waitcnt lgkmcnt(0)
	; wave barrier
	s_waitcnt lgkmcnt(0)
	buffer_load_dword v74, off, s[0:3], 0 offset:48
	buffer_load_dword v75, off, s[0:3], 0 offset:52
	;; [unrolled: 1-line block ×16, first 2 shown]
	v_mov_b32_e32 v78, 0
	ds_read2_b64 v[80:83], v78 offset0:43 offset1:44
	v_cmp_lt_u32_e32 vcc, 5, v0
	s_waitcnt vmcnt(12) lgkmcnt(0)
	v_fma_f64 v[76:77], v[76:77], v[80:81], 0
	s_waitcnt vmcnt(10)
	v_fmac_f64_e32 v[76:77], v[84:85], v[82:83]
	ds_read2_b64 v[80:83], v78 offset0:45 offset1:46
	s_waitcnt vmcnt(8) lgkmcnt(0)
	v_fmac_f64_e32 v[76:77], v[86:87], v[80:81]
	s_waitcnt vmcnt(6)
	v_fmac_f64_e32 v[76:77], v[88:89], v[82:83]
	ds_read2_b64 v[80:83], v78 offset0:47 offset1:48
	s_waitcnt vmcnt(4) lgkmcnt(0)
	v_fmac_f64_e32 v[76:77], v[90:91], v[80:81]
	;; [unrolled: 5-line block ×3, first 2 shown]
	buffer_load_dword v81, off, s[0:3], 0 offset:116
	buffer_load_dword v80, off, s[0:3], 0 offset:112
	buffer_load_dword v85, off, s[0:3], 0 offset:124
	buffer_load_dword v84, off, s[0:3], 0 offset:120
	s_waitcnt vmcnt(2)
	v_fmac_f64_e32 v[76:77], v[80:81], v[82:83]
	ds_read2_b64 v[80:83], v78 offset0:51 offset1:52
	s_waitcnt vmcnt(0) lgkmcnt(0)
	v_fmac_f64_e32 v[76:77], v[84:85], v[80:81]
	buffer_load_dword v81, off, s[0:3], 0 offset:132
	buffer_load_dword v80, off, s[0:3], 0 offset:128
	buffer_load_dword v85, off, s[0:3], 0 offset:140
	buffer_load_dword v84, off, s[0:3], 0 offset:136
	s_waitcnt vmcnt(2)
	v_fmac_f64_e32 v[76:77], v[80:81], v[82:83]
	ds_read2_b64 v[80:83], v78 offset0:53 offset1:54
	s_waitcnt vmcnt(0) lgkmcnt(0)
	v_fmac_f64_e32 v[76:77], v[84:85], v[80:81]
	;; [unrolled: 9-line block ×10, first 2 shown]
	buffer_load_dword v81, off, s[0:3], 0 offset:276
	buffer_load_dword v80, off, s[0:3], 0 offset:272
	s_waitcnt vmcnt(0)
	v_fmac_f64_e32 v[76:77], v[80:81], v[82:83]
	buffer_load_dword v81, off, s[0:3], 0 offset:284
	buffer_load_dword v80, off, s[0:3], 0 offset:280
	ds_read_b64 v[82:83], v78 offset:568
	s_waitcnt vmcnt(0) lgkmcnt(0)
	v_fmac_f64_e32 v[76:77], v[80:81], v[82:83]
	v_add_f64 v[74:75], v[74:75], -v[76:77]
	buffer_store_dword v75, off, s[0:3], 0 offset:52
	buffer_store_dword v74, off, s[0:3], 0 offset:48
	s_and_saveexec_b64 s[4:5], vcc
	s_cbranch_execz .LBB99_213
; %bb.212:
	buffer_load_dword v74, off, s[0:3], 0 offset:40
	buffer_load_dword v75, off, s[0:3], 0 offset:44
	s_waitcnt vmcnt(0)
	ds_write_b64 v1, v[74:75]
	buffer_store_dword v78, off, s[0:3], 0 offset:40
	buffer_store_dword v78, off, s[0:3], 0 offset:44
.LBB99_213:
	s_or_b64 exec, exec, s[4:5]
	s_waitcnt lgkmcnt(0)
	; wave barrier
	s_waitcnt lgkmcnt(0)
	buffer_load_dword v74, off, s[0:3], 0 offset:40
	buffer_load_dword v75, off, s[0:3], 0 offset:44
	;; [unrolled: 1-line block ×16, first 2 shown]
	ds_read_b128 v[80:83], v78 offset:336
	ds_read_b128 v[84:87], v78 offset:352
	;; [unrolled: 1-line block ×4, first 2 shown]
	v_cmp_lt_u32_e32 vcc, 4, v0
	s_waitcnt vmcnt(12) lgkmcnt(3)
	v_fma_f64 v[76:77], v[76:77], v[80:81], 0
	buffer_load_dword v81, off, s[0:3], 0 offset:108
	buffer_load_dword v80, off, s[0:3], 0 offset:104
	s_waitcnt vmcnt(12)
	v_fmac_f64_e32 v[76:77], v[96:97], v[82:83]
	s_waitcnt vmcnt(10) lgkmcnt(2)
	v_fmac_f64_e32 v[76:77], v[98:99], v[84:85]
	buffer_load_dword v85, off, s[0:3], 0 offset:116
	buffer_load_dword v84, off, s[0:3], 0 offset:112
	s_waitcnt vmcnt(10)
	v_fmac_f64_e32 v[76:77], v[100:101], v[86:87]
	s_waitcnt vmcnt(8) lgkmcnt(1)
	v_fmac_f64_e32 v[76:77], v[102:103], v[88:89]
	s_waitcnt vmcnt(6)
	v_fmac_f64_e32 v[76:77], v[104:105], v[90:91]
	s_waitcnt vmcnt(4) lgkmcnt(0)
	v_fmac_f64_e32 v[76:77], v[106:107], v[92:93]
	s_waitcnt vmcnt(2)
	v_fmac_f64_e32 v[76:77], v[80:81], v[94:95]
	ds_read_b128 v[80:83], v78 offset:400
	s_waitcnt vmcnt(0) lgkmcnt(0)
	v_fmac_f64_e32 v[76:77], v[84:85], v[80:81]
	buffer_load_dword v81, off, s[0:3], 0 offset:124
	buffer_load_dword v80, off, s[0:3], 0 offset:120
	buffer_load_dword v85, off, s[0:3], 0 offset:132
	buffer_load_dword v84, off, s[0:3], 0 offset:128
	s_waitcnt vmcnt(2)
	v_fmac_f64_e32 v[76:77], v[80:81], v[82:83]
	ds_read_b128 v[80:83], v78 offset:416
	s_waitcnt vmcnt(0) lgkmcnt(0)
	v_fmac_f64_e32 v[76:77], v[84:85], v[80:81]
	buffer_load_dword v81, off, s[0:3], 0 offset:140
	buffer_load_dword v80, off, s[0:3], 0 offset:136
	buffer_load_dword v85, off, s[0:3], 0 offset:148
	buffer_load_dword v84, off, s[0:3], 0 offset:144
	;; [unrolled: 9-line block ×9, first 2 shown]
	s_waitcnt vmcnt(2)
	v_fmac_f64_e32 v[76:77], v[80:81], v[82:83]
	ds_read_b128 v[80:83], v78 offset:544
	s_waitcnt vmcnt(0) lgkmcnt(0)
	v_fmac_f64_e32 v[76:77], v[84:85], v[80:81]
	buffer_load_dword v81, off, s[0:3], 0 offset:268
	buffer_load_dword v80, off, s[0:3], 0 offset:264
	s_waitcnt vmcnt(0)
	v_fmac_f64_e32 v[76:77], v[80:81], v[82:83]
	buffer_load_dword v83, off, s[0:3], 0 offset:276
	buffer_load_dword v82, off, s[0:3], 0 offset:272
	ds_read_b128 v[78:81], v78 offset:560
	s_waitcnt vmcnt(0) lgkmcnt(0)
	v_fmac_f64_e32 v[76:77], v[82:83], v[78:79]
	buffer_load_dword v79, off, s[0:3], 0 offset:284
	buffer_load_dword v78, off, s[0:3], 0 offset:280
	s_waitcnt vmcnt(0)
	v_fmac_f64_e32 v[76:77], v[78:79], v[80:81]
	v_add_f64 v[74:75], v[74:75], -v[76:77]
	buffer_store_dword v75, off, s[0:3], 0 offset:44
	buffer_store_dword v74, off, s[0:3], 0 offset:40
	s_and_saveexec_b64 s[4:5], vcc
	s_cbranch_execz .LBB99_215
; %bb.214:
	buffer_load_dword v74, off, s[0:3], 0 offset:32
	buffer_load_dword v75, off, s[0:3], 0 offset:36
	v_mov_b32_e32 v76, 0
	buffer_store_dword v76, off, s[0:3], 0 offset:32
	buffer_store_dword v76, off, s[0:3], 0 offset:36
	s_waitcnt vmcnt(2)
	ds_write_b64 v1, v[74:75]
.LBB99_215:
	s_or_b64 exec, exec, s[4:5]
	s_waitcnt lgkmcnt(0)
	; wave barrier
	s_waitcnt lgkmcnt(0)
	buffer_load_dword v74, off, s[0:3], 0 offset:32
	buffer_load_dword v75, off, s[0:3], 0 offset:36
	;; [unrolled: 1-line block ×16, first 2 shown]
	v_mov_b32_e32 v78, 0
	ds_read2_b64 v[80:83], v78 offset0:41 offset1:42
	v_cmp_lt_u32_e32 vcc, 3, v0
	s_waitcnt vmcnt(12) lgkmcnt(0)
	v_fma_f64 v[76:77], v[76:77], v[80:81], 0
	s_waitcnt vmcnt(10)
	v_fmac_f64_e32 v[76:77], v[84:85], v[82:83]
	ds_read2_b64 v[80:83], v78 offset0:43 offset1:44
	s_waitcnt vmcnt(8) lgkmcnt(0)
	v_fmac_f64_e32 v[76:77], v[86:87], v[80:81]
	s_waitcnt vmcnt(6)
	v_fmac_f64_e32 v[76:77], v[88:89], v[82:83]
	ds_read2_b64 v[80:83], v78 offset0:45 offset1:46
	s_waitcnt vmcnt(4) lgkmcnt(0)
	v_fmac_f64_e32 v[76:77], v[90:91], v[80:81]
	;; [unrolled: 5-line block ×3, first 2 shown]
	buffer_load_dword v81, off, s[0:3], 0 offset:100
	buffer_load_dword v80, off, s[0:3], 0 offset:96
	buffer_load_dword v85, off, s[0:3], 0 offset:108
	buffer_load_dword v84, off, s[0:3], 0 offset:104
	s_waitcnt vmcnt(2)
	v_fmac_f64_e32 v[76:77], v[80:81], v[82:83]
	ds_read2_b64 v[80:83], v78 offset0:49 offset1:50
	s_waitcnt vmcnt(0) lgkmcnt(0)
	v_fmac_f64_e32 v[76:77], v[84:85], v[80:81]
	buffer_load_dword v81, off, s[0:3], 0 offset:116
	buffer_load_dword v80, off, s[0:3], 0 offset:112
	buffer_load_dword v85, off, s[0:3], 0 offset:124
	buffer_load_dword v84, off, s[0:3], 0 offset:120
	s_waitcnt vmcnt(2)
	v_fmac_f64_e32 v[76:77], v[80:81], v[82:83]
	ds_read2_b64 v[80:83], v78 offset0:51 offset1:52
	s_waitcnt vmcnt(0) lgkmcnt(0)
	v_fmac_f64_e32 v[76:77], v[84:85], v[80:81]
	buffer_load_dword v81, off, s[0:3], 0 offset:132
	buffer_load_dword v80, off, s[0:3], 0 offset:128
	buffer_load_dword v85, off, s[0:3], 0 offset:140
	buffer_load_dword v84, off, s[0:3], 0 offset:136
	s_waitcnt vmcnt(2)
	v_fmac_f64_e32 v[76:77], v[80:81], v[82:83]
	ds_read2_b64 v[80:83], v78 offset0:53 offset1:54
	s_waitcnt vmcnt(0) lgkmcnt(0)
	v_fmac_f64_e32 v[76:77], v[84:85], v[80:81]
	buffer_load_dword v81, off, s[0:3], 0 offset:148
	buffer_load_dword v80, off, s[0:3], 0 offset:144
	buffer_load_dword v85, off, s[0:3], 0 offset:156
	buffer_load_dword v84, off, s[0:3], 0 offset:152
	s_waitcnt vmcnt(2)
	v_fmac_f64_e32 v[76:77], v[80:81], v[82:83]
	ds_read2_b64 v[80:83], v78 offset0:55 offset1:56
	s_waitcnt vmcnt(0) lgkmcnt(0)
	v_fmac_f64_e32 v[76:77], v[84:85], v[80:81]
	buffer_load_dword v81, off, s[0:3], 0 offset:164
	buffer_load_dword v80, off, s[0:3], 0 offset:160
	buffer_load_dword v85, off, s[0:3], 0 offset:172
	buffer_load_dword v84, off, s[0:3], 0 offset:168
	s_waitcnt vmcnt(2)
	v_fmac_f64_e32 v[76:77], v[80:81], v[82:83]
	ds_read2_b64 v[80:83], v78 offset0:57 offset1:58
	s_waitcnt vmcnt(0) lgkmcnt(0)
	v_fmac_f64_e32 v[76:77], v[84:85], v[80:81]
	buffer_load_dword v81, off, s[0:3], 0 offset:180
	buffer_load_dword v80, off, s[0:3], 0 offset:176
	buffer_load_dword v85, off, s[0:3], 0 offset:188
	buffer_load_dword v84, off, s[0:3], 0 offset:184
	s_waitcnt vmcnt(2)
	v_fmac_f64_e32 v[76:77], v[80:81], v[82:83]
	ds_read2_b64 v[80:83], v78 offset0:59 offset1:60
	s_waitcnt vmcnt(0) lgkmcnt(0)
	v_fmac_f64_e32 v[76:77], v[84:85], v[80:81]
	buffer_load_dword v81, off, s[0:3], 0 offset:196
	buffer_load_dword v80, off, s[0:3], 0 offset:192
	buffer_load_dword v85, off, s[0:3], 0 offset:204
	buffer_load_dword v84, off, s[0:3], 0 offset:200
	s_waitcnt vmcnt(2)
	v_fmac_f64_e32 v[76:77], v[80:81], v[82:83]
	ds_read2_b64 v[80:83], v78 offset0:61 offset1:62
	s_waitcnt vmcnt(0) lgkmcnt(0)
	v_fmac_f64_e32 v[76:77], v[84:85], v[80:81]
	buffer_load_dword v81, off, s[0:3], 0 offset:212
	buffer_load_dword v80, off, s[0:3], 0 offset:208
	buffer_load_dword v85, off, s[0:3], 0 offset:220
	buffer_load_dword v84, off, s[0:3], 0 offset:216
	s_waitcnt vmcnt(2)
	v_fmac_f64_e32 v[76:77], v[80:81], v[82:83]
	ds_read2_b64 v[80:83], v78 offset0:63 offset1:64
	s_waitcnt vmcnt(0) lgkmcnt(0)
	v_fmac_f64_e32 v[76:77], v[84:85], v[80:81]
	buffer_load_dword v81, off, s[0:3], 0 offset:228
	buffer_load_dword v80, off, s[0:3], 0 offset:224
	buffer_load_dword v85, off, s[0:3], 0 offset:236
	buffer_load_dword v84, off, s[0:3], 0 offset:232
	s_waitcnt vmcnt(2)
	v_fmac_f64_e32 v[76:77], v[80:81], v[82:83]
	ds_read2_b64 v[80:83], v78 offset0:65 offset1:66
	s_waitcnt vmcnt(0) lgkmcnt(0)
	v_fmac_f64_e32 v[76:77], v[84:85], v[80:81]
	buffer_load_dword v81, off, s[0:3], 0 offset:244
	buffer_load_dword v80, off, s[0:3], 0 offset:240
	buffer_load_dword v85, off, s[0:3], 0 offset:252
	buffer_load_dword v84, off, s[0:3], 0 offset:248
	s_waitcnt vmcnt(2)
	v_fmac_f64_e32 v[76:77], v[80:81], v[82:83]
	ds_read2_b64 v[80:83], v78 offset0:67 offset1:68
	s_waitcnt vmcnt(0) lgkmcnt(0)
	v_fmac_f64_e32 v[76:77], v[84:85], v[80:81]
	buffer_load_dword v81, off, s[0:3], 0 offset:260
	buffer_load_dword v80, off, s[0:3], 0 offset:256
	buffer_load_dword v85, off, s[0:3], 0 offset:268
	buffer_load_dword v84, off, s[0:3], 0 offset:264
	s_waitcnt vmcnt(2)
	v_fmac_f64_e32 v[76:77], v[80:81], v[82:83]
	ds_read2_b64 v[80:83], v78 offset0:69 offset1:70
	s_waitcnt vmcnt(0) lgkmcnt(0)
	v_fmac_f64_e32 v[76:77], v[84:85], v[80:81]
	buffer_load_dword v81, off, s[0:3], 0 offset:276
	buffer_load_dword v80, off, s[0:3], 0 offset:272
	s_waitcnt vmcnt(0)
	v_fmac_f64_e32 v[76:77], v[80:81], v[82:83]
	buffer_load_dword v81, off, s[0:3], 0 offset:284
	buffer_load_dword v80, off, s[0:3], 0 offset:280
	ds_read_b64 v[82:83], v78 offset:568
	s_waitcnt vmcnt(0) lgkmcnt(0)
	v_fmac_f64_e32 v[76:77], v[80:81], v[82:83]
	v_add_f64 v[74:75], v[74:75], -v[76:77]
	buffer_store_dword v75, off, s[0:3], 0 offset:36
	buffer_store_dword v74, off, s[0:3], 0 offset:32
	s_and_saveexec_b64 s[4:5], vcc
	s_cbranch_execz .LBB99_217
; %bb.216:
	buffer_load_dword v74, off, s[0:3], 0 offset:24
	buffer_load_dword v75, off, s[0:3], 0 offset:28
	s_waitcnt vmcnt(0)
	ds_write_b64 v1, v[74:75]
	buffer_store_dword v78, off, s[0:3], 0 offset:24
	buffer_store_dword v78, off, s[0:3], 0 offset:28
.LBB99_217:
	s_or_b64 exec, exec, s[4:5]
	s_waitcnt lgkmcnt(0)
	; wave barrier
	s_waitcnt lgkmcnt(0)
	buffer_load_dword v74, off, s[0:3], 0 offset:24
	buffer_load_dword v75, off, s[0:3], 0 offset:28
	;; [unrolled: 1-line block ×16, first 2 shown]
	ds_read_b128 v[80:83], v78 offset:320
	ds_read_b128 v[84:87], v78 offset:336
	;; [unrolled: 1-line block ×4, first 2 shown]
	v_cmp_lt_u32_e32 vcc, 2, v0
	s_waitcnt vmcnt(12) lgkmcnt(3)
	v_fma_f64 v[76:77], v[76:77], v[80:81], 0
	buffer_load_dword v81, off, s[0:3], 0 offset:92
	buffer_load_dword v80, off, s[0:3], 0 offset:88
	s_waitcnt vmcnt(12)
	v_fmac_f64_e32 v[76:77], v[96:97], v[82:83]
	s_waitcnt vmcnt(10) lgkmcnt(2)
	v_fmac_f64_e32 v[76:77], v[98:99], v[84:85]
	buffer_load_dword v85, off, s[0:3], 0 offset:100
	buffer_load_dword v84, off, s[0:3], 0 offset:96
	s_waitcnt vmcnt(10)
	v_fmac_f64_e32 v[76:77], v[100:101], v[86:87]
	s_waitcnt vmcnt(8) lgkmcnt(1)
	v_fmac_f64_e32 v[76:77], v[102:103], v[88:89]
	s_waitcnt vmcnt(6)
	v_fmac_f64_e32 v[76:77], v[104:105], v[90:91]
	s_waitcnt vmcnt(4) lgkmcnt(0)
	v_fmac_f64_e32 v[76:77], v[106:107], v[92:93]
	s_waitcnt vmcnt(2)
	v_fmac_f64_e32 v[76:77], v[80:81], v[94:95]
	ds_read_b128 v[80:83], v78 offset:384
	s_waitcnt vmcnt(0) lgkmcnt(0)
	v_fmac_f64_e32 v[76:77], v[84:85], v[80:81]
	buffer_load_dword v81, off, s[0:3], 0 offset:108
	buffer_load_dword v80, off, s[0:3], 0 offset:104
	buffer_load_dword v85, off, s[0:3], 0 offset:116
	buffer_load_dword v84, off, s[0:3], 0 offset:112
	s_waitcnt vmcnt(2)
	v_fmac_f64_e32 v[76:77], v[80:81], v[82:83]
	ds_read_b128 v[80:83], v78 offset:400
	s_waitcnt vmcnt(0) lgkmcnt(0)
	v_fmac_f64_e32 v[76:77], v[84:85], v[80:81]
	buffer_load_dword v81, off, s[0:3], 0 offset:124
	buffer_load_dword v80, off, s[0:3], 0 offset:120
	buffer_load_dword v85, off, s[0:3], 0 offset:132
	buffer_load_dword v84, off, s[0:3], 0 offset:128
	;; [unrolled: 9-line block ×10, first 2 shown]
	s_waitcnt vmcnt(2)
	v_fmac_f64_e32 v[76:77], v[80:81], v[82:83]
	ds_read_b128 v[80:83], v78 offset:544
	s_waitcnt vmcnt(0) lgkmcnt(0)
	v_fmac_f64_e32 v[76:77], v[84:85], v[80:81]
	buffer_load_dword v81, off, s[0:3], 0 offset:268
	buffer_load_dword v80, off, s[0:3], 0 offset:264
	s_waitcnt vmcnt(0)
	v_fmac_f64_e32 v[76:77], v[80:81], v[82:83]
	buffer_load_dword v83, off, s[0:3], 0 offset:276
	buffer_load_dword v82, off, s[0:3], 0 offset:272
	ds_read_b128 v[78:81], v78 offset:560
	s_waitcnt vmcnt(0) lgkmcnt(0)
	v_fmac_f64_e32 v[76:77], v[82:83], v[78:79]
	buffer_load_dword v79, off, s[0:3], 0 offset:284
	buffer_load_dword v78, off, s[0:3], 0 offset:280
	s_waitcnt vmcnt(0)
	v_fmac_f64_e32 v[76:77], v[78:79], v[80:81]
	v_add_f64 v[74:75], v[74:75], -v[76:77]
	buffer_store_dword v75, off, s[0:3], 0 offset:28
	buffer_store_dword v74, off, s[0:3], 0 offset:24
	s_and_saveexec_b64 s[4:5], vcc
	s_cbranch_execz .LBB99_219
; %bb.218:
	buffer_load_dword v74, off, s[0:3], 0 offset:16
	buffer_load_dword v75, off, s[0:3], 0 offset:20
	v_mov_b32_e32 v76, 0
	buffer_store_dword v76, off, s[0:3], 0 offset:16
	buffer_store_dword v76, off, s[0:3], 0 offset:20
	s_waitcnt vmcnt(2)
	ds_write_b64 v1, v[74:75]
.LBB99_219:
	s_or_b64 exec, exec, s[4:5]
	s_waitcnt lgkmcnt(0)
	; wave barrier
	s_waitcnt lgkmcnt(0)
	buffer_load_dword v74, off, s[0:3], 0 offset:16
	buffer_load_dword v75, off, s[0:3], 0 offset:20
	;; [unrolled: 1-line block ×16, first 2 shown]
	v_mov_b32_e32 v78, 0
	ds_read2_b64 v[80:83], v78 offset0:39 offset1:40
	v_cmp_lt_u32_e32 vcc, 1, v0
	s_waitcnt vmcnt(12) lgkmcnt(0)
	v_fma_f64 v[76:77], v[76:77], v[80:81], 0
	s_waitcnt vmcnt(10)
	v_fmac_f64_e32 v[76:77], v[84:85], v[82:83]
	ds_read2_b64 v[80:83], v78 offset0:41 offset1:42
	s_waitcnt vmcnt(8) lgkmcnt(0)
	v_fmac_f64_e32 v[76:77], v[86:87], v[80:81]
	s_waitcnt vmcnt(6)
	v_fmac_f64_e32 v[76:77], v[88:89], v[82:83]
	ds_read2_b64 v[80:83], v78 offset0:43 offset1:44
	s_waitcnt vmcnt(4) lgkmcnt(0)
	v_fmac_f64_e32 v[76:77], v[90:91], v[80:81]
	;; [unrolled: 5-line block ×3, first 2 shown]
	buffer_load_dword v81, off, s[0:3], 0 offset:84
	buffer_load_dword v80, off, s[0:3], 0 offset:80
	buffer_load_dword v85, off, s[0:3], 0 offset:92
	buffer_load_dword v84, off, s[0:3], 0 offset:88
	s_waitcnt vmcnt(2)
	v_fmac_f64_e32 v[76:77], v[80:81], v[82:83]
	ds_read2_b64 v[80:83], v78 offset0:47 offset1:48
	s_waitcnt vmcnt(0) lgkmcnt(0)
	v_fmac_f64_e32 v[76:77], v[84:85], v[80:81]
	buffer_load_dword v81, off, s[0:3], 0 offset:100
	buffer_load_dword v80, off, s[0:3], 0 offset:96
	buffer_load_dword v85, off, s[0:3], 0 offset:108
	buffer_load_dword v84, off, s[0:3], 0 offset:104
	s_waitcnt vmcnt(2)
	v_fmac_f64_e32 v[76:77], v[80:81], v[82:83]
	ds_read2_b64 v[80:83], v78 offset0:49 offset1:50
	s_waitcnt vmcnt(0) lgkmcnt(0)
	v_fmac_f64_e32 v[76:77], v[84:85], v[80:81]
	;; [unrolled: 9-line block ×12, first 2 shown]
	buffer_load_dword v81, off, s[0:3], 0 offset:276
	buffer_load_dword v80, off, s[0:3], 0 offset:272
	s_waitcnt vmcnt(0)
	v_fmac_f64_e32 v[76:77], v[80:81], v[82:83]
	buffer_load_dword v81, off, s[0:3], 0 offset:284
	buffer_load_dword v80, off, s[0:3], 0 offset:280
	ds_read_b64 v[82:83], v78 offset:568
	s_waitcnt vmcnt(0) lgkmcnt(0)
	v_fmac_f64_e32 v[76:77], v[80:81], v[82:83]
	v_add_f64 v[74:75], v[74:75], -v[76:77]
	buffer_store_dword v75, off, s[0:3], 0 offset:20
	buffer_store_dword v74, off, s[0:3], 0 offset:16
	s_and_saveexec_b64 s[4:5], vcc
	s_cbranch_execz .LBB99_221
; %bb.220:
	buffer_load_dword v74, off, s[0:3], 0 offset:8
	buffer_load_dword v75, off, s[0:3], 0 offset:12
	s_waitcnt vmcnt(0)
	ds_write_b64 v1, v[74:75]
	buffer_store_dword v78, off, s[0:3], 0 offset:8
	buffer_store_dword v78, off, s[0:3], 0 offset:12
.LBB99_221:
	s_or_b64 exec, exec, s[4:5]
	s_waitcnt lgkmcnt(0)
	; wave barrier
	s_waitcnt lgkmcnt(0)
	buffer_load_dword v74, off, s[0:3], 0 offset:8
	buffer_load_dword v75, off, s[0:3], 0 offset:12
	;; [unrolled: 1-line block ×16, first 2 shown]
	ds_read_b128 v[80:83], v78 offset:304
	ds_read_b128 v[84:87], v78 offset:320
	;; [unrolled: 1-line block ×4, first 2 shown]
	v_cmp_ne_u32_e32 vcc, 0, v0
	s_waitcnt vmcnt(12) lgkmcnt(3)
	v_fma_f64 v[76:77], v[76:77], v[80:81], 0
	buffer_load_dword v81, off, s[0:3], 0 offset:76
	buffer_load_dword v80, off, s[0:3], 0 offset:72
	s_waitcnt vmcnt(12)
	v_fmac_f64_e32 v[76:77], v[96:97], v[82:83]
	s_waitcnt vmcnt(10) lgkmcnt(2)
	v_fmac_f64_e32 v[76:77], v[98:99], v[84:85]
	buffer_load_dword v85, off, s[0:3], 0 offset:84
	buffer_load_dword v84, off, s[0:3], 0 offset:80
	s_waitcnt vmcnt(10)
	v_fmac_f64_e32 v[76:77], v[100:101], v[86:87]
	s_waitcnt vmcnt(8) lgkmcnt(1)
	v_fmac_f64_e32 v[76:77], v[102:103], v[88:89]
	s_waitcnt vmcnt(6)
	v_fmac_f64_e32 v[76:77], v[104:105], v[90:91]
	s_waitcnt vmcnt(4) lgkmcnt(0)
	v_fmac_f64_e32 v[76:77], v[106:107], v[92:93]
	s_waitcnt vmcnt(2)
	v_fmac_f64_e32 v[76:77], v[80:81], v[94:95]
	ds_read_b128 v[80:83], v78 offset:368
	s_waitcnt vmcnt(0) lgkmcnt(0)
	v_fmac_f64_e32 v[76:77], v[84:85], v[80:81]
	buffer_load_dword v81, off, s[0:3], 0 offset:92
	buffer_load_dword v80, off, s[0:3], 0 offset:88
	buffer_load_dword v85, off, s[0:3], 0 offset:100
	buffer_load_dword v84, off, s[0:3], 0 offset:96
	s_waitcnt vmcnt(2)
	v_fmac_f64_e32 v[76:77], v[80:81], v[82:83]
	ds_read_b128 v[80:83], v78 offset:384
	s_waitcnt vmcnt(0) lgkmcnt(0)
	v_fmac_f64_e32 v[76:77], v[84:85], v[80:81]
	buffer_load_dword v81, off, s[0:3], 0 offset:108
	buffer_load_dword v80, off, s[0:3], 0 offset:104
	buffer_load_dword v85, off, s[0:3], 0 offset:116
	buffer_load_dword v84, off, s[0:3], 0 offset:112
	;; [unrolled: 9-line block ×11, first 2 shown]
	s_waitcnt vmcnt(2)
	v_fmac_f64_e32 v[76:77], v[80:81], v[82:83]
	ds_read_b128 v[80:83], v78 offset:544
	s_waitcnt vmcnt(0) lgkmcnt(0)
	v_fmac_f64_e32 v[76:77], v[84:85], v[80:81]
	buffer_load_dword v81, off, s[0:3], 0 offset:268
	buffer_load_dword v80, off, s[0:3], 0 offset:264
	s_waitcnt vmcnt(0)
	v_fmac_f64_e32 v[76:77], v[80:81], v[82:83]
	buffer_load_dword v83, off, s[0:3], 0 offset:276
	buffer_load_dword v82, off, s[0:3], 0 offset:272
	ds_read_b128 v[78:81], v78 offset:560
	s_waitcnt vmcnt(0) lgkmcnt(0)
	v_fmac_f64_e32 v[76:77], v[82:83], v[78:79]
	buffer_load_dword v79, off, s[0:3], 0 offset:284
	buffer_load_dword v78, off, s[0:3], 0 offset:280
	s_waitcnt vmcnt(0)
	v_fmac_f64_e32 v[76:77], v[78:79], v[80:81]
	v_add_f64 v[74:75], v[74:75], -v[76:77]
	buffer_store_dword v75, off, s[0:3], 0 offset:12
	buffer_store_dword v74, off, s[0:3], 0 offset:8
	s_and_saveexec_b64 s[4:5], vcc
	s_cbranch_execz .LBB99_223
; %bb.222:
	buffer_load_dword v74, off, s[0:3], 0
	buffer_load_dword v75, off, s[0:3], 0 offset:4
	v_mov_b32_e32 v0, 0
	buffer_store_dword v0, off, s[0:3], 0
	buffer_store_dword v0, off, s[0:3], 0 offset:4
	s_waitcnt vmcnt(2)
	ds_write_b64 v1, v[74:75]
.LBB99_223:
	s_or_b64 exec, exec, s[4:5]
	s_waitcnt lgkmcnt(0)
	; wave barrier
	s_waitcnt lgkmcnt(0)
	buffer_load_dword v0, off, s[0:3], 0
	buffer_load_dword v1, off, s[0:3], 0 offset:4
	buffer_load_dword v80, off, s[0:3], 0 offset:8
	;; [unrolled: 1-line block ×15, first 2 shown]
	v_mov_b32_e32 v78, 0
	ds_read2_b64 v[74:77], v78 offset0:37 offset1:38
	s_and_b64 vcc, exec, s[16:17]
	s_waitcnt vmcnt(12) lgkmcnt(0)
	v_fma_f64 v[74:75], v[80:81], v[74:75], 0
	s_waitcnt vmcnt(10)
	v_fmac_f64_e32 v[74:75], v[82:83], v[76:77]
	ds_read2_b64 v[80:83], v78 offset0:39 offset1:40
	s_waitcnt vmcnt(8) lgkmcnt(0)
	v_fmac_f64_e32 v[74:75], v[84:85], v[80:81]
	s_waitcnt vmcnt(6)
	v_fmac_f64_e32 v[74:75], v[86:87], v[82:83]
	ds_read2_b64 v[80:83], v78 offset0:41 offset1:42
	s_waitcnt vmcnt(4) lgkmcnt(0)
	v_fmac_f64_e32 v[74:75], v[88:89], v[80:81]
	s_waitcnt vmcnt(2)
	v_fmac_f64_e32 v[74:75], v[90:91], v[82:83]
	ds_read2_b64 v[80:83], v78 offset0:43 offset1:44
	buffer_load_dword v77, off, s[0:3], 0 offset:68
	buffer_load_dword v76, off, s[0:3], 0 offset:64
	s_waitcnt vmcnt(2) lgkmcnt(0)
	v_fmac_f64_e32 v[74:75], v[92:93], v[80:81]
	s_waitcnt vmcnt(0)
	v_fmac_f64_e32 v[74:75], v[76:77], v[82:83]
	buffer_load_dword v77, off, s[0:3], 0 offset:76
	buffer_load_dword v76, off, s[0:3], 0 offset:72
	ds_read2_b64 v[80:83], v78 offset0:45 offset1:46
	s_waitcnt vmcnt(0) lgkmcnt(0)
	v_fmac_f64_e32 v[74:75], v[76:77], v[80:81]
	buffer_load_dword v77, off, s[0:3], 0 offset:84
	buffer_load_dword v76, off, s[0:3], 0 offset:80
	s_waitcnt vmcnt(0)
	v_fmac_f64_e32 v[74:75], v[76:77], v[82:83]
	buffer_load_dword v77, off, s[0:3], 0 offset:92
	buffer_load_dword v76, off, s[0:3], 0 offset:88
	ds_read2_b64 v[80:83], v78 offset0:47 offset1:48
	s_waitcnt vmcnt(0) lgkmcnt(0)
	v_fmac_f64_e32 v[74:75], v[76:77], v[80:81]
	buffer_load_dword v77, off, s[0:3], 0 offset:100
	buffer_load_dword v76, off, s[0:3], 0 offset:96
	;; [unrolled: 9-line block ×13, first 2 shown]
	buffer_load_dword v81, off, s[0:3], 0 offset:284
	buffer_load_dword v80, off, s[0:3], 0 offset:280
	ds_read_b64 v[78:79], v78 offset:568
	s_waitcnt vmcnt(2)
	v_fmac_f64_e32 v[74:75], v[76:77], v[82:83]
	s_waitcnt vmcnt(0) lgkmcnt(0)
	v_fmac_f64_e32 v[74:75], v[80:81], v[78:79]
	v_add_f64 v[0:1], v[0:1], -v[74:75]
	buffer_store_dword v1, off, s[0:3], 0 offset:4
	buffer_store_dword v0, off, s[0:3], 0
	s_cbranch_vccz .LBB99_295
; %bb.224:
	v_pk_mov_b32 v[0:1], s[10:11], s[10:11] op_sel:[0,1]
	flat_load_dword v0, v[0:1] offset:136
	s_waitcnt vmcnt(0) lgkmcnt(0)
	v_add_u32_e32 v0, -1, v0
	v_cmp_ne_u32_e32 vcc, 34, v0
	s_and_saveexec_b64 s[4:5], vcc
	s_cbranch_execz .LBB99_226
; %bb.225:
	v_mov_b32_e32 v1, 0
	v_lshl_add_u32 v0, v0, 3, v1
	buffer_load_dword v1, v0, s[0:3], 0 offen offset:4
	buffer_load_dword v74, v0, s[0:3], 0 offen
	s_waitcnt vmcnt(1)
	buffer_store_dword v1, off, s[0:3], 0 offset:276
	s_waitcnt vmcnt(1)
	buffer_store_dword v74, off, s[0:3], 0 offset:272
	buffer_store_dword v77, v0, s[0:3], 0 offen offset:4
	buffer_store_dword v76, v0, s[0:3], 0 offen
.LBB99_226:
	s_or_b64 exec, exec, s[4:5]
	v_pk_mov_b32 v[0:1], s[10:11], s[10:11] op_sel:[0,1]
	flat_load_dword v0, v[0:1] offset:132
	s_waitcnt vmcnt(0) lgkmcnt(0)
	v_add_u32_e32 v0, -1, v0
	v_cmp_ne_u32_e32 vcc, 33, v0
	s_and_saveexec_b64 s[4:5], vcc
	s_cbranch_execz .LBB99_228
; %bb.227:
	v_mov_b32_e32 v1, 0
	v_lshl_add_u32 v0, v0, 3, v1
	buffer_load_dword v1, v0, s[0:3], 0 offen
	buffer_load_dword v74, v0, s[0:3], 0 offen offset:4
	buffer_load_dword v75, off, s[0:3], 0 offset:264
	buffer_load_dword v76, off, s[0:3], 0 offset:268
	s_waitcnt vmcnt(3)
	buffer_store_dword v1, off, s[0:3], 0 offset:264
	s_waitcnt vmcnt(3)
	buffer_store_dword v74, off, s[0:3], 0 offset:268
	s_waitcnt vmcnt(3)
	buffer_store_dword v75, v0, s[0:3], 0 offen
	s_waitcnt vmcnt(3)
	buffer_store_dword v76, v0, s[0:3], 0 offen offset:4
.LBB99_228:
	s_or_b64 exec, exec, s[4:5]
	v_pk_mov_b32 v[0:1], s[10:11], s[10:11] op_sel:[0,1]
	flat_load_dword v0, v[0:1] offset:128
	s_waitcnt vmcnt(0) lgkmcnt(0)
	v_add_u32_e32 v0, -1, v0
	v_cmp_ne_u32_e32 vcc, 32, v0
	s_and_saveexec_b64 s[4:5], vcc
	s_cbranch_execz .LBB99_230
; %bb.229:
	v_mov_b32_e32 v1, 0
	v_lshl_add_u32 v0, v0, 3, v1
	buffer_load_dword v1, v0, s[0:3], 0 offen
	buffer_load_dword v74, v0, s[0:3], 0 offen offset:4
	buffer_load_dword v75, off, s[0:3], 0 offset:260
	buffer_load_dword v76, off, s[0:3], 0 offset:256
	s_waitcnt vmcnt(3)
	buffer_store_dword v1, off, s[0:3], 0 offset:256
	s_waitcnt vmcnt(3)
	buffer_store_dword v74, off, s[0:3], 0 offset:260
	s_waitcnt vmcnt(3)
	buffer_store_dword v75, v0, s[0:3], 0 offen offset:4
	s_waitcnt vmcnt(3)
	buffer_store_dword v76, v0, s[0:3], 0 offen
.LBB99_230:
	s_or_b64 exec, exec, s[4:5]
	v_pk_mov_b32 v[0:1], s[10:11], s[10:11] op_sel:[0,1]
	flat_load_dword v0, v[0:1] offset:124
	s_waitcnt vmcnt(0) lgkmcnt(0)
	v_add_u32_e32 v0, -1, v0
	v_cmp_ne_u32_e32 vcc, 31, v0
	s_and_saveexec_b64 s[4:5], vcc
	s_cbranch_execz .LBB99_232
; %bb.231:
	v_mov_b32_e32 v1, 0
	v_lshl_add_u32 v0, v0, 3, v1
	buffer_load_dword v1, v0, s[0:3], 0 offen
	buffer_load_dword v74, v0, s[0:3], 0 offen offset:4
	buffer_load_dword v75, off, s[0:3], 0 offset:248
	buffer_load_dword v76, off, s[0:3], 0 offset:252
	s_waitcnt vmcnt(3)
	buffer_store_dword v1, off, s[0:3], 0 offset:248
	s_waitcnt vmcnt(3)
	buffer_store_dword v74, off, s[0:3], 0 offset:252
	s_waitcnt vmcnt(3)
	buffer_store_dword v75, v0, s[0:3], 0 offen
	s_waitcnt vmcnt(3)
	buffer_store_dword v76, v0, s[0:3], 0 offen offset:4
.LBB99_232:
	s_or_b64 exec, exec, s[4:5]
	v_pk_mov_b32 v[0:1], s[10:11], s[10:11] op_sel:[0,1]
	flat_load_dword v0, v[0:1] offset:120
	s_waitcnt vmcnt(0) lgkmcnt(0)
	v_add_u32_e32 v0, -1, v0
	v_cmp_ne_u32_e32 vcc, 30, v0
	s_and_saveexec_b64 s[4:5], vcc
	s_cbranch_execz .LBB99_234
; %bb.233:
	v_mov_b32_e32 v1, 0
	v_lshl_add_u32 v0, v0, 3, v1
	buffer_load_dword v1, v0, s[0:3], 0 offen
	buffer_load_dword v74, v0, s[0:3], 0 offen offset:4
	buffer_load_dword v75, off, s[0:3], 0 offset:244
	buffer_load_dword v76, off, s[0:3], 0 offset:240
	s_waitcnt vmcnt(3)
	buffer_store_dword v1, off, s[0:3], 0 offset:240
	s_waitcnt vmcnt(3)
	buffer_store_dword v74, off, s[0:3], 0 offset:244
	s_waitcnt vmcnt(3)
	buffer_store_dword v75, v0, s[0:3], 0 offen offset:4
	s_waitcnt vmcnt(3)
	buffer_store_dword v76, v0, s[0:3], 0 offen
.LBB99_234:
	;; [unrolled: 48-line block ×16, first 2 shown]
	s_or_b64 exec, exec, s[4:5]
	v_pk_mov_b32 v[0:1], s[10:11], s[10:11] op_sel:[0,1]
	flat_load_dword v0, v[0:1] offset:4
	s_waitcnt vmcnt(0) lgkmcnt(0)
	v_add_u32_e32 v0, -1, v0
	v_cmp_ne_u32_e32 vcc, 1, v0
	s_and_saveexec_b64 s[4:5], vcc
	s_cbranch_execz .LBB99_292
; %bb.291:
	v_mov_b32_e32 v1, 0
	v_lshl_add_u32 v0, v0, 3, v1
	buffer_load_dword v1, v0, s[0:3], 0 offen
	buffer_load_dword v74, v0, s[0:3], 0 offen offset:4
	buffer_load_dword v75, off, s[0:3], 0 offset:8
	buffer_load_dword v76, off, s[0:3], 0 offset:12
	s_waitcnt vmcnt(3)
	buffer_store_dword v1, off, s[0:3], 0 offset:8
	s_waitcnt vmcnt(3)
	buffer_store_dword v74, off, s[0:3], 0 offset:12
	s_waitcnt vmcnt(3)
	buffer_store_dword v75, v0, s[0:3], 0 offen
	s_waitcnt vmcnt(3)
	buffer_store_dword v76, v0, s[0:3], 0 offen offset:4
.LBB99_292:
	s_or_b64 exec, exec, s[4:5]
	v_pk_mov_b32 v[0:1], s[10:11], s[10:11] op_sel:[0,1]
	flat_load_dword v74, v[0:1]
	s_nop 0
	buffer_load_dword v0, off, s[0:3], 0
	buffer_load_dword v1, off, s[0:3], 0 offset:4
	s_waitcnt vmcnt(0) lgkmcnt(0)
	v_add_u32_e32 v74, -1, v74
	v_cmp_ne_u32_e32 vcc, 0, v74
	s_and_saveexec_b64 s[4:5], vcc
	s_cbranch_execz .LBB99_294
; %bb.293:
	v_mov_b32_e32 v75, 0
	v_lshl_add_u32 v74, v74, 3, v75
	buffer_load_dword v75, v74, s[0:3], 0 offen offset:4
	buffer_load_dword v76, v74, s[0:3], 0 offen
	s_waitcnt vmcnt(1)
	buffer_store_dword v75, off, s[0:3], 0 offset:4
	s_waitcnt vmcnt(1)
	buffer_store_dword v76, off, s[0:3], 0
	buffer_store_dword v1, v74, s[0:3], 0 offen offset:4
	buffer_store_dword v0, v74, s[0:3], 0 offen
	buffer_load_dword v0, off, s[0:3], 0
	s_nop 0
	buffer_load_dword v1, off, s[0:3], 0 offset:4
.LBB99_294:
	s_or_b64 exec, exec, s[4:5]
.LBB99_295:
	s_waitcnt vmcnt(0)
	global_store_dwordx2 v[72:73], v[0:1], off
	buffer_load_dword v0, off, s[0:3], 0 offset:8
	s_nop 0
	buffer_load_dword v1, off, s[0:3], 0 offset:12
	buffer_load_dword v72, off, s[0:3], 0 offset:16
	;; [unrolled: 1-line block ×15, first 2 shown]
	s_waitcnt vmcnt(14)
	global_store_dwordx2 v[70:71], v[0:1], off
	s_waitcnt vmcnt(13)
	global_store_dwordx2 v[2:3], v[72:73], off
	;; [unrolled: 2-line block ×8, first 2 shown]
	buffer_load_dword v0, off, s[0:3], 0 offset:72
	buffer_load_dword v1, off, s[0:3], 0 offset:76
	s_waitcnt vmcnt(0)
	global_store_dwordx2 v[14:15], v[0:1], off
	buffer_load_dword v0, off, s[0:3], 0 offset:80
	s_nop 0
	buffer_load_dword v1, off, s[0:3], 0 offset:84
	s_waitcnt vmcnt(0)
	global_store_dwordx2 v[16:17], v[0:1], off
	buffer_load_dword v0, off, s[0:3], 0 offset:88
	s_nop 0
	;; [unrolled: 5-line block ×26, first 2 shown]
	buffer_load_dword v1, off, s[0:3], 0 offset:284
	s_waitcnt vmcnt(0)
	global_store_dwordx2 v[54:55], v[0:1], off
	s_endpgm
	.section	.rodata,"a",@progbits
	.p2align	6, 0x0
	.amdhsa_kernel _ZN9rocsolver6v33100L18getri_kernel_smallILi36EdPKPdEEvT1_iilPiilS6_bb
		.amdhsa_group_segment_fixed_size 584
		.amdhsa_private_segment_fixed_size 304
		.amdhsa_kernarg_size 60
		.amdhsa_user_sgpr_count 8
		.amdhsa_user_sgpr_private_segment_buffer 1
		.amdhsa_user_sgpr_dispatch_ptr 0
		.amdhsa_user_sgpr_queue_ptr 0
		.amdhsa_user_sgpr_kernarg_segment_ptr 1
		.amdhsa_user_sgpr_dispatch_id 0
		.amdhsa_user_sgpr_flat_scratch_init 1
		.amdhsa_user_sgpr_kernarg_preload_length 0
		.amdhsa_user_sgpr_kernarg_preload_offset 0
		.amdhsa_user_sgpr_private_segment_size 0
		.amdhsa_uses_dynamic_stack 0
		.amdhsa_system_sgpr_private_segment_wavefront_offset 1
		.amdhsa_system_sgpr_workgroup_id_x 1
		.amdhsa_system_sgpr_workgroup_id_y 0
		.amdhsa_system_sgpr_workgroup_id_z 0
		.amdhsa_system_sgpr_workgroup_info 0
		.amdhsa_system_vgpr_workitem_id 0
		.amdhsa_next_free_vgpr 126
		.amdhsa_next_free_sgpr 22
		.amdhsa_accum_offset 128
		.amdhsa_reserve_vcc 1
		.amdhsa_reserve_flat_scratch 1
		.amdhsa_float_round_mode_32 0
		.amdhsa_float_round_mode_16_64 0
		.amdhsa_float_denorm_mode_32 3
		.amdhsa_float_denorm_mode_16_64 3
		.amdhsa_dx10_clamp 1
		.amdhsa_ieee_mode 1
		.amdhsa_fp16_overflow 0
		.amdhsa_tg_split 0
		.amdhsa_exception_fp_ieee_invalid_op 0
		.amdhsa_exception_fp_denorm_src 0
		.amdhsa_exception_fp_ieee_div_zero 0
		.amdhsa_exception_fp_ieee_overflow 0
		.amdhsa_exception_fp_ieee_underflow 0
		.amdhsa_exception_fp_ieee_inexact 0
		.amdhsa_exception_int_div_zero 0
	.end_amdhsa_kernel
	.section	.text._ZN9rocsolver6v33100L18getri_kernel_smallILi36EdPKPdEEvT1_iilPiilS6_bb,"axG",@progbits,_ZN9rocsolver6v33100L18getri_kernel_smallILi36EdPKPdEEvT1_iilPiilS6_bb,comdat
.Lfunc_end99:
	.size	_ZN9rocsolver6v33100L18getri_kernel_smallILi36EdPKPdEEvT1_iilPiilS6_bb, .Lfunc_end99-_ZN9rocsolver6v33100L18getri_kernel_smallILi36EdPKPdEEvT1_iilPiilS6_bb
                                        ; -- End function
	.section	.AMDGPU.csdata,"",@progbits
; Kernel info:
; codeLenInByte = 36584
; NumSgprs: 28
; NumVgprs: 126
; NumAgprs: 0
; TotalNumVgprs: 126
; ScratchSize: 304
; MemoryBound: 0
; FloatMode: 240
; IeeeMode: 1
; LDSByteSize: 584 bytes/workgroup (compile time only)
; SGPRBlocks: 3
; VGPRBlocks: 15
; NumSGPRsForWavesPerEU: 28
; NumVGPRsForWavesPerEU: 126
; AccumOffset: 128
; Occupancy: 4
; WaveLimiterHint : 1
; COMPUTE_PGM_RSRC2:SCRATCH_EN: 1
; COMPUTE_PGM_RSRC2:USER_SGPR: 8
; COMPUTE_PGM_RSRC2:TRAP_HANDLER: 0
; COMPUTE_PGM_RSRC2:TGID_X_EN: 1
; COMPUTE_PGM_RSRC2:TGID_Y_EN: 0
; COMPUTE_PGM_RSRC2:TGID_Z_EN: 0
; COMPUTE_PGM_RSRC2:TIDIG_COMP_CNT: 0
; COMPUTE_PGM_RSRC3_GFX90A:ACCUM_OFFSET: 31
; COMPUTE_PGM_RSRC3_GFX90A:TG_SPLIT: 0
	.section	.text._ZN9rocsolver6v33100L18getri_kernel_smallILi37EdPKPdEEvT1_iilPiilS6_bb,"axG",@progbits,_ZN9rocsolver6v33100L18getri_kernel_smallILi37EdPKPdEEvT1_iilPiilS6_bb,comdat
	.globl	_ZN9rocsolver6v33100L18getri_kernel_smallILi37EdPKPdEEvT1_iilPiilS6_bb ; -- Begin function _ZN9rocsolver6v33100L18getri_kernel_smallILi37EdPKPdEEvT1_iilPiilS6_bb
	.p2align	8
	.type	_ZN9rocsolver6v33100L18getri_kernel_smallILi37EdPKPdEEvT1_iilPiilS6_bb,@function
_ZN9rocsolver6v33100L18getri_kernel_smallILi37EdPKPdEEvT1_iilPiilS6_bb: ; @_ZN9rocsolver6v33100L18getri_kernel_smallILi37EdPKPdEEvT1_iilPiilS6_bb
; %bb.0:
	s_add_u32 flat_scratch_lo, s6, s9
	s_addc_u32 flat_scratch_hi, s7, 0
	s_add_u32 s0, s0, s9
	s_addc_u32 s1, s1, 0
	v_cmp_gt_u32_e32 vcc, 37, v0
	s_and_saveexec_b64 s[6:7], vcc
	s_cbranch_execz .LBB100_156
; %bb.1:
	s_load_dword s18, s[4:5], 0x38
	s_load_dwordx2 s[6:7], s[4:5], 0x0
	s_load_dwordx4 s[12:15], s[4:5], 0x28
	s_waitcnt lgkmcnt(0)
	s_bitcmp1_b32 s18, 8
	s_cselect_b64 s[16:17], -1, 0
	s_ashr_i32 s9, s8, 31
	s_lshl_b64 s[10:11], s[8:9], 3
	s_add_u32 s6, s6, s10
	s_addc_u32 s7, s7, s11
	s_load_dwordx2 s[6:7], s[6:7], 0x0
	s_bfe_u32 s10, s18, 0x10008
	s_cmp_eq_u32 s10, 0
                                        ; implicit-def: $sgpr10_sgpr11
	s_cbranch_scc1 .LBB100_3
; %bb.2:
	s_load_dword s10, s[4:5], 0x20
	s_load_dwordx2 s[20:21], s[4:5], 0x18
	s_mul_i32 s11, s8, s13
	s_mul_hi_u32 s13, s8, s12
	s_add_i32 s13, s13, s11
	s_mul_i32 s19, s9, s12
	s_add_i32 s13, s13, s19
	s_mul_i32 s12, s8, s12
	s_waitcnt lgkmcnt(0)
	s_ashr_i32 s11, s10, 31
	s_lshl_b64 s[12:13], s[12:13], 2
	s_add_u32 s12, s20, s12
	s_addc_u32 s13, s21, s13
	s_lshl_b64 s[10:11], s[10:11], 2
	s_add_u32 s10, s12, s10
	s_addc_u32 s11, s13, s11
.LBB100_3:
	s_load_dwordx2 s[4:5], s[4:5], 0x8
	s_waitcnt lgkmcnt(0)
	s_ashr_i32 s13, s4, 31
	s_mov_b32 s12, s4
	s_lshl_b64 s[12:13], s[12:13], 3
	s_add_u32 s6, s6, s12
	s_addc_u32 s7, s7, s13
	s_add_i32 s4, s5, s5
	v_add_u32_e32 v4, s4, v0
	v_ashrrev_i32_e32 v5, 31, v4
	v_lshlrev_b64 v[2:3], 3, v[4:5]
	v_add_u32_e32 v6, s5, v4
	v_mov_b32_e32 v1, s7
	v_add_co_u32_e32 v2, vcc, s6, v2
	v_ashrrev_i32_e32 v7, 31, v6
	v_addc_co_u32_e32 v3, vcc, v1, v3, vcc
	v_lshlrev_b64 v[4:5], 3, v[6:7]
	v_add_u32_e32 v8, s5, v6
	v_add_co_u32_e32 v4, vcc, s6, v4
	v_ashrrev_i32_e32 v9, 31, v8
	v_addc_co_u32_e32 v5, vcc, v1, v5, vcc
	v_lshlrev_b64 v[6:7], 3, v[8:9]
	v_add_u32_e32 v10, s5, v8
	;; [unrolled: 5-line block ×5, first 2 shown]
	v_add_co_u32_e32 v12, vcc, s6, v12
	v_ashrrev_i32_e32 v15, 31, v14
	v_addc_co_u32_e32 v13, vcc, v1, v13, vcc
	v_lshlrev_b64 v[16:17], 3, v[14:15]
	v_add_co_u32_e32 v18, vcc, s6, v16
	v_add_u32_e32 v16, s5, v14
	v_addc_co_u32_e32 v19, vcc, v1, v17, vcc
	v_ashrrev_i32_e32 v17, 31, v16
	v_lshlrev_b64 v[14:15], 3, v[16:17]
	v_add_u32_e32 v20, s5, v16
	v_add_co_u32_e32 v14, vcc, s6, v14
	v_ashrrev_i32_e32 v21, 31, v20
	v_addc_co_u32_e32 v15, vcc, v1, v15, vcc
	v_lshlrev_b64 v[16:17], 3, v[20:21]
	v_add_u32_e32 v22, s5, v20
	v_add_co_u32_e32 v16, vcc, s6, v16
	v_ashrrev_i32_e32 v23, 31, v22
	v_addc_co_u32_e32 v17, vcc, v1, v17, vcc
	v_lshlrev_b64 v[20:21], 3, v[22:23]
	v_add_u32_e32 v24, s5, v22
	v_add_co_u32_e32 v20, vcc, s6, v20
	v_ashrrev_i32_e32 v25, 31, v24
	v_addc_co_u32_e32 v21, vcc, v1, v21, vcc
	v_lshlrev_b64 v[22:23], 3, v[24:25]
	v_add_u32_e32 v26, s5, v24
	v_add_co_u32_e32 v22, vcc, s6, v22
	v_ashrrev_i32_e32 v27, 31, v26
	v_addc_co_u32_e32 v23, vcc, v1, v23, vcc
	v_lshlrev_b64 v[24:25], 3, v[26:27]
	v_add_u32_e32 v28, s5, v26
	v_add_co_u32_e32 v24, vcc, s6, v24
	v_ashrrev_i32_e32 v29, 31, v28
	v_addc_co_u32_e32 v25, vcc, v1, v25, vcc
	v_lshlrev_b64 v[26:27], 3, v[28:29]
	v_add_u32_e32 v30, s5, v28
	v_add_co_u32_e32 v26, vcc, s6, v26
	v_ashrrev_i32_e32 v31, 31, v30
	v_addc_co_u32_e32 v27, vcc, v1, v27, vcc
	v_lshlrev_b64 v[28:29], 3, v[30:31]
	v_add_u32_e32 v32, s5, v30
	v_add_co_u32_e32 v28, vcc, s6, v28
	v_ashrrev_i32_e32 v33, 31, v32
	v_addc_co_u32_e32 v29, vcc, v1, v29, vcc
	v_lshlrev_b64 v[30:31], 3, v[32:33]
	v_add_u32_e32 v34, s5, v32
	v_add_co_u32_e32 v30, vcc, s6, v30
	v_ashrrev_i32_e32 v35, 31, v34
	v_addc_co_u32_e32 v31, vcc, v1, v31, vcc
	v_lshlrev_b64 v[32:33], 3, v[34:35]
	v_add_u32_e32 v36, s5, v34
	v_add_co_u32_e32 v32, vcc, s6, v32
	v_ashrrev_i32_e32 v37, 31, v36
	v_addc_co_u32_e32 v33, vcc, v1, v33, vcc
	v_lshlrev_b64 v[34:35], 3, v[36:37]
	v_add_u32_e32 v38, s5, v36
	v_add_co_u32_e32 v34, vcc, s6, v34
	v_ashrrev_i32_e32 v39, 31, v38
	v_addc_co_u32_e32 v35, vcc, v1, v35, vcc
	v_lshlrev_b64 v[36:37], 3, v[38:39]
	v_add_u32_e32 v40, s5, v38
	v_add_co_u32_e32 v36, vcc, s6, v36
	v_ashrrev_i32_e32 v41, 31, v40
	v_addc_co_u32_e32 v37, vcc, v1, v37, vcc
	v_lshlrev_b64 v[38:39], 3, v[40:41]
	v_add_u32_e32 v42, s5, v40
	v_add_co_u32_e32 v38, vcc, s6, v38
	v_ashrrev_i32_e32 v43, 31, v42
	v_addc_co_u32_e32 v39, vcc, v1, v39, vcc
	v_lshlrev_b64 v[40:41], 3, v[42:43]
	v_add_u32_e32 v44, s5, v42
	v_add_co_u32_e32 v40, vcc, s6, v40
	v_ashrrev_i32_e32 v45, 31, v44
	v_addc_co_u32_e32 v41, vcc, v1, v41, vcc
	v_lshlrev_b64 v[42:43], 3, v[44:45]
	v_add_u32_e32 v46, s5, v44
	v_add_co_u32_e32 v42, vcc, s6, v42
	v_ashrrev_i32_e32 v47, 31, v46
	v_addc_co_u32_e32 v43, vcc, v1, v43, vcc
	v_lshlrev_b64 v[44:45], 3, v[46:47]
	v_add_u32_e32 v48, s5, v46
	v_add_co_u32_e32 v44, vcc, s6, v44
	v_ashrrev_i32_e32 v49, 31, v48
	v_addc_co_u32_e32 v45, vcc, v1, v45, vcc
	v_lshlrev_b64 v[46:47], 3, v[48:49]
	v_add_u32_e32 v50, s5, v48
	v_add_co_u32_e32 v46, vcc, s6, v46
	v_ashrrev_i32_e32 v51, 31, v50
	v_addc_co_u32_e32 v47, vcc, v1, v47, vcc
	v_lshlrev_b64 v[48:49], 3, v[50:51]
	v_add_u32_e32 v52, s5, v50
	v_add_co_u32_e32 v48, vcc, s6, v48
	v_ashrrev_i32_e32 v53, 31, v52
	v_addc_co_u32_e32 v49, vcc, v1, v49, vcc
	v_lshlrev_b64 v[50:51], 3, v[52:53]
	v_add_u32_e32 v54, s5, v52
	v_add_co_u32_e32 v50, vcc, s6, v50
	v_ashrrev_i32_e32 v55, 31, v54
	v_addc_co_u32_e32 v51, vcc, v1, v51, vcc
	v_lshlrev_b64 v[52:53], 3, v[54:55]
	v_add_co_u32_e32 v52, vcc, s6, v52
	v_addc_co_u32_e32 v53, vcc, v1, v53, vcc
	v_lshlrev_b32_e32 v1, 3, v0
	v_mov_b32_e32 v58, s7
	v_add_co_u32_e32 v74, vcc, s6, v1
	s_ashr_i32 s13, s5, 31
	s_mov_b32 s12, s5
	v_addc_co_u32_e32 v75, vcc, 0, v58, vcc
	s_lshl_b64 s[12:13], s[12:13], 3
	global_load_dwordx2 v[76:77], v1, s[6:7]
	global_load_dwordx2 v[80:81], v[2:3], off
	v_mov_b32_e32 v58, s13
	v_add_co_u32_e32 v72, vcc, s12, v74
	v_addc_co_u32_e32 v73, vcc, v75, v58, vcc
	global_load_dwordx2 v[78:79], v[72:73], off
	global_load_dwordx2 v[82:83], v[4:5], off
	global_load_dwordx2 v[84:85], v[6:7], off
	global_load_dwordx2 v[86:87], v[8:9], off
	global_load_dwordx2 v[88:89], v[10:11], off
	global_load_dwordx2 v[90:91], v[12:13], off
	global_load_dwordx2 v[94:95], v[14:15], off
	global_load_dwordx2 v[92:93], v[18:19], off
	global_load_dwordx2 v[96:97], v[16:17], off
	global_load_dwordx2 v[98:99], v[20:21], off
	global_load_dwordx2 v[100:101], v[22:23], off
	v_add_u32_e32 v54, s5, v54
	v_ashrrev_i32_e32 v55, 31, v54
	v_lshlrev_b64 v[56:57], 3, v[54:55]
	v_mov_b32_e32 v55, s7
	v_add_co_u32_e32 v56, vcc, s6, v56
	v_add_u32_e32 v54, s5, v54
	v_addc_co_u32_e32 v57, vcc, v55, v57, vcc
	v_ashrrev_i32_e32 v55, 31, v54
	v_lshlrev_b64 v[58:59], 3, v[54:55]
	v_mov_b32_e32 v55, s7
	v_add_co_u32_e32 v58, vcc, s6, v58
	v_add_u32_e32 v54, s5, v54
	v_addc_co_u32_e32 v59, vcc, v55, v59, vcc
	v_ashrrev_i32_e32 v55, 31, v54
	v_lshlrev_b64 v[60:61], 3, v[54:55]
	v_add_u32_e32 v54, s5, v54
	v_mov_b32_e32 v62, s7
	v_add_co_u32_e32 v60, vcc, s6, v60
	v_ashrrev_i32_e32 v55, 31, v54
	v_addc_co_u32_e32 v61, vcc, v62, v61, vcc
	v_lshlrev_b64 v[62:63], 3, v[54:55]
	v_add_u32_e32 v54, s5, v54
	v_mov_b32_e32 v64, s7
	v_add_co_u32_e32 v62, vcc, s6, v62
	v_ashrrev_i32_e32 v55, 31, v54
	v_addc_co_u32_e32 v63, vcc, v64, v63, vcc
	;; [unrolled: 6-line block ×4, first 2 shown]
	v_lshlrev_b64 v[68:69], 3, v[54:55]
	v_add_u32_e32 v54, s5, v54
	v_mov_b32_e32 v70, s7
	v_add_co_u32_e32 v68, vcc, s6, v68
	v_ashrrev_i32_e32 v55, 31, v54
	s_waitcnt vmcnt(12)
	buffer_store_dword v77, off, s[0:3], 0 offset:4
	buffer_store_dword v76, off, s[0:3], 0
	s_waitcnt vmcnt(12)
	buffer_store_dword v79, off, s[0:3], 0 offset:12
	v_addc_co_u32_e32 v69, vcc, v70, v69, vcc
	v_lshlrev_b64 v[70:71], 3, v[54:55]
	v_add_u32_e32 v54, s5, v54
	global_load_dwordx2 v[76:77], v[24:25], off
	v_mov_b32_e32 v102, s7
	v_add_co_u32_e32 v70, vcc, s6, v70
	v_ashrrev_i32_e32 v55, 31, v54
	v_addc_co_u32_e32 v71, vcc, v102, v71, vcc
	v_lshlrev_b64 v[54:55], 3, v[54:55]
	buffer_store_dword v78, off, s[0:3], 0 offset:8
	global_load_dwordx2 v[78:79], v[26:27], off
	v_add_co_u32_e32 v54, vcc, s6, v54
	v_addc_co_u32_e32 v55, vcc, v102, v55, vcc
	global_load_dwordx2 v[102:103], v[28:29], off
	global_load_dwordx2 v[104:105], v[32:33], off
	;; [unrolled: 1-line block ×11, first 2 shown]
	s_bitcmp0_b32 s18, 0
	buffer_store_dword v81, off, s[0:3], 0 offset:20
	buffer_store_dword v80, off, s[0:3], 0 offset:16
	global_load_dwordx2 v[80:81], v[30:31], off
	s_mov_b64 s[6:7], -1
	s_waitcnt vmcnt(29)
	buffer_store_dword v83, off, s[0:3], 0 offset:28
	buffer_store_dword v82, off, s[0:3], 0 offset:24
	global_load_dwordx2 v[82:83], v[34:35], off
	s_waitcnt vmcnt(31)
	buffer_store_dword v85, off, s[0:3], 0 offset:36
	buffer_store_dword v84, off, s[0:3], 0 offset:32
	global_load_dwordx2 v[84:85], v[38:39], off
	;; [unrolled: 4-line block ×6, first 2 shown]
	s_nop 0
	buffer_store_dword v94, off, s[0:3], 0 offset:72
	buffer_store_dword v95, off, s[0:3], 0 offset:76
	global_load_dwordx2 v[94:95], v[60:61], off
	s_waitcnt vmcnt(43)
	buffer_store_dword v96, off, s[0:3], 0 offset:80
	buffer_store_dword v97, off, s[0:3], 0 offset:84
	global_load_dwordx2 v[96:97], v[64:65], off
	s_waitcnt vmcnt(45)
	;; [unrolled: 4-line block ×4, first 2 shown]
	buffer_store_dword v76, off, s[0:3], 0 offset:104
	buffer_store_dword v77, off, s[0:3], 0 offset:108
	s_waitcnt vmcnt(46)
	buffer_store_dword v79, off, s[0:3], 0 offset:116
	buffer_store_dword v78, off, s[0:3], 0 offset:112
	s_waitcnt vmcnt(47)
	buffer_store_dword v102, off, s[0:3], 0 offset:120
	buffer_store_dword v103, off, s[0:3], 0 offset:124
	s_waitcnt vmcnt(36)
	buffer_store_dword v80, off, s[0:3], 0 offset:128
	buffer_store_dword v81, off, s[0:3], 0 offset:132
	buffer_store_dword v104, off, s[0:3], 0 offset:136
	buffer_store_dword v105, off, s[0:3], 0 offset:140
	s_waitcnt vmcnt(37)
	buffer_store_dword v82, off, s[0:3], 0 offset:144
	buffer_store_dword v83, off, s[0:3], 0 offset:148
	buffer_store_dword v107, off, s[0:3], 0 offset:156
	buffer_store_dword v106, off, s[0:3], 0 offset:152
	s_waitcnt vmcnt(38)
	;; [unrolled: 5-line block ×10, first 2 shown]
	buffer_store_dword v100, off, s[0:3], 0 offset:288
	buffer_store_dword v101, off, s[0:3], 0 offset:292
	s_cbranch_scc1 .LBB100_154
; %bb.4:
	v_cmp_eq_u32_e64 s[4:5], 0, v0
	s_and_saveexec_b64 s[6:7], s[4:5]
	s_cbranch_execz .LBB100_6
; %bb.5:
	v_mov_b32_e32 v76, 0
	ds_write_b32 v76, v76 offset:296
.LBB100_6:
	s_or_b64 exec, exec, s[6:7]
	v_mov_b32_e32 v76, 0
	v_lshl_add_u32 v76, v0, 3, v76
	s_waitcnt lgkmcnt(0)
	; wave barrier
	s_waitcnt lgkmcnt(0)
	buffer_load_dword v78, v76, s[0:3], 0 offen
	buffer_load_dword v79, v76, s[0:3], 0 offen offset:4
	s_waitcnt vmcnt(0)
	v_cmp_eq_f64_e32 vcc, 0, v[78:79]
	s_and_saveexec_b64 s[12:13], vcc
	s_cbranch_execz .LBB100_10
; %bb.7:
	v_mov_b32_e32 v77, 0
	ds_read_b32 v79, v77 offset:296
	v_add_u32_e32 v78, 1, v0
	s_waitcnt lgkmcnt(0)
	v_readfirstlane_b32 s6, v79
	s_cmp_eq_u32 s6, 0
	s_cselect_b64 s[18:19], -1, 0
	v_cmp_gt_i32_e32 vcc, s6, v78
	s_or_b64 s[18:19], s[18:19], vcc
	s_and_b64 exec, exec, s[18:19]
	s_cbranch_execz .LBB100_10
; %bb.8:
	s_mov_b64 s[18:19], 0
	v_mov_b32_e32 v79, s6
.LBB100_9:                              ; =>This Inner Loop Header: Depth=1
	ds_cmpst_rtn_b32 v79, v77, v79, v78 offset:296
	s_waitcnt lgkmcnt(0)
	v_cmp_ne_u32_e32 vcc, 0, v79
	v_cmp_le_i32_e64 s[6:7], v79, v78
	s_and_b64 s[6:7], vcc, s[6:7]
	s_and_b64 s[6:7], exec, s[6:7]
	s_or_b64 s[18:19], s[6:7], s[18:19]
	s_andn2_b64 exec, exec, s[18:19]
	s_cbranch_execnz .LBB100_9
.LBB100_10:
	s_or_b64 exec, exec, s[12:13]
	v_mov_b32_e32 v78, 0
	s_waitcnt lgkmcnt(0)
	; wave barrier
	ds_read_b32 v77, v78 offset:296
	s_and_saveexec_b64 s[6:7], s[4:5]
	s_cbranch_execz .LBB100_12
; %bb.11:
	s_lshl_b64 s[12:13], s[8:9], 2
	s_add_u32 s12, s14, s12
	s_addc_u32 s13, s15, s13
	s_waitcnt lgkmcnt(0)
	global_store_dword v78, v77, s[12:13]
.LBB100_12:
	s_or_b64 exec, exec, s[6:7]
	s_waitcnt lgkmcnt(0)
	v_cmp_ne_u32_e32 vcc, 0, v77
	s_mov_b64 s[6:7], 0
	s_cbranch_vccnz .LBB100_154
; %bb.13:
	buffer_load_dword v78, v76, s[0:3], 0 offen
	buffer_load_dword v79, v76, s[0:3], 0 offen offset:4
	s_waitcnt vmcnt(0)
	v_div_scale_f64 v[80:81], s[6:7], v[78:79], v[78:79], 1.0
	v_rcp_f64_e32 v[82:83], v[80:81]
	v_div_scale_f64 v[84:85], vcc, 1.0, v[78:79], 1.0
	v_fma_f64 v[86:87], -v[80:81], v[82:83], 1.0
	v_fmac_f64_e32 v[82:83], v[82:83], v[86:87]
	v_fma_f64 v[86:87], -v[80:81], v[82:83], 1.0
	v_fmac_f64_e32 v[82:83], v[82:83], v[86:87]
	v_mul_f64 v[86:87], v[84:85], v[82:83]
	v_fma_f64 v[80:81], -v[80:81], v[86:87], v[84:85]
	v_div_fmas_f64 v[80:81], v[80:81], v[82:83], v[86:87]
	v_div_fixup_f64 v[80:81], v[80:81], v[78:79], 1.0
	buffer_store_dword v81, v76, s[0:3], 0 offen offset:4
	buffer_store_dword v80, v76, s[0:3], 0 offen
	buffer_load_dword v83, off, s[0:3], 0 offset:12
	buffer_load_dword v82, off, s[0:3], 0 offset:8
	v_add_u32_e32 v78, 0x130, v1
	v_xor_b32_e32 v81, 0x80000000, v81
	s_waitcnt vmcnt(0)
	ds_write2_b64 v1, v[80:81], v[82:83] offset1:38
	s_waitcnt lgkmcnt(0)
	; wave barrier
	s_waitcnt lgkmcnt(0)
	s_and_saveexec_b64 s[6:7], s[4:5]
	s_cbranch_execz .LBB100_15
; %bb.14:
	buffer_load_dword v80, v76, s[0:3], 0 offen
	buffer_load_dword v81, v76, s[0:3], 0 offen offset:4
	v_mov_b32_e32 v77, 0
	ds_read_b64 v[82:83], v78
	ds_read_b64 v[84:85], v77 offset:8
	s_waitcnt vmcnt(0) lgkmcnt(1)
	v_fma_f64 v[80:81], v[80:81], v[82:83], 0
	s_waitcnt lgkmcnt(0)
	v_mul_f64 v[80:81], v[80:81], v[84:85]
	buffer_store_dword v80, off, s[0:3], 0 offset:8
	buffer_store_dword v81, off, s[0:3], 0 offset:12
.LBB100_15:
	s_or_b64 exec, exec, s[6:7]
	s_waitcnt lgkmcnt(0)
	; wave barrier
	buffer_load_dword v80, off, s[0:3], 0 offset:16
	buffer_load_dword v81, off, s[0:3], 0 offset:20
	v_cmp_gt_u32_e32 vcc, 2, v0
	s_waitcnt vmcnt(0)
	ds_write_b64 v78, v[80:81]
	s_waitcnt lgkmcnt(0)
	; wave barrier
	s_waitcnt lgkmcnt(0)
	s_and_saveexec_b64 s[6:7], vcc
	s_cbranch_execz .LBB100_17
; %bb.16:
	buffer_load_dword v77, v76, s[0:3], 0 offen offset:4
	buffer_load_dword v84, off, s[0:3], 0 offset:8
	s_nop 0
	buffer_load_dword v76, v76, s[0:3], 0 offen
	s_nop 0
	buffer_load_dword v85, off, s[0:3], 0 offset:12
	ds_read_b64 v[86:87], v78
	v_mov_b32_e32 v79, 0
	ds_read2_b64 v[80:83], v79 offset0:2 offset1:39
	s_waitcnt vmcnt(1) lgkmcnt(1)
	v_fma_f64 v[76:77], v[76:77], v[86:87], 0
	s_waitcnt vmcnt(0) lgkmcnt(0)
	v_fma_f64 v[82:83], v[84:85], v[82:83], v[76:77]
	v_cndmask_b32_e64 v77, v77, v83, s[4:5]
	v_cndmask_b32_e64 v76, v76, v82, s[4:5]
	v_mul_f64 v[76:77], v[76:77], v[80:81]
	buffer_store_dword v77, off, s[0:3], 0 offset:20
	buffer_store_dword v76, off, s[0:3], 0 offset:16
.LBB100_17:
	s_or_b64 exec, exec, s[6:7]
	s_waitcnt lgkmcnt(0)
	; wave barrier
	buffer_load_dword v76, off, s[0:3], 0 offset:24
	buffer_load_dword v77, off, s[0:3], 0 offset:28
	v_cmp_gt_u32_e32 vcc, 3, v0
	v_add_u32_e32 v79, -1, v0
	s_waitcnt vmcnt(0)
	ds_write_b64 v78, v[76:77]
	s_waitcnt lgkmcnt(0)
	; wave barrier
	s_waitcnt lgkmcnt(0)
	s_and_saveexec_b64 s[4:5], vcc
	s_cbranch_execz .LBB100_21
; %bb.18:
	v_add_u32_e32 v80, -1, v0
	v_add_u32_e32 v81, 0x130, v1
	v_add_u32_e32 v82, 0, v1
	s_mov_b64 s[6:7], 0
	v_pk_mov_b32 v[76:77], 0, 0
.LBB100_19:                             ; =>This Inner Loop Header: Depth=1
	buffer_load_dword v84, v82, s[0:3], 0 offen
	buffer_load_dword v85, v82, s[0:3], 0 offen offset:4
	ds_read_b64 v[86:87], v81
	v_add_u32_e32 v80, 1, v80
	v_cmp_lt_u32_e32 vcc, 1, v80
	v_add_u32_e32 v81, 8, v81
	v_add_u32_e32 v82, 8, v82
	s_or_b64 s[6:7], vcc, s[6:7]
	s_waitcnt vmcnt(0) lgkmcnt(0)
	v_fmac_f64_e32 v[76:77], v[84:85], v[86:87]
	s_andn2_b64 exec, exec, s[6:7]
	s_cbranch_execnz .LBB100_19
; %bb.20:
	s_or_b64 exec, exec, s[6:7]
	v_mov_b32_e32 v80, 0
	ds_read_b64 v[80:81], v80 offset:24
	s_waitcnt lgkmcnt(0)
	v_mul_f64 v[76:77], v[76:77], v[80:81]
	buffer_store_dword v77, off, s[0:3], 0 offset:28
	buffer_store_dword v76, off, s[0:3], 0 offset:24
.LBB100_21:
	s_or_b64 exec, exec, s[4:5]
	s_waitcnt lgkmcnt(0)
	; wave barrier
	buffer_load_dword v76, off, s[0:3], 0 offset:32
	buffer_load_dword v77, off, s[0:3], 0 offset:36
	v_cmp_gt_u32_e32 vcc, 4, v0
	s_waitcnt vmcnt(0)
	ds_write_b64 v78, v[76:77]
	s_waitcnt lgkmcnt(0)
	; wave barrier
	s_waitcnt lgkmcnt(0)
	s_and_saveexec_b64 s[4:5], vcc
	s_cbranch_execz .LBB100_25
; %bb.22:
	v_add_u32_e32 v80, -1, v0
	v_add_u32_e32 v81, 0x130, v1
	v_add_u32_e32 v82, 0, v1
	s_mov_b64 s[6:7], 0
	v_pk_mov_b32 v[76:77], 0, 0
.LBB100_23:                             ; =>This Inner Loop Header: Depth=1
	buffer_load_dword v84, v82, s[0:3], 0 offen
	buffer_load_dword v85, v82, s[0:3], 0 offen offset:4
	ds_read_b64 v[86:87], v81
	v_add_u32_e32 v80, 1, v80
	v_cmp_lt_u32_e32 vcc, 2, v80
	v_add_u32_e32 v81, 8, v81
	v_add_u32_e32 v82, 8, v82
	s_or_b64 s[6:7], vcc, s[6:7]
	s_waitcnt vmcnt(0) lgkmcnt(0)
	v_fmac_f64_e32 v[76:77], v[84:85], v[86:87]
	s_andn2_b64 exec, exec, s[6:7]
	s_cbranch_execnz .LBB100_23
; %bb.24:
	s_or_b64 exec, exec, s[6:7]
	v_mov_b32_e32 v80, 0
	ds_read_b64 v[80:81], v80 offset:32
	s_waitcnt lgkmcnt(0)
	v_mul_f64 v[76:77], v[76:77], v[80:81]
	buffer_store_dword v77, off, s[0:3], 0 offset:36
	buffer_store_dword v76, off, s[0:3], 0 offset:32
.LBB100_25:
	s_or_b64 exec, exec, s[4:5]
	s_waitcnt lgkmcnt(0)
	; wave barrier
	buffer_load_dword v76, off, s[0:3], 0 offset:40
	buffer_load_dword v77, off, s[0:3], 0 offset:44
	v_cmp_gt_u32_e32 vcc, 5, v0
	;; [unrolled: 41-line block ×21, first 2 shown]
	s_waitcnt vmcnt(0)
	ds_write_b64 v78, v[76:77]
	s_waitcnt lgkmcnt(0)
	; wave barrier
	s_waitcnt lgkmcnt(0)
	s_and_saveexec_b64 s[4:5], vcc
	s_cbranch_execz .LBB100_105
; %bb.102:
	v_add_u32_e32 v80, -1, v0
	v_add_u32_e32 v81, 0x130, v1
	v_add_u32_e32 v82, 0, v1
	s_mov_b64 s[6:7], 0
	v_pk_mov_b32 v[76:77], 0, 0
.LBB100_103:                            ; =>This Inner Loop Header: Depth=1
	buffer_load_dword v84, v82, s[0:3], 0 offen
	buffer_load_dword v85, v82, s[0:3], 0 offen offset:4
	ds_read_b64 v[86:87], v81
	v_add_u32_e32 v80, 1, v80
	v_cmp_lt_u32_e32 vcc, 22, v80
	v_add_u32_e32 v81, 8, v81
	v_add_u32_e32 v82, 8, v82
	s_or_b64 s[6:7], vcc, s[6:7]
	s_waitcnt vmcnt(0) lgkmcnt(0)
	v_fmac_f64_e32 v[76:77], v[84:85], v[86:87]
	s_andn2_b64 exec, exec, s[6:7]
	s_cbranch_execnz .LBB100_103
; %bb.104:
	s_or_b64 exec, exec, s[6:7]
	v_mov_b32_e32 v80, 0
	ds_read_b64 v[80:81], v80 offset:192
	s_waitcnt lgkmcnt(0)
	v_mul_f64 v[76:77], v[76:77], v[80:81]
	buffer_store_dword v77, off, s[0:3], 0 offset:196
	buffer_store_dword v76, off, s[0:3], 0 offset:192
.LBB100_105:
	s_or_b64 exec, exec, s[4:5]
	s_waitcnt lgkmcnt(0)
	; wave barrier
	buffer_load_dword v76, off, s[0:3], 0 offset:200
	buffer_load_dword v77, off, s[0:3], 0 offset:204
	v_cmp_gt_u32_e32 vcc, 25, v0
	s_waitcnt vmcnt(0)
	ds_write_b64 v78, v[76:77]
	s_waitcnt lgkmcnt(0)
	; wave barrier
	s_waitcnt lgkmcnt(0)
	s_and_saveexec_b64 s[4:5], vcc
	s_cbranch_execz .LBB100_109
; %bb.106:
	v_add_u32_e32 v80, -1, v0
	v_add_u32_e32 v81, 0x130, v1
	v_add_u32_e32 v82, 0, v1
	s_mov_b64 s[6:7], 0
	v_pk_mov_b32 v[76:77], 0, 0
.LBB100_107:                            ; =>This Inner Loop Header: Depth=1
	buffer_load_dword v84, v82, s[0:3], 0 offen
	buffer_load_dword v85, v82, s[0:3], 0 offen offset:4
	ds_read_b64 v[86:87], v81
	v_add_u32_e32 v80, 1, v80
	v_cmp_lt_u32_e32 vcc, 23, v80
	v_add_u32_e32 v81, 8, v81
	v_add_u32_e32 v82, 8, v82
	s_or_b64 s[6:7], vcc, s[6:7]
	s_waitcnt vmcnt(0) lgkmcnt(0)
	v_fmac_f64_e32 v[76:77], v[84:85], v[86:87]
	s_andn2_b64 exec, exec, s[6:7]
	s_cbranch_execnz .LBB100_107
; %bb.108:
	s_or_b64 exec, exec, s[6:7]
	v_mov_b32_e32 v80, 0
	ds_read_b64 v[80:81], v80 offset:200
	s_waitcnt lgkmcnt(0)
	v_mul_f64 v[76:77], v[76:77], v[80:81]
	buffer_store_dword v77, off, s[0:3], 0 offset:204
	buffer_store_dword v76, off, s[0:3], 0 offset:200
.LBB100_109:
	s_or_b64 exec, exec, s[4:5]
	s_waitcnt lgkmcnt(0)
	; wave barrier
	buffer_load_dword v76, off, s[0:3], 0 offset:208
	buffer_load_dword v77, off, s[0:3], 0 offset:212
	v_cmp_gt_u32_e32 vcc, 26, v0
	s_waitcnt vmcnt(0)
	ds_write_b64 v78, v[76:77]
	s_waitcnt lgkmcnt(0)
	; wave barrier
	s_waitcnt lgkmcnt(0)
	s_and_saveexec_b64 s[4:5], vcc
	s_cbranch_execz .LBB100_113
; %bb.110:
	v_add_u32_e32 v80, -1, v0
	v_add_u32_e32 v81, 0x130, v1
	v_add_u32_e32 v82, 0, v1
	s_mov_b64 s[6:7], 0
	v_pk_mov_b32 v[76:77], 0, 0
.LBB100_111:                            ; =>This Inner Loop Header: Depth=1
	buffer_load_dword v84, v82, s[0:3], 0 offen
	buffer_load_dword v85, v82, s[0:3], 0 offen offset:4
	ds_read_b64 v[86:87], v81
	v_add_u32_e32 v80, 1, v80
	v_cmp_lt_u32_e32 vcc, 24, v80
	v_add_u32_e32 v81, 8, v81
	v_add_u32_e32 v82, 8, v82
	s_or_b64 s[6:7], vcc, s[6:7]
	s_waitcnt vmcnt(0) lgkmcnt(0)
	v_fmac_f64_e32 v[76:77], v[84:85], v[86:87]
	s_andn2_b64 exec, exec, s[6:7]
	s_cbranch_execnz .LBB100_111
; %bb.112:
	s_or_b64 exec, exec, s[6:7]
	v_mov_b32_e32 v80, 0
	ds_read_b64 v[80:81], v80 offset:208
	s_waitcnt lgkmcnt(0)
	v_mul_f64 v[76:77], v[76:77], v[80:81]
	buffer_store_dword v77, off, s[0:3], 0 offset:212
	buffer_store_dword v76, off, s[0:3], 0 offset:208
.LBB100_113:
	s_or_b64 exec, exec, s[4:5]
	s_waitcnt lgkmcnt(0)
	; wave barrier
	buffer_load_dword v76, off, s[0:3], 0 offset:216
	buffer_load_dword v77, off, s[0:3], 0 offset:220
	v_cmp_gt_u32_e32 vcc, 27, v0
	s_waitcnt vmcnt(0)
	ds_write_b64 v78, v[76:77]
	s_waitcnt lgkmcnt(0)
	; wave barrier
	s_waitcnt lgkmcnt(0)
	s_and_saveexec_b64 s[4:5], vcc
	s_cbranch_execz .LBB100_117
; %bb.114:
	v_add_u32_e32 v80, -1, v0
	v_add_u32_e32 v81, 0x130, v1
	v_add_u32_e32 v82, 0, v1
	s_mov_b64 s[6:7], 0
	v_pk_mov_b32 v[76:77], 0, 0
.LBB100_115:                            ; =>This Inner Loop Header: Depth=1
	buffer_load_dword v84, v82, s[0:3], 0 offen
	buffer_load_dword v85, v82, s[0:3], 0 offen offset:4
	ds_read_b64 v[86:87], v81
	v_add_u32_e32 v80, 1, v80
	v_cmp_lt_u32_e32 vcc, 25, v80
	v_add_u32_e32 v81, 8, v81
	v_add_u32_e32 v82, 8, v82
	s_or_b64 s[6:7], vcc, s[6:7]
	s_waitcnt vmcnt(0) lgkmcnt(0)
	v_fmac_f64_e32 v[76:77], v[84:85], v[86:87]
	s_andn2_b64 exec, exec, s[6:7]
	s_cbranch_execnz .LBB100_115
; %bb.116:
	s_or_b64 exec, exec, s[6:7]
	v_mov_b32_e32 v80, 0
	ds_read_b64 v[80:81], v80 offset:216
	s_waitcnt lgkmcnt(0)
	v_mul_f64 v[76:77], v[76:77], v[80:81]
	buffer_store_dword v77, off, s[0:3], 0 offset:220
	buffer_store_dword v76, off, s[0:3], 0 offset:216
.LBB100_117:
	s_or_b64 exec, exec, s[4:5]
	s_waitcnt lgkmcnt(0)
	; wave barrier
	buffer_load_dword v76, off, s[0:3], 0 offset:224
	buffer_load_dword v77, off, s[0:3], 0 offset:228
	v_cmp_gt_u32_e32 vcc, 28, v0
	s_waitcnt vmcnt(0)
	ds_write_b64 v78, v[76:77]
	s_waitcnt lgkmcnt(0)
	; wave barrier
	s_waitcnt lgkmcnt(0)
	s_and_saveexec_b64 s[4:5], vcc
	s_cbranch_execz .LBB100_121
; %bb.118:
	v_add_u32_e32 v80, -1, v0
	v_add_u32_e32 v81, 0x130, v1
	v_add_u32_e32 v82, 0, v1
	s_mov_b64 s[6:7], 0
	v_pk_mov_b32 v[76:77], 0, 0
.LBB100_119:                            ; =>This Inner Loop Header: Depth=1
	buffer_load_dword v84, v82, s[0:3], 0 offen
	buffer_load_dword v85, v82, s[0:3], 0 offen offset:4
	ds_read_b64 v[86:87], v81
	v_add_u32_e32 v80, 1, v80
	v_cmp_lt_u32_e32 vcc, 26, v80
	v_add_u32_e32 v81, 8, v81
	v_add_u32_e32 v82, 8, v82
	s_or_b64 s[6:7], vcc, s[6:7]
	s_waitcnt vmcnt(0) lgkmcnt(0)
	v_fmac_f64_e32 v[76:77], v[84:85], v[86:87]
	s_andn2_b64 exec, exec, s[6:7]
	s_cbranch_execnz .LBB100_119
; %bb.120:
	s_or_b64 exec, exec, s[6:7]
	v_mov_b32_e32 v80, 0
	ds_read_b64 v[80:81], v80 offset:224
	s_waitcnt lgkmcnt(0)
	v_mul_f64 v[76:77], v[76:77], v[80:81]
	buffer_store_dword v77, off, s[0:3], 0 offset:228
	buffer_store_dword v76, off, s[0:3], 0 offset:224
.LBB100_121:
	s_or_b64 exec, exec, s[4:5]
	s_waitcnt lgkmcnt(0)
	; wave barrier
	buffer_load_dword v76, off, s[0:3], 0 offset:232
	buffer_load_dword v77, off, s[0:3], 0 offset:236
	v_cmp_gt_u32_e32 vcc, 29, v0
	s_waitcnt vmcnt(0)
	ds_write_b64 v78, v[76:77]
	s_waitcnt lgkmcnt(0)
	; wave barrier
	s_waitcnt lgkmcnt(0)
	s_and_saveexec_b64 s[4:5], vcc
	s_cbranch_execz .LBB100_125
; %bb.122:
	v_add_u32_e32 v80, -1, v0
	v_add_u32_e32 v81, 0x130, v1
	v_add_u32_e32 v82, 0, v1
	s_mov_b64 s[6:7], 0
	v_pk_mov_b32 v[76:77], 0, 0
.LBB100_123:                            ; =>This Inner Loop Header: Depth=1
	buffer_load_dword v84, v82, s[0:3], 0 offen
	buffer_load_dword v85, v82, s[0:3], 0 offen offset:4
	ds_read_b64 v[86:87], v81
	v_add_u32_e32 v80, 1, v80
	v_cmp_lt_u32_e32 vcc, 27, v80
	v_add_u32_e32 v81, 8, v81
	v_add_u32_e32 v82, 8, v82
	s_or_b64 s[6:7], vcc, s[6:7]
	s_waitcnt vmcnt(0) lgkmcnt(0)
	v_fmac_f64_e32 v[76:77], v[84:85], v[86:87]
	s_andn2_b64 exec, exec, s[6:7]
	s_cbranch_execnz .LBB100_123
; %bb.124:
	s_or_b64 exec, exec, s[6:7]
	v_mov_b32_e32 v80, 0
	ds_read_b64 v[80:81], v80 offset:232
	s_waitcnt lgkmcnt(0)
	v_mul_f64 v[76:77], v[76:77], v[80:81]
	buffer_store_dword v77, off, s[0:3], 0 offset:236
	buffer_store_dword v76, off, s[0:3], 0 offset:232
.LBB100_125:
	s_or_b64 exec, exec, s[4:5]
	s_waitcnt lgkmcnt(0)
	; wave barrier
	buffer_load_dword v76, off, s[0:3], 0 offset:240
	buffer_load_dword v77, off, s[0:3], 0 offset:244
	v_cmp_gt_u32_e32 vcc, 30, v0
	s_waitcnt vmcnt(0)
	ds_write_b64 v78, v[76:77]
	s_waitcnt lgkmcnt(0)
	; wave barrier
	s_waitcnt lgkmcnt(0)
	s_and_saveexec_b64 s[4:5], vcc
	s_cbranch_execz .LBB100_129
; %bb.126:
	v_add_u32_e32 v80, -1, v0
	v_add_u32_e32 v81, 0x130, v1
	v_add_u32_e32 v82, 0, v1
	s_mov_b64 s[6:7], 0
	v_pk_mov_b32 v[76:77], 0, 0
.LBB100_127:                            ; =>This Inner Loop Header: Depth=1
	buffer_load_dword v84, v82, s[0:3], 0 offen
	buffer_load_dword v85, v82, s[0:3], 0 offen offset:4
	ds_read_b64 v[86:87], v81
	v_add_u32_e32 v80, 1, v80
	v_cmp_lt_u32_e32 vcc, 28, v80
	v_add_u32_e32 v81, 8, v81
	v_add_u32_e32 v82, 8, v82
	s_or_b64 s[6:7], vcc, s[6:7]
	s_waitcnt vmcnt(0) lgkmcnt(0)
	v_fmac_f64_e32 v[76:77], v[84:85], v[86:87]
	s_andn2_b64 exec, exec, s[6:7]
	s_cbranch_execnz .LBB100_127
; %bb.128:
	s_or_b64 exec, exec, s[6:7]
	v_mov_b32_e32 v80, 0
	ds_read_b64 v[80:81], v80 offset:240
	s_waitcnt lgkmcnt(0)
	v_mul_f64 v[76:77], v[76:77], v[80:81]
	buffer_store_dword v77, off, s[0:3], 0 offset:244
	buffer_store_dword v76, off, s[0:3], 0 offset:240
.LBB100_129:
	s_or_b64 exec, exec, s[4:5]
	s_waitcnt lgkmcnt(0)
	; wave barrier
	buffer_load_dword v76, off, s[0:3], 0 offset:248
	buffer_load_dword v77, off, s[0:3], 0 offset:252
	v_cmp_gt_u32_e32 vcc, 31, v0
	s_waitcnt vmcnt(0)
	ds_write_b64 v78, v[76:77]
	s_waitcnt lgkmcnt(0)
	; wave barrier
	s_waitcnt lgkmcnt(0)
	s_and_saveexec_b64 s[4:5], vcc
	s_cbranch_execz .LBB100_133
; %bb.130:
	v_add_u32_e32 v80, -1, v0
	v_add_u32_e32 v81, 0x130, v1
	v_add_u32_e32 v82, 0, v1
	s_mov_b64 s[6:7], 0
	v_pk_mov_b32 v[76:77], 0, 0
.LBB100_131:                            ; =>This Inner Loop Header: Depth=1
	buffer_load_dword v84, v82, s[0:3], 0 offen
	buffer_load_dword v85, v82, s[0:3], 0 offen offset:4
	ds_read_b64 v[86:87], v81
	v_add_u32_e32 v80, 1, v80
	v_cmp_lt_u32_e32 vcc, 29, v80
	v_add_u32_e32 v81, 8, v81
	v_add_u32_e32 v82, 8, v82
	s_or_b64 s[6:7], vcc, s[6:7]
	s_waitcnt vmcnt(0) lgkmcnt(0)
	v_fmac_f64_e32 v[76:77], v[84:85], v[86:87]
	s_andn2_b64 exec, exec, s[6:7]
	s_cbranch_execnz .LBB100_131
; %bb.132:
	s_or_b64 exec, exec, s[6:7]
	v_mov_b32_e32 v80, 0
	ds_read_b64 v[80:81], v80 offset:248
	s_waitcnt lgkmcnt(0)
	v_mul_f64 v[76:77], v[76:77], v[80:81]
	buffer_store_dword v77, off, s[0:3], 0 offset:252
	buffer_store_dword v76, off, s[0:3], 0 offset:248
.LBB100_133:
	s_or_b64 exec, exec, s[4:5]
	s_waitcnt lgkmcnt(0)
	; wave barrier
	buffer_load_dword v76, off, s[0:3], 0 offset:256
	buffer_load_dword v77, off, s[0:3], 0 offset:260
	v_cmp_gt_u32_e32 vcc, 32, v0
	s_waitcnt vmcnt(0)
	ds_write_b64 v78, v[76:77]
	s_waitcnt lgkmcnt(0)
	; wave barrier
	s_waitcnt lgkmcnt(0)
	s_and_saveexec_b64 s[4:5], vcc
	s_cbranch_execz .LBB100_137
; %bb.134:
	v_add_u32_e32 v80, -1, v0
	v_add_u32_e32 v81, 0x130, v1
	v_add_u32_e32 v82, 0, v1
	s_mov_b64 s[6:7], 0
	v_pk_mov_b32 v[76:77], 0, 0
.LBB100_135:                            ; =>This Inner Loop Header: Depth=1
	buffer_load_dword v84, v82, s[0:3], 0 offen
	buffer_load_dword v85, v82, s[0:3], 0 offen offset:4
	ds_read_b64 v[86:87], v81
	v_add_u32_e32 v80, 1, v80
	v_cmp_lt_u32_e32 vcc, 30, v80
	v_add_u32_e32 v81, 8, v81
	v_add_u32_e32 v82, 8, v82
	s_or_b64 s[6:7], vcc, s[6:7]
	s_waitcnt vmcnt(0) lgkmcnt(0)
	v_fmac_f64_e32 v[76:77], v[84:85], v[86:87]
	s_andn2_b64 exec, exec, s[6:7]
	s_cbranch_execnz .LBB100_135
; %bb.136:
	s_or_b64 exec, exec, s[6:7]
	v_mov_b32_e32 v80, 0
	ds_read_b64 v[80:81], v80 offset:256
	s_waitcnt lgkmcnt(0)
	v_mul_f64 v[76:77], v[76:77], v[80:81]
	buffer_store_dword v77, off, s[0:3], 0 offset:260
	buffer_store_dword v76, off, s[0:3], 0 offset:256
.LBB100_137:
	s_or_b64 exec, exec, s[4:5]
	s_waitcnt lgkmcnt(0)
	; wave barrier
	buffer_load_dword v76, off, s[0:3], 0 offset:264
	buffer_load_dword v77, off, s[0:3], 0 offset:268
	v_cmp_gt_u32_e32 vcc, 33, v0
	s_waitcnt vmcnt(0)
	ds_write_b64 v78, v[76:77]
	s_waitcnt lgkmcnt(0)
	; wave barrier
	s_waitcnt lgkmcnt(0)
	s_and_saveexec_b64 s[4:5], vcc
	s_cbranch_execz .LBB100_141
; %bb.138:
	v_add_u32_e32 v80, -1, v0
	v_add_u32_e32 v81, 0x130, v1
	v_add_u32_e32 v82, 0, v1
	s_mov_b64 s[6:7], 0
	v_pk_mov_b32 v[76:77], 0, 0
.LBB100_139:                            ; =>This Inner Loop Header: Depth=1
	buffer_load_dword v84, v82, s[0:3], 0 offen
	buffer_load_dword v85, v82, s[0:3], 0 offen offset:4
	ds_read_b64 v[86:87], v81
	v_add_u32_e32 v80, 1, v80
	v_cmp_lt_u32_e32 vcc, 31, v80
	v_add_u32_e32 v81, 8, v81
	v_add_u32_e32 v82, 8, v82
	s_or_b64 s[6:7], vcc, s[6:7]
	s_waitcnt vmcnt(0) lgkmcnt(0)
	v_fmac_f64_e32 v[76:77], v[84:85], v[86:87]
	s_andn2_b64 exec, exec, s[6:7]
	s_cbranch_execnz .LBB100_139
; %bb.140:
	s_or_b64 exec, exec, s[6:7]
	v_mov_b32_e32 v80, 0
	ds_read_b64 v[80:81], v80 offset:264
	s_waitcnt lgkmcnt(0)
	v_mul_f64 v[76:77], v[76:77], v[80:81]
	buffer_store_dword v77, off, s[0:3], 0 offset:268
	buffer_store_dword v76, off, s[0:3], 0 offset:264
.LBB100_141:
	s_or_b64 exec, exec, s[4:5]
	s_waitcnt lgkmcnt(0)
	; wave barrier
	buffer_load_dword v76, off, s[0:3], 0 offset:272
	buffer_load_dword v77, off, s[0:3], 0 offset:276
	v_cmp_gt_u32_e32 vcc, 34, v0
	s_waitcnt vmcnt(0)
	ds_write_b64 v78, v[76:77]
	s_waitcnt lgkmcnt(0)
	; wave barrier
	s_waitcnt lgkmcnt(0)
	s_and_saveexec_b64 s[4:5], vcc
	s_cbranch_execz .LBB100_145
; %bb.142:
	v_add_u32_e32 v80, -1, v0
	v_add_u32_e32 v81, 0x130, v1
	v_add_u32_e32 v82, 0, v1
	s_mov_b64 s[6:7], 0
	v_pk_mov_b32 v[76:77], 0, 0
.LBB100_143:                            ; =>This Inner Loop Header: Depth=1
	buffer_load_dword v84, v82, s[0:3], 0 offen
	buffer_load_dword v85, v82, s[0:3], 0 offen offset:4
	ds_read_b64 v[86:87], v81
	v_add_u32_e32 v80, 1, v80
	v_cmp_lt_u32_e32 vcc, 32, v80
	v_add_u32_e32 v81, 8, v81
	v_add_u32_e32 v82, 8, v82
	s_or_b64 s[6:7], vcc, s[6:7]
	s_waitcnt vmcnt(0) lgkmcnt(0)
	v_fmac_f64_e32 v[76:77], v[84:85], v[86:87]
	s_andn2_b64 exec, exec, s[6:7]
	s_cbranch_execnz .LBB100_143
; %bb.144:
	s_or_b64 exec, exec, s[6:7]
	v_mov_b32_e32 v80, 0
	ds_read_b64 v[80:81], v80 offset:272
	s_waitcnt lgkmcnt(0)
	v_mul_f64 v[76:77], v[76:77], v[80:81]
	buffer_store_dword v77, off, s[0:3], 0 offset:276
	buffer_store_dword v76, off, s[0:3], 0 offset:272
.LBB100_145:
	s_or_b64 exec, exec, s[4:5]
	s_waitcnt lgkmcnt(0)
	; wave barrier
	buffer_load_dword v76, off, s[0:3], 0 offset:280
	buffer_load_dword v77, off, s[0:3], 0 offset:284
	v_cmp_gt_u32_e32 vcc, 35, v0
	s_waitcnt vmcnt(0)
	ds_write_b64 v78, v[76:77]
	s_waitcnt lgkmcnt(0)
	; wave barrier
	s_waitcnt lgkmcnt(0)
	s_and_saveexec_b64 s[4:5], vcc
	s_cbranch_execz .LBB100_149
; %bb.146:
	v_add_u32_e32 v80, -1, v0
	v_add_u32_e32 v81, 0x130, v1
	v_add_u32_e32 v82, 0, v1
	s_mov_b64 s[6:7], 0
	v_pk_mov_b32 v[76:77], 0, 0
.LBB100_147:                            ; =>This Inner Loop Header: Depth=1
	buffer_load_dword v84, v82, s[0:3], 0 offen
	buffer_load_dword v85, v82, s[0:3], 0 offen offset:4
	ds_read_b64 v[86:87], v81
	v_add_u32_e32 v80, 1, v80
	v_cmp_lt_u32_e32 vcc, 33, v80
	v_add_u32_e32 v81, 8, v81
	v_add_u32_e32 v82, 8, v82
	s_or_b64 s[6:7], vcc, s[6:7]
	s_waitcnt vmcnt(0) lgkmcnt(0)
	v_fmac_f64_e32 v[76:77], v[84:85], v[86:87]
	s_andn2_b64 exec, exec, s[6:7]
	s_cbranch_execnz .LBB100_147
; %bb.148:
	s_or_b64 exec, exec, s[6:7]
	v_mov_b32_e32 v80, 0
	ds_read_b64 v[80:81], v80 offset:280
	s_waitcnt lgkmcnt(0)
	v_mul_f64 v[76:77], v[76:77], v[80:81]
	buffer_store_dword v77, off, s[0:3], 0 offset:284
	buffer_store_dword v76, off, s[0:3], 0 offset:280
.LBB100_149:
	s_or_b64 exec, exec, s[4:5]
	s_waitcnt lgkmcnt(0)
	; wave barrier
	buffer_load_dword v76, off, s[0:3], 0 offset:288
	buffer_load_dword v77, off, s[0:3], 0 offset:292
	v_cmp_ne_u32_e32 vcc, 36, v0
	s_waitcnt vmcnt(0)
	ds_write_b64 v78, v[76:77]
	s_waitcnt lgkmcnt(0)
	; wave barrier
	s_waitcnt lgkmcnt(0)
	s_and_saveexec_b64 s[4:5], vcc
	s_cbranch_execz .LBB100_153
; %bb.150:
	v_add_u32_e32 v78, 0x130, v1
	v_add_u32_e32 v1, 0, v1
	s_mov_b64 s[6:7], 0
	v_pk_mov_b32 v[76:77], 0, 0
.LBB100_151:                            ; =>This Inner Loop Header: Depth=1
	buffer_load_dword v80, v1, s[0:3], 0 offen
	buffer_load_dword v81, v1, s[0:3], 0 offen offset:4
	ds_read_b64 v[82:83], v78
	v_add_u32_e32 v79, 1, v79
	v_cmp_lt_u32_e32 vcc, 34, v79
	v_add_u32_e32 v78, 8, v78
	v_add_u32_e32 v1, 8, v1
	s_or_b64 s[6:7], vcc, s[6:7]
	s_waitcnt vmcnt(0) lgkmcnt(0)
	v_fmac_f64_e32 v[76:77], v[80:81], v[82:83]
	s_andn2_b64 exec, exec, s[6:7]
	s_cbranch_execnz .LBB100_151
; %bb.152:
	s_or_b64 exec, exec, s[6:7]
	v_mov_b32_e32 v1, 0
	ds_read_b64 v[78:79], v1 offset:288
	s_waitcnt lgkmcnt(0)
	v_mul_f64 v[76:77], v[76:77], v[78:79]
	buffer_store_dword v77, off, s[0:3], 0 offset:292
	buffer_store_dword v76, off, s[0:3], 0 offset:288
.LBB100_153:
	s_or_b64 exec, exec, s[4:5]
	s_mov_b64 s[6:7], -1
	s_waitcnt lgkmcnt(0)
	; wave barrier
.LBB100_154:
	s_and_b64 vcc, exec, s[6:7]
	s_cbranch_vccz .LBB100_156
; %bb.155:
	s_lshl_b64 s[4:5], s[8:9], 2
	s_add_u32 s4, s14, s4
	s_addc_u32 s5, s15, s5
	v_mov_b32_e32 v1, 0
	global_load_dword v1, v1, s[4:5]
	s_waitcnt vmcnt(0)
	v_cmp_ne_u32_e32 vcc, 0, v1
	s_cbranch_vccz .LBB100_157
.LBB100_156:
	s_endpgm
.LBB100_157:
	v_mov_b32_e32 v1, 0x130
	v_lshl_add_u32 v1, v0, 3, v1
	v_cmp_eq_u32_e32 vcc, 36, v0
	s_and_saveexec_b64 s[4:5], vcc
	s_cbranch_execz .LBB100_159
; %bb.158:
	buffer_load_dword v76, off, s[0:3], 0 offset:280
	buffer_load_dword v77, off, s[0:3], 0 offset:284
	v_mov_b32_e32 v78, 0
	buffer_store_dword v78, off, s[0:3], 0 offset:280
	buffer_store_dword v78, off, s[0:3], 0 offset:284
	s_waitcnt vmcnt(2)
	ds_write_b64 v1, v[76:77]
.LBB100_159:
	s_or_b64 exec, exec, s[4:5]
	s_waitcnt lgkmcnt(0)
	; wave barrier
	s_waitcnt lgkmcnt(0)
	buffer_load_dword v78, off, s[0:3], 0 offset:288
	buffer_load_dword v79, off, s[0:3], 0 offset:292
	;; [unrolled: 1-line block ×4, first 2 shown]
	v_mov_b32_e32 v76, 0
	ds_read_b64 v[82:83], v76 offset:592
	v_cmp_lt_u32_e32 vcc, 34, v0
	s_waitcnt vmcnt(2) lgkmcnt(0)
	v_fma_f64 v[78:79], v[78:79], v[82:83], 0
	s_waitcnt vmcnt(0)
	v_add_f64 v[78:79], v[80:81], -v[78:79]
	buffer_store_dword v78, off, s[0:3], 0 offset:280
	buffer_store_dword v79, off, s[0:3], 0 offset:284
	s_and_saveexec_b64 s[4:5], vcc
	s_cbranch_execz .LBB100_161
; %bb.160:
	buffer_load_dword v78, off, s[0:3], 0 offset:272
	buffer_load_dword v79, off, s[0:3], 0 offset:276
	s_waitcnt vmcnt(0)
	ds_write_b64 v1, v[78:79]
	buffer_store_dword v76, off, s[0:3], 0 offset:272
	buffer_store_dword v76, off, s[0:3], 0 offset:276
.LBB100_161:
	s_or_b64 exec, exec, s[4:5]
	s_waitcnt lgkmcnt(0)
	; wave barrier
	s_waitcnt lgkmcnt(0)
	buffer_load_dword v80, off, s[0:3], 0 offset:280
	buffer_load_dword v81, off, s[0:3], 0 offset:284
	;; [unrolled: 1-line block ×6, first 2 shown]
	ds_read2_b64 v[76:79], v76 offset0:73 offset1:74
	v_cmp_lt_u32_e32 vcc, 33, v0
	s_waitcnt vmcnt(4) lgkmcnt(0)
	v_fma_f64 v[76:77], v[80:81], v[76:77], 0
	s_waitcnt vmcnt(2)
	v_fmac_f64_e32 v[76:77], v[82:83], v[78:79]
	s_waitcnt vmcnt(0)
	v_add_f64 v[76:77], v[84:85], -v[76:77]
	buffer_store_dword v76, off, s[0:3], 0 offset:272
	buffer_store_dword v77, off, s[0:3], 0 offset:276
	s_and_saveexec_b64 s[4:5], vcc
	s_cbranch_execz .LBB100_163
; %bb.162:
	buffer_load_dword v76, off, s[0:3], 0 offset:264
	buffer_load_dword v77, off, s[0:3], 0 offset:268
	v_mov_b32_e32 v78, 0
	buffer_store_dword v78, off, s[0:3], 0 offset:264
	buffer_store_dword v78, off, s[0:3], 0 offset:268
	s_waitcnt vmcnt(2)
	ds_write_b64 v1, v[76:77]
.LBB100_163:
	s_or_b64 exec, exec, s[4:5]
	s_waitcnt lgkmcnt(0)
	; wave barrier
	s_waitcnt lgkmcnt(0)
	buffer_load_dword v82, off, s[0:3], 0 offset:272
	buffer_load_dword v83, off, s[0:3], 0 offset:276
	;; [unrolled: 1-line block ×8, first 2 shown]
	v_mov_b32_e32 v76, 0
	ds_read_b128 v[78:81], v76 offset:576
	ds_read_b64 v[90:91], v76 offset:592
	v_cmp_lt_u32_e32 vcc, 32, v0
	s_waitcnt vmcnt(6) lgkmcnt(1)
	v_fma_f64 v[78:79], v[82:83], v[78:79], 0
	s_waitcnt vmcnt(4)
	v_fmac_f64_e32 v[78:79], v[84:85], v[80:81]
	s_waitcnt vmcnt(2) lgkmcnt(0)
	v_fmac_f64_e32 v[78:79], v[86:87], v[90:91]
	s_waitcnt vmcnt(0)
	v_add_f64 v[78:79], v[88:89], -v[78:79]
	buffer_store_dword v78, off, s[0:3], 0 offset:264
	buffer_store_dword v79, off, s[0:3], 0 offset:268
	s_and_saveexec_b64 s[4:5], vcc
	s_cbranch_execz .LBB100_165
; %bb.164:
	buffer_load_dword v78, off, s[0:3], 0 offset:256
	buffer_load_dword v79, off, s[0:3], 0 offset:260
	s_waitcnt vmcnt(0)
	ds_write_b64 v1, v[78:79]
	buffer_store_dword v76, off, s[0:3], 0 offset:256
	buffer_store_dword v76, off, s[0:3], 0 offset:260
.LBB100_165:
	s_or_b64 exec, exec, s[4:5]
	s_waitcnt lgkmcnt(0)
	; wave barrier
	s_waitcnt lgkmcnt(0)
	buffer_load_dword v86, off, s[0:3], 0 offset:264
	buffer_load_dword v87, off, s[0:3], 0 offset:268
	;; [unrolled: 1-line block ×10, first 2 shown]
	ds_read2_b64 v[78:81], v76 offset0:71 offset1:72
	ds_read2_b64 v[82:85], v76 offset0:73 offset1:74
	v_cmp_lt_u32_e32 vcc, 31, v0
	s_waitcnt vmcnt(8) lgkmcnt(1)
	v_fma_f64 v[76:77], v[86:87], v[78:79], 0
	s_waitcnt vmcnt(6)
	v_fmac_f64_e32 v[76:77], v[88:89], v[80:81]
	s_waitcnt vmcnt(4) lgkmcnt(0)
	v_fmac_f64_e32 v[76:77], v[90:91], v[82:83]
	s_waitcnt vmcnt(2)
	v_fmac_f64_e32 v[76:77], v[92:93], v[84:85]
	s_waitcnt vmcnt(0)
	v_add_f64 v[76:77], v[94:95], -v[76:77]
	buffer_store_dword v76, off, s[0:3], 0 offset:256
	buffer_store_dword v77, off, s[0:3], 0 offset:260
	s_and_saveexec_b64 s[4:5], vcc
	s_cbranch_execz .LBB100_167
; %bb.166:
	buffer_load_dword v76, off, s[0:3], 0 offset:248
	buffer_load_dword v77, off, s[0:3], 0 offset:252
	v_mov_b32_e32 v78, 0
	buffer_store_dword v78, off, s[0:3], 0 offset:248
	buffer_store_dword v78, off, s[0:3], 0 offset:252
	s_waitcnt vmcnt(2)
	ds_write_b64 v1, v[76:77]
.LBB100_167:
	s_or_b64 exec, exec, s[4:5]
	s_waitcnt lgkmcnt(0)
	; wave barrier
	s_waitcnt lgkmcnt(0)
	buffer_load_dword v86, off, s[0:3], 0 offset:256
	buffer_load_dword v87, off, s[0:3], 0 offset:260
	;; [unrolled: 1-line block ×12, first 2 shown]
	v_mov_b32_e32 v76, 0
	ds_read_b128 v[78:81], v76 offset:560
	ds_read_b128 v[82:85], v76 offset:576
	ds_read_b64 v[98:99], v76 offset:592
	v_cmp_lt_u32_e32 vcc, 30, v0
	s_waitcnt vmcnt(10) lgkmcnt(2)
	v_fma_f64 v[78:79], v[86:87], v[78:79], 0
	s_waitcnt vmcnt(8)
	v_fmac_f64_e32 v[78:79], v[88:89], v[80:81]
	s_waitcnt vmcnt(6) lgkmcnt(1)
	v_fmac_f64_e32 v[78:79], v[90:91], v[82:83]
	s_waitcnt vmcnt(4)
	v_fmac_f64_e32 v[78:79], v[92:93], v[84:85]
	s_waitcnt vmcnt(2) lgkmcnt(0)
	v_fmac_f64_e32 v[78:79], v[94:95], v[98:99]
	s_waitcnt vmcnt(0)
	v_add_f64 v[78:79], v[96:97], -v[78:79]
	buffer_store_dword v78, off, s[0:3], 0 offset:248
	buffer_store_dword v79, off, s[0:3], 0 offset:252
	s_and_saveexec_b64 s[4:5], vcc
	s_cbranch_execz .LBB100_169
; %bb.168:
	buffer_load_dword v78, off, s[0:3], 0 offset:240
	buffer_load_dword v79, off, s[0:3], 0 offset:244
	s_waitcnt vmcnt(0)
	ds_write_b64 v1, v[78:79]
	buffer_store_dword v76, off, s[0:3], 0 offset:240
	buffer_store_dword v76, off, s[0:3], 0 offset:244
.LBB100_169:
	s_or_b64 exec, exec, s[4:5]
	s_waitcnt lgkmcnt(0)
	; wave barrier
	s_waitcnt lgkmcnt(0)
	buffer_load_dword v90, off, s[0:3], 0 offset:248
	buffer_load_dword v91, off, s[0:3], 0 offset:252
	;; [unrolled: 1-line block ×14, first 2 shown]
	ds_read2_b64 v[78:81], v76 offset0:69 offset1:70
	ds_read2_b64 v[82:85], v76 offset0:71 offset1:72
	;; [unrolled: 1-line block ×3, first 2 shown]
	v_cmp_lt_u32_e32 vcc, 29, v0
	s_waitcnt vmcnt(12) lgkmcnt(2)
	v_fma_f64 v[76:77], v[90:91], v[78:79], 0
	s_waitcnt vmcnt(10)
	v_fmac_f64_e32 v[76:77], v[92:93], v[80:81]
	s_waitcnt vmcnt(8) lgkmcnt(1)
	v_fmac_f64_e32 v[76:77], v[94:95], v[82:83]
	s_waitcnt vmcnt(6)
	v_fmac_f64_e32 v[76:77], v[96:97], v[84:85]
	s_waitcnt vmcnt(4) lgkmcnt(0)
	v_fmac_f64_e32 v[76:77], v[98:99], v[86:87]
	s_waitcnt vmcnt(2)
	v_fmac_f64_e32 v[76:77], v[100:101], v[88:89]
	s_waitcnt vmcnt(0)
	v_add_f64 v[76:77], v[102:103], -v[76:77]
	buffer_store_dword v76, off, s[0:3], 0 offset:240
	buffer_store_dword v77, off, s[0:3], 0 offset:244
	s_and_saveexec_b64 s[4:5], vcc
	s_cbranch_execz .LBB100_171
; %bb.170:
	buffer_load_dword v76, off, s[0:3], 0 offset:232
	buffer_load_dword v77, off, s[0:3], 0 offset:236
	v_mov_b32_e32 v78, 0
	buffer_store_dword v78, off, s[0:3], 0 offset:232
	buffer_store_dword v78, off, s[0:3], 0 offset:236
	s_waitcnt vmcnt(2)
	ds_write_b64 v1, v[76:77]
.LBB100_171:
	s_or_b64 exec, exec, s[4:5]
	s_waitcnt lgkmcnt(0)
	; wave barrier
	s_waitcnt lgkmcnt(0)
	buffer_load_dword v90, off, s[0:3], 0 offset:240
	buffer_load_dword v91, off, s[0:3], 0 offset:244
	;; [unrolled: 1-line block ×16, first 2 shown]
	v_mov_b32_e32 v76, 0
	ds_read_b128 v[78:81], v76 offset:544
	ds_read_b128 v[82:85], v76 offset:560
	;; [unrolled: 1-line block ×3, first 2 shown]
	ds_read_b64 v[106:107], v76 offset:592
	v_cmp_lt_u32_e32 vcc, 28, v0
	s_waitcnt vmcnt(14) lgkmcnt(3)
	v_fma_f64 v[78:79], v[90:91], v[78:79], 0
	s_waitcnt vmcnt(12)
	v_fmac_f64_e32 v[78:79], v[92:93], v[80:81]
	s_waitcnt vmcnt(10) lgkmcnt(2)
	v_fmac_f64_e32 v[78:79], v[94:95], v[82:83]
	s_waitcnt vmcnt(8)
	v_fmac_f64_e32 v[78:79], v[96:97], v[84:85]
	s_waitcnt vmcnt(6) lgkmcnt(1)
	v_fmac_f64_e32 v[78:79], v[98:99], v[86:87]
	;; [unrolled: 4-line block ×3, first 2 shown]
	s_waitcnt vmcnt(0)
	v_add_f64 v[78:79], v[104:105], -v[78:79]
	buffer_store_dword v78, off, s[0:3], 0 offset:232
	buffer_store_dword v79, off, s[0:3], 0 offset:236
	s_and_saveexec_b64 s[4:5], vcc
	s_cbranch_execz .LBB100_173
; %bb.172:
	buffer_load_dword v78, off, s[0:3], 0 offset:224
	buffer_load_dword v79, off, s[0:3], 0 offset:228
	s_waitcnt vmcnt(0)
	ds_write_b64 v1, v[78:79]
	buffer_store_dword v76, off, s[0:3], 0 offset:224
	buffer_store_dword v76, off, s[0:3], 0 offset:228
.LBB100_173:
	s_or_b64 exec, exec, s[4:5]
	s_waitcnt lgkmcnt(0)
	; wave barrier
	s_waitcnt lgkmcnt(0)
	buffer_load_dword v94, off, s[0:3], 0 offset:232
	buffer_load_dword v95, off, s[0:3], 0 offset:236
	buffer_load_dword v96, off, s[0:3], 0 offset:240
	buffer_load_dword v97, off, s[0:3], 0 offset:244
	buffer_load_dword v98, off, s[0:3], 0 offset:248
	buffer_load_dword v99, off, s[0:3], 0 offset:252
	buffer_load_dword v100, off, s[0:3], 0 offset:256
	buffer_load_dword v101, off, s[0:3], 0 offset:260
	buffer_load_dword v102, off, s[0:3], 0 offset:264
	buffer_load_dword v103, off, s[0:3], 0 offset:268
	buffer_load_dword v104, off, s[0:3], 0 offset:272
	buffer_load_dword v105, off, s[0:3], 0 offset:276
	buffer_load_dword v106, off, s[0:3], 0 offset:280
	buffer_load_dword v107, off, s[0:3], 0 offset:284
	buffer_load_dword v109, off, s[0:3], 0 offset:292
	buffer_load_dword v108, off, s[0:3], 0 offset:288
	buffer_load_dword v110, off, s[0:3], 0 offset:224
	buffer_load_dword v111, off, s[0:3], 0 offset:228
	ds_read2_b64 v[78:81], v76 offset0:67 offset1:68
	ds_read2_b64 v[82:85], v76 offset0:69 offset1:70
	;; [unrolled: 1-line block ×4, first 2 shown]
	v_cmp_lt_u32_e32 vcc, 27, v0
	s_waitcnt vmcnt(16) lgkmcnt(3)
	v_fma_f64 v[76:77], v[94:95], v[78:79], 0
	s_waitcnt vmcnt(14)
	v_fmac_f64_e32 v[76:77], v[96:97], v[80:81]
	s_waitcnt vmcnt(12) lgkmcnt(2)
	v_fmac_f64_e32 v[76:77], v[98:99], v[82:83]
	s_waitcnt vmcnt(10)
	v_fmac_f64_e32 v[76:77], v[100:101], v[84:85]
	s_waitcnt vmcnt(8) lgkmcnt(1)
	v_fmac_f64_e32 v[76:77], v[102:103], v[86:87]
	;; [unrolled: 4-line block ×3, first 2 shown]
	s_waitcnt vmcnt(2)
	v_fmac_f64_e32 v[76:77], v[108:109], v[92:93]
	s_waitcnt vmcnt(0)
	v_add_f64 v[76:77], v[110:111], -v[76:77]
	buffer_store_dword v76, off, s[0:3], 0 offset:224
	buffer_store_dword v77, off, s[0:3], 0 offset:228
	s_and_saveexec_b64 s[4:5], vcc
	s_cbranch_execz .LBB100_175
; %bb.174:
	buffer_load_dword v76, off, s[0:3], 0 offset:216
	buffer_load_dword v77, off, s[0:3], 0 offset:220
	v_mov_b32_e32 v78, 0
	buffer_store_dword v78, off, s[0:3], 0 offset:216
	buffer_store_dword v78, off, s[0:3], 0 offset:220
	s_waitcnt vmcnt(2)
	ds_write_b64 v1, v[76:77]
.LBB100_175:
	s_or_b64 exec, exec, s[4:5]
	s_waitcnt lgkmcnt(0)
	; wave barrier
	s_waitcnt lgkmcnt(0)
	buffer_load_dword v94, off, s[0:3], 0 offset:224
	buffer_load_dword v95, off, s[0:3], 0 offset:228
	;; [unrolled: 1-line block ×20, first 2 shown]
	v_mov_b32_e32 v76, 0
	ds_read_b128 v[78:81], v76 offset:528
	ds_read_b128 v[82:85], v76 offset:544
	;; [unrolled: 1-line block ×4, first 2 shown]
	ds_read_b64 v[114:115], v76 offset:592
	v_cmp_lt_u32_e32 vcc, 26, v0
	s_waitcnt vmcnt(18) lgkmcnt(4)
	v_fma_f64 v[78:79], v[94:95], v[78:79], 0
	s_waitcnt vmcnt(16)
	v_fmac_f64_e32 v[78:79], v[96:97], v[80:81]
	s_waitcnt vmcnt(14) lgkmcnt(3)
	v_fmac_f64_e32 v[78:79], v[98:99], v[82:83]
	s_waitcnt vmcnt(12)
	v_fmac_f64_e32 v[78:79], v[100:101], v[84:85]
	s_waitcnt vmcnt(10) lgkmcnt(2)
	v_fmac_f64_e32 v[78:79], v[102:103], v[86:87]
	;; [unrolled: 4-line block ×3, first 2 shown]
	s_waitcnt vmcnt(2)
	v_fmac_f64_e32 v[78:79], v[110:111], v[92:93]
	s_waitcnt lgkmcnt(0)
	v_fmac_f64_e32 v[78:79], v[108:109], v[114:115]
	s_waitcnt vmcnt(0)
	v_add_f64 v[78:79], v[112:113], -v[78:79]
	buffer_store_dword v78, off, s[0:3], 0 offset:216
	buffer_store_dword v79, off, s[0:3], 0 offset:220
	s_and_saveexec_b64 s[4:5], vcc
	s_cbranch_execz .LBB100_177
; %bb.176:
	buffer_load_dword v78, off, s[0:3], 0 offset:208
	buffer_load_dword v79, off, s[0:3], 0 offset:212
	s_waitcnt vmcnt(0)
	ds_write_b64 v1, v[78:79]
	buffer_store_dword v76, off, s[0:3], 0 offset:208
	buffer_store_dword v76, off, s[0:3], 0 offset:212
.LBB100_177:
	s_or_b64 exec, exec, s[4:5]
	s_waitcnt lgkmcnt(0)
	; wave barrier
	s_waitcnt lgkmcnt(0)
	buffer_load_dword v98, off, s[0:3], 0 offset:216
	buffer_load_dword v99, off, s[0:3], 0 offset:220
	;; [unrolled: 1-line block ×22, first 2 shown]
	ds_read2_b64 v[78:81], v76 offset0:65 offset1:66
	ds_read2_b64 v[82:85], v76 offset0:67 offset1:68
	;; [unrolled: 1-line block ×5, first 2 shown]
	v_cmp_lt_u32_e32 vcc, 25, v0
	s_waitcnt vmcnt(20) lgkmcnt(4)
	v_fma_f64 v[76:77], v[98:99], v[78:79], 0
	s_waitcnt vmcnt(18)
	v_fmac_f64_e32 v[76:77], v[100:101], v[80:81]
	s_waitcnt vmcnt(16) lgkmcnt(3)
	v_fmac_f64_e32 v[76:77], v[102:103], v[82:83]
	s_waitcnt vmcnt(14)
	v_fmac_f64_e32 v[76:77], v[104:105], v[84:85]
	s_waitcnt vmcnt(12) lgkmcnt(2)
	v_fmac_f64_e32 v[76:77], v[106:107], v[86:87]
	;; [unrolled: 4-line block ×3, first 2 shown]
	s_waitcnt vmcnt(3)
	v_fmac_f64_e32 v[76:77], v[116:117], v[92:93]
	s_waitcnt lgkmcnt(0)
	v_fmac_f64_e32 v[76:77], v[114:115], v[94:95]
	s_waitcnt vmcnt(2)
	v_fmac_f64_e32 v[76:77], v[112:113], v[96:97]
	s_waitcnt vmcnt(0)
	v_add_f64 v[76:77], v[118:119], -v[76:77]
	buffer_store_dword v76, off, s[0:3], 0 offset:208
	buffer_store_dword v77, off, s[0:3], 0 offset:212
	s_and_saveexec_b64 s[4:5], vcc
	s_cbranch_execz .LBB100_179
; %bb.178:
	buffer_load_dword v76, off, s[0:3], 0 offset:200
	buffer_load_dword v77, off, s[0:3], 0 offset:204
	v_mov_b32_e32 v78, 0
	buffer_store_dword v78, off, s[0:3], 0 offset:200
	buffer_store_dword v78, off, s[0:3], 0 offset:204
	s_waitcnt vmcnt(2)
	ds_write_b64 v1, v[76:77]
.LBB100_179:
	s_or_b64 exec, exec, s[4:5]
	s_waitcnt lgkmcnt(0)
	; wave barrier
	s_waitcnt lgkmcnt(0)
	buffer_load_dword v98, off, s[0:3], 0 offset:208
	buffer_load_dword v99, off, s[0:3], 0 offset:212
	;; [unrolled: 1-line block ×24, first 2 shown]
	v_mov_b32_e32 v76, 0
	ds_read_b128 v[78:81], v76 offset:512
	ds_read_b128 v[82:85], v76 offset:528
	;; [unrolled: 1-line block ×5, first 2 shown]
	ds_read_b64 v[122:123], v76 offset:592
	v_cmp_lt_u32_e32 vcc, 24, v0
	s_waitcnt vmcnt(22) lgkmcnt(5)
	v_fma_f64 v[78:79], v[98:99], v[78:79], 0
	s_waitcnt vmcnt(20)
	v_fmac_f64_e32 v[78:79], v[100:101], v[80:81]
	s_waitcnt vmcnt(18) lgkmcnt(4)
	v_fmac_f64_e32 v[78:79], v[102:103], v[82:83]
	s_waitcnt vmcnt(16)
	v_fmac_f64_e32 v[78:79], v[104:105], v[84:85]
	s_waitcnt vmcnt(14) lgkmcnt(3)
	v_fmac_f64_e32 v[78:79], v[106:107], v[86:87]
	;; [unrolled: 4-line block ×3, first 2 shown]
	s_waitcnt vmcnt(4)
	v_fmac_f64_e32 v[78:79], v[118:119], v[92:93]
	s_waitcnt lgkmcnt(1)
	v_fmac_f64_e32 v[78:79], v[116:117], v[94:95]
	s_waitcnt vmcnt(3)
	v_fmac_f64_e32 v[78:79], v[114:115], v[96:97]
	s_waitcnt vmcnt(2) lgkmcnt(0)
	v_fmac_f64_e32 v[78:79], v[112:113], v[122:123]
	s_waitcnt vmcnt(0)
	v_add_f64 v[78:79], v[120:121], -v[78:79]
	buffer_store_dword v79, off, s[0:3], 0 offset:204
	buffer_store_dword v78, off, s[0:3], 0 offset:200
	s_and_saveexec_b64 s[4:5], vcc
	s_cbranch_execz .LBB100_181
; %bb.180:
	buffer_load_dword v78, off, s[0:3], 0 offset:192
	buffer_load_dword v79, off, s[0:3], 0 offset:196
	s_waitcnt vmcnt(0)
	ds_write_b64 v1, v[78:79]
	buffer_store_dword v76, off, s[0:3], 0 offset:192
	buffer_store_dword v76, off, s[0:3], 0 offset:196
.LBB100_181:
	s_or_b64 exec, exec, s[4:5]
	s_waitcnt lgkmcnt(0)
	; wave barrier
	s_waitcnt lgkmcnt(0)
	buffer_load_dword v102, off, s[0:3], 0 offset:200
	buffer_load_dword v103, off, s[0:3], 0 offset:204
	;; [unrolled: 1-line block ×26, first 2 shown]
	ds_read2_b64 v[78:81], v76 offset0:63 offset1:64
	ds_read2_b64 v[82:85], v76 offset0:65 offset1:66
	;; [unrolled: 1-line block ×6, first 2 shown]
	v_cmp_lt_u32_e32 vcc, 23, v0
	s_waitcnt vmcnt(24) lgkmcnt(5)
	v_fma_f64 v[76:77], v[102:103], v[78:79], 0
	s_waitcnt vmcnt(22)
	v_fmac_f64_e32 v[76:77], v[104:105], v[80:81]
	s_waitcnt vmcnt(20) lgkmcnt(4)
	v_fmac_f64_e32 v[76:77], v[106:107], v[82:83]
	s_waitcnt vmcnt(18)
	v_fmac_f64_e32 v[76:77], v[108:109], v[84:85]
	s_waitcnt vmcnt(16) lgkmcnt(3)
	v_fmac_f64_e32 v[76:77], v[110:111], v[86:87]
	;; [unrolled: 4-line block ×3, first 2 shown]
	s_waitcnt vmcnt(5)
	v_fmac_f64_e32 v[76:77], v[122:123], v[92:93]
	s_waitcnt lgkmcnt(1)
	v_fmac_f64_e32 v[76:77], v[120:121], v[94:95]
	v_fmac_f64_e32 v[76:77], v[118:119], v[96:97]
	s_waitcnt vmcnt(4) lgkmcnt(0)
	v_fmac_f64_e32 v[76:77], v[116:117], v[98:99]
	s_waitcnt vmcnt(2)
	v_fmac_f64_e32 v[76:77], v[124:125], v[100:101]
	s_waitcnt vmcnt(0)
	v_add_f64 v[76:77], v[126:127], -v[76:77]
	buffer_store_dword v77, off, s[0:3], 0 offset:196
	buffer_store_dword v76, off, s[0:3], 0 offset:192
	s_and_saveexec_b64 s[4:5], vcc
	s_cbranch_execz .LBB100_183
; %bb.182:
	buffer_load_dword v76, off, s[0:3], 0 offset:184
	buffer_load_dword v77, off, s[0:3], 0 offset:188
	v_mov_b32_e32 v78, 0
	buffer_store_dword v78, off, s[0:3], 0 offset:184
	buffer_store_dword v78, off, s[0:3], 0 offset:188
	s_waitcnt vmcnt(2)
	ds_write_b64 v1, v[76:77]
.LBB100_183:
	s_or_b64 exec, exec, s[4:5]
	s_waitcnt lgkmcnt(0)
	; wave barrier
	s_waitcnt lgkmcnt(0)
	buffer_load_dword v94, off, s[0:3], 0 offset:184
	buffer_load_dword v95, off, s[0:3], 0 offset:188
	;; [unrolled: 1-line block ×16, first 2 shown]
	v_mov_b32_e32 v76, 0
	ds_read_b128 v[78:81], v76 offset:496
	ds_read_b128 v[82:85], v76 offset:512
	;; [unrolled: 1-line block ×4, first 2 shown]
	v_cmp_lt_u32_e32 vcc, 22, v0
	s_waitcnt vmcnt(12) lgkmcnt(3)
	v_fma_f64 v[96:97], v[96:97], v[78:79], 0
	buffer_load_dword v79, off, s[0:3], 0 offset:252
	buffer_load_dword v78, off, s[0:3], 0 offset:248
	s_waitcnt vmcnt(12)
	v_fmac_f64_e32 v[96:97], v[98:99], v[80:81]
	s_waitcnt vmcnt(10) lgkmcnt(2)
	v_fmac_f64_e32 v[96:97], v[100:101], v[82:83]
	buffer_load_dword v83, off, s[0:3], 0 offset:260
	buffer_load_dword v82, off, s[0:3], 0 offset:256
	s_waitcnt vmcnt(10)
	v_fmac_f64_e32 v[96:97], v[102:103], v[84:85]
	s_waitcnt vmcnt(8) lgkmcnt(1)
	v_fmac_f64_e32 v[96:97], v[104:105], v[86:87]
	s_waitcnt vmcnt(6)
	v_fmac_f64_e32 v[96:97], v[106:107], v[88:89]
	s_waitcnt vmcnt(4) lgkmcnt(0)
	v_fmac_f64_e32 v[96:97], v[108:109], v[90:91]
	s_waitcnt vmcnt(2)
	v_fmac_f64_e32 v[96:97], v[78:79], v[92:93]
	ds_read_b128 v[78:81], v76 offset:560
	s_waitcnt vmcnt(0) lgkmcnt(0)
	v_fmac_f64_e32 v[96:97], v[82:83], v[78:79]
	buffer_load_dword v79, off, s[0:3], 0 offset:268
	buffer_load_dword v78, off, s[0:3], 0 offset:264
	;; [unrolled: 1-line block ×4, first 2 shown]
	s_waitcnt vmcnt(2)
	v_fmac_f64_e32 v[96:97], v[78:79], v[80:81]
	ds_read_b128 v[78:81], v76 offset:576
	s_waitcnt vmcnt(0) lgkmcnt(0)
	v_fmac_f64_e32 v[96:97], v[82:83], v[78:79]
	buffer_load_dword v79, off, s[0:3], 0 offset:284
	buffer_load_dword v78, off, s[0:3], 0 offset:280
	s_waitcnt vmcnt(0)
	v_fmac_f64_e32 v[96:97], v[78:79], v[80:81]
	buffer_load_dword v79, off, s[0:3], 0 offset:292
	buffer_load_dword v78, off, s[0:3], 0 offset:288
	ds_read_b64 v[80:81], v76 offset:592
	s_waitcnt vmcnt(0) lgkmcnt(0)
	v_fmac_f64_e32 v[96:97], v[78:79], v[80:81]
	v_add_f64 v[78:79], v[94:95], -v[96:97]
	buffer_store_dword v79, off, s[0:3], 0 offset:188
	buffer_store_dword v78, off, s[0:3], 0 offset:184
	s_and_saveexec_b64 s[4:5], vcc
	s_cbranch_execz .LBB100_185
; %bb.184:
	buffer_load_dword v78, off, s[0:3], 0 offset:176
	buffer_load_dword v79, off, s[0:3], 0 offset:180
	s_waitcnt vmcnt(0)
	ds_write_b64 v1, v[78:79]
	buffer_store_dword v76, off, s[0:3], 0 offset:176
	buffer_store_dword v76, off, s[0:3], 0 offset:180
.LBB100_185:
	s_or_b64 exec, exec, s[4:5]
	s_waitcnt lgkmcnt(0)
	; wave barrier
	s_waitcnt lgkmcnt(0)
	buffer_load_dword v82, off, s[0:3], 0 offset:176
	buffer_load_dword v83, off, s[0:3], 0 offset:180
	;; [unrolled: 1-line block ×16, first 2 shown]
	ds_read2_b64 v[78:81], v76 offset0:61 offset1:62
	v_cmp_lt_u32_e32 vcc, 21, v0
	s_waitcnt vmcnt(12) lgkmcnt(0)
	v_fma_f64 v[84:85], v[84:85], v[78:79], 0
	s_waitcnt vmcnt(10)
	v_fmac_f64_e32 v[84:85], v[86:87], v[80:81]
	ds_read2_b64 v[78:81], v76 offset0:63 offset1:64
	s_waitcnt vmcnt(8) lgkmcnt(0)
	v_fmac_f64_e32 v[84:85], v[88:89], v[78:79]
	s_waitcnt vmcnt(6)
	v_fmac_f64_e32 v[84:85], v[90:91], v[80:81]
	ds_read2_b64 v[78:81], v76 offset0:65 offset1:66
	s_waitcnt vmcnt(4) lgkmcnt(0)
	v_fmac_f64_e32 v[84:85], v[92:93], v[78:79]
	;; [unrolled: 5-line block ×3, first 2 shown]
	buffer_load_dword v79, off, s[0:3], 0 offset:244
	buffer_load_dword v78, off, s[0:3], 0 offset:240
	;; [unrolled: 1-line block ×4, first 2 shown]
	s_waitcnt vmcnt(2)
	v_fmac_f64_e32 v[84:85], v[78:79], v[80:81]
	ds_read2_b64 v[78:81], v76 offset0:69 offset1:70
	s_waitcnt vmcnt(0) lgkmcnt(0)
	v_fmac_f64_e32 v[84:85], v[86:87], v[78:79]
	buffer_load_dword v79, off, s[0:3], 0 offset:260
	buffer_load_dword v78, off, s[0:3], 0 offset:256
	;; [unrolled: 1-line block ×4, first 2 shown]
	s_waitcnt vmcnt(2)
	v_fmac_f64_e32 v[84:85], v[78:79], v[80:81]
	ds_read2_b64 v[78:81], v76 offset0:71 offset1:72
	s_waitcnt vmcnt(0) lgkmcnt(0)
	v_fmac_f64_e32 v[84:85], v[86:87], v[78:79]
	buffer_load_dword v79, off, s[0:3], 0 offset:276
	buffer_load_dword v78, off, s[0:3], 0 offset:272
	s_waitcnt vmcnt(0)
	v_fmac_f64_e32 v[84:85], v[78:79], v[80:81]
	buffer_load_dword v81, off, s[0:3], 0 offset:284
	buffer_load_dword v80, off, s[0:3], 0 offset:280
	ds_read2_b64 v[76:79], v76 offset0:73 offset1:74
	s_waitcnt vmcnt(0) lgkmcnt(0)
	v_fmac_f64_e32 v[84:85], v[80:81], v[76:77]
	buffer_load_dword v77, off, s[0:3], 0 offset:292
	buffer_load_dword v76, off, s[0:3], 0 offset:288
	s_waitcnt vmcnt(0)
	v_fmac_f64_e32 v[84:85], v[76:77], v[78:79]
	v_add_f64 v[76:77], v[82:83], -v[84:85]
	buffer_store_dword v77, off, s[0:3], 0 offset:180
	buffer_store_dword v76, off, s[0:3], 0 offset:176
	s_and_saveexec_b64 s[4:5], vcc
	s_cbranch_execz .LBB100_187
; %bb.186:
	buffer_load_dword v76, off, s[0:3], 0 offset:168
	buffer_load_dword v77, off, s[0:3], 0 offset:172
	v_mov_b32_e32 v78, 0
	buffer_store_dword v78, off, s[0:3], 0 offset:168
	buffer_store_dword v78, off, s[0:3], 0 offset:172
	s_waitcnt vmcnt(2)
	ds_write_b64 v1, v[76:77]
.LBB100_187:
	s_or_b64 exec, exec, s[4:5]
	s_waitcnt lgkmcnt(0)
	; wave barrier
	s_waitcnt lgkmcnt(0)
	buffer_load_dword v94, off, s[0:3], 0 offset:168
	buffer_load_dword v95, off, s[0:3], 0 offset:172
	;; [unrolled: 1-line block ×16, first 2 shown]
	v_mov_b32_e32 v76, 0
	ds_read_b128 v[78:81], v76 offset:480
	ds_read_b128 v[82:85], v76 offset:496
	;; [unrolled: 1-line block ×4, first 2 shown]
	v_cmp_lt_u32_e32 vcc, 20, v0
	s_waitcnt vmcnt(12) lgkmcnt(3)
	v_fma_f64 v[96:97], v[96:97], v[78:79], 0
	buffer_load_dword v79, off, s[0:3], 0 offset:236
	buffer_load_dword v78, off, s[0:3], 0 offset:232
	s_waitcnt vmcnt(12)
	v_fmac_f64_e32 v[96:97], v[98:99], v[80:81]
	s_waitcnt vmcnt(10) lgkmcnt(2)
	v_fmac_f64_e32 v[96:97], v[100:101], v[82:83]
	buffer_load_dword v83, off, s[0:3], 0 offset:244
	buffer_load_dword v82, off, s[0:3], 0 offset:240
	s_waitcnt vmcnt(10)
	v_fmac_f64_e32 v[96:97], v[102:103], v[84:85]
	s_waitcnt vmcnt(8) lgkmcnt(1)
	v_fmac_f64_e32 v[96:97], v[104:105], v[86:87]
	s_waitcnt vmcnt(6)
	v_fmac_f64_e32 v[96:97], v[106:107], v[88:89]
	s_waitcnt vmcnt(4) lgkmcnt(0)
	v_fmac_f64_e32 v[96:97], v[108:109], v[90:91]
	s_waitcnt vmcnt(2)
	v_fmac_f64_e32 v[96:97], v[78:79], v[92:93]
	ds_read_b128 v[78:81], v76 offset:544
	s_waitcnt vmcnt(0) lgkmcnt(0)
	v_fmac_f64_e32 v[96:97], v[82:83], v[78:79]
	buffer_load_dword v79, off, s[0:3], 0 offset:252
	buffer_load_dword v78, off, s[0:3], 0 offset:248
	;; [unrolled: 1-line block ×4, first 2 shown]
	s_waitcnt vmcnt(2)
	v_fmac_f64_e32 v[96:97], v[78:79], v[80:81]
	ds_read_b128 v[78:81], v76 offset:560
	s_waitcnt vmcnt(0) lgkmcnt(0)
	v_fmac_f64_e32 v[96:97], v[82:83], v[78:79]
	buffer_load_dword v79, off, s[0:3], 0 offset:268
	buffer_load_dword v78, off, s[0:3], 0 offset:264
	;; [unrolled: 1-line block ×4, first 2 shown]
	s_waitcnt vmcnt(2)
	v_fmac_f64_e32 v[96:97], v[78:79], v[80:81]
	ds_read_b128 v[78:81], v76 offset:576
	s_waitcnt vmcnt(0) lgkmcnt(0)
	v_fmac_f64_e32 v[96:97], v[82:83], v[78:79]
	buffer_load_dword v79, off, s[0:3], 0 offset:284
	buffer_load_dword v78, off, s[0:3], 0 offset:280
	s_waitcnt vmcnt(0)
	v_fmac_f64_e32 v[96:97], v[78:79], v[80:81]
	buffer_load_dword v79, off, s[0:3], 0 offset:292
	buffer_load_dword v78, off, s[0:3], 0 offset:288
	ds_read_b64 v[80:81], v76 offset:592
	s_waitcnt vmcnt(0) lgkmcnt(0)
	v_fmac_f64_e32 v[96:97], v[78:79], v[80:81]
	v_add_f64 v[78:79], v[94:95], -v[96:97]
	buffer_store_dword v79, off, s[0:3], 0 offset:172
	buffer_store_dword v78, off, s[0:3], 0 offset:168
	s_and_saveexec_b64 s[4:5], vcc
	s_cbranch_execz .LBB100_189
; %bb.188:
	buffer_load_dword v78, off, s[0:3], 0 offset:160
	buffer_load_dword v79, off, s[0:3], 0 offset:164
	s_waitcnt vmcnt(0)
	ds_write_b64 v1, v[78:79]
	buffer_store_dword v76, off, s[0:3], 0 offset:160
	buffer_store_dword v76, off, s[0:3], 0 offset:164
.LBB100_189:
	s_or_b64 exec, exec, s[4:5]
	s_waitcnt lgkmcnt(0)
	; wave barrier
	s_waitcnt lgkmcnt(0)
	buffer_load_dword v82, off, s[0:3], 0 offset:160
	buffer_load_dword v83, off, s[0:3], 0 offset:164
	;; [unrolled: 1-line block ×16, first 2 shown]
	ds_read2_b64 v[78:81], v76 offset0:59 offset1:60
	v_cmp_lt_u32_e32 vcc, 19, v0
	s_waitcnt vmcnt(12) lgkmcnt(0)
	v_fma_f64 v[84:85], v[84:85], v[78:79], 0
	s_waitcnt vmcnt(10)
	v_fmac_f64_e32 v[84:85], v[86:87], v[80:81]
	ds_read2_b64 v[78:81], v76 offset0:61 offset1:62
	s_waitcnt vmcnt(8) lgkmcnt(0)
	v_fmac_f64_e32 v[84:85], v[88:89], v[78:79]
	s_waitcnt vmcnt(6)
	v_fmac_f64_e32 v[84:85], v[90:91], v[80:81]
	ds_read2_b64 v[78:81], v76 offset0:63 offset1:64
	s_waitcnt vmcnt(4) lgkmcnt(0)
	v_fmac_f64_e32 v[84:85], v[92:93], v[78:79]
	;; [unrolled: 5-line block ×3, first 2 shown]
	buffer_load_dword v79, off, s[0:3], 0 offset:228
	buffer_load_dword v78, off, s[0:3], 0 offset:224
	buffer_load_dword v87, off, s[0:3], 0 offset:236
	buffer_load_dword v86, off, s[0:3], 0 offset:232
	s_waitcnt vmcnt(2)
	v_fmac_f64_e32 v[84:85], v[78:79], v[80:81]
	ds_read2_b64 v[78:81], v76 offset0:67 offset1:68
	s_waitcnt vmcnt(0) lgkmcnt(0)
	v_fmac_f64_e32 v[84:85], v[86:87], v[78:79]
	buffer_load_dword v79, off, s[0:3], 0 offset:244
	buffer_load_dword v78, off, s[0:3], 0 offset:240
	buffer_load_dword v87, off, s[0:3], 0 offset:252
	buffer_load_dword v86, off, s[0:3], 0 offset:248
	s_waitcnt vmcnt(2)
	v_fmac_f64_e32 v[84:85], v[78:79], v[80:81]
	ds_read2_b64 v[78:81], v76 offset0:69 offset1:70
	s_waitcnt vmcnt(0) lgkmcnt(0)
	v_fmac_f64_e32 v[84:85], v[86:87], v[78:79]
	;; [unrolled: 9-line block ×3, first 2 shown]
	buffer_load_dword v79, off, s[0:3], 0 offset:276
	buffer_load_dword v78, off, s[0:3], 0 offset:272
	s_waitcnt vmcnt(0)
	v_fmac_f64_e32 v[84:85], v[78:79], v[80:81]
	buffer_load_dword v81, off, s[0:3], 0 offset:284
	buffer_load_dword v80, off, s[0:3], 0 offset:280
	ds_read2_b64 v[76:79], v76 offset0:73 offset1:74
	s_waitcnt vmcnt(0) lgkmcnt(0)
	v_fmac_f64_e32 v[84:85], v[80:81], v[76:77]
	buffer_load_dword v77, off, s[0:3], 0 offset:292
	buffer_load_dword v76, off, s[0:3], 0 offset:288
	s_waitcnt vmcnt(0)
	v_fmac_f64_e32 v[84:85], v[76:77], v[78:79]
	v_add_f64 v[76:77], v[82:83], -v[84:85]
	buffer_store_dword v77, off, s[0:3], 0 offset:164
	buffer_store_dword v76, off, s[0:3], 0 offset:160
	s_and_saveexec_b64 s[4:5], vcc
	s_cbranch_execz .LBB100_191
; %bb.190:
	buffer_load_dword v76, off, s[0:3], 0 offset:152
	buffer_load_dword v77, off, s[0:3], 0 offset:156
	v_mov_b32_e32 v78, 0
	buffer_store_dword v78, off, s[0:3], 0 offset:152
	buffer_store_dword v78, off, s[0:3], 0 offset:156
	s_waitcnt vmcnt(2)
	ds_write_b64 v1, v[76:77]
.LBB100_191:
	s_or_b64 exec, exec, s[4:5]
	s_waitcnt lgkmcnt(0)
	; wave barrier
	s_waitcnt lgkmcnt(0)
	buffer_load_dword v76, off, s[0:3], 0 offset:152
	buffer_load_dword v77, off, s[0:3], 0 offset:156
	;; [unrolled: 1-line block ×16, first 2 shown]
	v_mov_b32_e32 v80, 0
	ds_read_b128 v[82:85], v80 offset:464
	ds_read_b128 v[86:89], v80 offset:480
	;; [unrolled: 1-line block ×4, first 2 shown]
	v_cmp_lt_u32_e32 vcc, 18, v0
	s_waitcnt vmcnt(12) lgkmcnt(3)
	v_fma_f64 v[78:79], v[78:79], v[82:83], 0
	buffer_load_dword v83, off, s[0:3], 0 offset:220
	buffer_load_dword v82, off, s[0:3], 0 offset:216
	s_waitcnt vmcnt(12)
	v_fmac_f64_e32 v[78:79], v[98:99], v[84:85]
	s_waitcnt vmcnt(10) lgkmcnt(2)
	v_fmac_f64_e32 v[78:79], v[100:101], v[86:87]
	buffer_load_dword v87, off, s[0:3], 0 offset:228
	buffer_load_dword v86, off, s[0:3], 0 offset:224
	s_waitcnt vmcnt(10)
	v_fmac_f64_e32 v[78:79], v[102:103], v[88:89]
	s_waitcnt vmcnt(8) lgkmcnt(1)
	v_fmac_f64_e32 v[78:79], v[104:105], v[90:91]
	s_waitcnt vmcnt(6)
	v_fmac_f64_e32 v[78:79], v[106:107], v[92:93]
	s_waitcnt vmcnt(4) lgkmcnt(0)
	v_fmac_f64_e32 v[78:79], v[108:109], v[94:95]
	s_waitcnt vmcnt(2)
	v_fmac_f64_e32 v[78:79], v[82:83], v[96:97]
	ds_read_b128 v[82:85], v80 offset:528
	s_waitcnt vmcnt(0) lgkmcnt(0)
	v_fmac_f64_e32 v[78:79], v[86:87], v[82:83]
	buffer_load_dword v83, off, s[0:3], 0 offset:236
	buffer_load_dword v82, off, s[0:3], 0 offset:232
	buffer_load_dword v87, off, s[0:3], 0 offset:244
	buffer_load_dword v86, off, s[0:3], 0 offset:240
	s_waitcnt vmcnt(2)
	v_fmac_f64_e32 v[78:79], v[82:83], v[84:85]
	ds_read_b128 v[82:85], v80 offset:544
	s_waitcnt vmcnt(0) lgkmcnt(0)
	v_fmac_f64_e32 v[78:79], v[86:87], v[82:83]
	buffer_load_dword v83, off, s[0:3], 0 offset:252
	buffer_load_dword v82, off, s[0:3], 0 offset:248
	buffer_load_dword v87, off, s[0:3], 0 offset:260
	buffer_load_dword v86, off, s[0:3], 0 offset:256
	;; [unrolled: 9-line block ×3, first 2 shown]
	s_waitcnt vmcnt(2)
	v_fmac_f64_e32 v[78:79], v[82:83], v[84:85]
	ds_read_b128 v[82:85], v80 offset:576
	s_waitcnt vmcnt(0) lgkmcnt(0)
	v_fmac_f64_e32 v[78:79], v[86:87], v[82:83]
	buffer_load_dword v83, off, s[0:3], 0 offset:284
	buffer_load_dword v82, off, s[0:3], 0 offset:280
	s_waitcnt vmcnt(0)
	v_fmac_f64_e32 v[78:79], v[82:83], v[84:85]
	buffer_load_dword v83, off, s[0:3], 0 offset:292
	buffer_load_dword v82, off, s[0:3], 0 offset:288
	ds_read_b64 v[84:85], v80 offset:592
	s_waitcnt vmcnt(0) lgkmcnt(0)
	v_fmac_f64_e32 v[78:79], v[82:83], v[84:85]
	v_add_f64 v[76:77], v[76:77], -v[78:79]
	buffer_store_dword v77, off, s[0:3], 0 offset:156
	buffer_store_dword v76, off, s[0:3], 0 offset:152
	s_and_saveexec_b64 s[4:5], vcc
	s_cbranch_execz .LBB100_193
; %bb.192:
	buffer_load_dword v76, off, s[0:3], 0 offset:144
	buffer_load_dword v77, off, s[0:3], 0 offset:148
	s_waitcnt vmcnt(0)
	ds_write_b64 v1, v[76:77]
	buffer_store_dword v80, off, s[0:3], 0 offset:144
	buffer_store_dword v80, off, s[0:3], 0 offset:148
.LBB100_193:
	s_or_b64 exec, exec, s[4:5]
	s_waitcnt lgkmcnt(0)
	; wave barrier
	s_waitcnt lgkmcnt(0)
	buffer_load_dword v76, off, s[0:3], 0 offset:144
	buffer_load_dword v77, off, s[0:3], 0 offset:148
	;; [unrolled: 1-line block ×16, first 2 shown]
	ds_read2_b64 v[82:85], v80 offset0:57 offset1:58
	v_cmp_lt_u32_e32 vcc, 17, v0
	s_waitcnt vmcnt(12) lgkmcnt(0)
	v_fma_f64 v[78:79], v[78:79], v[82:83], 0
	s_waitcnt vmcnt(10)
	v_fmac_f64_e32 v[78:79], v[86:87], v[84:85]
	ds_read2_b64 v[82:85], v80 offset0:59 offset1:60
	s_waitcnt vmcnt(8) lgkmcnt(0)
	v_fmac_f64_e32 v[78:79], v[88:89], v[82:83]
	s_waitcnt vmcnt(6)
	v_fmac_f64_e32 v[78:79], v[90:91], v[84:85]
	ds_read2_b64 v[82:85], v80 offset0:61 offset1:62
	s_waitcnt vmcnt(4) lgkmcnt(0)
	v_fmac_f64_e32 v[78:79], v[92:93], v[82:83]
	;; [unrolled: 5-line block ×3, first 2 shown]
	buffer_load_dword v83, off, s[0:3], 0 offset:212
	buffer_load_dword v82, off, s[0:3], 0 offset:208
	buffer_load_dword v87, off, s[0:3], 0 offset:220
	buffer_load_dword v86, off, s[0:3], 0 offset:216
	s_waitcnt vmcnt(2)
	v_fmac_f64_e32 v[78:79], v[82:83], v[84:85]
	ds_read2_b64 v[82:85], v80 offset0:65 offset1:66
	s_waitcnt vmcnt(0) lgkmcnt(0)
	v_fmac_f64_e32 v[78:79], v[86:87], v[82:83]
	buffer_load_dword v83, off, s[0:3], 0 offset:228
	buffer_load_dword v82, off, s[0:3], 0 offset:224
	buffer_load_dword v87, off, s[0:3], 0 offset:236
	buffer_load_dword v86, off, s[0:3], 0 offset:232
	s_waitcnt vmcnt(2)
	v_fmac_f64_e32 v[78:79], v[82:83], v[84:85]
	ds_read2_b64 v[82:85], v80 offset0:67 offset1:68
	s_waitcnt vmcnt(0) lgkmcnt(0)
	v_fmac_f64_e32 v[78:79], v[86:87], v[82:83]
	;; [unrolled: 9-line block ×4, first 2 shown]
	buffer_load_dword v83, off, s[0:3], 0 offset:276
	buffer_load_dword v82, off, s[0:3], 0 offset:272
	s_waitcnt vmcnt(0)
	v_fmac_f64_e32 v[78:79], v[82:83], v[84:85]
	buffer_load_dword v85, off, s[0:3], 0 offset:284
	buffer_load_dword v84, off, s[0:3], 0 offset:280
	ds_read2_b64 v[80:83], v80 offset0:73 offset1:74
	s_waitcnt vmcnt(0) lgkmcnt(0)
	v_fmac_f64_e32 v[78:79], v[84:85], v[80:81]
	buffer_load_dword v81, off, s[0:3], 0 offset:292
	buffer_load_dword v80, off, s[0:3], 0 offset:288
	s_waitcnt vmcnt(0)
	v_fmac_f64_e32 v[78:79], v[80:81], v[82:83]
	v_add_f64 v[76:77], v[76:77], -v[78:79]
	buffer_store_dword v77, off, s[0:3], 0 offset:148
	buffer_store_dword v76, off, s[0:3], 0 offset:144
	s_and_saveexec_b64 s[4:5], vcc
	s_cbranch_execz .LBB100_195
; %bb.194:
	buffer_load_dword v76, off, s[0:3], 0 offset:136
	buffer_load_dword v77, off, s[0:3], 0 offset:140
	v_mov_b32_e32 v78, 0
	buffer_store_dword v78, off, s[0:3], 0 offset:136
	buffer_store_dword v78, off, s[0:3], 0 offset:140
	s_waitcnt vmcnt(2)
	ds_write_b64 v1, v[76:77]
.LBB100_195:
	s_or_b64 exec, exec, s[4:5]
	s_waitcnt lgkmcnt(0)
	; wave barrier
	s_waitcnt lgkmcnt(0)
	buffer_load_dword v76, off, s[0:3], 0 offset:136
	buffer_load_dword v77, off, s[0:3], 0 offset:140
	;; [unrolled: 1-line block ×16, first 2 shown]
	v_mov_b32_e32 v80, 0
	ds_read_b128 v[82:85], v80 offset:448
	ds_read_b128 v[86:89], v80 offset:464
	;; [unrolled: 1-line block ×4, first 2 shown]
	v_cmp_lt_u32_e32 vcc, 16, v0
	s_waitcnt vmcnt(12) lgkmcnt(3)
	v_fma_f64 v[78:79], v[78:79], v[82:83], 0
	buffer_load_dword v83, off, s[0:3], 0 offset:204
	buffer_load_dword v82, off, s[0:3], 0 offset:200
	s_waitcnt vmcnt(12)
	v_fmac_f64_e32 v[78:79], v[98:99], v[84:85]
	s_waitcnt vmcnt(10) lgkmcnt(2)
	v_fmac_f64_e32 v[78:79], v[100:101], v[86:87]
	buffer_load_dword v87, off, s[0:3], 0 offset:212
	buffer_load_dword v86, off, s[0:3], 0 offset:208
	s_waitcnt vmcnt(10)
	v_fmac_f64_e32 v[78:79], v[102:103], v[88:89]
	s_waitcnt vmcnt(8) lgkmcnt(1)
	v_fmac_f64_e32 v[78:79], v[104:105], v[90:91]
	s_waitcnt vmcnt(6)
	v_fmac_f64_e32 v[78:79], v[106:107], v[92:93]
	s_waitcnt vmcnt(4) lgkmcnt(0)
	v_fmac_f64_e32 v[78:79], v[108:109], v[94:95]
	s_waitcnt vmcnt(2)
	v_fmac_f64_e32 v[78:79], v[82:83], v[96:97]
	ds_read_b128 v[82:85], v80 offset:512
	s_waitcnt vmcnt(0) lgkmcnt(0)
	v_fmac_f64_e32 v[78:79], v[86:87], v[82:83]
	buffer_load_dword v83, off, s[0:3], 0 offset:220
	buffer_load_dword v82, off, s[0:3], 0 offset:216
	buffer_load_dword v87, off, s[0:3], 0 offset:228
	buffer_load_dword v86, off, s[0:3], 0 offset:224
	s_waitcnt vmcnt(2)
	v_fmac_f64_e32 v[78:79], v[82:83], v[84:85]
	ds_read_b128 v[82:85], v80 offset:528
	s_waitcnt vmcnt(0) lgkmcnt(0)
	v_fmac_f64_e32 v[78:79], v[86:87], v[82:83]
	buffer_load_dword v83, off, s[0:3], 0 offset:236
	buffer_load_dword v82, off, s[0:3], 0 offset:232
	buffer_load_dword v87, off, s[0:3], 0 offset:244
	buffer_load_dword v86, off, s[0:3], 0 offset:240
	;; [unrolled: 9-line block ×4, first 2 shown]
	s_waitcnt vmcnt(2)
	v_fmac_f64_e32 v[78:79], v[82:83], v[84:85]
	ds_read_b128 v[82:85], v80 offset:576
	s_waitcnt vmcnt(0) lgkmcnt(0)
	v_fmac_f64_e32 v[78:79], v[86:87], v[82:83]
	buffer_load_dword v83, off, s[0:3], 0 offset:284
	buffer_load_dword v82, off, s[0:3], 0 offset:280
	s_waitcnt vmcnt(0)
	v_fmac_f64_e32 v[78:79], v[82:83], v[84:85]
	buffer_load_dword v83, off, s[0:3], 0 offset:292
	buffer_load_dword v82, off, s[0:3], 0 offset:288
	ds_read_b64 v[84:85], v80 offset:592
	s_waitcnt vmcnt(0) lgkmcnt(0)
	v_fmac_f64_e32 v[78:79], v[82:83], v[84:85]
	v_add_f64 v[76:77], v[76:77], -v[78:79]
	buffer_store_dword v77, off, s[0:3], 0 offset:140
	buffer_store_dword v76, off, s[0:3], 0 offset:136
	s_and_saveexec_b64 s[4:5], vcc
	s_cbranch_execz .LBB100_197
; %bb.196:
	buffer_load_dword v76, off, s[0:3], 0 offset:128
	buffer_load_dword v77, off, s[0:3], 0 offset:132
	s_waitcnt vmcnt(0)
	ds_write_b64 v1, v[76:77]
	buffer_store_dword v80, off, s[0:3], 0 offset:128
	buffer_store_dword v80, off, s[0:3], 0 offset:132
.LBB100_197:
	s_or_b64 exec, exec, s[4:5]
	s_waitcnt lgkmcnt(0)
	; wave barrier
	s_waitcnt lgkmcnt(0)
	buffer_load_dword v76, off, s[0:3], 0 offset:128
	buffer_load_dword v77, off, s[0:3], 0 offset:132
	;; [unrolled: 1-line block ×16, first 2 shown]
	ds_read2_b64 v[82:85], v80 offset0:55 offset1:56
	v_cmp_lt_u32_e32 vcc, 15, v0
	s_waitcnt vmcnt(12) lgkmcnt(0)
	v_fma_f64 v[78:79], v[78:79], v[82:83], 0
	s_waitcnt vmcnt(10)
	v_fmac_f64_e32 v[78:79], v[86:87], v[84:85]
	ds_read2_b64 v[82:85], v80 offset0:57 offset1:58
	s_waitcnt vmcnt(8) lgkmcnt(0)
	v_fmac_f64_e32 v[78:79], v[88:89], v[82:83]
	s_waitcnt vmcnt(6)
	v_fmac_f64_e32 v[78:79], v[90:91], v[84:85]
	ds_read2_b64 v[82:85], v80 offset0:59 offset1:60
	s_waitcnt vmcnt(4) lgkmcnt(0)
	v_fmac_f64_e32 v[78:79], v[92:93], v[82:83]
	;; [unrolled: 5-line block ×3, first 2 shown]
	buffer_load_dword v83, off, s[0:3], 0 offset:196
	buffer_load_dword v82, off, s[0:3], 0 offset:192
	buffer_load_dword v87, off, s[0:3], 0 offset:204
	buffer_load_dword v86, off, s[0:3], 0 offset:200
	s_waitcnt vmcnt(2)
	v_fmac_f64_e32 v[78:79], v[82:83], v[84:85]
	ds_read2_b64 v[82:85], v80 offset0:63 offset1:64
	s_waitcnt vmcnt(0) lgkmcnt(0)
	v_fmac_f64_e32 v[78:79], v[86:87], v[82:83]
	buffer_load_dword v83, off, s[0:3], 0 offset:212
	buffer_load_dword v82, off, s[0:3], 0 offset:208
	buffer_load_dword v87, off, s[0:3], 0 offset:220
	buffer_load_dword v86, off, s[0:3], 0 offset:216
	s_waitcnt vmcnt(2)
	v_fmac_f64_e32 v[78:79], v[82:83], v[84:85]
	ds_read2_b64 v[82:85], v80 offset0:65 offset1:66
	s_waitcnt vmcnt(0) lgkmcnt(0)
	v_fmac_f64_e32 v[78:79], v[86:87], v[82:83]
	;; [unrolled: 9-line block ×5, first 2 shown]
	buffer_load_dword v83, off, s[0:3], 0 offset:276
	buffer_load_dword v82, off, s[0:3], 0 offset:272
	s_waitcnt vmcnt(0)
	v_fmac_f64_e32 v[78:79], v[82:83], v[84:85]
	buffer_load_dword v85, off, s[0:3], 0 offset:284
	buffer_load_dword v84, off, s[0:3], 0 offset:280
	ds_read2_b64 v[80:83], v80 offset0:73 offset1:74
	s_waitcnt vmcnt(0) lgkmcnt(0)
	v_fmac_f64_e32 v[78:79], v[84:85], v[80:81]
	buffer_load_dword v81, off, s[0:3], 0 offset:292
	buffer_load_dword v80, off, s[0:3], 0 offset:288
	s_waitcnt vmcnt(0)
	v_fmac_f64_e32 v[78:79], v[80:81], v[82:83]
	v_add_f64 v[76:77], v[76:77], -v[78:79]
	buffer_store_dword v77, off, s[0:3], 0 offset:132
	buffer_store_dword v76, off, s[0:3], 0 offset:128
	s_and_saveexec_b64 s[4:5], vcc
	s_cbranch_execz .LBB100_199
; %bb.198:
	buffer_load_dword v76, off, s[0:3], 0 offset:120
	buffer_load_dword v77, off, s[0:3], 0 offset:124
	v_mov_b32_e32 v78, 0
	buffer_store_dword v78, off, s[0:3], 0 offset:120
	buffer_store_dword v78, off, s[0:3], 0 offset:124
	s_waitcnt vmcnt(2)
	ds_write_b64 v1, v[76:77]
.LBB100_199:
	s_or_b64 exec, exec, s[4:5]
	s_waitcnt lgkmcnt(0)
	; wave barrier
	s_waitcnt lgkmcnt(0)
	buffer_load_dword v76, off, s[0:3], 0 offset:120
	buffer_load_dword v77, off, s[0:3], 0 offset:124
	;; [unrolled: 1-line block ×16, first 2 shown]
	v_mov_b32_e32 v80, 0
	ds_read_b128 v[82:85], v80 offset:432
	ds_read_b128 v[86:89], v80 offset:448
	;; [unrolled: 1-line block ×4, first 2 shown]
	v_cmp_lt_u32_e32 vcc, 14, v0
	s_waitcnt vmcnt(12) lgkmcnt(3)
	v_fma_f64 v[78:79], v[78:79], v[82:83], 0
	buffer_load_dword v83, off, s[0:3], 0 offset:188
	buffer_load_dword v82, off, s[0:3], 0 offset:184
	s_waitcnt vmcnt(12)
	v_fmac_f64_e32 v[78:79], v[98:99], v[84:85]
	s_waitcnt vmcnt(10) lgkmcnt(2)
	v_fmac_f64_e32 v[78:79], v[100:101], v[86:87]
	buffer_load_dword v87, off, s[0:3], 0 offset:196
	buffer_load_dword v86, off, s[0:3], 0 offset:192
	s_waitcnt vmcnt(10)
	v_fmac_f64_e32 v[78:79], v[102:103], v[88:89]
	s_waitcnt vmcnt(8) lgkmcnt(1)
	v_fmac_f64_e32 v[78:79], v[104:105], v[90:91]
	s_waitcnt vmcnt(6)
	v_fmac_f64_e32 v[78:79], v[106:107], v[92:93]
	s_waitcnt vmcnt(4) lgkmcnt(0)
	v_fmac_f64_e32 v[78:79], v[108:109], v[94:95]
	s_waitcnt vmcnt(2)
	v_fmac_f64_e32 v[78:79], v[82:83], v[96:97]
	ds_read_b128 v[82:85], v80 offset:496
	s_waitcnt vmcnt(0) lgkmcnt(0)
	v_fmac_f64_e32 v[78:79], v[86:87], v[82:83]
	buffer_load_dword v83, off, s[0:3], 0 offset:204
	buffer_load_dword v82, off, s[0:3], 0 offset:200
	buffer_load_dword v87, off, s[0:3], 0 offset:212
	buffer_load_dword v86, off, s[0:3], 0 offset:208
	s_waitcnt vmcnt(2)
	v_fmac_f64_e32 v[78:79], v[82:83], v[84:85]
	ds_read_b128 v[82:85], v80 offset:512
	s_waitcnt vmcnt(0) lgkmcnt(0)
	v_fmac_f64_e32 v[78:79], v[86:87], v[82:83]
	buffer_load_dword v83, off, s[0:3], 0 offset:220
	buffer_load_dword v82, off, s[0:3], 0 offset:216
	buffer_load_dword v87, off, s[0:3], 0 offset:228
	buffer_load_dword v86, off, s[0:3], 0 offset:224
	;; [unrolled: 9-line block ×5, first 2 shown]
	s_waitcnt vmcnt(2)
	v_fmac_f64_e32 v[78:79], v[82:83], v[84:85]
	ds_read_b128 v[82:85], v80 offset:576
	s_waitcnt vmcnt(0) lgkmcnt(0)
	v_fmac_f64_e32 v[78:79], v[86:87], v[82:83]
	buffer_load_dword v83, off, s[0:3], 0 offset:284
	buffer_load_dword v82, off, s[0:3], 0 offset:280
	s_waitcnt vmcnt(0)
	v_fmac_f64_e32 v[78:79], v[82:83], v[84:85]
	buffer_load_dword v83, off, s[0:3], 0 offset:292
	buffer_load_dword v82, off, s[0:3], 0 offset:288
	ds_read_b64 v[84:85], v80 offset:592
	s_waitcnt vmcnt(0) lgkmcnt(0)
	v_fmac_f64_e32 v[78:79], v[82:83], v[84:85]
	v_add_f64 v[76:77], v[76:77], -v[78:79]
	buffer_store_dword v77, off, s[0:3], 0 offset:124
	buffer_store_dword v76, off, s[0:3], 0 offset:120
	s_and_saveexec_b64 s[4:5], vcc
	s_cbranch_execz .LBB100_201
; %bb.200:
	buffer_load_dword v76, off, s[0:3], 0 offset:112
	buffer_load_dword v77, off, s[0:3], 0 offset:116
	s_waitcnt vmcnt(0)
	ds_write_b64 v1, v[76:77]
	buffer_store_dword v80, off, s[0:3], 0 offset:112
	buffer_store_dword v80, off, s[0:3], 0 offset:116
.LBB100_201:
	s_or_b64 exec, exec, s[4:5]
	s_waitcnt lgkmcnt(0)
	; wave barrier
	s_waitcnt lgkmcnt(0)
	buffer_load_dword v76, off, s[0:3], 0 offset:112
	buffer_load_dword v77, off, s[0:3], 0 offset:116
	;; [unrolled: 1-line block ×16, first 2 shown]
	ds_read2_b64 v[82:85], v80 offset0:53 offset1:54
	v_cmp_lt_u32_e32 vcc, 13, v0
	s_waitcnt vmcnt(12) lgkmcnt(0)
	v_fma_f64 v[78:79], v[78:79], v[82:83], 0
	s_waitcnt vmcnt(10)
	v_fmac_f64_e32 v[78:79], v[86:87], v[84:85]
	ds_read2_b64 v[82:85], v80 offset0:55 offset1:56
	s_waitcnt vmcnt(8) lgkmcnt(0)
	v_fmac_f64_e32 v[78:79], v[88:89], v[82:83]
	s_waitcnt vmcnt(6)
	v_fmac_f64_e32 v[78:79], v[90:91], v[84:85]
	ds_read2_b64 v[82:85], v80 offset0:57 offset1:58
	s_waitcnt vmcnt(4) lgkmcnt(0)
	v_fmac_f64_e32 v[78:79], v[92:93], v[82:83]
	;; [unrolled: 5-line block ×3, first 2 shown]
	buffer_load_dword v83, off, s[0:3], 0 offset:180
	buffer_load_dword v82, off, s[0:3], 0 offset:176
	buffer_load_dword v87, off, s[0:3], 0 offset:188
	buffer_load_dword v86, off, s[0:3], 0 offset:184
	s_waitcnt vmcnt(2)
	v_fmac_f64_e32 v[78:79], v[82:83], v[84:85]
	ds_read2_b64 v[82:85], v80 offset0:61 offset1:62
	s_waitcnt vmcnt(0) lgkmcnt(0)
	v_fmac_f64_e32 v[78:79], v[86:87], v[82:83]
	buffer_load_dword v83, off, s[0:3], 0 offset:196
	buffer_load_dword v82, off, s[0:3], 0 offset:192
	buffer_load_dword v87, off, s[0:3], 0 offset:204
	buffer_load_dword v86, off, s[0:3], 0 offset:200
	s_waitcnt vmcnt(2)
	v_fmac_f64_e32 v[78:79], v[82:83], v[84:85]
	ds_read2_b64 v[82:85], v80 offset0:63 offset1:64
	s_waitcnt vmcnt(0) lgkmcnt(0)
	v_fmac_f64_e32 v[78:79], v[86:87], v[82:83]
	;; [unrolled: 9-line block ×6, first 2 shown]
	buffer_load_dword v83, off, s[0:3], 0 offset:276
	buffer_load_dword v82, off, s[0:3], 0 offset:272
	s_waitcnt vmcnt(0)
	v_fmac_f64_e32 v[78:79], v[82:83], v[84:85]
	buffer_load_dword v85, off, s[0:3], 0 offset:284
	buffer_load_dword v84, off, s[0:3], 0 offset:280
	ds_read2_b64 v[80:83], v80 offset0:73 offset1:74
	s_waitcnt vmcnt(0) lgkmcnt(0)
	v_fmac_f64_e32 v[78:79], v[84:85], v[80:81]
	buffer_load_dword v81, off, s[0:3], 0 offset:292
	buffer_load_dword v80, off, s[0:3], 0 offset:288
	s_waitcnt vmcnt(0)
	v_fmac_f64_e32 v[78:79], v[80:81], v[82:83]
	v_add_f64 v[76:77], v[76:77], -v[78:79]
	buffer_store_dword v77, off, s[0:3], 0 offset:116
	buffer_store_dword v76, off, s[0:3], 0 offset:112
	s_and_saveexec_b64 s[4:5], vcc
	s_cbranch_execz .LBB100_203
; %bb.202:
	buffer_load_dword v76, off, s[0:3], 0 offset:104
	buffer_load_dword v77, off, s[0:3], 0 offset:108
	v_mov_b32_e32 v78, 0
	buffer_store_dword v78, off, s[0:3], 0 offset:104
	buffer_store_dword v78, off, s[0:3], 0 offset:108
	s_waitcnt vmcnt(2)
	ds_write_b64 v1, v[76:77]
.LBB100_203:
	s_or_b64 exec, exec, s[4:5]
	s_waitcnt lgkmcnt(0)
	; wave barrier
	s_waitcnt lgkmcnt(0)
	buffer_load_dword v76, off, s[0:3], 0 offset:104
	buffer_load_dword v77, off, s[0:3], 0 offset:108
	;; [unrolled: 1-line block ×16, first 2 shown]
	v_mov_b32_e32 v80, 0
	ds_read_b128 v[82:85], v80 offset:416
	ds_read_b128 v[86:89], v80 offset:432
	;; [unrolled: 1-line block ×4, first 2 shown]
	v_cmp_lt_u32_e32 vcc, 12, v0
	s_waitcnt vmcnt(12) lgkmcnt(3)
	v_fma_f64 v[78:79], v[78:79], v[82:83], 0
	buffer_load_dword v83, off, s[0:3], 0 offset:172
	buffer_load_dword v82, off, s[0:3], 0 offset:168
	s_waitcnt vmcnt(12)
	v_fmac_f64_e32 v[78:79], v[98:99], v[84:85]
	s_waitcnt vmcnt(10) lgkmcnt(2)
	v_fmac_f64_e32 v[78:79], v[100:101], v[86:87]
	buffer_load_dword v87, off, s[0:3], 0 offset:180
	buffer_load_dword v86, off, s[0:3], 0 offset:176
	s_waitcnt vmcnt(10)
	v_fmac_f64_e32 v[78:79], v[102:103], v[88:89]
	s_waitcnt vmcnt(8) lgkmcnt(1)
	v_fmac_f64_e32 v[78:79], v[104:105], v[90:91]
	s_waitcnt vmcnt(6)
	v_fmac_f64_e32 v[78:79], v[106:107], v[92:93]
	s_waitcnt vmcnt(4) lgkmcnt(0)
	v_fmac_f64_e32 v[78:79], v[108:109], v[94:95]
	s_waitcnt vmcnt(2)
	v_fmac_f64_e32 v[78:79], v[82:83], v[96:97]
	ds_read_b128 v[82:85], v80 offset:480
	s_waitcnt vmcnt(0) lgkmcnt(0)
	v_fmac_f64_e32 v[78:79], v[86:87], v[82:83]
	buffer_load_dword v83, off, s[0:3], 0 offset:188
	buffer_load_dword v82, off, s[0:3], 0 offset:184
	buffer_load_dword v87, off, s[0:3], 0 offset:196
	buffer_load_dword v86, off, s[0:3], 0 offset:192
	s_waitcnt vmcnt(2)
	v_fmac_f64_e32 v[78:79], v[82:83], v[84:85]
	ds_read_b128 v[82:85], v80 offset:496
	s_waitcnt vmcnt(0) lgkmcnt(0)
	v_fmac_f64_e32 v[78:79], v[86:87], v[82:83]
	buffer_load_dword v83, off, s[0:3], 0 offset:204
	buffer_load_dword v82, off, s[0:3], 0 offset:200
	buffer_load_dword v87, off, s[0:3], 0 offset:212
	buffer_load_dword v86, off, s[0:3], 0 offset:208
	s_waitcnt vmcnt(2)
	v_fmac_f64_e32 v[78:79], v[82:83], v[84:85]
	ds_read_b128 v[82:85], v80 offset:512
	s_waitcnt vmcnt(0) lgkmcnt(0)
	v_fmac_f64_e32 v[78:79], v[86:87], v[82:83]
	buffer_load_dword v83, off, s[0:3], 0 offset:220
	buffer_load_dword v82, off, s[0:3], 0 offset:216
	buffer_load_dword v87, off, s[0:3], 0 offset:228
	buffer_load_dword v86, off, s[0:3], 0 offset:224
	s_waitcnt vmcnt(2)
	v_fmac_f64_e32 v[78:79], v[82:83], v[84:85]
	ds_read_b128 v[82:85], v80 offset:528
	s_waitcnt vmcnt(0) lgkmcnt(0)
	v_fmac_f64_e32 v[78:79], v[86:87], v[82:83]
	buffer_load_dword v83, off, s[0:3], 0 offset:236
	buffer_load_dword v82, off, s[0:3], 0 offset:232
	buffer_load_dword v87, off, s[0:3], 0 offset:244
	buffer_load_dword v86, off, s[0:3], 0 offset:240
	s_waitcnt vmcnt(2)
	v_fmac_f64_e32 v[78:79], v[82:83], v[84:85]
	ds_read_b128 v[82:85], v80 offset:544
	s_waitcnt vmcnt(0) lgkmcnt(0)
	v_fmac_f64_e32 v[78:79], v[86:87], v[82:83]
	buffer_load_dword v83, off, s[0:3], 0 offset:252
	buffer_load_dword v82, off, s[0:3], 0 offset:248
	buffer_load_dword v87, off, s[0:3], 0 offset:260
	buffer_load_dword v86, off, s[0:3], 0 offset:256
	s_waitcnt vmcnt(2)
	v_fmac_f64_e32 v[78:79], v[82:83], v[84:85]
	ds_read_b128 v[82:85], v80 offset:560
	s_waitcnt vmcnt(0) lgkmcnt(0)
	v_fmac_f64_e32 v[78:79], v[86:87], v[82:83]
	buffer_load_dword v83, off, s[0:3], 0 offset:268
	buffer_load_dword v82, off, s[0:3], 0 offset:264
	buffer_load_dword v87, off, s[0:3], 0 offset:276
	buffer_load_dword v86, off, s[0:3], 0 offset:272
	s_waitcnt vmcnt(2)
	v_fmac_f64_e32 v[78:79], v[82:83], v[84:85]
	ds_read_b128 v[82:85], v80 offset:576
	s_waitcnt vmcnt(0) lgkmcnt(0)
	v_fmac_f64_e32 v[78:79], v[86:87], v[82:83]
	buffer_load_dword v83, off, s[0:3], 0 offset:284
	buffer_load_dword v82, off, s[0:3], 0 offset:280
	s_waitcnt vmcnt(0)
	v_fmac_f64_e32 v[78:79], v[82:83], v[84:85]
	buffer_load_dword v83, off, s[0:3], 0 offset:292
	buffer_load_dword v82, off, s[0:3], 0 offset:288
	ds_read_b64 v[84:85], v80 offset:592
	s_waitcnt vmcnt(0) lgkmcnt(0)
	v_fmac_f64_e32 v[78:79], v[82:83], v[84:85]
	v_add_f64 v[76:77], v[76:77], -v[78:79]
	buffer_store_dword v77, off, s[0:3], 0 offset:108
	buffer_store_dword v76, off, s[0:3], 0 offset:104
	s_and_saveexec_b64 s[4:5], vcc
	s_cbranch_execz .LBB100_205
; %bb.204:
	buffer_load_dword v76, off, s[0:3], 0 offset:96
	buffer_load_dword v77, off, s[0:3], 0 offset:100
	s_waitcnt vmcnt(0)
	ds_write_b64 v1, v[76:77]
	buffer_store_dword v80, off, s[0:3], 0 offset:96
	buffer_store_dword v80, off, s[0:3], 0 offset:100
.LBB100_205:
	s_or_b64 exec, exec, s[4:5]
	s_waitcnt lgkmcnt(0)
	; wave barrier
	s_waitcnt lgkmcnt(0)
	buffer_load_dword v76, off, s[0:3], 0 offset:96
	buffer_load_dword v77, off, s[0:3], 0 offset:100
	;; [unrolled: 1-line block ×16, first 2 shown]
	ds_read2_b64 v[82:85], v80 offset0:51 offset1:52
	v_cmp_lt_u32_e32 vcc, 11, v0
	s_waitcnt vmcnt(12) lgkmcnt(0)
	v_fma_f64 v[78:79], v[78:79], v[82:83], 0
	s_waitcnt vmcnt(10)
	v_fmac_f64_e32 v[78:79], v[86:87], v[84:85]
	ds_read2_b64 v[82:85], v80 offset0:53 offset1:54
	s_waitcnt vmcnt(8) lgkmcnt(0)
	v_fmac_f64_e32 v[78:79], v[88:89], v[82:83]
	s_waitcnt vmcnt(6)
	v_fmac_f64_e32 v[78:79], v[90:91], v[84:85]
	ds_read2_b64 v[82:85], v80 offset0:55 offset1:56
	s_waitcnt vmcnt(4) lgkmcnt(0)
	v_fmac_f64_e32 v[78:79], v[92:93], v[82:83]
	;; [unrolled: 5-line block ×3, first 2 shown]
	buffer_load_dword v83, off, s[0:3], 0 offset:164
	buffer_load_dword v82, off, s[0:3], 0 offset:160
	buffer_load_dword v87, off, s[0:3], 0 offset:172
	buffer_load_dword v86, off, s[0:3], 0 offset:168
	s_waitcnt vmcnt(2)
	v_fmac_f64_e32 v[78:79], v[82:83], v[84:85]
	ds_read2_b64 v[82:85], v80 offset0:59 offset1:60
	s_waitcnt vmcnt(0) lgkmcnt(0)
	v_fmac_f64_e32 v[78:79], v[86:87], v[82:83]
	buffer_load_dword v83, off, s[0:3], 0 offset:180
	buffer_load_dword v82, off, s[0:3], 0 offset:176
	buffer_load_dword v87, off, s[0:3], 0 offset:188
	buffer_load_dword v86, off, s[0:3], 0 offset:184
	s_waitcnt vmcnt(2)
	v_fmac_f64_e32 v[78:79], v[82:83], v[84:85]
	ds_read2_b64 v[82:85], v80 offset0:61 offset1:62
	s_waitcnt vmcnt(0) lgkmcnt(0)
	v_fmac_f64_e32 v[78:79], v[86:87], v[82:83]
	;; [unrolled: 9-line block ×7, first 2 shown]
	buffer_load_dword v83, off, s[0:3], 0 offset:276
	buffer_load_dword v82, off, s[0:3], 0 offset:272
	s_waitcnt vmcnt(0)
	v_fmac_f64_e32 v[78:79], v[82:83], v[84:85]
	buffer_load_dword v85, off, s[0:3], 0 offset:284
	buffer_load_dword v84, off, s[0:3], 0 offset:280
	ds_read2_b64 v[80:83], v80 offset0:73 offset1:74
	s_waitcnt vmcnt(0) lgkmcnt(0)
	v_fmac_f64_e32 v[78:79], v[84:85], v[80:81]
	buffer_load_dword v81, off, s[0:3], 0 offset:292
	buffer_load_dword v80, off, s[0:3], 0 offset:288
	s_waitcnt vmcnt(0)
	v_fmac_f64_e32 v[78:79], v[80:81], v[82:83]
	v_add_f64 v[76:77], v[76:77], -v[78:79]
	buffer_store_dword v77, off, s[0:3], 0 offset:100
	buffer_store_dword v76, off, s[0:3], 0 offset:96
	s_and_saveexec_b64 s[4:5], vcc
	s_cbranch_execz .LBB100_207
; %bb.206:
	buffer_load_dword v76, off, s[0:3], 0 offset:88
	buffer_load_dword v77, off, s[0:3], 0 offset:92
	v_mov_b32_e32 v78, 0
	buffer_store_dword v78, off, s[0:3], 0 offset:88
	buffer_store_dword v78, off, s[0:3], 0 offset:92
	s_waitcnt vmcnt(2)
	ds_write_b64 v1, v[76:77]
.LBB100_207:
	s_or_b64 exec, exec, s[4:5]
	s_waitcnt lgkmcnt(0)
	; wave barrier
	s_waitcnt lgkmcnt(0)
	buffer_load_dword v76, off, s[0:3], 0 offset:88
	buffer_load_dword v77, off, s[0:3], 0 offset:92
	;; [unrolled: 1-line block ×16, first 2 shown]
	v_mov_b32_e32 v80, 0
	ds_read_b128 v[82:85], v80 offset:400
	ds_read_b128 v[86:89], v80 offset:416
	;; [unrolled: 1-line block ×4, first 2 shown]
	v_cmp_lt_u32_e32 vcc, 10, v0
	s_waitcnt vmcnt(12) lgkmcnt(3)
	v_fma_f64 v[78:79], v[78:79], v[82:83], 0
	buffer_load_dword v83, off, s[0:3], 0 offset:156
	buffer_load_dword v82, off, s[0:3], 0 offset:152
	s_waitcnt vmcnt(12)
	v_fmac_f64_e32 v[78:79], v[98:99], v[84:85]
	s_waitcnt vmcnt(10) lgkmcnt(2)
	v_fmac_f64_e32 v[78:79], v[100:101], v[86:87]
	buffer_load_dword v87, off, s[0:3], 0 offset:164
	buffer_load_dword v86, off, s[0:3], 0 offset:160
	s_waitcnt vmcnt(10)
	v_fmac_f64_e32 v[78:79], v[102:103], v[88:89]
	s_waitcnt vmcnt(8) lgkmcnt(1)
	v_fmac_f64_e32 v[78:79], v[104:105], v[90:91]
	s_waitcnt vmcnt(6)
	v_fmac_f64_e32 v[78:79], v[106:107], v[92:93]
	s_waitcnt vmcnt(4) lgkmcnt(0)
	v_fmac_f64_e32 v[78:79], v[108:109], v[94:95]
	s_waitcnt vmcnt(2)
	v_fmac_f64_e32 v[78:79], v[82:83], v[96:97]
	ds_read_b128 v[82:85], v80 offset:464
	s_waitcnt vmcnt(0) lgkmcnt(0)
	v_fmac_f64_e32 v[78:79], v[86:87], v[82:83]
	buffer_load_dword v83, off, s[0:3], 0 offset:172
	buffer_load_dword v82, off, s[0:3], 0 offset:168
	buffer_load_dword v87, off, s[0:3], 0 offset:180
	buffer_load_dword v86, off, s[0:3], 0 offset:176
	s_waitcnt vmcnt(2)
	v_fmac_f64_e32 v[78:79], v[82:83], v[84:85]
	ds_read_b128 v[82:85], v80 offset:480
	s_waitcnt vmcnt(0) lgkmcnt(0)
	v_fmac_f64_e32 v[78:79], v[86:87], v[82:83]
	buffer_load_dword v83, off, s[0:3], 0 offset:188
	buffer_load_dword v82, off, s[0:3], 0 offset:184
	buffer_load_dword v87, off, s[0:3], 0 offset:196
	buffer_load_dword v86, off, s[0:3], 0 offset:192
	;; [unrolled: 9-line block ×7, first 2 shown]
	s_waitcnt vmcnt(2)
	v_fmac_f64_e32 v[78:79], v[82:83], v[84:85]
	ds_read_b128 v[82:85], v80 offset:576
	s_waitcnt vmcnt(0) lgkmcnt(0)
	v_fmac_f64_e32 v[78:79], v[86:87], v[82:83]
	buffer_load_dword v83, off, s[0:3], 0 offset:284
	buffer_load_dword v82, off, s[0:3], 0 offset:280
	s_waitcnt vmcnt(0)
	v_fmac_f64_e32 v[78:79], v[82:83], v[84:85]
	buffer_load_dword v83, off, s[0:3], 0 offset:292
	buffer_load_dword v82, off, s[0:3], 0 offset:288
	ds_read_b64 v[84:85], v80 offset:592
	s_waitcnt vmcnt(0) lgkmcnt(0)
	v_fmac_f64_e32 v[78:79], v[82:83], v[84:85]
	v_add_f64 v[76:77], v[76:77], -v[78:79]
	buffer_store_dword v77, off, s[0:3], 0 offset:92
	buffer_store_dword v76, off, s[0:3], 0 offset:88
	s_and_saveexec_b64 s[4:5], vcc
	s_cbranch_execz .LBB100_209
; %bb.208:
	buffer_load_dword v76, off, s[0:3], 0 offset:80
	buffer_load_dword v77, off, s[0:3], 0 offset:84
	s_waitcnt vmcnt(0)
	ds_write_b64 v1, v[76:77]
	buffer_store_dword v80, off, s[0:3], 0 offset:80
	buffer_store_dword v80, off, s[0:3], 0 offset:84
.LBB100_209:
	s_or_b64 exec, exec, s[4:5]
	s_waitcnt lgkmcnt(0)
	; wave barrier
	s_waitcnt lgkmcnt(0)
	buffer_load_dword v76, off, s[0:3], 0 offset:80
	buffer_load_dword v77, off, s[0:3], 0 offset:84
	;; [unrolled: 1-line block ×16, first 2 shown]
	ds_read2_b64 v[82:85], v80 offset0:49 offset1:50
	v_cmp_lt_u32_e32 vcc, 9, v0
	s_waitcnt vmcnt(12) lgkmcnt(0)
	v_fma_f64 v[78:79], v[78:79], v[82:83], 0
	s_waitcnt vmcnt(10)
	v_fmac_f64_e32 v[78:79], v[86:87], v[84:85]
	ds_read2_b64 v[82:85], v80 offset0:51 offset1:52
	s_waitcnt vmcnt(8) lgkmcnt(0)
	v_fmac_f64_e32 v[78:79], v[88:89], v[82:83]
	s_waitcnt vmcnt(6)
	v_fmac_f64_e32 v[78:79], v[90:91], v[84:85]
	ds_read2_b64 v[82:85], v80 offset0:53 offset1:54
	s_waitcnt vmcnt(4) lgkmcnt(0)
	v_fmac_f64_e32 v[78:79], v[92:93], v[82:83]
	s_waitcnt vmcnt(2)
	v_fmac_f64_e32 v[78:79], v[94:95], v[84:85]
	ds_read2_b64 v[82:85], v80 offset0:55 offset1:56
	s_waitcnt vmcnt(0) lgkmcnt(0)
	v_fmac_f64_e32 v[78:79], v[96:97], v[82:83]
	buffer_load_dword v83, off, s[0:3], 0 offset:148
	buffer_load_dword v82, off, s[0:3], 0 offset:144
	buffer_load_dword v87, off, s[0:3], 0 offset:156
	buffer_load_dword v86, off, s[0:3], 0 offset:152
	s_waitcnt vmcnt(2)
	v_fmac_f64_e32 v[78:79], v[82:83], v[84:85]
	ds_read2_b64 v[82:85], v80 offset0:57 offset1:58
	s_waitcnt vmcnt(0) lgkmcnt(0)
	v_fmac_f64_e32 v[78:79], v[86:87], v[82:83]
	buffer_load_dword v83, off, s[0:3], 0 offset:164
	buffer_load_dword v82, off, s[0:3], 0 offset:160
	buffer_load_dword v87, off, s[0:3], 0 offset:172
	buffer_load_dword v86, off, s[0:3], 0 offset:168
	s_waitcnt vmcnt(2)
	v_fmac_f64_e32 v[78:79], v[82:83], v[84:85]
	ds_read2_b64 v[82:85], v80 offset0:59 offset1:60
	s_waitcnt vmcnt(0) lgkmcnt(0)
	v_fmac_f64_e32 v[78:79], v[86:87], v[82:83]
	;; [unrolled: 9-line block ×8, first 2 shown]
	buffer_load_dword v83, off, s[0:3], 0 offset:276
	buffer_load_dword v82, off, s[0:3], 0 offset:272
	s_waitcnt vmcnt(0)
	v_fmac_f64_e32 v[78:79], v[82:83], v[84:85]
	buffer_load_dword v85, off, s[0:3], 0 offset:284
	buffer_load_dword v84, off, s[0:3], 0 offset:280
	ds_read2_b64 v[80:83], v80 offset0:73 offset1:74
	s_waitcnt vmcnt(0) lgkmcnt(0)
	v_fmac_f64_e32 v[78:79], v[84:85], v[80:81]
	buffer_load_dword v81, off, s[0:3], 0 offset:292
	buffer_load_dword v80, off, s[0:3], 0 offset:288
	s_waitcnt vmcnt(0)
	v_fmac_f64_e32 v[78:79], v[80:81], v[82:83]
	v_add_f64 v[76:77], v[76:77], -v[78:79]
	buffer_store_dword v77, off, s[0:3], 0 offset:84
	buffer_store_dword v76, off, s[0:3], 0 offset:80
	s_and_saveexec_b64 s[4:5], vcc
	s_cbranch_execz .LBB100_211
; %bb.210:
	buffer_load_dword v76, off, s[0:3], 0 offset:72
	buffer_load_dword v77, off, s[0:3], 0 offset:76
	v_mov_b32_e32 v78, 0
	buffer_store_dword v78, off, s[0:3], 0 offset:72
	buffer_store_dword v78, off, s[0:3], 0 offset:76
	s_waitcnt vmcnt(2)
	ds_write_b64 v1, v[76:77]
.LBB100_211:
	s_or_b64 exec, exec, s[4:5]
	s_waitcnt lgkmcnt(0)
	; wave barrier
	s_waitcnt lgkmcnt(0)
	buffer_load_dword v76, off, s[0:3], 0 offset:72
	buffer_load_dword v77, off, s[0:3], 0 offset:76
	;; [unrolled: 1-line block ×16, first 2 shown]
	v_mov_b32_e32 v80, 0
	ds_read_b128 v[82:85], v80 offset:384
	ds_read_b128 v[86:89], v80 offset:400
	;; [unrolled: 1-line block ×4, first 2 shown]
	v_cmp_lt_u32_e32 vcc, 8, v0
	s_waitcnt vmcnt(12) lgkmcnt(3)
	v_fma_f64 v[78:79], v[78:79], v[82:83], 0
	buffer_load_dword v83, off, s[0:3], 0 offset:140
	buffer_load_dword v82, off, s[0:3], 0 offset:136
	s_waitcnt vmcnt(12)
	v_fmac_f64_e32 v[78:79], v[98:99], v[84:85]
	s_waitcnt vmcnt(10) lgkmcnt(2)
	v_fmac_f64_e32 v[78:79], v[100:101], v[86:87]
	buffer_load_dword v87, off, s[0:3], 0 offset:148
	buffer_load_dword v86, off, s[0:3], 0 offset:144
	s_waitcnt vmcnt(10)
	v_fmac_f64_e32 v[78:79], v[102:103], v[88:89]
	s_waitcnt vmcnt(8) lgkmcnt(1)
	v_fmac_f64_e32 v[78:79], v[104:105], v[90:91]
	s_waitcnt vmcnt(6)
	v_fmac_f64_e32 v[78:79], v[106:107], v[92:93]
	s_waitcnt vmcnt(4) lgkmcnt(0)
	v_fmac_f64_e32 v[78:79], v[108:109], v[94:95]
	s_waitcnt vmcnt(2)
	v_fmac_f64_e32 v[78:79], v[82:83], v[96:97]
	ds_read_b128 v[82:85], v80 offset:448
	s_waitcnt vmcnt(0) lgkmcnt(0)
	v_fmac_f64_e32 v[78:79], v[86:87], v[82:83]
	buffer_load_dword v83, off, s[0:3], 0 offset:156
	buffer_load_dword v82, off, s[0:3], 0 offset:152
	buffer_load_dword v87, off, s[0:3], 0 offset:164
	buffer_load_dword v86, off, s[0:3], 0 offset:160
	s_waitcnt vmcnt(2)
	v_fmac_f64_e32 v[78:79], v[82:83], v[84:85]
	ds_read_b128 v[82:85], v80 offset:464
	s_waitcnt vmcnt(0) lgkmcnt(0)
	v_fmac_f64_e32 v[78:79], v[86:87], v[82:83]
	buffer_load_dword v83, off, s[0:3], 0 offset:172
	buffer_load_dword v82, off, s[0:3], 0 offset:168
	buffer_load_dword v87, off, s[0:3], 0 offset:180
	buffer_load_dword v86, off, s[0:3], 0 offset:176
	;; [unrolled: 9-line block ×8, first 2 shown]
	s_waitcnt vmcnt(2)
	v_fmac_f64_e32 v[78:79], v[82:83], v[84:85]
	ds_read_b128 v[82:85], v80 offset:576
	s_waitcnt vmcnt(0) lgkmcnt(0)
	v_fmac_f64_e32 v[78:79], v[86:87], v[82:83]
	buffer_load_dword v83, off, s[0:3], 0 offset:284
	buffer_load_dword v82, off, s[0:3], 0 offset:280
	s_waitcnt vmcnt(0)
	v_fmac_f64_e32 v[78:79], v[82:83], v[84:85]
	buffer_load_dword v83, off, s[0:3], 0 offset:292
	buffer_load_dword v82, off, s[0:3], 0 offset:288
	ds_read_b64 v[84:85], v80 offset:592
	s_waitcnt vmcnt(0) lgkmcnt(0)
	v_fmac_f64_e32 v[78:79], v[82:83], v[84:85]
	v_add_f64 v[76:77], v[76:77], -v[78:79]
	buffer_store_dword v77, off, s[0:3], 0 offset:76
	buffer_store_dword v76, off, s[0:3], 0 offset:72
	s_and_saveexec_b64 s[4:5], vcc
	s_cbranch_execz .LBB100_213
; %bb.212:
	buffer_load_dword v76, off, s[0:3], 0 offset:64
	buffer_load_dword v77, off, s[0:3], 0 offset:68
	s_waitcnt vmcnt(0)
	ds_write_b64 v1, v[76:77]
	buffer_store_dword v80, off, s[0:3], 0 offset:64
	buffer_store_dword v80, off, s[0:3], 0 offset:68
.LBB100_213:
	s_or_b64 exec, exec, s[4:5]
	s_waitcnt lgkmcnt(0)
	; wave barrier
	s_waitcnt lgkmcnt(0)
	buffer_load_dword v76, off, s[0:3], 0 offset:64
	buffer_load_dword v77, off, s[0:3], 0 offset:68
	;; [unrolled: 1-line block ×16, first 2 shown]
	ds_read2_b64 v[82:85], v80 offset0:47 offset1:48
	v_cmp_lt_u32_e32 vcc, 7, v0
	s_waitcnt vmcnt(12) lgkmcnt(0)
	v_fma_f64 v[78:79], v[78:79], v[82:83], 0
	s_waitcnt vmcnt(10)
	v_fmac_f64_e32 v[78:79], v[86:87], v[84:85]
	ds_read2_b64 v[82:85], v80 offset0:49 offset1:50
	s_waitcnt vmcnt(8) lgkmcnt(0)
	v_fmac_f64_e32 v[78:79], v[88:89], v[82:83]
	s_waitcnt vmcnt(6)
	v_fmac_f64_e32 v[78:79], v[90:91], v[84:85]
	ds_read2_b64 v[82:85], v80 offset0:51 offset1:52
	s_waitcnt vmcnt(4) lgkmcnt(0)
	v_fmac_f64_e32 v[78:79], v[92:93], v[82:83]
	;; [unrolled: 5-line block ×3, first 2 shown]
	buffer_load_dword v83, off, s[0:3], 0 offset:132
	buffer_load_dword v82, off, s[0:3], 0 offset:128
	buffer_load_dword v87, off, s[0:3], 0 offset:140
	buffer_load_dword v86, off, s[0:3], 0 offset:136
	s_waitcnt vmcnt(2)
	v_fmac_f64_e32 v[78:79], v[82:83], v[84:85]
	ds_read2_b64 v[82:85], v80 offset0:55 offset1:56
	s_waitcnt vmcnt(0) lgkmcnt(0)
	v_fmac_f64_e32 v[78:79], v[86:87], v[82:83]
	buffer_load_dword v83, off, s[0:3], 0 offset:148
	buffer_load_dword v82, off, s[0:3], 0 offset:144
	buffer_load_dword v87, off, s[0:3], 0 offset:156
	buffer_load_dword v86, off, s[0:3], 0 offset:152
	s_waitcnt vmcnt(2)
	v_fmac_f64_e32 v[78:79], v[82:83], v[84:85]
	ds_read2_b64 v[82:85], v80 offset0:57 offset1:58
	s_waitcnt vmcnt(0) lgkmcnt(0)
	v_fmac_f64_e32 v[78:79], v[86:87], v[82:83]
	;; [unrolled: 9-line block ×9, first 2 shown]
	buffer_load_dword v83, off, s[0:3], 0 offset:276
	buffer_load_dword v82, off, s[0:3], 0 offset:272
	s_waitcnt vmcnt(0)
	v_fmac_f64_e32 v[78:79], v[82:83], v[84:85]
	buffer_load_dword v85, off, s[0:3], 0 offset:284
	buffer_load_dword v84, off, s[0:3], 0 offset:280
	ds_read2_b64 v[80:83], v80 offset0:73 offset1:74
	s_waitcnt vmcnt(0) lgkmcnt(0)
	v_fmac_f64_e32 v[78:79], v[84:85], v[80:81]
	buffer_load_dword v81, off, s[0:3], 0 offset:292
	buffer_load_dword v80, off, s[0:3], 0 offset:288
	s_waitcnt vmcnt(0)
	v_fmac_f64_e32 v[78:79], v[80:81], v[82:83]
	v_add_f64 v[76:77], v[76:77], -v[78:79]
	buffer_store_dword v77, off, s[0:3], 0 offset:68
	buffer_store_dword v76, off, s[0:3], 0 offset:64
	s_and_saveexec_b64 s[4:5], vcc
	s_cbranch_execz .LBB100_215
; %bb.214:
	buffer_load_dword v76, off, s[0:3], 0 offset:56
	buffer_load_dword v77, off, s[0:3], 0 offset:60
	v_mov_b32_e32 v78, 0
	buffer_store_dword v78, off, s[0:3], 0 offset:56
	buffer_store_dword v78, off, s[0:3], 0 offset:60
	s_waitcnt vmcnt(2)
	ds_write_b64 v1, v[76:77]
.LBB100_215:
	s_or_b64 exec, exec, s[4:5]
	s_waitcnt lgkmcnt(0)
	; wave barrier
	s_waitcnt lgkmcnt(0)
	buffer_load_dword v76, off, s[0:3], 0 offset:56
	buffer_load_dword v77, off, s[0:3], 0 offset:60
	;; [unrolled: 1-line block ×16, first 2 shown]
	v_mov_b32_e32 v80, 0
	ds_read_b128 v[82:85], v80 offset:368
	ds_read_b128 v[86:89], v80 offset:384
	;; [unrolled: 1-line block ×4, first 2 shown]
	v_cmp_lt_u32_e32 vcc, 6, v0
	s_waitcnt vmcnt(12) lgkmcnt(3)
	v_fma_f64 v[78:79], v[78:79], v[82:83], 0
	buffer_load_dword v83, off, s[0:3], 0 offset:124
	buffer_load_dword v82, off, s[0:3], 0 offset:120
	s_waitcnt vmcnt(12)
	v_fmac_f64_e32 v[78:79], v[98:99], v[84:85]
	s_waitcnt vmcnt(10) lgkmcnt(2)
	v_fmac_f64_e32 v[78:79], v[100:101], v[86:87]
	buffer_load_dword v87, off, s[0:3], 0 offset:132
	buffer_load_dword v86, off, s[0:3], 0 offset:128
	s_waitcnt vmcnt(10)
	v_fmac_f64_e32 v[78:79], v[102:103], v[88:89]
	s_waitcnt vmcnt(8) lgkmcnt(1)
	v_fmac_f64_e32 v[78:79], v[104:105], v[90:91]
	s_waitcnt vmcnt(6)
	v_fmac_f64_e32 v[78:79], v[106:107], v[92:93]
	s_waitcnt vmcnt(4) lgkmcnt(0)
	v_fmac_f64_e32 v[78:79], v[108:109], v[94:95]
	s_waitcnt vmcnt(2)
	v_fmac_f64_e32 v[78:79], v[82:83], v[96:97]
	ds_read_b128 v[82:85], v80 offset:432
	s_waitcnt vmcnt(0) lgkmcnt(0)
	v_fmac_f64_e32 v[78:79], v[86:87], v[82:83]
	buffer_load_dword v83, off, s[0:3], 0 offset:140
	buffer_load_dword v82, off, s[0:3], 0 offset:136
	buffer_load_dword v87, off, s[0:3], 0 offset:148
	buffer_load_dword v86, off, s[0:3], 0 offset:144
	s_waitcnt vmcnt(2)
	v_fmac_f64_e32 v[78:79], v[82:83], v[84:85]
	ds_read_b128 v[82:85], v80 offset:448
	s_waitcnt vmcnt(0) lgkmcnt(0)
	v_fmac_f64_e32 v[78:79], v[86:87], v[82:83]
	buffer_load_dword v83, off, s[0:3], 0 offset:156
	buffer_load_dword v82, off, s[0:3], 0 offset:152
	buffer_load_dword v87, off, s[0:3], 0 offset:164
	buffer_load_dword v86, off, s[0:3], 0 offset:160
	;; [unrolled: 9-line block ×9, first 2 shown]
	s_waitcnt vmcnt(2)
	v_fmac_f64_e32 v[78:79], v[82:83], v[84:85]
	ds_read_b128 v[82:85], v80 offset:576
	s_waitcnt vmcnt(0) lgkmcnt(0)
	v_fmac_f64_e32 v[78:79], v[86:87], v[82:83]
	buffer_load_dword v83, off, s[0:3], 0 offset:284
	buffer_load_dword v82, off, s[0:3], 0 offset:280
	s_waitcnt vmcnt(0)
	v_fmac_f64_e32 v[78:79], v[82:83], v[84:85]
	buffer_load_dword v83, off, s[0:3], 0 offset:292
	buffer_load_dword v82, off, s[0:3], 0 offset:288
	ds_read_b64 v[84:85], v80 offset:592
	s_waitcnt vmcnt(0) lgkmcnt(0)
	v_fmac_f64_e32 v[78:79], v[82:83], v[84:85]
	v_add_f64 v[76:77], v[76:77], -v[78:79]
	buffer_store_dword v77, off, s[0:3], 0 offset:60
	buffer_store_dword v76, off, s[0:3], 0 offset:56
	s_and_saveexec_b64 s[4:5], vcc
	s_cbranch_execz .LBB100_217
; %bb.216:
	buffer_load_dword v76, off, s[0:3], 0 offset:48
	buffer_load_dword v77, off, s[0:3], 0 offset:52
	s_waitcnt vmcnt(0)
	ds_write_b64 v1, v[76:77]
	buffer_store_dword v80, off, s[0:3], 0 offset:48
	buffer_store_dword v80, off, s[0:3], 0 offset:52
.LBB100_217:
	s_or_b64 exec, exec, s[4:5]
	s_waitcnt lgkmcnt(0)
	; wave barrier
	s_waitcnt lgkmcnt(0)
	buffer_load_dword v76, off, s[0:3], 0 offset:48
	buffer_load_dword v77, off, s[0:3], 0 offset:52
	;; [unrolled: 1-line block ×16, first 2 shown]
	ds_read2_b64 v[82:85], v80 offset0:45 offset1:46
	v_cmp_lt_u32_e32 vcc, 5, v0
	s_waitcnt vmcnt(12) lgkmcnt(0)
	v_fma_f64 v[78:79], v[78:79], v[82:83], 0
	s_waitcnt vmcnt(10)
	v_fmac_f64_e32 v[78:79], v[86:87], v[84:85]
	ds_read2_b64 v[82:85], v80 offset0:47 offset1:48
	s_waitcnt vmcnt(8) lgkmcnt(0)
	v_fmac_f64_e32 v[78:79], v[88:89], v[82:83]
	s_waitcnt vmcnt(6)
	v_fmac_f64_e32 v[78:79], v[90:91], v[84:85]
	ds_read2_b64 v[82:85], v80 offset0:49 offset1:50
	s_waitcnt vmcnt(4) lgkmcnt(0)
	v_fmac_f64_e32 v[78:79], v[92:93], v[82:83]
	;; [unrolled: 5-line block ×3, first 2 shown]
	buffer_load_dword v83, off, s[0:3], 0 offset:116
	buffer_load_dword v82, off, s[0:3], 0 offset:112
	buffer_load_dword v87, off, s[0:3], 0 offset:124
	buffer_load_dword v86, off, s[0:3], 0 offset:120
	s_waitcnt vmcnt(2)
	v_fmac_f64_e32 v[78:79], v[82:83], v[84:85]
	ds_read2_b64 v[82:85], v80 offset0:53 offset1:54
	s_waitcnt vmcnt(0) lgkmcnt(0)
	v_fmac_f64_e32 v[78:79], v[86:87], v[82:83]
	buffer_load_dword v83, off, s[0:3], 0 offset:132
	buffer_load_dword v82, off, s[0:3], 0 offset:128
	buffer_load_dword v87, off, s[0:3], 0 offset:140
	buffer_load_dword v86, off, s[0:3], 0 offset:136
	s_waitcnt vmcnt(2)
	v_fmac_f64_e32 v[78:79], v[82:83], v[84:85]
	ds_read2_b64 v[82:85], v80 offset0:55 offset1:56
	s_waitcnt vmcnt(0) lgkmcnt(0)
	v_fmac_f64_e32 v[78:79], v[86:87], v[82:83]
	;; [unrolled: 9-line block ×10, first 2 shown]
	buffer_load_dword v83, off, s[0:3], 0 offset:276
	buffer_load_dword v82, off, s[0:3], 0 offset:272
	s_waitcnt vmcnt(0)
	v_fmac_f64_e32 v[78:79], v[82:83], v[84:85]
	buffer_load_dword v85, off, s[0:3], 0 offset:284
	buffer_load_dword v84, off, s[0:3], 0 offset:280
	ds_read2_b64 v[80:83], v80 offset0:73 offset1:74
	s_waitcnt vmcnt(0) lgkmcnt(0)
	v_fmac_f64_e32 v[78:79], v[84:85], v[80:81]
	buffer_load_dword v81, off, s[0:3], 0 offset:292
	buffer_load_dword v80, off, s[0:3], 0 offset:288
	s_waitcnt vmcnt(0)
	v_fmac_f64_e32 v[78:79], v[80:81], v[82:83]
	v_add_f64 v[76:77], v[76:77], -v[78:79]
	buffer_store_dword v77, off, s[0:3], 0 offset:52
	buffer_store_dword v76, off, s[0:3], 0 offset:48
	s_and_saveexec_b64 s[4:5], vcc
	s_cbranch_execz .LBB100_219
; %bb.218:
	buffer_load_dword v76, off, s[0:3], 0 offset:40
	buffer_load_dword v77, off, s[0:3], 0 offset:44
	v_mov_b32_e32 v78, 0
	buffer_store_dword v78, off, s[0:3], 0 offset:40
	buffer_store_dword v78, off, s[0:3], 0 offset:44
	s_waitcnt vmcnt(2)
	ds_write_b64 v1, v[76:77]
.LBB100_219:
	s_or_b64 exec, exec, s[4:5]
	s_waitcnt lgkmcnt(0)
	; wave barrier
	s_waitcnt lgkmcnt(0)
	buffer_load_dword v76, off, s[0:3], 0 offset:40
	buffer_load_dword v77, off, s[0:3], 0 offset:44
	;; [unrolled: 1-line block ×16, first 2 shown]
	v_mov_b32_e32 v80, 0
	ds_read_b128 v[82:85], v80 offset:352
	ds_read_b128 v[86:89], v80 offset:368
	;; [unrolled: 1-line block ×4, first 2 shown]
	v_cmp_lt_u32_e32 vcc, 4, v0
	s_waitcnt vmcnt(12) lgkmcnt(3)
	v_fma_f64 v[78:79], v[78:79], v[82:83], 0
	buffer_load_dword v83, off, s[0:3], 0 offset:108
	buffer_load_dword v82, off, s[0:3], 0 offset:104
	s_waitcnt vmcnt(12)
	v_fmac_f64_e32 v[78:79], v[98:99], v[84:85]
	s_waitcnt vmcnt(10) lgkmcnt(2)
	v_fmac_f64_e32 v[78:79], v[100:101], v[86:87]
	buffer_load_dword v87, off, s[0:3], 0 offset:116
	buffer_load_dword v86, off, s[0:3], 0 offset:112
	s_waitcnt vmcnt(10)
	v_fmac_f64_e32 v[78:79], v[102:103], v[88:89]
	s_waitcnt vmcnt(8) lgkmcnt(1)
	v_fmac_f64_e32 v[78:79], v[104:105], v[90:91]
	s_waitcnt vmcnt(6)
	v_fmac_f64_e32 v[78:79], v[106:107], v[92:93]
	s_waitcnt vmcnt(4) lgkmcnt(0)
	v_fmac_f64_e32 v[78:79], v[108:109], v[94:95]
	s_waitcnt vmcnt(2)
	v_fmac_f64_e32 v[78:79], v[82:83], v[96:97]
	ds_read_b128 v[82:85], v80 offset:416
	s_waitcnt vmcnt(0) lgkmcnt(0)
	v_fmac_f64_e32 v[78:79], v[86:87], v[82:83]
	buffer_load_dword v83, off, s[0:3], 0 offset:124
	buffer_load_dword v82, off, s[0:3], 0 offset:120
	buffer_load_dword v87, off, s[0:3], 0 offset:132
	buffer_load_dword v86, off, s[0:3], 0 offset:128
	s_waitcnt vmcnt(2)
	v_fmac_f64_e32 v[78:79], v[82:83], v[84:85]
	ds_read_b128 v[82:85], v80 offset:432
	s_waitcnt vmcnt(0) lgkmcnt(0)
	v_fmac_f64_e32 v[78:79], v[86:87], v[82:83]
	buffer_load_dword v83, off, s[0:3], 0 offset:140
	buffer_load_dword v82, off, s[0:3], 0 offset:136
	buffer_load_dword v87, off, s[0:3], 0 offset:148
	buffer_load_dword v86, off, s[0:3], 0 offset:144
	;; [unrolled: 9-line block ×10, first 2 shown]
	s_waitcnt vmcnt(2)
	v_fmac_f64_e32 v[78:79], v[82:83], v[84:85]
	ds_read_b128 v[82:85], v80 offset:576
	s_waitcnt vmcnt(0) lgkmcnt(0)
	v_fmac_f64_e32 v[78:79], v[86:87], v[82:83]
	buffer_load_dword v83, off, s[0:3], 0 offset:284
	buffer_load_dword v82, off, s[0:3], 0 offset:280
	s_waitcnt vmcnt(0)
	v_fmac_f64_e32 v[78:79], v[82:83], v[84:85]
	buffer_load_dword v83, off, s[0:3], 0 offset:292
	buffer_load_dword v82, off, s[0:3], 0 offset:288
	ds_read_b64 v[84:85], v80 offset:592
	s_waitcnt vmcnt(0) lgkmcnt(0)
	v_fmac_f64_e32 v[78:79], v[82:83], v[84:85]
	v_add_f64 v[76:77], v[76:77], -v[78:79]
	buffer_store_dword v77, off, s[0:3], 0 offset:44
	buffer_store_dword v76, off, s[0:3], 0 offset:40
	s_and_saveexec_b64 s[4:5], vcc
	s_cbranch_execz .LBB100_221
; %bb.220:
	buffer_load_dword v76, off, s[0:3], 0 offset:32
	buffer_load_dword v77, off, s[0:3], 0 offset:36
	s_waitcnt vmcnt(0)
	ds_write_b64 v1, v[76:77]
	buffer_store_dword v80, off, s[0:3], 0 offset:32
	buffer_store_dword v80, off, s[0:3], 0 offset:36
.LBB100_221:
	s_or_b64 exec, exec, s[4:5]
	s_waitcnt lgkmcnt(0)
	; wave barrier
	s_waitcnt lgkmcnt(0)
	buffer_load_dword v76, off, s[0:3], 0 offset:32
	buffer_load_dword v77, off, s[0:3], 0 offset:36
	;; [unrolled: 1-line block ×16, first 2 shown]
	ds_read2_b64 v[82:85], v80 offset0:43 offset1:44
	v_cmp_lt_u32_e32 vcc, 3, v0
	s_waitcnt vmcnt(12) lgkmcnt(0)
	v_fma_f64 v[78:79], v[78:79], v[82:83], 0
	s_waitcnt vmcnt(10)
	v_fmac_f64_e32 v[78:79], v[86:87], v[84:85]
	ds_read2_b64 v[82:85], v80 offset0:45 offset1:46
	s_waitcnt vmcnt(8) lgkmcnt(0)
	v_fmac_f64_e32 v[78:79], v[88:89], v[82:83]
	s_waitcnt vmcnt(6)
	v_fmac_f64_e32 v[78:79], v[90:91], v[84:85]
	ds_read2_b64 v[82:85], v80 offset0:47 offset1:48
	s_waitcnt vmcnt(4) lgkmcnt(0)
	v_fmac_f64_e32 v[78:79], v[92:93], v[82:83]
	;; [unrolled: 5-line block ×3, first 2 shown]
	buffer_load_dword v83, off, s[0:3], 0 offset:100
	buffer_load_dword v82, off, s[0:3], 0 offset:96
	buffer_load_dword v87, off, s[0:3], 0 offset:108
	buffer_load_dword v86, off, s[0:3], 0 offset:104
	s_waitcnt vmcnt(2)
	v_fmac_f64_e32 v[78:79], v[82:83], v[84:85]
	ds_read2_b64 v[82:85], v80 offset0:51 offset1:52
	s_waitcnt vmcnt(0) lgkmcnt(0)
	v_fmac_f64_e32 v[78:79], v[86:87], v[82:83]
	buffer_load_dword v83, off, s[0:3], 0 offset:116
	buffer_load_dword v82, off, s[0:3], 0 offset:112
	buffer_load_dword v87, off, s[0:3], 0 offset:124
	buffer_load_dword v86, off, s[0:3], 0 offset:120
	s_waitcnt vmcnt(2)
	v_fmac_f64_e32 v[78:79], v[82:83], v[84:85]
	ds_read2_b64 v[82:85], v80 offset0:53 offset1:54
	s_waitcnt vmcnt(0) lgkmcnt(0)
	v_fmac_f64_e32 v[78:79], v[86:87], v[82:83]
	buffer_load_dword v83, off, s[0:3], 0 offset:132
	buffer_load_dword v82, off, s[0:3], 0 offset:128
	buffer_load_dword v87, off, s[0:3], 0 offset:140
	buffer_load_dword v86, off, s[0:3], 0 offset:136
	s_waitcnt vmcnt(2)
	v_fmac_f64_e32 v[78:79], v[82:83], v[84:85]
	ds_read2_b64 v[82:85], v80 offset0:55 offset1:56
	s_waitcnt vmcnt(0) lgkmcnt(0)
	v_fmac_f64_e32 v[78:79], v[86:87], v[82:83]
	buffer_load_dword v83, off, s[0:3], 0 offset:148
	buffer_load_dword v82, off, s[0:3], 0 offset:144
	buffer_load_dword v87, off, s[0:3], 0 offset:156
	buffer_load_dword v86, off, s[0:3], 0 offset:152
	s_waitcnt vmcnt(2)
	v_fmac_f64_e32 v[78:79], v[82:83], v[84:85]
	ds_read2_b64 v[82:85], v80 offset0:57 offset1:58
	s_waitcnt vmcnt(0) lgkmcnt(0)
	v_fmac_f64_e32 v[78:79], v[86:87], v[82:83]
	buffer_load_dword v83, off, s[0:3], 0 offset:164
	buffer_load_dword v82, off, s[0:3], 0 offset:160
	buffer_load_dword v87, off, s[0:3], 0 offset:172
	buffer_load_dword v86, off, s[0:3], 0 offset:168
	s_waitcnt vmcnt(2)
	v_fmac_f64_e32 v[78:79], v[82:83], v[84:85]
	ds_read2_b64 v[82:85], v80 offset0:59 offset1:60
	s_waitcnt vmcnt(0) lgkmcnt(0)
	v_fmac_f64_e32 v[78:79], v[86:87], v[82:83]
	buffer_load_dword v83, off, s[0:3], 0 offset:180
	buffer_load_dword v82, off, s[0:3], 0 offset:176
	buffer_load_dword v87, off, s[0:3], 0 offset:188
	buffer_load_dword v86, off, s[0:3], 0 offset:184
	s_waitcnt vmcnt(2)
	v_fmac_f64_e32 v[78:79], v[82:83], v[84:85]
	ds_read2_b64 v[82:85], v80 offset0:61 offset1:62
	s_waitcnt vmcnt(0) lgkmcnt(0)
	v_fmac_f64_e32 v[78:79], v[86:87], v[82:83]
	buffer_load_dword v83, off, s[0:3], 0 offset:196
	buffer_load_dword v82, off, s[0:3], 0 offset:192
	buffer_load_dword v87, off, s[0:3], 0 offset:204
	buffer_load_dword v86, off, s[0:3], 0 offset:200
	s_waitcnt vmcnt(2)
	v_fmac_f64_e32 v[78:79], v[82:83], v[84:85]
	ds_read2_b64 v[82:85], v80 offset0:63 offset1:64
	s_waitcnt vmcnt(0) lgkmcnt(0)
	v_fmac_f64_e32 v[78:79], v[86:87], v[82:83]
	buffer_load_dword v83, off, s[0:3], 0 offset:212
	buffer_load_dword v82, off, s[0:3], 0 offset:208
	buffer_load_dword v87, off, s[0:3], 0 offset:220
	buffer_load_dword v86, off, s[0:3], 0 offset:216
	s_waitcnt vmcnt(2)
	v_fmac_f64_e32 v[78:79], v[82:83], v[84:85]
	ds_read2_b64 v[82:85], v80 offset0:65 offset1:66
	s_waitcnt vmcnt(0) lgkmcnt(0)
	v_fmac_f64_e32 v[78:79], v[86:87], v[82:83]
	buffer_load_dword v83, off, s[0:3], 0 offset:228
	buffer_load_dword v82, off, s[0:3], 0 offset:224
	buffer_load_dword v87, off, s[0:3], 0 offset:236
	buffer_load_dword v86, off, s[0:3], 0 offset:232
	s_waitcnt vmcnt(2)
	v_fmac_f64_e32 v[78:79], v[82:83], v[84:85]
	ds_read2_b64 v[82:85], v80 offset0:67 offset1:68
	s_waitcnt vmcnt(0) lgkmcnt(0)
	v_fmac_f64_e32 v[78:79], v[86:87], v[82:83]
	buffer_load_dword v83, off, s[0:3], 0 offset:244
	buffer_load_dword v82, off, s[0:3], 0 offset:240
	buffer_load_dword v87, off, s[0:3], 0 offset:252
	buffer_load_dword v86, off, s[0:3], 0 offset:248
	s_waitcnt vmcnt(2)
	v_fmac_f64_e32 v[78:79], v[82:83], v[84:85]
	ds_read2_b64 v[82:85], v80 offset0:69 offset1:70
	s_waitcnt vmcnt(0) lgkmcnt(0)
	v_fmac_f64_e32 v[78:79], v[86:87], v[82:83]
	buffer_load_dword v83, off, s[0:3], 0 offset:260
	buffer_load_dword v82, off, s[0:3], 0 offset:256
	buffer_load_dword v87, off, s[0:3], 0 offset:268
	buffer_load_dword v86, off, s[0:3], 0 offset:264
	s_waitcnt vmcnt(2)
	v_fmac_f64_e32 v[78:79], v[82:83], v[84:85]
	ds_read2_b64 v[82:85], v80 offset0:71 offset1:72
	s_waitcnt vmcnt(0) lgkmcnt(0)
	v_fmac_f64_e32 v[78:79], v[86:87], v[82:83]
	buffer_load_dword v83, off, s[0:3], 0 offset:276
	buffer_load_dword v82, off, s[0:3], 0 offset:272
	s_waitcnt vmcnt(0)
	v_fmac_f64_e32 v[78:79], v[82:83], v[84:85]
	buffer_load_dword v85, off, s[0:3], 0 offset:284
	buffer_load_dword v84, off, s[0:3], 0 offset:280
	ds_read2_b64 v[80:83], v80 offset0:73 offset1:74
	s_waitcnt vmcnt(0) lgkmcnt(0)
	v_fmac_f64_e32 v[78:79], v[84:85], v[80:81]
	buffer_load_dword v81, off, s[0:3], 0 offset:292
	buffer_load_dword v80, off, s[0:3], 0 offset:288
	s_waitcnt vmcnt(0)
	v_fmac_f64_e32 v[78:79], v[80:81], v[82:83]
	v_add_f64 v[76:77], v[76:77], -v[78:79]
	buffer_store_dword v77, off, s[0:3], 0 offset:36
	buffer_store_dword v76, off, s[0:3], 0 offset:32
	s_and_saveexec_b64 s[4:5], vcc
	s_cbranch_execz .LBB100_223
; %bb.222:
	buffer_load_dword v76, off, s[0:3], 0 offset:24
	buffer_load_dword v77, off, s[0:3], 0 offset:28
	v_mov_b32_e32 v78, 0
	buffer_store_dword v78, off, s[0:3], 0 offset:24
	buffer_store_dword v78, off, s[0:3], 0 offset:28
	s_waitcnt vmcnt(2)
	ds_write_b64 v1, v[76:77]
.LBB100_223:
	s_or_b64 exec, exec, s[4:5]
	s_waitcnt lgkmcnt(0)
	; wave barrier
	s_waitcnt lgkmcnt(0)
	buffer_load_dword v76, off, s[0:3], 0 offset:24
	buffer_load_dword v77, off, s[0:3], 0 offset:28
	;; [unrolled: 1-line block ×16, first 2 shown]
	v_mov_b32_e32 v80, 0
	ds_read_b128 v[82:85], v80 offset:336
	ds_read_b128 v[86:89], v80 offset:352
	;; [unrolled: 1-line block ×4, first 2 shown]
	v_cmp_lt_u32_e32 vcc, 2, v0
	s_waitcnt vmcnt(12) lgkmcnt(3)
	v_fma_f64 v[78:79], v[78:79], v[82:83], 0
	buffer_load_dword v83, off, s[0:3], 0 offset:92
	buffer_load_dword v82, off, s[0:3], 0 offset:88
	s_waitcnt vmcnt(12)
	v_fmac_f64_e32 v[78:79], v[98:99], v[84:85]
	s_waitcnt vmcnt(10) lgkmcnt(2)
	v_fmac_f64_e32 v[78:79], v[100:101], v[86:87]
	buffer_load_dword v87, off, s[0:3], 0 offset:100
	buffer_load_dword v86, off, s[0:3], 0 offset:96
	s_waitcnt vmcnt(10)
	v_fmac_f64_e32 v[78:79], v[102:103], v[88:89]
	s_waitcnt vmcnt(8) lgkmcnt(1)
	v_fmac_f64_e32 v[78:79], v[104:105], v[90:91]
	s_waitcnt vmcnt(6)
	v_fmac_f64_e32 v[78:79], v[106:107], v[92:93]
	s_waitcnt vmcnt(4) lgkmcnt(0)
	v_fmac_f64_e32 v[78:79], v[108:109], v[94:95]
	s_waitcnt vmcnt(2)
	v_fmac_f64_e32 v[78:79], v[82:83], v[96:97]
	ds_read_b128 v[82:85], v80 offset:400
	s_waitcnt vmcnt(0) lgkmcnt(0)
	v_fmac_f64_e32 v[78:79], v[86:87], v[82:83]
	buffer_load_dword v83, off, s[0:3], 0 offset:108
	buffer_load_dword v82, off, s[0:3], 0 offset:104
	buffer_load_dword v87, off, s[0:3], 0 offset:116
	buffer_load_dword v86, off, s[0:3], 0 offset:112
	s_waitcnt vmcnt(2)
	v_fmac_f64_e32 v[78:79], v[82:83], v[84:85]
	ds_read_b128 v[82:85], v80 offset:416
	s_waitcnt vmcnt(0) lgkmcnt(0)
	v_fmac_f64_e32 v[78:79], v[86:87], v[82:83]
	buffer_load_dword v83, off, s[0:3], 0 offset:124
	buffer_load_dword v82, off, s[0:3], 0 offset:120
	buffer_load_dword v87, off, s[0:3], 0 offset:132
	buffer_load_dword v86, off, s[0:3], 0 offset:128
	s_waitcnt vmcnt(2)
	v_fmac_f64_e32 v[78:79], v[82:83], v[84:85]
	ds_read_b128 v[82:85], v80 offset:432
	s_waitcnt vmcnt(0) lgkmcnt(0)
	v_fmac_f64_e32 v[78:79], v[86:87], v[82:83]
	buffer_load_dword v83, off, s[0:3], 0 offset:140
	buffer_load_dword v82, off, s[0:3], 0 offset:136
	buffer_load_dword v87, off, s[0:3], 0 offset:148
	buffer_load_dword v86, off, s[0:3], 0 offset:144
	s_waitcnt vmcnt(2)
	v_fmac_f64_e32 v[78:79], v[82:83], v[84:85]
	ds_read_b128 v[82:85], v80 offset:448
	s_waitcnt vmcnt(0) lgkmcnt(0)
	v_fmac_f64_e32 v[78:79], v[86:87], v[82:83]
	buffer_load_dword v83, off, s[0:3], 0 offset:156
	buffer_load_dword v82, off, s[0:3], 0 offset:152
	buffer_load_dword v87, off, s[0:3], 0 offset:164
	buffer_load_dword v86, off, s[0:3], 0 offset:160
	s_waitcnt vmcnt(2)
	v_fmac_f64_e32 v[78:79], v[82:83], v[84:85]
	ds_read_b128 v[82:85], v80 offset:464
	s_waitcnt vmcnt(0) lgkmcnt(0)
	v_fmac_f64_e32 v[78:79], v[86:87], v[82:83]
	buffer_load_dword v83, off, s[0:3], 0 offset:172
	buffer_load_dword v82, off, s[0:3], 0 offset:168
	buffer_load_dword v87, off, s[0:3], 0 offset:180
	buffer_load_dword v86, off, s[0:3], 0 offset:176
	s_waitcnt vmcnt(2)
	v_fmac_f64_e32 v[78:79], v[82:83], v[84:85]
	ds_read_b128 v[82:85], v80 offset:480
	s_waitcnt vmcnt(0) lgkmcnt(0)
	v_fmac_f64_e32 v[78:79], v[86:87], v[82:83]
	buffer_load_dword v83, off, s[0:3], 0 offset:188
	buffer_load_dword v82, off, s[0:3], 0 offset:184
	buffer_load_dword v87, off, s[0:3], 0 offset:196
	buffer_load_dword v86, off, s[0:3], 0 offset:192
	s_waitcnt vmcnt(2)
	v_fmac_f64_e32 v[78:79], v[82:83], v[84:85]
	ds_read_b128 v[82:85], v80 offset:496
	s_waitcnt vmcnt(0) lgkmcnt(0)
	v_fmac_f64_e32 v[78:79], v[86:87], v[82:83]
	buffer_load_dword v83, off, s[0:3], 0 offset:204
	buffer_load_dword v82, off, s[0:3], 0 offset:200
	buffer_load_dword v87, off, s[0:3], 0 offset:212
	buffer_load_dword v86, off, s[0:3], 0 offset:208
	s_waitcnt vmcnt(2)
	v_fmac_f64_e32 v[78:79], v[82:83], v[84:85]
	ds_read_b128 v[82:85], v80 offset:512
	s_waitcnt vmcnt(0) lgkmcnt(0)
	v_fmac_f64_e32 v[78:79], v[86:87], v[82:83]
	buffer_load_dword v83, off, s[0:3], 0 offset:220
	buffer_load_dword v82, off, s[0:3], 0 offset:216
	buffer_load_dword v87, off, s[0:3], 0 offset:228
	buffer_load_dword v86, off, s[0:3], 0 offset:224
	s_waitcnt vmcnt(2)
	v_fmac_f64_e32 v[78:79], v[82:83], v[84:85]
	ds_read_b128 v[82:85], v80 offset:528
	s_waitcnt vmcnt(0) lgkmcnt(0)
	v_fmac_f64_e32 v[78:79], v[86:87], v[82:83]
	buffer_load_dword v83, off, s[0:3], 0 offset:236
	buffer_load_dword v82, off, s[0:3], 0 offset:232
	buffer_load_dword v87, off, s[0:3], 0 offset:244
	buffer_load_dword v86, off, s[0:3], 0 offset:240
	s_waitcnt vmcnt(2)
	v_fmac_f64_e32 v[78:79], v[82:83], v[84:85]
	ds_read_b128 v[82:85], v80 offset:544
	s_waitcnt vmcnt(0) lgkmcnt(0)
	v_fmac_f64_e32 v[78:79], v[86:87], v[82:83]
	buffer_load_dword v83, off, s[0:3], 0 offset:252
	buffer_load_dword v82, off, s[0:3], 0 offset:248
	buffer_load_dword v87, off, s[0:3], 0 offset:260
	buffer_load_dword v86, off, s[0:3], 0 offset:256
	s_waitcnt vmcnt(2)
	v_fmac_f64_e32 v[78:79], v[82:83], v[84:85]
	ds_read_b128 v[82:85], v80 offset:560
	s_waitcnt vmcnt(0) lgkmcnt(0)
	v_fmac_f64_e32 v[78:79], v[86:87], v[82:83]
	buffer_load_dword v83, off, s[0:3], 0 offset:268
	buffer_load_dword v82, off, s[0:3], 0 offset:264
	buffer_load_dword v87, off, s[0:3], 0 offset:276
	buffer_load_dword v86, off, s[0:3], 0 offset:272
	s_waitcnt vmcnt(2)
	v_fmac_f64_e32 v[78:79], v[82:83], v[84:85]
	ds_read_b128 v[82:85], v80 offset:576
	s_waitcnt vmcnt(0) lgkmcnt(0)
	v_fmac_f64_e32 v[78:79], v[86:87], v[82:83]
	buffer_load_dword v83, off, s[0:3], 0 offset:284
	buffer_load_dword v82, off, s[0:3], 0 offset:280
	s_waitcnt vmcnt(0)
	v_fmac_f64_e32 v[78:79], v[82:83], v[84:85]
	buffer_load_dword v83, off, s[0:3], 0 offset:292
	buffer_load_dword v82, off, s[0:3], 0 offset:288
	ds_read_b64 v[84:85], v80 offset:592
	s_waitcnt vmcnt(0) lgkmcnt(0)
	v_fmac_f64_e32 v[78:79], v[82:83], v[84:85]
	v_add_f64 v[76:77], v[76:77], -v[78:79]
	buffer_store_dword v77, off, s[0:3], 0 offset:28
	buffer_store_dword v76, off, s[0:3], 0 offset:24
	s_and_saveexec_b64 s[4:5], vcc
	s_cbranch_execz .LBB100_225
; %bb.224:
	buffer_load_dword v76, off, s[0:3], 0 offset:16
	buffer_load_dword v77, off, s[0:3], 0 offset:20
	s_waitcnt vmcnt(0)
	ds_write_b64 v1, v[76:77]
	buffer_store_dword v80, off, s[0:3], 0 offset:16
	buffer_store_dword v80, off, s[0:3], 0 offset:20
.LBB100_225:
	s_or_b64 exec, exec, s[4:5]
	s_waitcnt lgkmcnt(0)
	; wave barrier
	s_waitcnt lgkmcnt(0)
	buffer_load_dword v76, off, s[0:3], 0 offset:16
	buffer_load_dword v77, off, s[0:3], 0 offset:20
	;; [unrolled: 1-line block ×16, first 2 shown]
	ds_read2_b64 v[82:85], v80 offset0:41 offset1:42
	v_cmp_lt_u32_e32 vcc, 1, v0
	s_waitcnt vmcnt(12) lgkmcnt(0)
	v_fma_f64 v[78:79], v[78:79], v[82:83], 0
	s_waitcnt vmcnt(10)
	v_fmac_f64_e32 v[78:79], v[86:87], v[84:85]
	ds_read2_b64 v[82:85], v80 offset0:43 offset1:44
	s_waitcnt vmcnt(8) lgkmcnt(0)
	v_fmac_f64_e32 v[78:79], v[88:89], v[82:83]
	s_waitcnt vmcnt(6)
	v_fmac_f64_e32 v[78:79], v[90:91], v[84:85]
	ds_read2_b64 v[82:85], v80 offset0:45 offset1:46
	s_waitcnt vmcnt(4) lgkmcnt(0)
	v_fmac_f64_e32 v[78:79], v[92:93], v[82:83]
	;; [unrolled: 5-line block ×3, first 2 shown]
	buffer_load_dword v83, off, s[0:3], 0 offset:84
	buffer_load_dword v82, off, s[0:3], 0 offset:80
	buffer_load_dword v87, off, s[0:3], 0 offset:92
	buffer_load_dword v86, off, s[0:3], 0 offset:88
	s_waitcnt vmcnt(2)
	v_fmac_f64_e32 v[78:79], v[82:83], v[84:85]
	ds_read2_b64 v[82:85], v80 offset0:49 offset1:50
	s_waitcnt vmcnt(0) lgkmcnt(0)
	v_fmac_f64_e32 v[78:79], v[86:87], v[82:83]
	buffer_load_dword v83, off, s[0:3], 0 offset:100
	buffer_load_dword v82, off, s[0:3], 0 offset:96
	buffer_load_dword v87, off, s[0:3], 0 offset:108
	buffer_load_dword v86, off, s[0:3], 0 offset:104
	s_waitcnt vmcnt(2)
	v_fmac_f64_e32 v[78:79], v[82:83], v[84:85]
	ds_read2_b64 v[82:85], v80 offset0:51 offset1:52
	s_waitcnt vmcnt(0) lgkmcnt(0)
	v_fmac_f64_e32 v[78:79], v[86:87], v[82:83]
	;; [unrolled: 9-line block ×12, first 2 shown]
	buffer_load_dword v83, off, s[0:3], 0 offset:276
	buffer_load_dword v82, off, s[0:3], 0 offset:272
	s_waitcnt vmcnt(0)
	v_fmac_f64_e32 v[78:79], v[82:83], v[84:85]
	buffer_load_dword v85, off, s[0:3], 0 offset:284
	buffer_load_dword v84, off, s[0:3], 0 offset:280
	ds_read2_b64 v[80:83], v80 offset0:73 offset1:74
	s_waitcnt vmcnt(0) lgkmcnt(0)
	v_fmac_f64_e32 v[78:79], v[84:85], v[80:81]
	buffer_load_dword v81, off, s[0:3], 0 offset:292
	buffer_load_dword v80, off, s[0:3], 0 offset:288
	s_waitcnt vmcnt(0)
	v_fmac_f64_e32 v[78:79], v[80:81], v[82:83]
	v_add_f64 v[76:77], v[76:77], -v[78:79]
	buffer_store_dword v77, off, s[0:3], 0 offset:20
	buffer_store_dword v76, off, s[0:3], 0 offset:16
	s_and_saveexec_b64 s[4:5], vcc
	s_cbranch_execz .LBB100_227
; %bb.226:
	buffer_load_dword v76, off, s[0:3], 0 offset:8
	buffer_load_dword v77, off, s[0:3], 0 offset:12
	v_mov_b32_e32 v78, 0
	buffer_store_dword v78, off, s[0:3], 0 offset:8
	buffer_store_dword v78, off, s[0:3], 0 offset:12
	s_waitcnt vmcnt(2)
	ds_write_b64 v1, v[76:77]
.LBB100_227:
	s_or_b64 exec, exec, s[4:5]
	s_waitcnt lgkmcnt(0)
	; wave barrier
	s_waitcnt lgkmcnt(0)
	buffer_load_dword v76, off, s[0:3], 0 offset:8
	buffer_load_dword v77, off, s[0:3], 0 offset:12
	;; [unrolled: 1-line block ×16, first 2 shown]
	v_mov_b32_e32 v80, 0
	ds_read_b128 v[82:85], v80 offset:320
	ds_read_b128 v[86:89], v80 offset:336
	;; [unrolled: 1-line block ×4, first 2 shown]
	v_cmp_ne_u32_e32 vcc, 0, v0
	s_waitcnt vmcnt(12) lgkmcnt(3)
	v_fma_f64 v[78:79], v[78:79], v[82:83], 0
	buffer_load_dword v83, off, s[0:3], 0 offset:76
	buffer_load_dword v82, off, s[0:3], 0 offset:72
	s_waitcnt vmcnt(12)
	v_fmac_f64_e32 v[78:79], v[98:99], v[84:85]
	s_waitcnt vmcnt(10) lgkmcnt(2)
	v_fmac_f64_e32 v[78:79], v[100:101], v[86:87]
	buffer_load_dword v87, off, s[0:3], 0 offset:84
	buffer_load_dword v86, off, s[0:3], 0 offset:80
	s_waitcnt vmcnt(10)
	v_fmac_f64_e32 v[78:79], v[102:103], v[88:89]
	s_waitcnt vmcnt(8) lgkmcnt(1)
	v_fmac_f64_e32 v[78:79], v[104:105], v[90:91]
	s_waitcnt vmcnt(6)
	v_fmac_f64_e32 v[78:79], v[106:107], v[92:93]
	s_waitcnt vmcnt(4) lgkmcnt(0)
	v_fmac_f64_e32 v[78:79], v[108:109], v[94:95]
	s_waitcnt vmcnt(2)
	v_fmac_f64_e32 v[78:79], v[82:83], v[96:97]
	ds_read_b128 v[82:85], v80 offset:384
	s_waitcnt vmcnt(0) lgkmcnt(0)
	v_fmac_f64_e32 v[78:79], v[86:87], v[82:83]
	buffer_load_dword v83, off, s[0:3], 0 offset:92
	buffer_load_dword v82, off, s[0:3], 0 offset:88
	buffer_load_dword v87, off, s[0:3], 0 offset:100
	buffer_load_dword v86, off, s[0:3], 0 offset:96
	s_waitcnt vmcnt(2)
	v_fmac_f64_e32 v[78:79], v[82:83], v[84:85]
	ds_read_b128 v[82:85], v80 offset:400
	s_waitcnt vmcnt(0) lgkmcnt(0)
	v_fmac_f64_e32 v[78:79], v[86:87], v[82:83]
	buffer_load_dword v83, off, s[0:3], 0 offset:108
	buffer_load_dword v82, off, s[0:3], 0 offset:104
	buffer_load_dword v87, off, s[0:3], 0 offset:116
	buffer_load_dword v86, off, s[0:3], 0 offset:112
	;; [unrolled: 9-line block ×12, first 2 shown]
	s_waitcnt vmcnt(2)
	v_fmac_f64_e32 v[78:79], v[82:83], v[84:85]
	ds_read_b128 v[82:85], v80 offset:576
	s_waitcnt vmcnt(0) lgkmcnt(0)
	v_fmac_f64_e32 v[78:79], v[86:87], v[82:83]
	buffer_load_dword v83, off, s[0:3], 0 offset:284
	buffer_load_dword v82, off, s[0:3], 0 offset:280
	s_waitcnt vmcnt(0)
	v_fmac_f64_e32 v[78:79], v[82:83], v[84:85]
	buffer_load_dword v83, off, s[0:3], 0 offset:292
	buffer_load_dword v82, off, s[0:3], 0 offset:288
	ds_read_b64 v[84:85], v80 offset:592
	s_waitcnt vmcnt(0) lgkmcnt(0)
	v_fmac_f64_e32 v[78:79], v[82:83], v[84:85]
	v_add_f64 v[76:77], v[76:77], -v[78:79]
	buffer_store_dword v77, off, s[0:3], 0 offset:12
	buffer_store_dword v76, off, s[0:3], 0 offset:8
	s_and_saveexec_b64 s[4:5], vcc
	s_cbranch_execz .LBB100_229
; %bb.228:
	buffer_load_dword v76, off, s[0:3], 0
	buffer_load_dword v77, off, s[0:3], 0 offset:4
	s_waitcnt vmcnt(0)
	ds_write_b64 v1, v[76:77]
	buffer_store_dword v80, off, s[0:3], 0
	buffer_store_dword v80, off, s[0:3], 0 offset:4
.LBB100_229:
	s_or_b64 exec, exec, s[4:5]
	s_waitcnt lgkmcnt(0)
	; wave barrier
	s_waitcnt lgkmcnt(0)
	buffer_load_dword v0, off, s[0:3], 0
	buffer_load_dword v1, off, s[0:3], 0 offset:4
	buffer_load_dword v82, off, s[0:3], 0 offset:8
	buffer_load_dword v83, off, s[0:3], 0 offset:12
	buffer_load_dword v84, off, s[0:3], 0 offset:16
	buffer_load_dword v85, off, s[0:3], 0 offset:20
	buffer_load_dword v86, off, s[0:3], 0 offset:24
	buffer_load_dword v87, off, s[0:3], 0 offset:28
	buffer_load_dword v88, off, s[0:3], 0 offset:32
	buffer_load_dword v89, off, s[0:3], 0 offset:36
	buffer_load_dword v90, off, s[0:3], 0 offset:40
	buffer_load_dword v91, off, s[0:3], 0 offset:44
	buffer_load_dword v92, off, s[0:3], 0 offset:48
	buffer_load_dword v93, off, s[0:3], 0 offset:52
	buffer_load_dword v94, off, s[0:3], 0 offset:56
	buffer_load_dword v95, off, s[0:3], 0 offset:60
	ds_read2_b64 v[76:79], v80 offset0:39 offset1:40
	s_and_b64 vcc, exec, s[16:17]
	s_waitcnt vmcnt(12) lgkmcnt(0)
	v_fma_f64 v[76:77], v[82:83], v[76:77], 0
	s_waitcnt vmcnt(10)
	v_fmac_f64_e32 v[76:77], v[84:85], v[78:79]
	ds_read2_b64 v[82:85], v80 offset0:41 offset1:42
	s_waitcnt vmcnt(8) lgkmcnt(0)
	v_fmac_f64_e32 v[76:77], v[86:87], v[82:83]
	s_waitcnt vmcnt(6)
	v_fmac_f64_e32 v[76:77], v[88:89], v[84:85]
	ds_read2_b64 v[82:85], v80 offset0:43 offset1:44
	s_waitcnt vmcnt(4) lgkmcnt(0)
	v_fmac_f64_e32 v[76:77], v[90:91], v[82:83]
	s_waitcnt vmcnt(2)
	v_fmac_f64_e32 v[76:77], v[92:93], v[84:85]
	ds_read2_b64 v[82:85], v80 offset0:45 offset1:46
	buffer_load_dword v79, off, s[0:3], 0 offset:68
	buffer_load_dword v78, off, s[0:3], 0 offset:64
	s_waitcnt vmcnt(2) lgkmcnt(0)
	v_fmac_f64_e32 v[76:77], v[94:95], v[82:83]
	s_waitcnt vmcnt(0)
	v_fmac_f64_e32 v[76:77], v[78:79], v[84:85]
	buffer_load_dword v79, off, s[0:3], 0 offset:76
	buffer_load_dword v78, off, s[0:3], 0 offset:72
	ds_read2_b64 v[82:85], v80 offset0:47 offset1:48
	s_waitcnt vmcnt(0) lgkmcnt(0)
	v_fmac_f64_e32 v[76:77], v[78:79], v[82:83]
	buffer_load_dword v79, off, s[0:3], 0 offset:84
	buffer_load_dword v78, off, s[0:3], 0 offset:80
	s_waitcnt vmcnt(0)
	v_fmac_f64_e32 v[76:77], v[78:79], v[84:85]
	buffer_load_dword v79, off, s[0:3], 0 offset:92
	buffer_load_dword v78, off, s[0:3], 0 offset:88
	ds_read2_b64 v[82:85], v80 offset0:49 offset1:50
	s_waitcnt vmcnt(0) lgkmcnt(0)
	v_fmac_f64_e32 v[76:77], v[78:79], v[82:83]
	buffer_load_dword v79, off, s[0:3], 0 offset:100
	buffer_load_dword v78, off, s[0:3], 0 offset:96
	;; [unrolled: 9-line block ×14, first 2 shown]
	s_waitcnt vmcnt(0)
	v_fmac_f64_e32 v[76:77], v[80:81], v[82:83]
	v_add_f64 v[0:1], v[0:1], -v[76:77]
	buffer_store_dword v1, off, s[0:3], 0 offset:4
	buffer_store_dword v0, off, s[0:3], 0
	s_cbranch_vccz .LBB100_303
; %bb.230:
	v_pk_mov_b32 v[0:1], s[10:11], s[10:11] op_sel:[0,1]
	flat_load_dword v0, v[0:1] offset:140
	s_waitcnt vmcnt(0) lgkmcnt(0)
	v_add_u32_e32 v0, -1, v0
	v_cmp_ne_u32_e32 vcc, 35, v0
	s_and_saveexec_b64 s[4:5], vcc
	s_cbranch_execz .LBB100_232
; %bb.231:
	v_mov_b32_e32 v1, 0
	v_lshl_add_u32 v0, v0, 3, v1
	buffer_load_dword v1, v0, s[0:3], 0 offen
	buffer_load_dword v76, v0, s[0:3], 0 offen offset:4
	s_waitcnt vmcnt(1)
	buffer_store_dword v1, off, s[0:3], 0 offset:280
	s_waitcnt vmcnt(1)
	buffer_store_dword v76, off, s[0:3], 0 offset:284
	buffer_store_dword v78, v0, s[0:3], 0 offen
	buffer_store_dword v79, v0, s[0:3], 0 offen offset:4
.LBB100_232:
	s_or_b64 exec, exec, s[4:5]
	v_pk_mov_b32 v[0:1], s[10:11], s[10:11] op_sel:[0,1]
	flat_load_dword v0, v[0:1] offset:136
	s_waitcnt vmcnt(0) lgkmcnt(0)
	v_add_u32_e32 v0, -1, v0
	v_cmp_ne_u32_e32 vcc, 34, v0
	s_and_saveexec_b64 s[4:5], vcc
	s_cbranch_execz .LBB100_234
; %bb.233:
	v_mov_b32_e32 v1, 0
	v_lshl_add_u32 v0, v0, 3, v1
	buffer_load_dword v1, v0, s[0:3], 0 offen
	buffer_load_dword v76, v0, s[0:3], 0 offen offset:4
	buffer_load_dword v77, off, s[0:3], 0 offset:276
	buffer_load_dword v78, off, s[0:3], 0 offset:272
	s_waitcnt vmcnt(3)
	buffer_store_dword v1, off, s[0:3], 0 offset:272
	s_waitcnt vmcnt(3)
	buffer_store_dword v76, off, s[0:3], 0 offset:276
	s_waitcnt vmcnt(3)
	buffer_store_dword v77, v0, s[0:3], 0 offen offset:4
	s_waitcnt vmcnt(3)
	buffer_store_dword v78, v0, s[0:3], 0 offen
.LBB100_234:
	s_or_b64 exec, exec, s[4:5]
	v_pk_mov_b32 v[0:1], s[10:11], s[10:11] op_sel:[0,1]
	flat_load_dword v0, v[0:1] offset:132
	s_waitcnt vmcnt(0) lgkmcnt(0)
	v_add_u32_e32 v0, -1, v0
	v_cmp_ne_u32_e32 vcc, 33, v0
	s_and_saveexec_b64 s[4:5], vcc
	s_cbranch_execz .LBB100_236
; %bb.235:
	v_mov_b32_e32 v1, 0
	v_lshl_add_u32 v0, v0, 3, v1
	buffer_load_dword v1, v0, s[0:3], 0 offen
	buffer_load_dword v76, v0, s[0:3], 0 offen offset:4
	buffer_load_dword v77, off, s[0:3], 0 offset:264
	buffer_load_dword v78, off, s[0:3], 0 offset:268
	s_waitcnt vmcnt(3)
	buffer_store_dword v1, off, s[0:3], 0 offset:264
	s_waitcnt vmcnt(3)
	buffer_store_dword v76, off, s[0:3], 0 offset:268
	s_waitcnt vmcnt(3)
	buffer_store_dword v77, v0, s[0:3], 0 offen
	s_waitcnt vmcnt(3)
	buffer_store_dword v78, v0, s[0:3], 0 offen offset:4
.LBB100_236:
	s_or_b64 exec, exec, s[4:5]
	v_pk_mov_b32 v[0:1], s[10:11], s[10:11] op_sel:[0,1]
	flat_load_dword v0, v[0:1] offset:128
	s_waitcnt vmcnt(0) lgkmcnt(0)
	v_add_u32_e32 v0, -1, v0
	v_cmp_ne_u32_e32 vcc, 32, v0
	s_and_saveexec_b64 s[4:5], vcc
	s_cbranch_execz .LBB100_238
; %bb.237:
	v_mov_b32_e32 v1, 0
	v_lshl_add_u32 v0, v0, 3, v1
	buffer_load_dword v1, v0, s[0:3], 0 offen
	buffer_load_dword v76, v0, s[0:3], 0 offen offset:4
	buffer_load_dword v77, off, s[0:3], 0 offset:260
	buffer_load_dword v78, off, s[0:3], 0 offset:256
	s_waitcnt vmcnt(3)
	buffer_store_dword v1, off, s[0:3], 0 offset:256
	s_waitcnt vmcnt(3)
	buffer_store_dword v76, off, s[0:3], 0 offset:260
	s_waitcnt vmcnt(3)
	buffer_store_dword v77, v0, s[0:3], 0 offen offset:4
	s_waitcnt vmcnt(3)
	buffer_store_dword v78, v0, s[0:3], 0 offen
.LBB100_238:
	s_or_b64 exec, exec, s[4:5]
	v_pk_mov_b32 v[0:1], s[10:11], s[10:11] op_sel:[0,1]
	flat_load_dword v0, v[0:1] offset:124
	s_waitcnt vmcnt(0) lgkmcnt(0)
	v_add_u32_e32 v0, -1, v0
	v_cmp_ne_u32_e32 vcc, 31, v0
	s_and_saveexec_b64 s[4:5], vcc
	s_cbranch_execz .LBB100_240
; %bb.239:
	v_mov_b32_e32 v1, 0
	v_lshl_add_u32 v0, v0, 3, v1
	buffer_load_dword v1, v0, s[0:3], 0 offen
	buffer_load_dword v76, v0, s[0:3], 0 offen offset:4
	buffer_load_dword v77, off, s[0:3], 0 offset:248
	buffer_load_dword v78, off, s[0:3], 0 offset:252
	s_waitcnt vmcnt(3)
	buffer_store_dword v1, off, s[0:3], 0 offset:248
	s_waitcnt vmcnt(3)
	buffer_store_dword v76, off, s[0:3], 0 offset:252
	s_waitcnt vmcnt(3)
	buffer_store_dword v77, v0, s[0:3], 0 offen
	s_waitcnt vmcnt(3)
	buffer_store_dword v78, v0, s[0:3], 0 offen offset:4
.LBB100_240:
	;; [unrolled: 48-line block ×17, first 2 shown]
	s_or_b64 exec, exec, s[4:5]
	v_pk_mov_b32 v[0:1], s[10:11], s[10:11] op_sel:[0,1]
	flat_load_dword v76, v[0:1]
	s_nop 0
	buffer_load_dword v0, off, s[0:3], 0
	buffer_load_dword v1, off, s[0:3], 0 offset:4
	s_waitcnt vmcnt(0) lgkmcnt(0)
	v_add_u32_e32 v76, -1, v76
	v_cmp_ne_u32_e32 vcc, 0, v76
	s_and_saveexec_b64 s[4:5], vcc
	s_cbranch_execz .LBB100_302
; %bb.301:
	v_mov_b32_e32 v77, 0
	v_lshl_add_u32 v76, v76, 3, v77
	buffer_load_dword v77, v76, s[0:3], 0 offen offset:4
	buffer_load_dword v78, v76, s[0:3], 0 offen
	s_waitcnt vmcnt(1)
	buffer_store_dword v77, off, s[0:3], 0 offset:4
	s_waitcnt vmcnt(1)
	buffer_store_dword v78, off, s[0:3], 0
	buffer_store_dword v1, v76, s[0:3], 0 offen offset:4
	buffer_store_dword v0, v76, s[0:3], 0 offen
	buffer_load_dword v0, off, s[0:3], 0
	s_nop 0
	buffer_load_dword v1, off, s[0:3], 0 offset:4
.LBB100_302:
	s_or_b64 exec, exec, s[4:5]
.LBB100_303:
	s_waitcnt vmcnt(0)
	global_store_dwordx2 v[74:75], v[0:1], off
	buffer_load_dword v0, off, s[0:3], 0 offset:8
	s_nop 0
	buffer_load_dword v1, off, s[0:3], 0 offset:12
	buffer_load_dword v74, off, s[0:3], 0 offset:16
	;; [unrolled: 1-line block ×15, first 2 shown]
	s_waitcnt vmcnt(14)
	global_store_dwordx2 v[72:73], v[0:1], off
	s_waitcnt vmcnt(13)
	global_store_dwordx2 v[2:3], v[74:75], off
	;; [unrolled: 2-line block ×8, first 2 shown]
	buffer_load_dword v0, off, s[0:3], 0 offset:72
	buffer_load_dword v1, off, s[0:3], 0 offset:76
	s_waitcnt vmcnt(0)
	global_store_dwordx2 v[14:15], v[0:1], off
	buffer_load_dword v0, off, s[0:3], 0 offset:80
	s_nop 0
	buffer_load_dword v1, off, s[0:3], 0 offset:84
	s_waitcnt vmcnt(0)
	global_store_dwordx2 v[16:17], v[0:1], off
	buffer_load_dword v0, off, s[0:3], 0 offset:88
	s_nop 0
	;; [unrolled: 5-line block ×27, first 2 shown]
	buffer_load_dword v1, off, s[0:3], 0 offset:292
	s_waitcnt vmcnt(0)
	global_store_dwordx2 v[54:55], v[0:1], off
	s_endpgm
	.section	.rodata,"a",@progbits
	.p2align	6, 0x0
	.amdhsa_kernel _ZN9rocsolver6v33100L18getri_kernel_smallILi37EdPKPdEEvT1_iilPiilS6_bb
		.amdhsa_group_segment_fixed_size 600
		.amdhsa_private_segment_fixed_size 304
		.amdhsa_kernarg_size 60
		.amdhsa_user_sgpr_count 8
		.amdhsa_user_sgpr_private_segment_buffer 1
		.amdhsa_user_sgpr_dispatch_ptr 0
		.amdhsa_user_sgpr_queue_ptr 0
		.amdhsa_user_sgpr_kernarg_segment_ptr 1
		.amdhsa_user_sgpr_dispatch_id 0
		.amdhsa_user_sgpr_flat_scratch_init 1
		.amdhsa_user_sgpr_kernarg_preload_length 0
		.amdhsa_user_sgpr_kernarg_preload_offset 0
		.amdhsa_user_sgpr_private_segment_size 0
		.amdhsa_uses_dynamic_stack 0
		.amdhsa_system_sgpr_private_segment_wavefront_offset 1
		.amdhsa_system_sgpr_workgroup_id_x 1
		.amdhsa_system_sgpr_workgroup_id_y 0
		.amdhsa_system_sgpr_workgroup_id_z 0
		.amdhsa_system_sgpr_workgroup_info 0
		.amdhsa_system_vgpr_workitem_id 0
		.amdhsa_next_free_vgpr 128
		.amdhsa_next_free_sgpr 22
		.amdhsa_accum_offset 128
		.amdhsa_reserve_vcc 1
		.amdhsa_reserve_flat_scratch 1
		.amdhsa_float_round_mode_32 0
		.amdhsa_float_round_mode_16_64 0
		.amdhsa_float_denorm_mode_32 3
		.amdhsa_float_denorm_mode_16_64 3
		.amdhsa_dx10_clamp 1
		.amdhsa_ieee_mode 1
		.amdhsa_fp16_overflow 0
		.amdhsa_tg_split 0
		.amdhsa_exception_fp_ieee_invalid_op 0
		.amdhsa_exception_fp_denorm_src 0
		.amdhsa_exception_fp_ieee_div_zero 0
		.amdhsa_exception_fp_ieee_overflow 0
		.amdhsa_exception_fp_ieee_underflow 0
		.amdhsa_exception_fp_ieee_inexact 0
		.amdhsa_exception_int_div_zero 0
	.end_amdhsa_kernel
	.section	.text._ZN9rocsolver6v33100L18getri_kernel_smallILi37EdPKPdEEvT1_iilPiilS6_bb,"axG",@progbits,_ZN9rocsolver6v33100L18getri_kernel_smallILi37EdPKPdEEvT1_iilPiilS6_bb,comdat
.Lfunc_end100:
	.size	_ZN9rocsolver6v33100L18getri_kernel_smallILi37EdPKPdEEvT1_iilPiilS6_bb, .Lfunc_end100-_ZN9rocsolver6v33100L18getri_kernel_smallILi37EdPKPdEEvT1_iilPiilS6_bb
                                        ; -- End function
	.section	.AMDGPU.csdata,"",@progbits
; Kernel info:
; codeLenInByte = 38112
; NumSgprs: 28
; NumVgprs: 128
; NumAgprs: 0
; TotalNumVgprs: 128
; ScratchSize: 304
; MemoryBound: 0
; FloatMode: 240
; IeeeMode: 1
; LDSByteSize: 600 bytes/workgroup (compile time only)
; SGPRBlocks: 3
; VGPRBlocks: 15
; NumSGPRsForWavesPerEU: 28
; NumVGPRsForWavesPerEU: 128
; AccumOffset: 128
; Occupancy: 4
; WaveLimiterHint : 1
; COMPUTE_PGM_RSRC2:SCRATCH_EN: 1
; COMPUTE_PGM_RSRC2:USER_SGPR: 8
; COMPUTE_PGM_RSRC2:TRAP_HANDLER: 0
; COMPUTE_PGM_RSRC2:TGID_X_EN: 1
; COMPUTE_PGM_RSRC2:TGID_Y_EN: 0
; COMPUTE_PGM_RSRC2:TGID_Z_EN: 0
; COMPUTE_PGM_RSRC2:TIDIG_COMP_CNT: 0
; COMPUTE_PGM_RSRC3_GFX90A:ACCUM_OFFSET: 31
; COMPUTE_PGM_RSRC3_GFX90A:TG_SPLIT: 0
	.section	.text._ZN9rocsolver6v33100L18getri_kernel_smallILi38EdPKPdEEvT1_iilPiilS6_bb,"axG",@progbits,_ZN9rocsolver6v33100L18getri_kernel_smallILi38EdPKPdEEvT1_iilPiilS6_bb,comdat
	.globl	_ZN9rocsolver6v33100L18getri_kernel_smallILi38EdPKPdEEvT1_iilPiilS6_bb ; -- Begin function _ZN9rocsolver6v33100L18getri_kernel_smallILi38EdPKPdEEvT1_iilPiilS6_bb
	.p2align	8
	.type	_ZN9rocsolver6v33100L18getri_kernel_smallILi38EdPKPdEEvT1_iilPiilS6_bb,@function
_ZN9rocsolver6v33100L18getri_kernel_smallILi38EdPKPdEEvT1_iilPiilS6_bb: ; @_ZN9rocsolver6v33100L18getri_kernel_smallILi38EdPKPdEEvT1_iilPiilS6_bb
; %bb.0:
	s_add_u32 flat_scratch_lo, s6, s9
	s_addc_u32 flat_scratch_hi, s7, 0
	s_add_u32 s0, s0, s9
	s_addc_u32 s1, s1, 0
	v_cmp_gt_u32_e32 vcc, 38, v0
	s_and_saveexec_b64 s[6:7], vcc
	s_cbranch_execz .LBB101_160
; %bb.1:
	s_load_dword s18, s[4:5], 0x38
	s_load_dwordx2 s[6:7], s[4:5], 0x0
	s_load_dwordx4 s[12:15], s[4:5], 0x28
	s_waitcnt lgkmcnt(0)
	s_bitcmp1_b32 s18, 8
	s_cselect_b64 s[16:17], -1, 0
	s_ashr_i32 s9, s8, 31
	s_lshl_b64 s[10:11], s[8:9], 3
	s_add_u32 s6, s6, s10
	s_addc_u32 s7, s7, s11
	s_load_dwordx2 s[6:7], s[6:7], 0x0
	s_bfe_u32 s10, s18, 0x10008
	s_cmp_eq_u32 s10, 0
                                        ; implicit-def: $sgpr10_sgpr11
	s_cbranch_scc1 .LBB101_3
; %bb.2:
	s_load_dword s10, s[4:5], 0x20
	s_load_dwordx2 s[20:21], s[4:5], 0x18
	s_mul_i32 s11, s8, s13
	s_mul_hi_u32 s13, s8, s12
	s_add_i32 s13, s13, s11
	s_mul_i32 s19, s9, s12
	s_add_i32 s13, s13, s19
	s_mul_i32 s12, s8, s12
	s_waitcnt lgkmcnt(0)
	s_ashr_i32 s11, s10, 31
	s_lshl_b64 s[12:13], s[12:13], 2
	s_add_u32 s12, s20, s12
	s_addc_u32 s13, s21, s13
	s_lshl_b64 s[10:11], s[10:11], 2
	s_add_u32 s10, s12, s10
	s_addc_u32 s11, s13, s11
.LBB101_3:
	s_load_dwordx2 s[4:5], s[4:5], 0x8
	s_waitcnt lgkmcnt(0)
	s_ashr_i32 s13, s4, 31
	s_mov_b32 s12, s4
	s_lshl_b64 s[12:13], s[12:13], 3
	s_add_u32 s6, s6, s12
	s_addc_u32 s7, s7, s13
	s_add_i32 s4, s5, s5
	v_add_u32_e32 v4, s4, v0
	v_ashrrev_i32_e32 v5, 31, v4
	v_lshlrev_b64 v[2:3], 3, v[4:5]
	v_add_u32_e32 v6, s5, v4
	v_mov_b32_e32 v1, s7
	v_add_co_u32_e32 v2, vcc, s6, v2
	v_ashrrev_i32_e32 v7, 31, v6
	v_addc_co_u32_e32 v3, vcc, v1, v3, vcc
	v_lshlrev_b64 v[4:5], 3, v[6:7]
	v_add_u32_e32 v8, s5, v6
	v_add_co_u32_e32 v4, vcc, s6, v4
	v_ashrrev_i32_e32 v9, 31, v8
	v_addc_co_u32_e32 v5, vcc, v1, v5, vcc
	v_lshlrev_b64 v[6:7], 3, v[8:9]
	v_add_u32_e32 v10, s5, v8
	;; [unrolled: 5-line block ×5, first 2 shown]
	v_add_co_u32_e32 v12, vcc, s6, v12
	v_ashrrev_i32_e32 v15, 31, v14
	v_addc_co_u32_e32 v13, vcc, v1, v13, vcc
	v_lshlrev_b64 v[16:17], 3, v[14:15]
	v_add_co_u32_e32 v18, vcc, s6, v16
	v_add_u32_e32 v16, s5, v14
	v_addc_co_u32_e32 v19, vcc, v1, v17, vcc
	v_ashrrev_i32_e32 v17, 31, v16
	v_lshlrev_b64 v[14:15], 3, v[16:17]
	v_add_u32_e32 v20, s5, v16
	v_add_co_u32_e32 v14, vcc, s6, v14
	v_ashrrev_i32_e32 v21, 31, v20
	v_addc_co_u32_e32 v15, vcc, v1, v15, vcc
	v_lshlrev_b64 v[16:17], 3, v[20:21]
	v_add_u32_e32 v22, s5, v20
	v_add_co_u32_e32 v16, vcc, s6, v16
	v_ashrrev_i32_e32 v23, 31, v22
	v_addc_co_u32_e32 v17, vcc, v1, v17, vcc
	;; [unrolled: 5-line block ×20, first 2 shown]
	v_lshlrev_b64 v[56:57], 3, v[58:59]
	v_add_co_u32_e32 v56, vcc, s6, v56
	v_addc_co_u32_e32 v57, vcc, v1, v57, vcc
	v_lshlrev_b32_e32 v1, 3, v0
	v_mov_b32_e32 v59, s7
	v_add_co_u32_e32 v76, vcc, s6, v1
	s_ashr_i32 s13, s5, 31
	s_mov_b32 s12, s5
	v_addc_co_u32_e32 v77, vcc, 0, v59, vcc
	s_lshl_b64 s[12:13], s[12:13], 3
	v_mov_b32_e32 v59, s13
	v_add_co_u32_e32 v74, vcc, s12, v76
	global_load_dwordx2 v[78:79], v1, s[6:7]
	global_load_dwordx2 v[82:83], v[2:3], off
	global_load_dwordx2 v[84:85], v[4:5], off
	v_addc_co_u32_e32 v75, vcc, v77, v59, vcc
	global_load_dwordx2 v[80:81], v[74:75], off
	global_load_dwordx2 v[86:87], v[6:7], off
	;; [unrolled: 1-line block ×12, first 2 shown]
	v_add_u32_e32 v58, s5, v58
	v_ashrrev_i32_e32 v59, 31, v58
	v_lshlrev_b64 v[60:61], 3, v[58:59]
	v_add_u32_e32 v58, s5, v58
	v_mov_b32_e32 v62, s7
	v_add_co_u32_e32 v60, vcc, s6, v60
	v_ashrrev_i32_e32 v59, 31, v58
	v_addc_co_u32_e32 v61, vcc, v62, v61, vcc
	v_lshlrev_b64 v[62:63], 3, v[58:59]
	v_add_u32_e32 v58, s5, v58
	v_mov_b32_e32 v64, s7
	v_add_co_u32_e32 v62, vcc, s6, v62
	v_ashrrev_i32_e32 v59, 31, v58
	v_addc_co_u32_e32 v63, vcc, v64, v63, vcc
	;; [unrolled: 6-line block ×7, first 2 shown]
	v_lshlrev_b64 v[58:59], 3, v[58:59]
	v_add_co_u32_e32 v58, vcc, s6, v58
	v_addc_co_u32_e32 v59, vcc, v108, v59, vcc
	global_load_dwordx2 v[108:109], v[58:59], off
	s_waitcnt vmcnt(15)
	buffer_store_dword v79, off, s[0:3], 0 offset:4
	buffer_store_dword v78, off, s[0:3], 0
	s_waitcnt vmcnt(14)
	buffer_store_dword v81, off, s[0:3], 0 offset:12
	buffer_store_dword v80, off, s[0:3], 0 offset:8
	;; [unrolled: 1-line block ×6, first 2 shown]
	s_waitcnt vmcnt(19)
	buffer_store_dword v87, off, s[0:3], 0 offset:36
	global_load_dwordx2 v[78:79], v[28:29], off
	global_load_dwordx2 v[80:81], v[30:31], off
	;; [unrolled: 1-line block ×11, first 2 shown]
	s_bitcmp0_b32 s18, 0
	buffer_store_dword v86, off, s[0:3], 0 offset:32
	global_load_dwordx2 v[86:87], v[36:37], off
	s_mov_b64 s[6:7], -1
	s_waitcnt vmcnt(32)
	buffer_store_dword v89, off, s[0:3], 0 offset:44
	buffer_store_dword v88, off, s[0:3], 0 offset:40
	global_load_dwordx2 v[88:89], v[38:39], off
	s_waitcnt vmcnt(34)
	buffer_store_dword v91, off, s[0:3], 0 offset:52
	buffer_store_dword v90, off, s[0:3], 0 offset:48
	global_load_dwordx2 v[90:91], v[40:41], off
	;; [unrolled: 4-line block ×4, first 2 shown]
	s_nop 0
	buffer_store_dword v96, off, s[0:3], 0 offset:72
	buffer_store_dword v97, off, s[0:3], 0 offset:76
	global_load_dwordx2 v[96:97], v[50:51], off
	s_nop 0
	buffer_store_dword v98, off, s[0:3], 0 offset:80
	buffer_store_dword v99, off, s[0:3], 0 offset:84
	global_load_dwordx2 v[98:99], v[54:55], off
	s_waitcnt vmcnt(44)
	buffer_store_dword v100, off, s[0:3], 0 offset:88
	buffer_store_dword v101, off, s[0:3], 0 offset:92
	global_load_dwordx2 v[100:101], v[60:61], off
	s_waitcnt vmcnt(46)
	;; [unrolled: 4-line block ×5, first 2 shown]
	buffer_store_dword v78, off, s[0:3], 0 offset:120
	buffer_store_dword v79, off, s[0:3], 0 offset:124
	s_waitcnt vmcnt(43)
	buffer_store_dword v80, off, s[0:3], 0 offset:128
	buffer_store_dword v81, off, s[0:3], 0 offset:132
	s_waitcnt vmcnt(44)
	;; [unrolled: 3-line block ×7, first 2 shown]
	buffer_store_dword v92, off, s[0:3], 0 offset:176
	buffer_store_dword v93, off, s[0:3], 0 offset:180
	buffer_store_dword v110, off, s[0:3], 0 offset:184
	buffer_store_dword v111, off, s[0:3], 0 offset:188
	s_waitcnt vmcnt(36)
	buffer_store_dword v94, off, s[0:3], 0 offset:192
	buffer_store_dword v95, off, s[0:3], 0 offset:196
	buffer_store_dword v113, off, s[0:3], 0 offset:204
	buffer_store_dword v112, off, s[0:3], 0 offset:200
	s_waitcnt vmcnt(37)
	;; [unrolled: 5-line block ×7, first 2 shown]
	buffer_store_dword v106, off, s[0:3], 0 offset:288
	buffer_store_dword v107, off, s[0:3], 0 offset:292
	;; [unrolled: 1-line block ×4, first 2 shown]
	s_cbranch_scc1 .LBB101_158
; %bb.4:
	v_cmp_eq_u32_e64 s[4:5], 0, v0
	s_and_saveexec_b64 s[6:7], s[4:5]
	s_cbranch_execz .LBB101_6
; %bb.5:
	v_mov_b32_e32 v78, 0
	ds_write_b32 v78, v78 offset:608
.LBB101_6:
	s_or_b64 exec, exec, s[6:7]
	v_mov_b32_e32 v78, 0
	v_lshl_add_u32 v78, v0, 3, v78
	s_waitcnt lgkmcnt(0)
	; wave barrier
	s_waitcnt lgkmcnt(0)
	buffer_load_dword v80, v78, s[0:3], 0 offen
	buffer_load_dword v81, v78, s[0:3], 0 offen offset:4
	s_waitcnt vmcnt(0)
	v_cmp_eq_f64_e32 vcc, 0, v[80:81]
	s_and_saveexec_b64 s[12:13], vcc
	s_cbranch_execz .LBB101_10
; %bb.7:
	v_mov_b32_e32 v79, 0
	ds_read_b32 v81, v79 offset:608
	v_add_u32_e32 v80, 1, v0
	s_waitcnt lgkmcnt(0)
	v_readfirstlane_b32 s6, v81
	s_cmp_eq_u32 s6, 0
	s_cselect_b64 s[18:19], -1, 0
	v_cmp_gt_i32_e32 vcc, s6, v80
	s_or_b64 s[18:19], s[18:19], vcc
	s_and_b64 exec, exec, s[18:19]
	s_cbranch_execz .LBB101_10
; %bb.8:
	s_mov_b64 s[18:19], 0
	v_mov_b32_e32 v81, s6
.LBB101_9:                              ; =>This Inner Loop Header: Depth=1
	ds_cmpst_rtn_b32 v81, v79, v81, v80 offset:608
	s_waitcnt lgkmcnt(0)
	v_cmp_ne_u32_e32 vcc, 0, v81
	v_cmp_le_i32_e64 s[6:7], v81, v80
	s_and_b64 s[6:7], vcc, s[6:7]
	s_and_b64 s[6:7], exec, s[6:7]
	s_or_b64 s[18:19], s[6:7], s[18:19]
	s_andn2_b64 exec, exec, s[18:19]
	s_cbranch_execnz .LBB101_9
.LBB101_10:
	s_or_b64 exec, exec, s[12:13]
	v_mov_b32_e32 v80, 0
	s_waitcnt lgkmcnt(0)
	; wave barrier
	ds_read_b32 v79, v80 offset:608
	s_and_saveexec_b64 s[6:7], s[4:5]
	s_cbranch_execz .LBB101_12
; %bb.11:
	s_lshl_b64 s[12:13], s[8:9], 2
	s_add_u32 s12, s14, s12
	s_addc_u32 s13, s15, s13
	s_waitcnt lgkmcnt(0)
	global_store_dword v80, v79, s[12:13]
.LBB101_12:
	s_or_b64 exec, exec, s[6:7]
	s_waitcnt lgkmcnt(0)
	v_cmp_ne_u32_e32 vcc, 0, v79
	s_mov_b64 s[6:7], 0
	s_cbranch_vccnz .LBB101_158
; %bb.13:
	buffer_load_dword v80, v78, s[0:3], 0 offen
	buffer_load_dword v81, v78, s[0:3], 0 offen offset:4
	s_waitcnt vmcnt(0)
	v_div_scale_f64 v[82:83], s[6:7], v[80:81], v[80:81], 1.0
	v_rcp_f64_e32 v[84:85], v[82:83]
	v_div_scale_f64 v[86:87], vcc, 1.0, v[80:81], 1.0
	v_fma_f64 v[88:89], -v[82:83], v[84:85], 1.0
	v_fmac_f64_e32 v[84:85], v[84:85], v[88:89]
	v_fma_f64 v[88:89], -v[82:83], v[84:85], 1.0
	v_fmac_f64_e32 v[84:85], v[84:85], v[88:89]
	v_mul_f64 v[88:89], v[86:87], v[84:85]
	v_fma_f64 v[82:83], -v[82:83], v[88:89], v[86:87]
	v_div_fmas_f64 v[82:83], v[82:83], v[84:85], v[88:89]
	v_div_fixup_f64 v[82:83], v[82:83], v[80:81], 1.0
	buffer_store_dword v83, v78, s[0:3], 0 offen offset:4
	buffer_store_dword v82, v78, s[0:3], 0 offen
	buffer_load_dword v85, off, s[0:3], 0 offset:12
	buffer_load_dword v84, off, s[0:3], 0 offset:8
	v_add_u32_e32 v80, 0x130, v1
	v_xor_b32_e32 v83, 0x80000000, v83
	s_waitcnt vmcnt(0)
	ds_write2_b64 v1, v[82:83], v[84:85] offset1:38
	s_waitcnt lgkmcnt(0)
	; wave barrier
	s_waitcnt lgkmcnt(0)
	s_and_saveexec_b64 s[6:7], s[4:5]
	s_cbranch_execz .LBB101_15
; %bb.14:
	buffer_load_dword v82, v78, s[0:3], 0 offen
	buffer_load_dword v83, v78, s[0:3], 0 offen offset:4
	v_mov_b32_e32 v79, 0
	ds_read_b64 v[84:85], v80
	ds_read_b64 v[86:87], v79 offset:8
	s_waitcnt vmcnt(0) lgkmcnt(1)
	v_fma_f64 v[82:83], v[82:83], v[84:85], 0
	s_waitcnt lgkmcnt(0)
	v_mul_f64 v[82:83], v[82:83], v[86:87]
	buffer_store_dword v82, off, s[0:3], 0 offset:8
	buffer_store_dword v83, off, s[0:3], 0 offset:12
.LBB101_15:
	s_or_b64 exec, exec, s[6:7]
	s_waitcnt lgkmcnt(0)
	; wave barrier
	buffer_load_dword v82, off, s[0:3], 0 offset:16
	buffer_load_dword v83, off, s[0:3], 0 offset:20
	v_cmp_gt_u32_e32 vcc, 2, v0
	s_waitcnt vmcnt(0)
	ds_write_b64 v80, v[82:83]
	s_waitcnt lgkmcnt(0)
	; wave barrier
	s_waitcnt lgkmcnt(0)
	s_and_saveexec_b64 s[6:7], vcc
	s_cbranch_execz .LBB101_17
; %bb.16:
	buffer_load_dword v79, v78, s[0:3], 0 offen offset:4
	buffer_load_dword v86, off, s[0:3], 0 offset:8
	s_nop 0
	buffer_load_dword v78, v78, s[0:3], 0 offen
	s_nop 0
	buffer_load_dword v87, off, s[0:3], 0 offset:12
	ds_read_b64 v[88:89], v80
	v_mov_b32_e32 v81, 0
	ds_read2_b64 v[82:85], v81 offset0:2 offset1:39
	s_waitcnt vmcnt(1) lgkmcnt(1)
	v_fma_f64 v[78:79], v[78:79], v[88:89], 0
	s_waitcnt vmcnt(0) lgkmcnt(0)
	v_fma_f64 v[84:85], v[86:87], v[84:85], v[78:79]
	v_cndmask_b32_e64 v79, v79, v85, s[4:5]
	v_cndmask_b32_e64 v78, v78, v84, s[4:5]
	v_mul_f64 v[78:79], v[78:79], v[82:83]
	buffer_store_dword v79, off, s[0:3], 0 offset:20
	buffer_store_dword v78, off, s[0:3], 0 offset:16
.LBB101_17:
	s_or_b64 exec, exec, s[6:7]
	s_waitcnt lgkmcnt(0)
	; wave barrier
	buffer_load_dword v78, off, s[0:3], 0 offset:24
	buffer_load_dword v79, off, s[0:3], 0 offset:28
	v_cmp_gt_u32_e32 vcc, 3, v0
	v_add_u32_e32 v81, -1, v0
	s_waitcnt vmcnt(0)
	ds_write_b64 v80, v[78:79]
	s_waitcnt lgkmcnt(0)
	; wave barrier
	s_waitcnt lgkmcnt(0)
	s_and_saveexec_b64 s[4:5], vcc
	s_cbranch_execz .LBB101_21
; %bb.18:
	v_add_u32_e32 v82, -1, v0
	v_add_u32_e32 v83, 0x130, v1
	v_add_u32_e32 v84, 0, v1
	s_mov_b64 s[6:7], 0
	v_pk_mov_b32 v[78:79], 0, 0
.LBB101_19:                             ; =>This Inner Loop Header: Depth=1
	buffer_load_dword v86, v84, s[0:3], 0 offen
	buffer_load_dword v87, v84, s[0:3], 0 offen offset:4
	ds_read_b64 v[88:89], v83
	v_add_u32_e32 v82, 1, v82
	v_cmp_lt_u32_e32 vcc, 1, v82
	v_add_u32_e32 v83, 8, v83
	v_add_u32_e32 v84, 8, v84
	s_or_b64 s[6:7], vcc, s[6:7]
	s_waitcnt vmcnt(0) lgkmcnt(0)
	v_fmac_f64_e32 v[78:79], v[86:87], v[88:89]
	s_andn2_b64 exec, exec, s[6:7]
	s_cbranch_execnz .LBB101_19
; %bb.20:
	s_or_b64 exec, exec, s[6:7]
	v_mov_b32_e32 v82, 0
	ds_read_b64 v[82:83], v82 offset:24
	s_waitcnt lgkmcnt(0)
	v_mul_f64 v[78:79], v[78:79], v[82:83]
	buffer_store_dword v79, off, s[0:3], 0 offset:28
	buffer_store_dword v78, off, s[0:3], 0 offset:24
.LBB101_21:
	s_or_b64 exec, exec, s[4:5]
	s_waitcnt lgkmcnt(0)
	; wave barrier
	buffer_load_dword v78, off, s[0:3], 0 offset:32
	buffer_load_dword v79, off, s[0:3], 0 offset:36
	v_cmp_gt_u32_e32 vcc, 4, v0
	s_waitcnt vmcnt(0)
	ds_write_b64 v80, v[78:79]
	s_waitcnt lgkmcnt(0)
	; wave barrier
	s_waitcnt lgkmcnt(0)
	s_and_saveexec_b64 s[4:5], vcc
	s_cbranch_execz .LBB101_25
; %bb.22:
	v_add_u32_e32 v82, -1, v0
	v_add_u32_e32 v83, 0x130, v1
	v_add_u32_e32 v84, 0, v1
	s_mov_b64 s[6:7], 0
	v_pk_mov_b32 v[78:79], 0, 0
.LBB101_23:                             ; =>This Inner Loop Header: Depth=1
	buffer_load_dword v86, v84, s[0:3], 0 offen
	buffer_load_dword v87, v84, s[0:3], 0 offen offset:4
	ds_read_b64 v[88:89], v83
	v_add_u32_e32 v82, 1, v82
	v_cmp_lt_u32_e32 vcc, 2, v82
	v_add_u32_e32 v83, 8, v83
	v_add_u32_e32 v84, 8, v84
	s_or_b64 s[6:7], vcc, s[6:7]
	s_waitcnt vmcnt(0) lgkmcnt(0)
	v_fmac_f64_e32 v[78:79], v[86:87], v[88:89]
	s_andn2_b64 exec, exec, s[6:7]
	s_cbranch_execnz .LBB101_23
; %bb.24:
	s_or_b64 exec, exec, s[6:7]
	v_mov_b32_e32 v82, 0
	ds_read_b64 v[82:83], v82 offset:32
	s_waitcnt lgkmcnt(0)
	v_mul_f64 v[78:79], v[78:79], v[82:83]
	buffer_store_dword v79, off, s[0:3], 0 offset:36
	buffer_store_dword v78, off, s[0:3], 0 offset:32
.LBB101_25:
	s_or_b64 exec, exec, s[4:5]
	s_waitcnt lgkmcnt(0)
	; wave barrier
	buffer_load_dword v78, off, s[0:3], 0 offset:40
	buffer_load_dword v79, off, s[0:3], 0 offset:44
	v_cmp_gt_u32_e32 vcc, 5, v0
	;; [unrolled: 41-line block ×21, first 2 shown]
	s_waitcnt vmcnt(0)
	ds_write_b64 v80, v[78:79]
	s_waitcnt lgkmcnt(0)
	; wave barrier
	s_waitcnt lgkmcnt(0)
	s_and_saveexec_b64 s[4:5], vcc
	s_cbranch_execz .LBB101_105
; %bb.102:
	v_add_u32_e32 v82, -1, v0
	v_add_u32_e32 v83, 0x130, v1
	v_add_u32_e32 v84, 0, v1
	s_mov_b64 s[6:7], 0
	v_pk_mov_b32 v[78:79], 0, 0
.LBB101_103:                            ; =>This Inner Loop Header: Depth=1
	buffer_load_dword v86, v84, s[0:3], 0 offen
	buffer_load_dword v87, v84, s[0:3], 0 offen offset:4
	ds_read_b64 v[88:89], v83
	v_add_u32_e32 v82, 1, v82
	v_cmp_lt_u32_e32 vcc, 22, v82
	v_add_u32_e32 v83, 8, v83
	v_add_u32_e32 v84, 8, v84
	s_or_b64 s[6:7], vcc, s[6:7]
	s_waitcnt vmcnt(0) lgkmcnt(0)
	v_fmac_f64_e32 v[78:79], v[86:87], v[88:89]
	s_andn2_b64 exec, exec, s[6:7]
	s_cbranch_execnz .LBB101_103
; %bb.104:
	s_or_b64 exec, exec, s[6:7]
	v_mov_b32_e32 v82, 0
	ds_read_b64 v[82:83], v82 offset:192
	s_waitcnt lgkmcnt(0)
	v_mul_f64 v[78:79], v[78:79], v[82:83]
	buffer_store_dword v79, off, s[0:3], 0 offset:196
	buffer_store_dword v78, off, s[0:3], 0 offset:192
.LBB101_105:
	s_or_b64 exec, exec, s[4:5]
	s_waitcnt lgkmcnt(0)
	; wave barrier
	buffer_load_dword v78, off, s[0:3], 0 offset:200
	buffer_load_dword v79, off, s[0:3], 0 offset:204
	v_cmp_gt_u32_e32 vcc, 25, v0
	s_waitcnt vmcnt(0)
	ds_write_b64 v80, v[78:79]
	s_waitcnt lgkmcnt(0)
	; wave barrier
	s_waitcnt lgkmcnt(0)
	s_and_saveexec_b64 s[4:5], vcc
	s_cbranch_execz .LBB101_109
; %bb.106:
	v_add_u32_e32 v82, -1, v0
	v_add_u32_e32 v83, 0x130, v1
	v_add_u32_e32 v84, 0, v1
	s_mov_b64 s[6:7], 0
	v_pk_mov_b32 v[78:79], 0, 0
.LBB101_107:                            ; =>This Inner Loop Header: Depth=1
	buffer_load_dword v86, v84, s[0:3], 0 offen
	buffer_load_dword v87, v84, s[0:3], 0 offen offset:4
	ds_read_b64 v[88:89], v83
	v_add_u32_e32 v82, 1, v82
	v_cmp_lt_u32_e32 vcc, 23, v82
	v_add_u32_e32 v83, 8, v83
	v_add_u32_e32 v84, 8, v84
	s_or_b64 s[6:7], vcc, s[6:7]
	s_waitcnt vmcnt(0) lgkmcnt(0)
	v_fmac_f64_e32 v[78:79], v[86:87], v[88:89]
	s_andn2_b64 exec, exec, s[6:7]
	s_cbranch_execnz .LBB101_107
; %bb.108:
	s_or_b64 exec, exec, s[6:7]
	v_mov_b32_e32 v82, 0
	ds_read_b64 v[82:83], v82 offset:200
	s_waitcnt lgkmcnt(0)
	v_mul_f64 v[78:79], v[78:79], v[82:83]
	buffer_store_dword v79, off, s[0:3], 0 offset:204
	buffer_store_dword v78, off, s[0:3], 0 offset:200
.LBB101_109:
	s_or_b64 exec, exec, s[4:5]
	s_waitcnt lgkmcnt(0)
	; wave barrier
	buffer_load_dword v78, off, s[0:3], 0 offset:208
	buffer_load_dword v79, off, s[0:3], 0 offset:212
	v_cmp_gt_u32_e32 vcc, 26, v0
	;; [unrolled: 41-line block ×12, first 2 shown]
	s_waitcnt vmcnt(0)
	ds_write_b64 v80, v[78:79]
	s_waitcnt lgkmcnt(0)
	; wave barrier
	s_waitcnt lgkmcnt(0)
	s_and_saveexec_b64 s[4:5], vcc
	s_cbranch_execz .LBB101_153
; %bb.150:
	v_add_u32_e32 v82, -1, v0
	v_add_u32_e32 v83, 0x130, v1
	v_add_u32_e32 v84, 0, v1
	s_mov_b64 s[6:7], 0
	v_pk_mov_b32 v[78:79], 0, 0
.LBB101_151:                            ; =>This Inner Loop Header: Depth=1
	buffer_load_dword v86, v84, s[0:3], 0 offen
	buffer_load_dword v87, v84, s[0:3], 0 offen offset:4
	ds_read_b64 v[88:89], v83
	v_add_u32_e32 v82, 1, v82
	v_cmp_lt_u32_e32 vcc, 34, v82
	v_add_u32_e32 v83, 8, v83
	v_add_u32_e32 v84, 8, v84
	s_or_b64 s[6:7], vcc, s[6:7]
	s_waitcnt vmcnt(0) lgkmcnt(0)
	v_fmac_f64_e32 v[78:79], v[86:87], v[88:89]
	s_andn2_b64 exec, exec, s[6:7]
	s_cbranch_execnz .LBB101_151
; %bb.152:
	s_or_b64 exec, exec, s[6:7]
	v_mov_b32_e32 v82, 0
	ds_read_b64 v[82:83], v82 offset:288
	s_waitcnt lgkmcnt(0)
	v_mul_f64 v[78:79], v[78:79], v[82:83]
	buffer_store_dword v79, off, s[0:3], 0 offset:292
	buffer_store_dword v78, off, s[0:3], 0 offset:288
.LBB101_153:
	s_or_b64 exec, exec, s[4:5]
	s_waitcnt lgkmcnt(0)
	; wave barrier
	buffer_load_dword v78, off, s[0:3], 0 offset:296
	buffer_load_dword v79, off, s[0:3], 0 offset:300
	v_cmp_ne_u32_e32 vcc, 37, v0
	s_waitcnt vmcnt(0)
	ds_write_b64 v80, v[78:79]
	s_waitcnt lgkmcnt(0)
	; wave barrier
	s_waitcnt lgkmcnt(0)
	s_and_saveexec_b64 s[4:5], vcc
	s_cbranch_execz .LBB101_157
; %bb.154:
	v_add_u32_e32 v80, 0x130, v1
	v_add_u32_e32 v1, 0, v1
	s_mov_b64 s[6:7], 0
	v_pk_mov_b32 v[78:79], 0, 0
.LBB101_155:                            ; =>This Inner Loop Header: Depth=1
	buffer_load_dword v82, v1, s[0:3], 0 offen
	buffer_load_dword v83, v1, s[0:3], 0 offen offset:4
	ds_read_b64 v[84:85], v80
	v_add_u32_e32 v81, 1, v81
	v_cmp_lt_u32_e32 vcc, 35, v81
	v_add_u32_e32 v80, 8, v80
	v_add_u32_e32 v1, 8, v1
	s_or_b64 s[6:7], vcc, s[6:7]
	s_waitcnt vmcnt(0) lgkmcnt(0)
	v_fmac_f64_e32 v[78:79], v[82:83], v[84:85]
	s_andn2_b64 exec, exec, s[6:7]
	s_cbranch_execnz .LBB101_155
; %bb.156:
	s_or_b64 exec, exec, s[6:7]
	v_mov_b32_e32 v1, 0
	ds_read_b64 v[80:81], v1 offset:296
	s_waitcnt lgkmcnt(0)
	v_mul_f64 v[78:79], v[78:79], v[80:81]
	buffer_store_dword v79, off, s[0:3], 0 offset:300
	buffer_store_dword v78, off, s[0:3], 0 offset:296
.LBB101_157:
	s_or_b64 exec, exec, s[4:5]
	s_mov_b64 s[6:7], -1
	s_waitcnt lgkmcnt(0)
	; wave barrier
.LBB101_158:
	s_and_b64 vcc, exec, s[6:7]
	s_cbranch_vccz .LBB101_160
; %bb.159:
	s_lshl_b64 s[4:5], s[8:9], 2
	s_add_u32 s4, s14, s4
	s_addc_u32 s5, s15, s5
	v_mov_b32_e32 v1, 0
	global_load_dword v1, v1, s[4:5]
	s_waitcnt vmcnt(0)
	v_cmp_ne_u32_e32 vcc, 0, v1
	s_cbranch_vccz .LBB101_161
.LBB101_160:
	s_endpgm
.LBB101_161:
	v_mov_b32_e32 v1, 0x130
	v_lshl_add_u32 v1, v0, 3, v1
	v_cmp_eq_u32_e32 vcc, 37, v0
	s_and_saveexec_b64 s[4:5], vcc
	s_cbranch_execz .LBB101_163
; %bb.162:
	buffer_load_dword v78, off, s[0:3], 0 offset:288
	buffer_load_dword v79, off, s[0:3], 0 offset:292
	v_mov_b32_e32 v80, 0
	buffer_store_dword v80, off, s[0:3], 0 offset:288
	buffer_store_dword v80, off, s[0:3], 0 offset:292
	s_waitcnt vmcnt(2)
	ds_write_b64 v1, v[78:79]
.LBB101_163:
	s_or_b64 exec, exec, s[4:5]
	s_waitcnt lgkmcnt(0)
	; wave barrier
	s_waitcnt lgkmcnt(0)
	buffer_load_dword v80, off, s[0:3], 0 offset:296
	buffer_load_dword v81, off, s[0:3], 0 offset:300
	;; [unrolled: 1-line block ×4, first 2 shown]
	v_mov_b32_e32 v78, 0
	ds_read_b64 v[84:85], v78 offset:600
	v_cmp_lt_u32_e32 vcc, 35, v0
	s_waitcnt vmcnt(2) lgkmcnt(0)
	v_fma_f64 v[80:81], v[80:81], v[84:85], 0
	s_waitcnt vmcnt(0)
	v_add_f64 v[80:81], v[82:83], -v[80:81]
	buffer_store_dword v80, off, s[0:3], 0 offset:288
	buffer_store_dword v81, off, s[0:3], 0 offset:292
	s_and_saveexec_b64 s[4:5], vcc
	s_cbranch_execz .LBB101_165
; %bb.164:
	buffer_load_dword v80, off, s[0:3], 0 offset:280
	buffer_load_dword v81, off, s[0:3], 0 offset:284
	s_waitcnt vmcnt(0)
	ds_write_b64 v1, v[80:81]
	buffer_store_dword v78, off, s[0:3], 0 offset:280
	buffer_store_dword v78, off, s[0:3], 0 offset:284
.LBB101_165:
	s_or_b64 exec, exec, s[4:5]
	s_waitcnt lgkmcnt(0)
	; wave barrier
	s_waitcnt lgkmcnt(0)
	buffer_load_dword v82, off, s[0:3], 0 offset:288
	buffer_load_dword v83, off, s[0:3], 0 offset:292
	;; [unrolled: 1-line block ×6, first 2 shown]
	ds_read_b128 v[78:81], v78 offset:592
	v_cmp_lt_u32_e32 vcc, 34, v0
	s_waitcnt vmcnt(4) lgkmcnt(0)
	v_fma_f64 v[78:79], v[82:83], v[78:79], 0
	s_waitcnt vmcnt(2)
	v_fmac_f64_e32 v[78:79], v[84:85], v[80:81]
	s_waitcnt vmcnt(0)
	v_add_f64 v[78:79], v[86:87], -v[78:79]
	buffer_store_dword v78, off, s[0:3], 0 offset:280
	buffer_store_dword v79, off, s[0:3], 0 offset:284
	s_and_saveexec_b64 s[4:5], vcc
	s_cbranch_execz .LBB101_167
; %bb.166:
	buffer_load_dword v78, off, s[0:3], 0 offset:272
	buffer_load_dword v79, off, s[0:3], 0 offset:276
	v_mov_b32_e32 v80, 0
	buffer_store_dword v80, off, s[0:3], 0 offset:272
	buffer_store_dword v80, off, s[0:3], 0 offset:276
	s_waitcnt vmcnt(2)
	ds_write_b64 v1, v[78:79]
.LBB101_167:
	s_or_b64 exec, exec, s[4:5]
	s_waitcnt lgkmcnt(0)
	; wave barrier
	s_waitcnt lgkmcnt(0)
	buffer_load_dword v84, off, s[0:3], 0 offset:280
	buffer_load_dword v85, off, s[0:3], 0 offset:284
	;; [unrolled: 1-line block ×8, first 2 shown]
	v_mov_b32_e32 v78, 0
	ds_read2_b64 v[80:83], v78 offset0:73 offset1:74
	ds_read_b64 v[92:93], v78 offset:600
	v_cmp_lt_u32_e32 vcc, 33, v0
	s_waitcnt vmcnt(6) lgkmcnt(1)
	v_fma_f64 v[80:81], v[84:85], v[80:81], 0
	s_waitcnt vmcnt(4)
	v_fmac_f64_e32 v[80:81], v[86:87], v[82:83]
	s_waitcnt vmcnt(2) lgkmcnt(0)
	v_fmac_f64_e32 v[80:81], v[88:89], v[92:93]
	s_waitcnt vmcnt(0)
	v_add_f64 v[80:81], v[90:91], -v[80:81]
	buffer_store_dword v80, off, s[0:3], 0 offset:272
	buffer_store_dword v81, off, s[0:3], 0 offset:276
	s_and_saveexec_b64 s[4:5], vcc
	s_cbranch_execz .LBB101_169
; %bb.168:
	buffer_load_dword v80, off, s[0:3], 0 offset:264
	buffer_load_dword v81, off, s[0:3], 0 offset:268
	s_waitcnt vmcnt(0)
	ds_write_b64 v1, v[80:81]
	buffer_store_dword v78, off, s[0:3], 0 offset:264
	buffer_store_dword v78, off, s[0:3], 0 offset:268
.LBB101_169:
	s_or_b64 exec, exec, s[4:5]
	s_waitcnt lgkmcnt(0)
	; wave barrier
	s_waitcnt lgkmcnt(0)
	buffer_load_dword v88, off, s[0:3], 0 offset:272
	buffer_load_dword v89, off, s[0:3], 0 offset:276
	buffer_load_dword v90, off, s[0:3], 0 offset:280
	buffer_load_dword v91, off, s[0:3], 0 offset:284
	buffer_load_dword v92, off, s[0:3], 0 offset:288
	buffer_load_dword v93, off, s[0:3], 0 offset:292
	buffer_load_dword v94, off, s[0:3], 0 offset:296
	buffer_load_dword v95, off, s[0:3], 0 offset:300
	buffer_load_dword v96, off, s[0:3], 0 offset:264
	buffer_load_dword v97, off, s[0:3], 0 offset:268
	ds_read_b128 v[80:83], v78 offset:576
	ds_read_b128 v[84:87], v78 offset:592
	v_cmp_lt_u32_e32 vcc, 32, v0
	s_waitcnt vmcnt(8) lgkmcnt(1)
	v_fma_f64 v[78:79], v[88:89], v[80:81], 0
	s_waitcnt vmcnt(6)
	v_fmac_f64_e32 v[78:79], v[90:91], v[82:83]
	s_waitcnt vmcnt(4) lgkmcnt(0)
	v_fmac_f64_e32 v[78:79], v[92:93], v[84:85]
	s_waitcnt vmcnt(2)
	v_fmac_f64_e32 v[78:79], v[94:95], v[86:87]
	s_waitcnt vmcnt(0)
	v_add_f64 v[78:79], v[96:97], -v[78:79]
	buffer_store_dword v78, off, s[0:3], 0 offset:264
	buffer_store_dword v79, off, s[0:3], 0 offset:268
	s_and_saveexec_b64 s[4:5], vcc
	s_cbranch_execz .LBB101_171
; %bb.170:
	buffer_load_dword v78, off, s[0:3], 0 offset:256
	buffer_load_dword v79, off, s[0:3], 0 offset:260
	v_mov_b32_e32 v80, 0
	buffer_store_dword v80, off, s[0:3], 0 offset:256
	buffer_store_dword v80, off, s[0:3], 0 offset:260
	s_waitcnt vmcnt(2)
	ds_write_b64 v1, v[78:79]
.LBB101_171:
	s_or_b64 exec, exec, s[4:5]
	s_waitcnt lgkmcnt(0)
	; wave barrier
	s_waitcnt lgkmcnt(0)
	buffer_load_dword v88, off, s[0:3], 0 offset:264
	buffer_load_dword v89, off, s[0:3], 0 offset:268
	;; [unrolled: 1-line block ×12, first 2 shown]
	v_mov_b32_e32 v78, 0
	ds_read2_b64 v[80:83], v78 offset0:71 offset1:72
	ds_read2_b64 v[84:87], v78 offset0:73 offset1:74
	ds_read_b64 v[100:101], v78 offset:600
	v_cmp_lt_u32_e32 vcc, 31, v0
	s_waitcnt vmcnt(10) lgkmcnt(2)
	v_fma_f64 v[80:81], v[88:89], v[80:81], 0
	s_waitcnt vmcnt(8)
	v_fmac_f64_e32 v[80:81], v[90:91], v[82:83]
	s_waitcnt vmcnt(6) lgkmcnt(1)
	v_fmac_f64_e32 v[80:81], v[92:93], v[84:85]
	s_waitcnt vmcnt(4)
	v_fmac_f64_e32 v[80:81], v[94:95], v[86:87]
	s_waitcnt vmcnt(2) lgkmcnt(0)
	v_fmac_f64_e32 v[80:81], v[96:97], v[100:101]
	s_waitcnt vmcnt(0)
	v_add_f64 v[80:81], v[98:99], -v[80:81]
	buffer_store_dword v80, off, s[0:3], 0 offset:256
	buffer_store_dword v81, off, s[0:3], 0 offset:260
	s_and_saveexec_b64 s[4:5], vcc
	s_cbranch_execz .LBB101_173
; %bb.172:
	buffer_load_dword v80, off, s[0:3], 0 offset:248
	buffer_load_dword v81, off, s[0:3], 0 offset:252
	s_waitcnt vmcnt(0)
	ds_write_b64 v1, v[80:81]
	buffer_store_dword v78, off, s[0:3], 0 offset:248
	buffer_store_dword v78, off, s[0:3], 0 offset:252
.LBB101_173:
	s_or_b64 exec, exec, s[4:5]
	s_waitcnt lgkmcnt(0)
	; wave barrier
	s_waitcnt lgkmcnt(0)
	buffer_load_dword v92, off, s[0:3], 0 offset:256
	buffer_load_dword v93, off, s[0:3], 0 offset:260
	;; [unrolled: 1-line block ×14, first 2 shown]
	ds_read_b128 v[80:83], v78 offset:560
	ds_read_b128 v[84:87], v78 offset:576
	;; [unrolled: 1-line block ×3, first 2 shown]
	v_cmp_lt_u32_e32 vcc, 30, v0
	s_waitcnt vmcnt(12) lgkmcnt(2)
	v_fma_f64 v[78:79], v[92:93], v[80:81], 0
	s_waitcnt vmcnt(10)
	v_fmac_f64_e32 v[78:79], v[94:95], v[82:83]
	s_waitcnt vmcnt(8) lgkmcnt(1)
	v_fmac_f64_e32 v[78:79], v[96:97], v[84:85]
	s_waitcnt vmcnt(6)
	v_fmac_f64_e32 v[78:79], v[98:99], v[86:87]
	s_waitcnt vmcnt(4) lgkmcnt(0)
	v_fmac_f64_e32 v[78:79], v[100:101], v[88:89]
	s_waitcnt vmcnt(2)
	v_fmac_f64_e32 v[78:79], v[102:103], v[90:91]
	s_waitcnt vmcnt(0)
	v_add_f64 v[78:79], v[104:105], -v[78:79]
	buffer_store_dword v78, off, s[0:3], 0 offset:248
	buffer_store_dword v79, off, s[0:3], 0 offset:252
	s_and_saveexec_b64 s[4:5], vcc
	s_cbranch_execz .LBB101_175
; %bb.174:
	buffer_load_dword v78, off, s[0:3], 0 offset:240
	buffer_load_dword v79, off, s[0:3], 0 offset:244
	v_mov_b32_e32 v80, 0
	buffer_store_dword v80, off, s[0:3], 0 offset:240
	buffer_store_dword v80, off, s[0:3], 0 offset:244
	s_waitcnt vmcnt(2)
	ds_write_b64 v1, v[78:79]
.LBB101_175:
	s_or_b64 exec, exec, s[4:5]
	s_waitcnt lgkmcnt(0)
	; wave barrier
	s_waitcnt lgkmcnt(0)
	buffer_load_dword v92, off, s[0:3], 0 offset:248
	buffer_load_dword v93, off, s[0:3], 0 offset:252
	;; [unrolled: 1-line block ×16, first 2 shown]
	v_mov_b32_e32 v78, 0
	ds_read2_b64 v[80:83], v78 offset0:69 offset1:70
	ds_read2_b64 v[84:87], v78 offset0:71 offset1:72
	;; [unrolled: 1-line block ×3, first 2 shown]
	ds_read_b64 v[108:109], v78 offset:600
	v_cmp_lt_u32_e32 vcc, 29, v0
	s_waitcnt vmcnt(14) lgkmcnt(3)
	v_fma_f64 v[80:81], v[92:93], v[80:81], 0
	s_waitcnt vmcnt(12)
	v_fmac_f64_e32 v[80:81], v[94:95], v[82:83]
	s_waitcnt vmcnt(10) lgkmcnt(2)
	v_fmac_f64_e32 v[80:81], v[96:97], v[84:85]
	s_waitcnt vmcnt(8)
	v_fmac_f64_e32 v[80:81], v[98:99], v[86:87]
	s_waitcnt vmcnt(6) lgkmcnt(1)
	v_fmac_f64_e32 v[80:81], v[100:101], v[88:89]
	;; [unrolled: 4-line block ×3, first 2 shown]
	s_waitcnt vmcnt(0)
	v_add_f64 v[80:81], v[106:107], -v[80:81]
	buffer_store_dword v80, off, s[0:3], 0 offset:240
	buffer_store_dword v81, off, s[0:3], 0 offset:244
	s_and_saveexec_b64 s[4:5], vcc
	s_cbranch_execz .LBB101_177
; %bb.176:
	buffer_load_dword v80, off, s[0:3], 0 offset:232
	buffer_load_dword v81, off, s[0:3], 0 offset:236
	s_waitcnt vmcnt(0)
	ds_write_b64 v1, v[80:81]
	buffer_store_dword v78, off, s[0:3], 0 offset:232
	buffer_store_dword v78, off, s[0:3], 0 offset:236
.LBB101_177:
	s_or_b64 exec, exec, s[4:5]
	s_waitcnt lgkmcnt(0)
	; wave barrier
	s_waitcnt lgkmcnt(0)
	buffer_load_dword v96, off, s[0:3], 0 offset:240
	buffer_load_dword v97, off, s[0:3], 0 offset:244
	;; [unrolled: 1-line block ×18, first 2 shown]
	ds_read_b128 v[80:83], v78 offset:544
	ds_read_b128 v[84:87], v78 offset:560
	;; [unrolled: 1-line block ×4, first 2 shown]
	v_cmp_lt_u32_e32 vcc, 28, v0
	s_waitcnt vmcnt(16) lgkmcnt(3)
	v_fma_f64 v[78:79], v[96:97], v[80:81], 0
	s_waitcnt vmcnt(14)
	v_fmac_f64_e32 v[78:79], v[98:99], v[82:83]
	s_waitcnt vmcnt(12) lgkmcnt(2)
	v_fmac_f64_e32 v[78:79], v[100:101], v[84:85]
	s_waitcnt vmcnt(10)
	v_fmac_f64_e32 v[78:79], v[102:103], v[86:87]
	s_waitcnt vmcnt(8) lgkmcnt(1)
	v_fmac_f64_e32 v[78:79], v[104:105], v[88:89]
	;; [unrolled: 4-line block ×3, first 2 shown]
	s_waitcnt vmcnt(2)
	v_fmac_f64_e32 v[78:79], v[110:111], v[94:95]
	s_waitcnt vmcnt(0)
	v_add_f64 v[78:79], v[112:113], -v[78:79]
	buffer_store_dword v78, off, s[0:3], 0 offset:232
	buffer_store_dword v79, off, s[0:3], 0 offset:236
	s_and_saveexec_b64 s[4:5], vcc
	s_cbranch_execz .LBB101_179
; %bb.178:
	buffer_load_dword v78, off, s[0:3], 0 offset:224
	buffer_load_dword v79, off, s[0:3], 0 offset:228
	v_mov_b32_e32 v80, 0
	buffer_store_dword v80, off, s[0:3], 0 offset:224
	buffer_store_dword v80, off, s[0:3], 0 offset:228
	s_waitcnt vmcnt(2)
	ds_write_b64 v1, v[78:79]
.LBB101_179:
	s_or_b64 exec, exec, s[4:5]
	s_waitcnt lgkmcnt(0)
	; wave barrier
	s_waitcnt lgkmcnt(0)
	buffer_load_dword v96, off, s[0:3], 0 offset:232
	buffer_load_dword v97, off, s[0:3], 0 offset:236
	;; [unrolled: 1-line block ×20, first 2 shown]
	v_mov_b32_e32 v78, 0
	ds_read2_b64 v[80:83], v78 offset0:67 offset1:68
	ds_read2_b64 v[84:87], v78 offset0:69 offset1:70
	;; [unrolled: 1-line block ×4, first 2 shown]
	ds_read_b64 v[116:117], v78 offset:600
	v_cmp_lt_u32_e32 vcc, 27, v0
	s_waitcnt vmcnt(18) lgkmcnt(4)
	v_fma_f64 v[80:81], v[96:97], v[80:81], 0
	s_waitcnt vmcnt(16)
	v_fmac_f64_e32 v[80:81], v[98:99], v[82:83]
	s_waitcnt vmcnt(14) lgkmcnt(3)
	v_fmac_f64_e32 v[80:81], v[100:101], v[84:85]
	s_waitcnt vmcnt(12)
	v_fmac_f64_e32 v[80:81], v[102:103], v[86:87]
	s_waitcnt vmcnt(10) lgkmcnt(2)
	v_fmac_f64_e32 v[80:81], v[104:105], v[88:89]
	;; [unrolled: 4-line block ×3, first 2 shown]
	s_waitcnt vmcnt(2)
	v_fmac_f64_e32 v[80:81], v[112:113], v[94:95]
	s_waitcnt lgkmcnt(0)
	v_fmac_f64_e32 v[80:81], v[110:111], v[116:117]
	s_waitcnt vmcnt(0)
	v_add_f64 v[80:81], v[114:115], -v[80:81]
	buffer_store_dword v80, off, s[0:3], 0 offset:224
	buffer_store_dword v81, off, s[0:3], 0 offset:228
	s_and_saveexec_b64 s[4:5], vcc
	s_cbranch_execz .LBB101_181
; %bb.180:
	buffer_load_dword v80, off, s[0:3], 0 offset:216
	buffer_load_dword v81, off, s[0:3], 0 offset:220
	s_waitcnt vmcnt(0)
	ds_write_b64 v1, v[80:81]
	buffer_store_dword v78, off, s[0:3], 0 offset:216
	buffer_store_dword v78, off, s[0:3], 0 offset:220
.LBB101_181:
	s_or_b64 exec, exec, s[4:5]
	s_waitcnt lgkmcnt(0)
	; wave barrier
	s_waitcnt lgkmcnt(0)
	buffer_load_dword v100, off, s[0:3], 0 offset:224
	buffer_load_dword v101, off, s[0:3], 0 offset:228
	;; [unrolled: 1-line block ×22, first 2 shown]
	ds_read_b128 v[80:83], v78 offset:528
	ds_read_b128 v[84:87], v78 offset:544
	;; [unrolled: 1-line block ×5, first 2 shown]
	v_cmp_lt_u32_e32 vcc, 26, v0
	s_waitcnt vmcnt(20) lgkmcnt(4)
	v_fma_f64 v[78:79], v[100:101], v[80:81], 0
	s_waitcnt vmcnt(18)
	v_fmac_f64_e32 v[78:79], v[102:103], v[82:83]
	s_waitcnt vmcnt(16) lgkmcnt(3)
	v_fmac_f64_e32 v[78:79], v[104:105], v[84:85]
	s_waitcnt vmcnt(14)
	v_fmac_f64_e32 v[78:79], v[106:107], v[86:87]
	s_waitcnt vmcnt(12) lgkmcnt(2)
	v_fmac_f64_e32 v[78:79], v[108:109], v[88:89]
	;; [unrolled: 4-line block ×3, first 2 shown]
	s_waitcnt vmcnt(3)
	v_fmac_f64_e32 v[78:79], v[118:119], v[94:95]
	s_waitcnt lgkmcnt(0)
	v_fmac_f64_e32 v[78:79], v[116:117], v[96:97]
	s_waitcnt vmcnt(2)
	v_fmac_f64_e32 v[78:79], v[114:115], v[98:99]
	s_waitcnt vmcnt(0)
	v_add_f64 v[78:79], v[120:121], -v[78:79]
	buffer_store_dword v78, off, s[0:3], 0 offset:216
	buffer_store_dword v79, off, s[0:3], 0 offset:220
	s_and_saveexec_b64 s[4:5], vcc
	s_cbranch_execz .LBB101_183
; %bb.182:
	buffer_load_dword v78, off, s[0:3], 0 offset:208
	buffer_load_dword v79, off, s[0:3], 0 offset:212
	v_mov_b32_e32 v80, 0
	buffer_store_dword v80, off, s[0:3], 0 offset:208
	buffer_store_dword v80, off, s[0:3], 0 offset:212
	s_waitcnt vmcnt(2)
	ds_write_b64 v1, v[78:79]
.LBB101_183:
	s_or_b64 exec, exec, s[4:5]
	s_waitcnt lgkmcnt(0)
	; wave barrier
	s_waitcnt lgkmcnt(0)
	buffer_load_dword v100, off, s[0:3], 0 offset:216
	buffer_load_dword v101, off, s[0:3], 0 offset:220
	;; [unrolled: 1-line block ×24, first 2 shown]
	v_mov_b32_e32 v78, 0
	ds_read2_b64 v[80:83], v78 offset0:65 offset1:66
	ds_read2_b64 v[84:87], v78 offset0:67 offset1:68
	;; [unrolled: 1-line block ×5, first 2 shown]
	ds_read_b64 v[124:125], v78 offset:600
	v_cmp_lt_u32_e32 vcc, 25, v0
	s_waitcnt vmcnt(22) lgkmcnt(5)
	v_fma_f64 v[80:81], v[100:101], v[80:81], 0
	s_waitcnt vmcnt(20)
	v_fmac_f64_e32 v[80:81], v[102:103], v[82:83]
	s_waitcnt vmcnt(18) lgkmcnt(4)
	v_fmac_f64_e32 v[80:81], v[104:105], v[84:85]
	s_waitcnt vmcnt(16)
	v_fmac_f64_e32 v[80:81], v[106:107], v[86:87]
	s_waitcnt vmcnt(14) lgkmcnt(3)
	v_fmac_f64_e32 v[80:81], v[108:109], v[88:89]
	;; [unrolled: 4-line block ×3, first 2 shown]
	s_waitcnt vmcnt(4)
	v_fmac_f64_e32 v[80:81], v[120:121], v[94:95]
	s_waitcnt lgkmcnt(1)
	v_fmac_f64_e32 v[80:81], v[118:119], v[96:97]
	s_waitcnt vmcnt(3)
	v_fmac_f64_e32 v[80:81], v[116:117], v[98:99]
	s_waitcnt vmcnt(2) lgkmcnt(0)
	v_fmac_f64_e32 v[80:81], v[114:115], v[124:125]
	s_waitcnt vmcnt(0)
	v_add_f64 v[80:81], v[122:123], -v[80:81]
	buffer_store_dword v81, off, s[0:3], 0 offset:212
	buffer_store_dword v80, off, s[0:3], 0 offset:208
	s_and_saveexec_b64 s[4:5], vcc
	s_cbranch_execz .LBB101_185
; %bb.184:
	buffer_load_dword v80, off, s[0:3], 0 offset:200
	buffer_load_dword v81, off, s[0:3], 0 offset:204
	s_waitcnt vmcnt(0)
	ds_write_b64 v1, v[80:81]
	buffer_store_dword v78, off, s[0:3], 0 offset:200
	buffer_store_dword v78, off, s[0:3], 0 offset:204
.LBB101_185:
	s_or_b64 exec, exec, s[4:5]
	s_waitcnt lgkmcnt(0)
	; wave barrier
	s_waitcnt lgkmcnt(0)
	buffer_load_dword v96, off, s[0:3], 0 offset:200
	buffer_load_dword v97, off, s[0:3], 0 offset:204
	;; [unrolled: 1-line block ×16, first 2 shown]
	ds_read_b128 v[80:83], v78 offset:512
	ds_read_b128 v[84:87], v78 offset:528
	;; [unrolled: 1-line block ×4, first 2 shown]
	v_cmp_lt_u32_e32 vcc, 24, v0
	s_waitcnt vmcnt(12) lgkmcnt(3)
	v_fma_f64 v[98:99], v[98:99], v[80:81], 0
	buffer_load_dword v81, off, s[0:3], 0 offset:268
	buffer_load_dword v80, off, s[0:3], 0 offset:264
	s_waitcnt vmcnt(12)
	v_fmac_f64_e32 v[98:99], v[100:101], v[82:83]
	s_waitcnt vmcnt(10) lgkmcnt(2)
	v_fmac_f64_e32 v[98:99], v[102:103], v[84:85]
	buffer_load_dword v85, off, s[0:3], 0 offset:276
	buffer_load_dword v84, off, s[0:3], 0 offset:272
	s_waitcnt vmcnt(10)
	v_fmac_f64_e32 v[98:99], v[104:105], v[86:87]
	s_waitcnt vmcnt(8) lgkmcnt(1)
	v_fmac_f64_e32 v[98:99], v[106:107], v[88:89]
	s_waitcnt vmcnt(6)
	v_fmac_f64_e32 v[98:99], v[108:109], v[90:91]
	s_waitcnt vmcnt(4) lgkmcnt(0)
	v_fmac_f64_e32 v[98:99], v[110:111], v[92:93]
	s_waitcnt vmcnt(2)
	v_fmac_f64_e32 v[98:99], v[80:81], v[94:95]
	ds_read_b128 v[80:83], v78 offset:576
	s_waitcnt vmcnt(0) lgkmcnt(0)
	v_fmac_f64_e32 v[98:99], v[84:85], v[80:81]
	buffer_load_dword v81, off, s[0:3], 0 offset:284
	buffer_load_dword v80, off, s[0:3], 0 offset:280
	s_waitcnt vmcnt(0)
	v_fmac_f64_e32 v[98:99], v[80:81], v[82:83]
	buffer_load_dword v83, off, s[0:3], 0 offset:292
	buffer_load_dword v82, off, s[0:3], 0 offset:288
	ds_read_b128 v[78:81], v78 offset:592
	s_waitcnt vmcnt(0) lgkmcnt(0)
	v_fmac_f64_e32 v[98:99], v[82:83], v[78:79]
	buffer_load_dword v79, off, s[0:3], 0 offset:300
	buffer_load_dword v78, off, s[0:3], 0 offset:296
	s_waitcnt vmcnt(0)
	v_fmac_f64_e32 v[98:99], v[78:79], v[80:81]
	v_add_f64 v[78:79], v[96:97], -v[98:99]
	buffer_store_dword v79, off, s[0:3], 0 offset:204
	buffer_store_dword v78, off, s[0:3], 0 offset:200
	s_and_saveexec_b64 s[4:5], vcc
	s_cbranch_execz .LBB101_187
; %bb.186:
	buffer_load_dword v78, off, s[0:3], 0 offset:192
	buffer_load_dword v79, off, s[0:3], 0 offset:196
	v_mov_b32_e32 v80, 0
	buffer_store_dword v80, off, s[0:3], 0 offset:192
	buffer_store_dword v80, off, s[0:3], 0 offset:196
	s_waitcnt vmcnt(2)
	ds_write_b64 v1, v[78:79]
.LBB101_187:
	s_or_b64 exec, exec, s[4:5]
	s_waitcnt lgkmcnt(0)
	; wave barrier
	s_waitcnt lgkmcnt(0)
	buffer_load_dword v84, off, s[0:3], 0 offset:192
	buffer_load_dword v85, off, s[0:3], 0 offset:196
	;; [unrolled: 1-line block ×16, first 2 shown]
	v_mov_b32_e32 v78, 0
	ds_read2_b64 v[80:83], v78 offset0:63 offset1:64
	v_cmp_lt_u32_e32 vcc, 23, v0
	s_waitcnt vmcnt(12) lgkmcnt(0)
	v_fma_f64 v[86:87], v[86:87], v[80:81], 0
	s_waitcnt vmcnt(10)
	v_fmac_f64_e32 v[86:87], v[88:89], v[82:83]
	ds_read2_b64 v[80:83], v78 offset0:65 offset1:66
	s_waitcnt vmcnt(8) lgkmcnt(0)
	v_fmac_f64_e32 v[86:87], v[90:91], v[80:81]
	s_waitcnt vmcnt(6)
	v_fmac_f64_e32 v[86:87], v[92:93], v[82:83]
	ds_read2_b64 v[80:83], v78 offset0:67 offset1:68
	s_waitcnt vmcnt(4) lgkmcnt(0)
	v_fmac_f64_e32 v[86:87], v[94:95], v[80:81]
	;; [unrolled: 5-line block ×3, first 2 shown]
	buffer_load_dword v81, off, s[0:3], 0 offset:260
	buffer_load_dword v80, off, s[0:3], 0 offset:256
	;; [unrolled: 1-line block ×4, first 2 shown]
	s_waitcnt vmcnt(2)
	v_fmac_f64_e32 v[86:87], v[80:81], v[82:83]
	ds_read2_b64 v[80:83], v78 offset0:71 offset1:72
	s_waitcnt vmcnt(0) lgkmcnt(0)
	v_fmac_f64_e32 v[86:87], v[88:89], v[80:81]
	buffer_load_dword v81, off, s[0:3], 0 offset:276
	buffer_load_dword v80, off, s[0:3], 0 offset:272
	buffer_load_dword v89, off, s[0:3], 0 offset:284
	buffer_load_dword v88, off, s[0:3], 0 offset:280
	s_waitcnt vmcnt(2)
	v_fmac_f64_e32 v[86:87], v[80:81], v[82:83]
	ds_read2_b64 v[80:83], v78 offset0:73 offset1:74
	s_waitcnt vmcnt(0) lgkmcnt(0)
	v_fmac_f64_e32 v[86:87], v[88:89], v[80:81]
	buffer_load_dword v81, off, s[0:3], 0 offset:292
	buffer_load_dword v80, off, s[0:3], 0 offset:288
	s_waitcnt vmcnt(0)
	v_fmac_f64_e32 v[86:87], v[80:81], v[82:83]
	buffer_load_dword v81, off, s[0:3], 0 offset:300
	buffer_load_dword v80, off, s[0:3], 0 offset:296
	ds_read_b64 v[82:83], v78 offset:600
	s_waitcnt vmcnt(0) lgkmcnt(0)
	v_fmac_f64_e32 v[86:87], v[80:81], v[82:83]
	v_add_f64 v[80:81], v[84:85], -v[86:87]
	buffer_store_dword v81, off, s[0:3], 0 offset:196
	buffer_store_dword v80, off, s[0:3], 0 offset:192
	s_and_saveexec_b64 s[4:5], vcc
	s_cbranch_execz .LBB101_189
; %bb.188:
	buffer_load_dword v80, off, s[0:3], 0 offset:184
	buffer_load_dword v81, off, s[0:3], 0 offset:188
	s_waitcnt vmcnt(0)
	ds_write_b64 v1, v[80:81]
	buffer_store_dword v78, off, s[0:3], 0 offset:184
	buffer_store_dword v78, off, s[0:3], 0 offset:188
.LBB101_189:
	s_or_b64 exec, exec, s[4:5]
	s_waitcnt lgkmcnt(0)
	; wave barrier
	s_waitcnt lgkmcnt(0)
	buffer_load_dword v96, off, s[0:3], 0 offset:184
	buffer_load_dword v97, off, s[0:3], 0 offset:188
	;; [unrolled: 1-line block ×16, first 2 shown]
	ds_read_b128 v[80:83], v78 offset:496
	ds_read_b128 v[84:87], v78 offset:512
	;; [unrolled: 1-line block ×4, first 2 shown]
	v_cmp_lt_u32_e32 vcc, 22, v0
	s_waitcnt vmcnt(12) lgkmcnt(3)
	v_fma_f64 v[98:99], v[98:99], v[80:81], 0
	buffer_load_dword v81, off, s[0:3], 0 offset:252
	buffer_load_dword v80, off, s[0:3], 0 offset:248
	s_waitcnt vmcnt(12)
	v_fmac_f64_e32 v[98:99], v[100:101], v[82:83]
	s_waitcnt vmcnt(10) lgkmcnt(2)
	v_fmac_f64_e32 v[98:99], v[102:103], v[84:85]
	buffer_load_dword v85, off, s[0:3], 0 offset:260
	buffer_load_dword v84, off, s[0:3], 0 offset:256
	s_waitcnt vmcnt(10)
	v_fmac_f64_e32 v[98:99], v[104:105], v[86:87]
	s_waitcnt vmcnt(8) lgkmcnt(1)
	v_fmac_f64_e32 v[98:99], v[106:107], v[88:89]
	s_waitcnt vmcnt(6)
	v_fmac_f64_e32 v[98:99], v[108:109], v[90:91]
	s_waitcnt vmcnt(4) lgkmcnt(0)
	v_fmac_f64_e32 v[98:99], v[110:111], v[92:93]
	s_waitcnt vmcnt(2)
	v_fmac_f64_e32 v[98:99], v[80:81], v[94:95]
	ds_read_b128 v[80:83], v78 offset:560
	s_waitcnt vmcnt(0) lgkmcnt(0)
	v_fmac_f64_e32 v[98:99], v[84:85], v[80:81]
	buffer_load_dword v81, off, s[0:3], 0 offset:268
	buffer_load_dword v80, off, s[0:3], 0 offset:264
	;; [unrolled: 1-line block ×4, first 2 shown]
	s_waitcnt vmcnt(2)
	v_fmac_f64_e32 v[98:99], v[80:81], v[82:83]
	ds_read_b128 v[80:83], v78 offset:576
	s_waitcnt vmcnt(0) lgkmcnt(0)
	v_fmac_f64_e32 v[98:99], v[84:85], v[80:81]
	buffer_load_dword v81, off, s[0:3], 0 offset:284
	buffer_load_dword v80, off, s[0:3], 0 offset:280
	s_waitcnt vmcnt(0)
	v_fmac_f64_e32 v[98:99], v[80:81], v[82:83]
	buffer_load_dword v83, off, s[0:3], 0 offset:292
	buffer_load_dword v82, off, s[0:3], 0 offset:288
	ds_read_b128 v[78:81], v78 offset:592
	s_waitcnt vmcnt(0) lgkmcnt(0)
	v_fmac_f64_e32 v[98:99], v[82:83], v[78:79]
	buffer_load_dword v79, off, s[0:3], 0 offset:300
	buffer_load_dword v78, off, s[0:3], 0 offset:296
	s_waitcnt vmcnt(0)
	v_fmac_f64_e32 v[98:99], v[78:79], v[80:81]
	v_add_f64 v[78:79], v[96:97], -v[98:99]
	buffer_store_dword v79, off, s[0:3], 0 offset:188
	buffer_store_dword v78, off, s[0:3], 0 offset:184
	s_and_saveexec_b64 s[4:5], vcc
	s_cbranch_execz .LBB101_191
; %bb.190:
	buffer_load_dword v78, off, s[0:3], 0 offset:176
	buffer_load_dword v79, off, s[0:3], 0 offset:180
	v_mov_b32_e32 v80, 0
	buffer_store_dword v80, off, s[0:3], 0 offset:176
	buffer_store_dword v80, off, s[0:3], 0 offset:180
	s_waitcnt vmcnt(2)
	ds_write_b64 v1, v[78:79]
.LBB101_191:
	s_or_b64 exec, exec, s[4:5]
	s_waitcnt lgkmcnt(0)
	; wave barrier
	s_waitcnt lgkmcnt(0)
	buffer_load_dword v84, off, s[0:3], 0 offset:176
	buffer_load_dword v85, off, s[0:3], 0 offset:180
	;; [unrolled: 1-line block ×16, first 2 shown]
	v_mov_b32_e32 v78, 0
	ds_read2_b64 v[80:83], v78 offset0:61 offset1:62
	v_cmp_lt_u32_e32 vcc, 21, v0
	s_waitcnt vmcnt(12) lgkmcnt(0)
	v_fma_f64 v[86:87], v[86:87], v[80:81], 0
	s_waitcnt vmcnt(10)
	v_fmac_f64_e32 v[86:87], v[88:89], v[82:83]
	ds_read2_b64 v[80:83], v78 offset0:63 offset1:64
	s_waitcnt vmcnt(8) lgkmcnt(0)
	v_fmac_f64_e32 v[86:87], v[90:91], v[80:81]
	s_waitcnt vmcnt(6)
	v_fmac_f64_e32 v[86:87], v[92:93], v[82:83]
	ds_read2_b64 v[80:83], v78 offset0:65 offset1:66
	s_waitcnt vmcnt(4) lgkmcnt(0)
	v_fmac_f64_e32 v[86:87], v[94:95], v[80:81]
	;; [unrolled: 5-line block ×3, first 2 shown]
	buffer_load_dword v81, off, s[0:3], 0 offset:244
	buffer_load_dword v80, off, s[0:3], 0 offset:240
	buffer_load_dword v89, off, s[0:3], 0 offset:252
	buffer_load_dword v88, off, s[0:3], 0 offset:248
	s_waitcnt vmcnt(2)
	v_fmac_f64_e32 v[86:87], v[80:81], v[82:83]
	ds_read2_b64 v[80:83], v78 offset0:69 offset1:70
	s_waitcnt vmcnt(0) lgkmcnt(0)
	v_fmac_f64_e32 v[86:87], v[88:89], v[80:81]
	buffer_load_dword v81, off, s[0:3], 0 offset:260
	buffer_load_dword v80, off, s[0:3], 0 offset:256
	buffer_load_dword v89, off, s[0:3], 0 offset:268
	buffer_load_dword v88, off, s[0:3], 0 offset:264
	s_waitcnt vmcnt(2)
	v_fmac_f64_e32 v[86:87], v[80:81], v[82:83]
	ds_read2_b64 v[80:83], v78 offset0:71 offset1:72
	s_waitcnt vmcnt(0) lgkmcnt(0)
	v_fmac_f64_e32 v[86:87], v[88:89], v[80:81]
	;; [unrolled: 9-line block ×3, first 2 shown]
	buffer_load_dword v81, off, s[0:3], 0 offset:292
	buffer_load_dword v80, off, s[0:3], 0 offset:288
	s_waitcnt vmcnt(0)
	v_fmac_f64_e32 v[86:87], v[80:81], v[82:83]
	buffer_load_dword v81, off, s[0:3], 0 offset:300
	buffer_load_dword v80, off, s[0:3], 0 offset:296
	ds_read_b64 v[82:83], v78 offset:600
	s_waitcnt vmcnt(0) lgkmcnt(0)
	v_fmac_f64_e32 v[86:87], v[80:81], v[82:83]
	v_add_f64 v[80:81], v[84:85], -v[86:87]
	buffer_store_dword v81, off, s[0:3], 0 offset:180
	buffer_store_dword v80, off, s[0:3], 0 offset:176
	s_and_saveexec_b64 s[4:5], vcc
	s_cbranch_execz .LBB101_193
; %bb.192:
	buffer_load_dword v80, off, s[0:3], 0 offset:168
	buffer_load_dword v81, off, s[0:3], 0 offset:172
	s_waitcnt vmcnt(0)
	ds_write_b64 v1, v[80:81]
	buffer_store_dword v78, off, s[0:3], 0 offset:168
	buffer_store_dword v78, off, s[0:3], 0 offset:172
.LBB101_193:
	s_or_b64 exec, exec, s[4:5]
	s_waitcnt lgkmcnt(0)
	; wave barrier
	s_waitcnt lgkmcnt(0)
	buffer_load_dword v96, off, s[0:3], 0 offset:168
	buffer_load_dword v97, off, s[0:3], 0 offset:172
	;; [unrolled: 1-line block ×16, first 2 shown]
	ds_read_b128 v[80:83], v78 offset:480
	ds_read_b128 v[84:87], v78 offset:496
	;; [unrolled: 1-line block ×4, first 2 shown]
	v_cmp_lt_u32_e32 vcc, 20, v0
	s_waitcnt vmcnt(12) lgkmcnt(3)
	v_fma_f64 v[98:99], v[98:99], v[80:81], 0
	buffer_load_dword v81, off, s[0:3], 0 offset:236
	buffer_load_dword v80, off, s[0:3], 0 offset:232
	s_waitcnt vmcnt(12)
	v_fmac_f64_e32 v[98:99], v[100:101], v[82:83]
	s_waitcnt vmcnt(10) lgkmcnt(2)
	v_fmac_f64_e32 v[98:99], v[102:103], v[84:85]
	buffer_load_dword v85, off, s[0:3], 0 offset:244
	buffer_load_dword v84, off, s[0:3], 0 offset:240
	s_waitcnt vmcnt(10)
	v_fmac_f64_e32 v[98:99], v[104:105], v[86:87]
	s_waitcnt vmcnt(8) lgkmcnt(1)
	v_fmac_f64_e32 v[98:99], v[106:107], v[88:89]
	s_waitcnt vmcnt(6)
	v_fmac_f64_e32 v[98:99], v[108:109], v[90:91]
	s_waitcnt vmcnt(4) lgkmcnt(0)
	v_fmac_f64_e32 v[98:99], v[110:111], v[92:93]
	s_waitcnt vmcnt(2)
	v_fmac_f64_e32 v[98:99], v[80:81], v[94:95]
	ds_read_b128 v[80:83], v78 offset:544
	s_waitcnt vmcnt(0) lgkmcnt(0)
	v_fmac_f64_e32 v[98:99], v[84:85], v[80:81]
	buffer_load_dword v81, off, s[0:3], 0 offset:252
	buffer_load_dword v80, off, s[0:3], 0 offset:248
	;; [unrolled: 1-line block ×4, first 2 shown]
	s_waitcnt vmcnt(2)
	v_fmac_f64_e32 v[98:99], v[80:81], v[82:83]
	ds_read_b128 v[80:83], v78 offset:560
	s_waitcnt vmcnt(0) lgkmcnt(0)
	v_fmac_f64_e32 v[98:99], v[84:85], v[80:81]
	buffer_load_dword v81, off, s[0:3], 0 offset:268
	buffer_load_dword v80, off, s[0:3], 0 offset:264
	;; [unrolled: 1-line block ×4, first 2 shown]
	s_waitcnt vmcnt(2)
	v_fmac_f64_e32 v[98:99], v[80:81], v[82:83]
	ds_read_b128 v[80:83], v78 offset:576
	s_waitcnt vmcnt(0) lgkmcnt(0)
	v_fmac_f64_e32 v[98:99], v[84:85], v[80:81]
	buffer_load_dword v81, off, s[0:3], 0 offset:284
	buffer_load_dword v80, off, s[0:3], 0 offset:280
	s_waitcnt vmcnt(0)
	v_fmac_f64_e32 v[98:99], v[80:81], v[82:83]
	buffer_load_dword v83, off, s[0:3], 0 offset:292
	buffer_load_dword v82, off, s[0:3], 0 offset:288
	ds_read_b128 v[78:81], v78 offset:592
	s_waitcnt vmcnt(0) lgkmcnt(0)
	v_fmac_f64_e32 v[98:99], v[82:83], v[78:79]
	buffer_load_dword v79, off, s[0:3], 0 offset:300
	buffer_load_dword v78, off, s[0:3], 0 offset:296
	s_waitcnt vmcnt(0)
	v_fmac_f64_e32 v[98:99], v[78:79], v[80:81]
	v_add_f64 v[78:79], v[96:97], -v[98:99]
	buffer_store_dword v79, off, s[0:3], 0 offset:172
	buffer_store_dword v78, off, s[0:3], 0 offset:168
	s_and_saveexec_b64 s[4:5], vcc
	s_cbranch_execz .LBB101_195
; %bb.194:
	buffer_load_dword v78, off, s[0:3], 0 offset:160
	buffer_load_dword v79, off, s[0:3], 0 offset:164
	v_mov_b32_e32 v80, 0
	buffer_store_dword v80, off, s[0:3], 0 offset:160
	buffer_store_dword v80, off, s[0:3], 0 offset:164
	s_waitcnt vmcnt(2)
	ds_write_b64 v1, v[78:79]
.LBB101_195:
	s_or_b64 exec, exec, s[4:5]
	s_waitcnt lgkmcnt(0)
	; wave barrier
	s_waitcnt lgkmcnt(0)
	buffer_load_dword v78, off, s[0:3], 0 offset:160
	buffer_load_dword v79, off, s[0:3], 0 offset:164
	;; [unrolled: 1-line block ×16, first 2 shown]
	v_mov_b32_e32 v82, 0
	ds_read2_b64 v[84:87], v82 offset0:59 offset1:60
	v_cmp_lt_u32_e32 vcc, 19, v0
	s_waitcnt vmcnt(12) lgkmcnt(0)
	v_fma_f64 v[80:81], v[80:81], v[84:85], 0
	s_waitcnt vmcnt(10)
	v_fmac_f64_e32 v[80:81], v[88:89], v[86:87]
	ds_read2_b64 v[84:87], v82 offset0:61 offset1:62
	s_waitcnt vmcnt(8) lgkmcnt(0)
	v_fmac_f64_e32 v[80:81], v[90:91], v[84:85]
	s_waitcnt vmcnt(6)
	v_fmac_f64_e32 v[80:81], v[92:93], v[86:87]
	ds_read2_b64 v[84:87], v82 offset0:63 offset1:64
	s_waitcnt vmcnt(4) lgkmcnt(0)
	v_fmac_f64_e32 v[80:81], v[94:95], v[84:85]
	;; [unrolled: 5-line block ×3, first 2 shown]
	buffer_load_dword v85, off, s[0:3], 0 offset:228
	buffer_load_dword v84, off, s[0:3], 0 offset:224
	buffer_load_dword v89, off, s[0:3], 0 offset:236
	buffer_load_dword v88, off, s[0:3], 0 offset:232
	s_waitcnt vmcnt(2)
	v_fmac_f64_e32 v[80:81], v[84:85], v[86:87]
	ds_read2_b64 v[84:87], v82 offset0:67 offset1:68
	s_waitcnt vmcnt(0) lgkmcnt(0)
	v_fmac_f64_e32 v[80:81], v[88:89], v[84:85]
	buffer_load_dword v85, off, s[0:3], 0 offset:244
	buffer_load_dword v84, off, s[0:3], 0 offset:240
	buffer_load_dword v89, off, s[0:3], 0 offset:252
	buffer_load_dword v88, off, s[0:3], 0 offset:248
	s_waitcnt vmcnt(2)
	v_fmac_f64_e32 v[80:81], v[84:85], v[86:87]
	ds_read2_b64 v[84:87], v82 offset0:69 offset1:70
	s_waitcnt vmcnt(0) lgkmcnt(0)
	v_fmac_f64_e32 v[80:81], v[88:89], v[84:85]
	buffer_load_dword v85, off, s[0:3], 0 offset:260
	buffer_load_dword v84, off, s[0:3], 0 offset:256
	buffer_load_dword v89, off, s[0:3], 0 offset:268
	buffer_load_dword v88, off, s[0:3], 0 offset:264
	s_waitcnt vmcnt(2)
	v_fmac_f64_e32 v[80:81], v[84:85], v[86:87]
	ds_read2_b64 v[84:87], v82 offset0:71 offset1:72
	s_waitcnt vmcnt(0) lgkmcnt(0)
	v_fmac_f64_e32 v[80:81], v[88:89], v[84:85]
	buffer_load_dword v85, off, s[0:3], 0 offset:276
	buffer_load_dword v84, off, s[0:3], 0 offset:272
	buffer_load_dword v89, off, s[0:3], 0 offset:284
	buffer_load_dword v88, off, s[0:3], 0 offset:280
	s_waitcnt vmcnt(2)
	v_fmac_f64_e32 v[80:81], v[84:85], v[86:87]
	ds_read2_b64 v[84:87], v82 offset0:73 offset1:74
	s_waitcnt vmcnt(0) lgkmcnt(0)
	v_fmac_f64_e32 v[80:81], v[88:89], v[84:85]
	buffer_load_dword v85, off, s[0:3], 0 offset:292
	buffer_load_dword v84, off, s[0:3], 0 offset:288
	s_waitcnt vmcnt(0)
	v_fmac_f64_e32 v[80:81], v[84:85], v[86:87]
	buffer_load_dword v85, off, s[0:3], 0 offset:300
	buffer_load_dword v84, off, s[0:3], 0 offset:296
	ds_read_b64 v[86:87], v82 offset:600
	s_waitcnt vmcnt(0) lgkmcnt(0)
	v_fmac_f64_e32 v[80:81], v[84:85], v[86:87]
	v_add_f64 v[78:79], v[78:79], -v[80:81]
	buffer_store_dword v79, off, s[0:3], 0 offset:164
	buffer_store_dword v78, off, s[0:3], 0 offset:160
	s_and_saveexec_b64 s[4:5], vcc
	s_cbranch_execz .LBB101_197
; %bb.196:
	buffer_load_dword v78, off, s[0:3], 0 offset:152
	buffer_load_dword v79, off, s[0:3], 0 offset:156
	s_waitcnt vmcnt(0)
	ds_write_b64 v1, v[78:79]
	buffer_store_dword v82, off, s[0:3], 0 offset:152
	buffer_store_dword v82, off, s[0:3], 0 offset:156
.LBB101_197:
	s_or_b64 exec, exec, s[4:5]
	s_waitcnt lgkmcnt(0)
	; wave barrier
	s_waitcnt lgkmcnt(0)
	buffer_load_dword v78, off, s[0:3], 0 offset:152
	buffer_load_dword v79, off, s[0:3], 0 offset:156
	;; [unrolled: 1-line block ×16, first 2 shown]
	ds_read_b128 v[84:87], v82 offset:464
	ds_read_b128 v[88:91], v82 offset:480
	;; [unrolled: 1-line block ×4, first 2 shown]
	v_cmp_lt_u32_e32 vcc, 18, v0
	s_waitcnt vmcnt(12) lgkmcnt(3)
	v_fma_f64 v[80:81], v[80:81], v[84:85], 0
	buffer_load_dword v85, off, s[0:3], 0 offset:220
	buffer_load_dword v84, off, s[0:3], 0 offset:216
	s_waitcnt vmcnt(12)
	v_fmac_f64_e32 v[80:81], v[100:101], v[86:87]
	s_waitcnt vmcnt(10) lgkmcnt(2)
	v_fmac_f64_e32 v[80:81], v[102:103], v[88:89]
	buffer_load_dword v89, off, s[0:3], 0 offset:228
	buffer_load_dword v88, off, s[0:3], 0 offset:224
	s_waitcnt vmcnt(10)
	v_fmac_f64_e32 v[80:81], v[104:105], v[90:91]
	s_waitcnt vmcnt(8) lgkmcnt(1)
	v_fmac_f64_e32 v[80:81], v[106:107], v[92:93]
	s_waitcnt vmcnt(6)
	v_fmac_f64_e32 v[80:81], v[108:109], v[94:95]
	s_waitcnt vmcnt(4) lgkmcnt(0)
	v_fmac_f64_e32 v[80:81], v[110:111], v[96:97]
	s_waitcnt vmcnt(2)
	v_fmac_f64_e32 v[80:81], v[84:85], v[98:99]
	ds_read_b128 v[84:87], v82 offset:528
	s_waitcnt vmcnt(0) lgkmcnt(0)
	v_fmac_f64_e32 v[80:81], v[88:89], v[84:85]
	buffer_load_dword v85, off, s[0:3], 0 offset:236
	buffer_load_dword v84, off, s[0:3], 0 offset:232
	buffer_load_dword v89, off, s[0:3], 0 offset:244
	buffer_load_dword v88, off, s[0:3], 0 offset:240
	s_waitcnt vmcnt(2)
	v_fmac_f64_e32 v[80:81], v[84:85], v[86:87]
	ds_read_b128 v[84:87], v82 offset:544
	s_waitcnt vmcnt(0) lgkmcnt(0)
	v_fmac_f64_e32 v[80:81], v[88:89], v[84:85]
	buffer_load_dword v85, off, s[0:3], 0 offset:252
	buffer_load_dword v84, off, s[0:3], 0 offset:248
	buffer_load_dword v89, off, s[0:3], 0 offset:260
	buffer_load_dword v88, off, s[0:3], 0 offset:256
	;; [unrolled: 9-line block ×3, first 2 shown]
	s_waitcnt vmcnt(2)
	v_fmac_f64_e32 v[80:81], v[84:85], v[86:87]
	ds_read_b128 v[84:87], v82 offset:576
	s_waitcnt vmcnt(0) lgkmcnt(0)
	v_fmac_f64_e32 v[80:81], v[88:89], v[84:85]
	buffer_load_dword v85, off, s[0:3], 0 offset:284
	buffer_load_dword v84, off, s[0:3], 0 offset:280
	s_waitcnt vmcnt(0)
	v_fmac_f64_e32 v[80:81], v[84:85], v[86:87]
	buffer_load_dword v87, off, s[0:3], 0 offset:292
	buffer_load_dword v86, off, s[0:3], 0 offset:288
	ds_read_b128 v[82:85], v82 offset:592
	s_waitcnt vmcnt(0) lgkmcnt(0)
	v_fmac_f64_e32 v[80:81], v[86:87], v[82:83]
	buffer_load_dword v83, off, s[0:3], 0 offset:300
	buffer_load_dword v82, off, s[0:3], 0 offset:296
	s_waitcnt vmcnt(0)
	v_fmac_f64_e32 v[80:81], v[82:83], v[84:85]
	v_add_f64 v[78:79], v[78:79], -v[80:81]
	buffer_store_dword v79, off, s[0:3], 0 offset:156
	buffer_store_dword v78, off, s[0:3], 0 offset:152
	s_and_saveexec_b64 s[4:5], vcc
	s_cbranch_execz .LBB101_199
; %bb.198:
	buffer_load_dword v78, off, s[0:3], 0 offset:144
	buffer_load_dword v79, off, s[0:3], 0 offset:148
	v_mov_b32_e32 v80, 0
	buffer_store_dword v80, off, s[0:3], 0 offset:144
	buffer_store_dword v80, off, s[0:3], 0 offset:148
	s_waitcnt vmcnt(2)
	ds_write_b64 v1, v[78:79]
.LBB101_199:
	s_or_b64 exec, exec, s[4:5]
	s_waitcnt lgkmcnt(0)
	; wave barrier
	s_waitcnt lgkmcnt(0)
	buffer_load_dword v78, off, s[0:3], 0 offset:144
	buffer_load_dword v79, off, s[0:3], 0 offset:148
	buffer_load_dword v80, off, s[0:3], 0 offset:152
	buffer_load_dword v81, off, s[0:3], 0 offset:156
	buffer_load_dword v88, off, s[0:3], 0 offset:160
	buffer_load_dword v89, off, s[0:3], 0 offset:164
	buffer_load_dword v90, off, s[0:3], 0 offset:168
	buffer_load_dword v91, off, s[0:3], 0 offset:172
	buffer_load_dword v92, off, s[0:3], 0 offset:176
	buffer_load_dword v93, off, s[0:3], 0 offset:180
	buffer_load_dword v94, off, s[0:3], 0 offset:184
	buffer_load_dword v95, off, s[0:3], 0 offset:188
	buffer_load_dword v96, off, s[0:3], 0 offset:192
	buffer_load_dword v97, off, s[0:3], 0 offset:196
	buffer_load_dword v98, off, s[0:3], 0 offset:200
	buffer_load_dword v99, off, s[0:3], 0 offset:204
	v_mov_b32_e32 v82, 0
	ds_read2_b64 v[84:87], v82 offset0:57 offset1:58
	v_cmp_lt_u32_e32 vcc, 17, v0
	s_waitcnt vmcnt(12) lgkmcnt(0)
	v_fma_f64 v[80:81], v[80:81], v[84:85], 0
	s_waitcnt vmcnt(10)
	v_fmac_f64_e32 v[80:81], v[88:89], v[86:87]
	ds_read2_b64 v[84:87], v82 offset0:59 offset1:60
	s_waitcnt vmcnt(8) lgkmcnt(0)
	v_fmac_f64_e32 v[80:81], v[90:91], v[84:85]
	s_waitcnt vmcnt(6)
	v_fmac_f64_e32 v[80:81], v[92:93], v[86:87]
	ds_read2_b64 v[84:87], v82 offset0:61 offset1:62
	s_waitcnt vmcnt(4) lgkmcnt(0)
	v_fmac_f64_e32 v[80:81], v[94:95], v[84:85]
	;; [unrolled: 5-line block ×3, first 2 shown]
	buffer_load_dword v85, off, s[0:3], 0 offset:212
	buffer_load_dword v84, off, s[0:3], 0 offset:208
	buffer_load_dword v89, off, s[0:3], 0 offset:220
	buffer_load_dword v88, off, s[0:3], 0 offset:216
	s_waitcnt vmcnt(2)
	v_fmac_f64_e32 v[80:81], v[84:85], v[86:87]
	ds_read2_b64 v[84:87], v82 offset0:65 offset1:66
	s_waitcnt vmcnt(0) lgkmcnt(0)
	v_fmac_f64_e32 v[80:81], v[88:89], v[84:85]
	buffer_load_dword v85, off, s[0:3], 0 offset:228
	buffer_load_dword v84, off, s[0:3], 0 offset:224
	buffer_load_dword v89, off, s[0:3], 0 offset:236
	buffer_load_dword v88, off, s[0:3], 0 offset:232
	s_waitcnt vmcnt(2)
	v_fmac_f64_e32 v[80:81], v[84:85], v[86:87]
	ds_read2_b64 v[84:87], v82 offset0:67 offset1:68
	s_waitcnt vmcnt(0) lgkmcnt(0)
	v_fmac_f64_e32 v[80:81], v[88:89], v[84:85]
	;; [unrolled: 9-line block ×5, first 2 shown]
	buffer_load_dword v85, off, s[0:3], 0 offset:292
	buffer_load_dword v84, off, s[0:3], 0 offset:288
	s_waitcnt vmcnt(0)
	v_fmac_f64_e32 v[80:81], v[84:85], v[86:87]
	buffer_load_dword v85, off, s[0:3], 0 offset:300
	buffer_load_dword v84, off, s[0:3], 0 offset:296
	ds_read_b64 v[86:87], v82 offset:600
	s_waitcnt vmcnt(0) lgkmcnt(0)
	v_fmac_f64_e32 v[80:81], v[84:85], v[86:87]
	v_add_f64 v[78:79], v[78:79], -v[80:81]
	buffer_store_dword v79, off, s[0:3], 0 offset:148
	buffer_store_dword v78, off, s[0:3], 0 offset:144
	s_and_saveexec_b64 s[4:5], vcc
	s_cbranch_execz .LBB101_201
; %bb.200:
	buffer_load_dword v78, off, s[0:3], 0 offset:136
	buffer_load_dword v79, off, s[0:3], 0 offset:140
	s_waitcnt vmcnt(0)
	ds_write_b64 v1, v[78:79]
	buffer_store_dword v82, off, s[0:3], 0 offset:136
	buffer_store_dword v82, off, s[0:3], 0 offset:140
.LBB101_201:
	s_or_b64 exec, exec, s[4:5]
	s_waitcnt lgkmcnt(0)
	; wave barrier
	s_waitcnt lgkmcnt(0)
	buffer_load_dword v78, off, s[0:3], 0 offset:136
	buffer_load_dword v79, off, s[0:3], 0 offset:140
	;; [unrolled: 1-line block ×16, first 2 shown]
	ds_read_b128 v[84:87], v82 offset:448
	ds_read_b128 v[88:91], v82 offset:464
	;; [unrolled: 1-line block ×4, first 2 shown]
	v_cmp_lt_u32_e32 vcc, 16, v0
	s_waitcnt vmcnt(12) lgkmcnt(3)
	v_fma_f64 v[80:81], v[80:81], v[84:85], 0
	buffer_load_dword v85, off, s[0:3], 0 offset:204
	buffer_load_dword v84, off, s[0:3], 0 offset:200
	s_waitcnt vmcnt(12)
	v_fmac_f64_e32 v[80:81], v[100:101], v[86:87]
	s_waitcnt vmcnt(10) lgkmcnt(2)
	v_fmac_f64_e32 v[80:81], v[102:103], v[88:89]
	buffer_load_dword v89, off, s[0:3], 0 offset:212
	buffer_load_dword v88, off, s[0:3], 0 offset:208
	s_waitcnt vmcnt(10)
	v_fmac_f64_e32 v[80:81], v[104:105], v[90:91]
	s_waitcnt vmcnt(8) lgkmcnt(1)
	v_fmac_f64_e32 v[80:81], v[106:107], v[92:93]
	s_waitcnt vmcnt(6)
	v_fmac_f64_e32 v[80:81], v[108:109], v[94:95]
	s_waitcnt vmcnt(4) lgkmcnt(0)
	v_fmac_f64_e32 v[80:81], v[110:111], v[96:97]
	s_waitcnt vmcnt(2)
	v_fmac_f64_e32 v[80:81], v[84:85], v[98:99]
	ds_read_b128 v[84:87], v82 offset:512
	s_waitcnt vmcnt(0) lgkmcnt(0)
	v_fmac_f64_e32 v[80:81], v[88:89], v[84:85]
	buffer_load_dword v85, off, s[0:3], 0 offset:220
	buffer_load_dword v84, off, s[0:3], 0 offset:216
	buffer_load_dword v89, off, s[0:3], 0 offset:228
	buffer_load_dword v88, off, s[0:3], 0 offset:224
	s_waitcnt vmcnt(2)
	v_fmac_f64_e32 v[80:81], v[84:85], v[86:87]
	ds_read_b128 v[84:87], v82 offset:528
	s_waitcnt vmcnt(0) lgkmcnt(0)
	v_fmac_f64_e32 v[80:81], v[88:89], v[84:85]
	buffer_load_dword v85, off, s[0:3], 0 offset:236
	buffer_load_dword v84, off, s[0:3], 0 offset:232
	buffer_load_dword v89, off, s[0:3], 0 offset:244
	buffer_load_dword v88, off, s[0:3], 0 offset:240
	;; [unrolled: 9-line block ×4, first 2 shown]
	s_waitcnt vmcnt(2)
	v_fmac_f64_e32 v[80:81], v[84:85], v[86:87]
	ds_read_b128 v[84:87], v82 offset:576
	s_waitcnt vmcnt(0) lgkmcnt(0)
	v_fmac_f64_e32 v[80:81], v[88:89], v[84:85]
	buffer_load_dword v85, off, s[0:3], 0 offset:284
	buffer_load_dword v84, off, s[0:3], 0 offset:280
	s_waitcnt vmcnt(0)
	v_fmac_f64_e32 v[80:81], v[84:85], v[86:87]
	buffer_load_dword v87, off, s[0:3], 0 offset:292
	buffer_load_dword v86, off, s[0:3], 0 offset:288
	ds_read_b128 v[82:85], v82 offset:592
	s_waitcnt vmcnt(0) lgkmcnt(0)
	v_fmac_f64_e32 v[80:81], v[86:87], v[82:83]
	buffer_load_dword v83, off, s[0:3], 0 offset:300
	buffer_load_dword v82, off, s[0:3], 0 offset:296
	s_waitcnt vmcnt(0)
	v_fmac_f64_e32 v[80:81], v[82:83], v[84:85]
	v_add_f64 v[78:79], v[78:79], -v[80:81]
	buffer_store_dword v79, off, s[0:3], 0 offset:140
	buffer_store_dword v78, off, s[0:3], 0 offset:136
	s_and_saveexec_b64 s[4:5], vcc
	s_cbranch_execz .LBB101_203
; %bb.202:
	buffer_load_dword v78, off, s[0:3], 0 offset:128
	buffer_load_dword v79, off, s[0:3], 0 offset:132
	v_mov_b32_e32 v80, 0
	buffer_store_dword v80, off, s[0:3], 0 offset:128
	buffer_store_dword v80, off, s[0:3], 0 offset:132
	s_waitcnt vmcnt(2)
	ds_write_b64 v1, v[78:79]
.LBB101_203:
	s_or_b64 exec, exec, s[4:5]
	s_waitcnt lgkmcnt(0)
	; wave barrier
	s_waitcnt lgkmcnt(0)
	buffer_load_dword v78, off, s[0:3], 0 offset:128
	buffer_load_dword v79, off, s[0:3], 0 offset:132
	;; [unrolled: 1-line block ×16, first 2 shown]
	v_mov_b32_e32 v82, 0
	ds_read2_b64 v[84:87], v82 offset0:55 offset1:56
	v_cmp_lt_u32_e32 vcc, 15, v0
	s_waitcnt vmcnt(12) lgkmcnt(0)
	v_fma_f64 v[80:81], v[80:81], v[84:85], 0
	s_waitcnt vmcnt(10)
	v_fmac_f64_e32 v[80:81], v[88:89], v[86:87]
	ds_read2_b64 v[84:87], v82 offset0:57 offset1:58
	s_waitcnt vmcnt(8) lgkmcnt(0)
	v_fmac_f64_e32 v[80:81], v[90:91], v[84:85]
	s_waitcnt vmcnt(6)
	v_fmac_f64_e32 v[80:81], v[92:93], v[86:87]
	ds_read2_b64 v[84:87], v82 offset0:59 offset1:60
	s_waitcnt vmcnt(4) lgkmcnt(0)
	v_fmac_f64_e32 v[80:81], v[94:95], v[84:85]
	;; [unrolled: 5-line block ×3, first 2 shown]
	buffer_load_dword v85, off, s[0:3], 0 offset:196
	buffer_load_dword v84, off, s[0:3], 0 offset:192
	buffer_load_dword v89, off, s[0:3], 0 offset:204
	buffer_load_dword v88, off, s[0:3], 0 offset:200
	s_waitcnt vmcnt(2)
	v_fmac_f64_e32 v[80:81], v[84:85], v[86:87]
	ds_read2_b64 v[84:87], v82 offset0:63 offset1:64
	s_waitcnt vmcnt(0) lgkmcnt(0)
	v_fmac_f64_e32 v[80:81], v[88:89], v[84:85]
	buffer_load_dword v85, off, s[0:3], 0 offset:212
	buffer_load_dword v84, off, s[0:3], 0 offset:208
	buffer_load_dword v89, off, s[0:3], 0 offset:220
	buffer_load_dword v88, off, s[0:3], 0 offset:216
	s_waitcnt vmcnt(2)
	v_fmac_f64_e32 v[80:81], v[84:85], v[86:87]
	ds_read2_b64 v[84:87], v82 offset0:65 offset1:66
	s_waitcnt vmcnt(0) lgkmcnt(0)
	v_fmac_f64_e32 v[80:81], v[88:89], v[84:85]
	;; [unrolled: 9-line block ×6, first 2 shown]
	buffer_load_dword v85, off, s[0:3], 0 offset:292
	buffer_load_dword v84, off, s[0:3], 0 offset:288
	s_waitcnt vmcnt(0)
	v_fmac_f64_e32 v[80:81], v[84:85], v[86:87]
	buffer_load_dword v85, off, s[0:3], 0 offset:300
	buffer_load_dword v84, off, s[0:3], 0 offset:296
	ds_read_b64 v[86:87], v82 offset:600
	s_waitcnt vmcnt(0) lgkmcnt(0)
	v_fmac_f64_e32 v[80:81], v[84:85], v[86:87]
	v_add_f64 v[78:79], v[78:79], -v[80:81]
	buffer_store_dword v79, off, s[0:3], 0 offset:132
	buffer_store_dword v78, off, s[0:3], 0 offset:128
	s_and_saveexec_b64 s[4:5], vcc
	s_cbranch_execz .LBB101_205
; %bb.204:
	buffer_load_dword v78, off, s[0:3], 0 offset:120
	buffer_load_dword v79, off, s[0:3], 0 offset:124
	s_waitcnt vmcnt(0)
	ds_write_b64 v1, v[78:79]
	buffer_store_dword v82, off, s[0:3], 0 offset:120
	buffer_store_dword v82, off, s[0:3], 0 offset:124
.LBB101_205:
	s_or_b64 exec, exec, s[4:5]
	s_waitcnt lgkmcnt(0)
	; wave barrier
	s_waitcnt lgkmcnt(0)
	buffer_load_dword v78, off, s[0:3], 0 offset:120
	buffer_load_dword v79, off, s[0:3], 0 offset:124
	;; [unrolled: 1-line block ×16, first 2 shown]
	ds_read_b128 v[84:87], v82 offset:432
	ds_read_b128 v[88:91], v82 offset:448
	;; [unrolled: 1-line block ×4, first 2 shown]
	v_cmp_lt_u32_e32 vcc, 14, v0
	s_waitcnt vmcnt(12) lgkmcnt(3)
	v_fma_f64 v[80:81], v[80:81], v[84:85], 0
	buffer_load_dword v85, off, s[0:3], 0 offset:188
	buffer_load_dword v84, off, s[0:3], 0 offset:184
	s_waitcnt vmcnt(12)
	v_fmac_f64_e32 v[80:81], v[100:101], v[86:87]
	s_waitcnt vmcnt(10) lgkmcnt(2)
	v_fmac_f64_e32 v[80:81], v[102:103], v[88:89]
	buffer_load_dword v89, off, s[0:3], 0 offset:196
	buffer_load_dword v88, off, s[0:3], 0 offset:192
	s_waitcnt vmcnt(10)
	v_fmac_f64_e32 v[80:81], v[104:105], v[90:91]
	s_waitcnt vmcnt(8) lgkmcnt(1)
	v_fmac_f64_e32 v[80:81], v[106:107], v[92:93]
	s_waitcnt vmcnt(6)
	v_fmac_f64_e32 v[80:81], v[108:109], v[94:95]
	s_waitcnt vmcnt(4) lgkmcnt(0)
	v_fmac_f64_e32 v[80:81], v[110:111], v[96:97]
	s_waitcnt vmcnt(2)
	v_fmac_f64_e32 v[80:81], v[84:85], v[98:99]
	ds_read_b128 v[84:87], v82 offset:496
	s_waitcnt vmcnt(0) lgkmcnt(0)
	v_fmac_f64_e32 v[80:81], v[88:89], v[84:85]
	buffer_load_dword v85, off, s[0:3], 0 offset:204
	buffer_load_dword v84, off, s[0:3], 0 offset:200
	buffer_load_dword v89, off, s[0:3], 0 offset:212
	buffer_load_dword v88, off, s[0:3], 0 offset:208
	s_waitcnt vmcnt(2)
	v_fmac_f64_e32 v[80:81], v[84:85], v[86:87]
	ds_read_b128 v[84:87], v82 offset:512
	s_waitcnt vmcnt(0) lgkmcnt(0)
	v_fmac_f64_e32 v[80:81], v[88:89], v[84:85]
	buffer_load_dword v85, off, s[0:3], 0 offset:220
	buffer_load_dword v84, off, s[0:3], 0 offset:216
	buffer_load_dword v89, off, s[0:3], 0 offset:228
	buffer_load_dword v88, off, s[0:3], 0 offset:224
	;; [unrolled: 9-line block ×5, first 2 shown]
	s_waitcnt vmcnt(2)
	v_fmac_f64_e32 v[80:81], v[84:85], v[86:87]
	ds_read_b128 v[84:87], v82 offset:576
	s_waitcnt vmcnt(0) lgkmcnt(0)
	v_fmac_f64_e32 v[80:81], v[88:89], v[84:85]
	buffer_load_dword v85, off, s[0:3], 0 offset:284
	buffer_load_dword v84, off, s[0:3], 0 offset:280
	s_waitcnt vmcnt(0)
	v_fmac_f64_e32 v[80:81], v[84:85], v[86:87]
	buffer_load_dword v87, off, s[0:3], 0 offset:292
	buffer_load_dword v86, off, s[0:3], 0 offset:288
	ds_read_b128 v[82:85], v82 offset:592
	s_waitcnt vmcnt(0) lgkmcnt(0)
	v_fmac_f64_e32 v[80:81], v[86:87], v[82:83]
	buffer_load_dword v83, off, s[0:3], 0 offset:300
	buffer_load_dword v82, off, s[0:3], 0 offset:296
	s_waitcnt vmcnt(0)
	v_fmac_f64_e32 v[80:81], v[82:83], v[84:85]
	v_add_f64 v[78:79], v[78:79], -v[80:81]
	buffer_store_dword v79, off, s[0:3], 0 offset:124
	buffer_store_dword v78, off, s[0:3], 0 offset:120
	s_and_saveexec_b64 s[4:5], vcc
	s_cbranch_execz .LBB101_207
; %bb.206:
	buffer_load_dword v78, off, s[0:3], 0 offset:112
	buffer_load_dword v79, off, s[0:3], 0 offset:116
	v_mov_b32_e32 v80, 0
	buffer_store_dword v80, off, s[0:3], 0 offset:112
	buffer_store_dword v80, off, s[0:3], 0 offset:116
	s_waitcnt vmcnt(2)
	ds_write_b64 v1, v[78:79]
.LBB101_207:
	s_or_b64 exec, exec, s[4:5]
	s_waitcnt lgkmcnt(0)
	; wave barrier
	s_waitcnt lgkmcnt(0)
	buffer_load_dword v78, off, s[0:3], 0 offset:112
	buffer_load_dword v79, off, s[0:3], 0 offset:116
	;; [unrolled: 1-line block ×16, first 2 shown]
	v_mov_b32_e32 v82, 0
	ds_read2_b64 v[84:87], v82 offset0:53 offset1:54
	v_cmp_lt_u32_e32 vcc, 13, v0
	s_waitcnt vmcnt(12) lgkmcnt(0)
	v_fma_f64 v[80:81], v[80:81], v[84:85], 0
	s_waitcnt vmcnt(10)
	v_fmac_f64_e32 v[80:81], v[88:89], v[86:87]
	ds_read2_b64 v[84:87], v82 offset0:55 offset1:56
	s_waitcnt vmcnt(8) lgkmcnt(0)
	v_fmac_f64_e32 v[80:81], v[90:91], v[84:85]
	s_waitcnt vmcnt(6)
	v_fmac_f64_e32 v[80:81], v[92:93], v[86:87]
	ds_read2_b64 v[84:87], v82 offset0:57 offset1:58
	s_waitcnt vmcnt(4) lgkmcnt(0)
	v_fmac_f64_e32 v[80:81], v[94:95], v[84:85]
	;; [unrolled: 5-line block ×3, first 2 shown]
	buffer_load_dword v85, off, s[0:3], 0 offset:180
	buffer_load_dword v84, off, s[0:3], 0 offset:176
	buffer_load_dword v89, off, s[0:3], 0 offset:188
	buffer_load_dword v88, off, s[0:3], 0 offset:184
	s_waitcnt vmcnt(2)
	v_fmac_f64_e32 v[80:81], v[84:85], v[86:87]
	ds_read2_b64 v[84:87], v82 offset0:61 offset1:62
	s_waitcnt vmcnt(0) lgkmcnt(0)
	v_fmac_f64_e32 v[80:81], v[88:89], v[84:85]
	buffer_load_dword v85, off, s[0:3], 0 offset:196
	buffer_load_dword v84, off, s[0:3], 0 offset:192
	buffer_load_dword v89, off, s[0:3], 0 offset:204
	buffer_load_dword v88, off, s[0:3], 0 offset:200
	s_waitcnt vmcnt(2)
	v_fmac_f64_e32 v[80:81], v[84:85], v[86:87]
	ds_read2_b64 v[84:87], v82 offset0:63 offset1:64
	s_waitcnt vmcnt(0) lgkmcnt(0)
	v_fmac_f64_e32 v[80:81], v[88:89], v[84:85]
	;; [unrolled: 9-line block ×7, first 2 shown]
	buffer_load_dword v85, off, s[0:3], 0 offset:292
	buffer_load_dword v84, off, s[0:3], 0 offset:288
	s_waitcnt vmcnt(0)
	v_fmac_f64_e32 v[80:81], v[84:85], v[86:87]
	buffer_load_dword v85, off, s[0:3], 0 offset:300
	buffer_load_dword v84, off, s[0:3], 0 offset:296
	ds_read_b64 v[86:87], v82 offset:600
	s_waitcnt vmcnt(0) lgkmcnt(0)
	v_fmac_f64_e32 v[80:81], v[84:85], v[86:87]
	v_add_f64 v[78:79], v[78:79], -v[80:81]
	buffer_store_dword v79, off, s[0:3], 0 offset:116
	buffer_store_dword v78, off, s[0:3], 0 offset:112
	s_and_saveexec_b64 s[4:5], vcc
	s_cbranch_execz .LBB101_209
; %bb.208:
	buffer_load_dword v78, off, s[0:3], 0 offset:104
	buffer_load_dword v79, off, s[0:3], 0 offset:108
	s_waitcnt vmcnt(0)
	ds_write_b64 v1, v[78:79]
	buffer_store_dword v82, off, s[0:3], 0 offset:104
	buffer_store_dword v82, off, s[0:3], 0 offset:108
.LBB101_209:
	s_or_b64 exec, exec, s[4:5]
	s_waitcnt lgkmcnt(0)
	; wave barrier
	s_waitcnt lgkmcnt(0)
	buffer_load_dword v78, off, s[0:3], 0 offset:104
	buffer_load_dword v79, off, s[0:3], 0 offset:108
	;; [unrolled: 1-line block ×16, first 2 shown]
	ds_read_b128 v[84:87], v82 offset:416
	ds_read_b128 v[88:91], v82 offset:432
	;; [unrolled: 1-line block ×4, first 2 shown]
	v_cmp_lt_u32_e32 vcc, 12, v0
	s_waitcnt vmcnt(12) lgkmcnt(3)
	v_fma_f64 v[80:81], v[80:81], v[84:85], 0
	buffer_load_dword v85, off, s[0:3], 0 offset:172
	buffer_load_dword v84, off, s[0:3], 0 offset:168
	s_waitcnt vmcnt(12)
	v_fmac_f64_e32 v[80:81], v[100:101], v[86:87]
	s_waitcnt vmcnt(10) lgkmcnt(2)
	v_fmac_f64_e32 v[80:81], v[102:103], v[88:89]
	buffer_load_dword v89, off, s[0:3], 0 offset:180
	buffer_load_dword v88, off, s[0:3], 0 offset:176
	s_waitcnt vmcnt(10)
	v_fmac_f64_e32 v[80:81], v[104:105], v[90:91]
	s_waitcnt vmcnt(8) lgkmcnt(1)
	v_fmac_f64_e32 v[80:81], v[106:107], v[92:93]
	s_waitcnt vmcnt(6)
	v_fmac_f64_e32 v[80:81], v[108:109], v[94:95]
	s_waitcnt vmcnt(4) lgkmcnt(0)
	v_fmac_f64_e32 v[80:81], v[110:111], v[96:97]
	s_waitcnt vmcnt(2)
	v_fmac_f64_e32 v[80:81], v[84:85], v[98:99]
	ds_read_b128 v[84:87], v82 offset:480
	s_waitcnt vmcnt(0) lgkmcnt(0)
	v_fmac_f64_e32 v[80:81], v[88:89], v[84:85]
	buffer_load_dword v85, off, s[0:3], 0 offset:188
	buffer_load_dword v84, off, s[0:3], 0 offset:184
	buffer_load_dword v89, off, s[0:3], 0 offset:196
	buffer_load_dword v88, off, s[0:3], 0 offset:192
	s_waitcnt vmcnt(2)
	v_fmac_f64_e32 v[80:81], v[84:85], v[86:87]
	ds_read_b128 v[84:87], v82 offset:496
	s_waitcnt vmcnt(0) lgkmcnt(0)
	v_fmac_f64_e32 v[80:81], v[88:89], v[84:85]
	buffer_load_dword v85, off, s[0:3], 0 offset:204
	buffer_load_dword v84, off, s[0:3], 0 offset:200
	buffer_load_dword v89, off, s[0:3], 0 offset:212
	buffer_load_dword v88, off, s[0:3], 0 offset:208
	;; [unrolled: 9-line block ×6, first 2 shown]
	s_waitcnt vmcnt(2)
	v_fmac_f64_e32 v[80:81], v[84:85], v[86:87]
	ds_read_b128 v[84:87], v82 offset:576
	s_waitcnt vmcnt(0) lgkmcnt(0)
	v_fmac_f64_e32 v[80:81], v[88:89], v[84:85]
	buffer_load_dword v85, off, s[0:3], 0 offset:284
	buffer_load_dword v84, off, s[0:3], 0 offset:280
	s_waitcnt vmcnt(0)
	v_fmac_f64_e32 v[80:81], v[84:85], v[86:87]
	buffer_load_dword v87, off, s[0:3], 0 offset:292
	buffer_load_dword v86, off, s[0:3], 0 offset:288
	ds_read_b128 v[82:85], v82 offset:592
	s_waitcnt vmcnt(0) lgkmcnt(0)
	v_fmac_f64_e32 v[80:81], v[86:87], v[82:83]
	buffer_load_dword v83, off, s[0:3], 0 offset:300
	buffer_load_dword v82, off, s[0:3], 0 offset:296
	s_waitcnt vmcnt(0)
	v_fmac_f64_e32 v[80:81], v[82:83], v[84:85]
	v_add_f64 v[78:79], v[78:79], -v[80:81]
	buffer_store_dword v79, off, s[0:3], 0 offset:108
	buffer_store_dword v78, off, s[0:3], 0 offset:104
	s_and_saveexec_b64 s[4:5], vcc
	s_cbranch_execz .LBB101_211
; %bb.210:
	buffer_load_dword v78, off, s[0:3], 0 offset:96
	buffer_load_dword v79, off, s[0:3], 0 offset:100
	v_mov_b32_e32 v80, 0
	buffer_store_dword v80, off, s[0:3], 0 offset:96
	buffer_store_dword v80, off, s[0:3], 0 offset:100
	s_waitcnt vmcnt(2)
	ds_write_b64 v1, v[78:79]
.LBB101_211:
	s_or_b64 exec, exec, s[4:5]
	s_waitcnt lgkmcnt(0)
	; wave barrier
	s_waitcnt lgkmcnt(0)
	buffer_load_dword v78, off, s[0:3], 0 offset:96
	buffer_load_dword v79, off, s[0:3], 0 offset:100
	;; [unrolled: 1-line block ×16, first 2 shown]
	v_mov_b32_e32 v82, 0
	ds_read2_b64 v[84:87], v82 offset0:51 offset1:52
	v_cmp_lt_u32_e32 vcc, 11, v0
	s_waitcnt vmcnt(12) lgkmcnt(0)
	v_fma_f64 v[80:81], v[80:81], v[84:85], 0
	s_waitcnt vmcnt(10)
	v_fmac_f64_e32 v[80:81], v[88:89], v[86:87]
	ds_read2_b64 v[84:87], v82 offset0:53 offset1:54
	s_waitcnt vmcnt(8) lgkmcnt(0)
	v_fmac_f64_e32 v[80:81], v[90:91], v[84:85]
	s_waitcnt vmcnt(6)
	v_fmac_f64_e32 v[80:81], v[92:93], v[86:87]
	ds_read2_b64 v[84:87], v82 offset0:55 offset1:56
	s_waitcnt vmcnt(4) lgkmcnt(0)
	v_fmac_f64_e32 v[80:81], v[94:95], v[84:85]
	s_waitcnt vmcnt(2)
	v_fmac_f64_e32 v[80:81], v[96:97], v[86:87]
	ds_read2_b64 v[84:87], v82 offset0:57 offset1:58
	s_waitcnt vmcnt(0) lgkmcnt(0)
	v_fmac_f64_e32 v[80:81], v[98:99], v[84:85]
	buffer_load_dword v85, off, s[0:3], 0 offset:164
	buffer_load_dword v84, off, s[0:3], 0 offset:160
	buffer_load_dword v89, off, s[0:3], 0 offset:172
	buffer_load_dword v88, off, s[0:3], 0 offset:168
	s_waitcnt vmcnt(2)
	v_fmac_f64_e32 v[80:81], v[84:85], v[86:87]
	ds_read2_b64 v[84:87], v82 offset0:59 offset1:60
	s_waitcnt vmcnt(0) lgkmcnt(0)
	v_fmac_f64_e32 v[80:81], v[88:89], v[84:85]
	buffer_load_dword v85, off, s[0:3], 0 offset:180
	buffer_load_dword v84, off, s[0:3], 0 offset:176
	buffer_load_dword v89, off, s[0:3], 0 offset:188
	buffer_load_dword v88, off, s[0:3], 0 offset:184
	s_waitcnt vmcnt(2)
	v_fmac_f64_e32 v[80:81], v[84:85], v[86:87]
	ds_read2_b64 v[84:87], v82 offset0:61 offset1:62
	s_waitcnt vmcnt(0) lgkmcnt(0)
	v_fmac_f64_e32 v[80:81], v[88:89], v[84:85]
	;; [unrolled: 9-line block ×8, first 2 shown]
	buffer_load_dword v85, off, s[0:3], 0 offset:292
	buffer_load_dword v84, off, s[0:3], 0 offset:288
	s_waitcnt vmcnt(0)
	v_fmac_f64_e32 v[80:81], v[84:85], v[86:87]
	buffer_load_dword v85, off, s[0:3], 0 offset:300
	buffer_load_dword v84, off, s[0:3], 0 offset:296
	ds_read_b64 v[86:87], v82 offset:600
	s_waitcnt vmcnt(0) lgkmcnt(0)
	v_fmac_f64_e32 v[80:81], v[84:85], v[86:87]
	v_add_f64 v[78:79], v[78:79], -v[80:81]
	buffer_store_dword v79, off, s[0:3], 0 offset:100
	buffer_store_dword v78, off, s[0:3], 0 offset:96
	s_and_saveexec_b64 s[4:5], vcc
	s_cbranch_execz .LBB101_213
; %bb.212:
	buffer_load_dword v78, off, s[0:3], 0 offset:88
	buffer_load_dword v79, off, s[0:3], 0 offset:92
	s_waitcnt vmcnt(0)
	ds_write_b64 v1, v[78:79]
	buffer_store_dword v82, off, s[0:3], 0 offset:88
	buffer_store_dword v82, off, s[0:3], 0 offset:92
.LBB101_213:
	s_or_b64 exec, exec, s[4:5]
	s_waitcnt lgkmcnt(0)
	; wave barrier
	s_waitcnt lgkmcnt(0)
	buffer_load_dword v78, off, s[0:3], 0 offset:88
	buffer_load_dword v79, off, s[0:3], 0 offset:92
	;; [unrolled: 1-line block ×16, first 2 shown]
	ds_read_b128 v[84:87], v82 offset:400
	ds_read_b128 v[88:91], v82 offset:416
	ds_read_b128 v[92:95], v82 offset:432
	ds_read_b128 v[96:99], v82 offset:448
	v_cmp_lt_u32_e32 vcc, 10, v0
	s_waitcnt vmcnt(12) lgkmcnt(3)
	v_fma_f64 v[80:81], v[80:81], v[84:85], 0
	buffer_load_dword v85, off, s[0:3], 0 offset:156
	buffer_load_dword v84, off, s[0:3], 0 offset:152
	s_waitcnt vmcnt(12)
	v_fmac_f64_e32 v[80:81], v[100:101], v[86:87]
	s_waitcnt vmcnt(10) lgkmcnt(2)
	v_fmac_f64_e32 v[80:81], v[102:103], v[88:89]
	buffer_load_dword v89, off, s[0:3], 0 offset:164
	buffer_load_dword v88, off, s[0:3], 0 offset:160
	s_waitcnt vmcnt(10)
	v_fmac_f64_e32 v[80:81], v[104:105], v[90:91]
	s_waitcnt vmcnt(8) lgkmcnt(1)
	v_fmac_f64_e32 v[80:81], v[106:107], v[92:93]
	s_waitcnt vmcnt(6)
	v_fmac_f64_e32 v[80:81], v[108:109], v[94:95]
	s_waitcnt vmcnt(4) lgkmcnt(0)
	v_fmac_f64_e32 v[80:81], v[110:111], v[96:97]
	s_waitcnt vmcnt(2)
	v_fmac_f64_e32 v[80:81], v[84:85], v[98:99]
	ds_read_b128 v[84:87], v82 offset:464
	s_waitcnt vmcnt(0) lgkmcnt(0)
	v_fmac_f64_e32 v[80:81], v[88:89], v[84:85]
	buffer_load_dword v85, off, s[0:3], 0 offset:172
	buffer_load_dword v84, off, s[0:3], 0 offset:168
	buffer_load_dword v89, off, s[0:3], 0 offset:180
	buffer_load_dword v88, off, s[0:3], 0 offset:176
	s_waitcnt vmcnt(2)
	v_fmac_f64_e32 v[80:81], v[84:85], v[86:87]
	ds_read_b128 v[84:87], v82 offset:480
	s_waitcnt vmcnt(0) lgkmcnt(0)
	v_fmac_f64_e32 v[80:81], v[88:89], v[84:85]
	buffer_load_dword v85, off, s[0:3], 0 offset:188
	buffer_load_dword v84, off, s[0:3], 0 offset:184
	buffer_load_dword v89, off, s[0:3], 0 offset:196
	buffer_load_dword v88, off, s[0:3], 0 offset:192
	;; [unrolled: 9-line block ×7, first 2 shown]
	s_waitcnt vmcnt(2)
	v_fmac_f64_e32 v[80:81], v[84:85], v[86:87]
	ds_read_b128 v[84:87], v82 offset:576
	s_waitcnt vmcnt(0) lgkmcnt(0)
	v_fmac_f64_e32 v[80:81], v[88:89], v[84:85]
	buffer_load_dword v85, off, s[0:3], 0 offset:284
	buffer_load_dword v84, off, s[0:3], 0 offset:280
	s_waitcnt vmcnt(0)
	v_fmac_f64_e32 v[80:81], v[84:85], v[86:87]
	buffer_load_dword v87, off, s[0:3], 0 offset:292
	buffer_load_dword v86, off, s[0:3], 0 offset:288
	ds_read_b128 v[82:85], v82 offset:592
	s_waitcnt vmcnt(0) lgkmcnt(0)
	v_fmac_f64_e32 v[80:81], v[86:87], v[82:83]
	buffer_load_dword v83, off, s[0:3], 0 offset:300
	buffer_load_dword v82, off, s[0:3], 0 offset:296
	s_waitcnt vmcnt(0)
	v_fmac_f64_e32 v[80:81], v[82:83], v[84:85]
	v_add_f64 v[78:79], v[78:79], -v[80:81]
	buffer_store_dword v79, off, s[0:3], 0 offset:92
	buffer_store_dword v78, off, s[0:3], 0 offset:88
	s_and_saveexec_b64 s[4:5], vcc
	s_cbranch_execz .LBB101_215
; %bb.214:
	buffer_load_dword v78, off, s[0:3], 0 offset:80
	buffer_load_dword v79, off, s[0:3], 0 offset:84
	v_mov_b32_e32 v80, 0
	buffer_store_dword v80, off, s[0:3], 0 offset:80
	buffer_store_dword v80, off, s[0:3], 0 offset:84
	s_waitcnt vmcnt(2)
	ds_write_b64 v1, v[78:79]
.LBB101_215:
	s_or_b64 exec, exec, s[4:5]
	s_waitcnt lgkmcnt(0)
	; wave barrier
	s_waitcnt lgkmcnt(0)
	buffer_load_dword v78, off, s[0:3], 0 offset:80
	buffer_load_dword v79, off, s[0:3], 0 offset:84
	;; [unrolled: 1-line block ×16, first 2 shown]
	v_mov_b32_e32 v82, 0
	ds_read2_b64 v[84:87], v82 offset0:49 offset1:50
	v_cmp_lt_u32_e32 vcc, 9, v0
	s_waitcnt vmcnt(12) lgkmcnt(0)
	v_fma_f64 v[80:81], v[80:81], v[84:85], 0
	s_waitcnt vmcnt(10)
	v_fmac_f64_e32 v[80:81], v[88:89], v[86:87]
	ds_read2_b64 v[84:87], v82 offset0:51 offset1:52
	s_waitcnt vmcnt(8) lgkmcnt(0)
	v_fmac_f64_e32 v[80:81], v[90:91], v[84:85]
	s_waitcnt vmcnt(6)
	v_fmac_f64_e32 v[80:81], v[92:93], v[86:87]
	ds_read2_b64 v[84:87], v82 offset0:53 offset1:54
	s_waitcnt vmcnt(4) lgkmcnt(0)
	v_fmac_f64_e32 v[80:81], v[94:95], v[84:85]
	;; [unrolled: 5-line block ×3, first 2 shown]
	buffer_load_dword v85, off, s[0:3], 0 offset:148
	buffer_load_dword v84, off, s[0:3], 0 offset:144
	buffer_load_dword v89, off, s[0:3], 0 offset:156
	buffer_load_dword v88, off, s[0:3], 0 offset:152
	s_waitcnt vmcnt(2)
	v_fmac_f64_e32 v[80:81], v[84:85], v[86:87]
	ds_read2_b64 v[84:87], v82 offset0:57 offset1:58
	s_waitcnt vmcnt(0) lgkmcnt(0)
	v_fmac_f64_e32 v[80:81], v[88:89], v[84:85]
	buffer_load_dword v85, off, s[0:3], 0 offset:164
	buffer_load_dword v84, off, s[0:3], 0 offset:160
	buffer_load_dword v89, off, s[0:3], 0 offset:172
	buffer_load_dword v88, off, s[0:3], 0 offset:168
	s_waitcnt vmcnt(2)
	v_fmac_f64_e32 v[80:81], v[84:85], v[86:87]
	ds_read2_b64 v[84:87], v82 offset0:59 offset1:60
	s_waitcnt vmcnt(0) lgkmcnt(0)
	v_fmac_f64_e32 v[80:81], v[88:89], v[84:85]
	;; [unrolled: 9-line block ×9, first 2 shown]
	buffer_load_dword v85, off, s[0:3], 0 offset:292
	buffer_load_dword v84, off, s[0:3], 0 offset:288
	s_waitcnt vmcnt(0)
	v_fmac_f64_e32 v[80:81], v[84:85], v[86:87]
	buffer_load_dword v85, off, s[0:3], 0 offset:300
	buffer_load_dword v84, off, s[0:3], 0 offset:296
	ds_read_b64 v[86:87], v82 offset:600
	s_waitcnt vmcnt(0) lgkmcnt(0)
	v_fmac_f64_e32 v[80:81], v[84:85], v[86:87]
	v_add_f64 v[78:79], v[78:79], -v[80:81]
	buffer_store_dword v79, off, s[0:3], 0 offset:84
	buffer_store_dword v78, off, s[0:3], 0 offset:80
	s_and_saveexec_b64 s[4:5], vcc
	s_cbranch_execz .LBB101_217
; %bb.216:
	buffer_load_dword v78, off, s[0:3], 0 offset:72
	buffer_load_dword v79, off, s[0:3], 0 offset:76
	s_waitcnt vmcnt(0)
	ds_write_b64 v1, v[78:79]
	buffer_store_dword v82, off, s[0:3], 0 offset:72
	buffer_store_dword v82, off, s[0:3], 0 offset:76
.LBB101_217:
	s_or_b64 exec, exec, s[4:5]
	s_waitcnt lgkmcnt(0)
	; wave barrier
	s_waitcnt lgkmcnt(0)
	buffer_load_dword v78, off, s[0:3], 0 offset:72
	buffer_load_dword v79, off, s[0:3], 0 offset:76
	;; [unrolled: 1-line block ×16, first 2 shown]
	ds_read_b128 v[84:87], v82 offset:384
	ds_read_b128 v[88:91], v82 offset:400
	;; [unrolled: 1-line block ×4, first 2 shown]
	v_cmp_lt_u32_e32 vcc, 8, v0
	s_waitcnt vmcnt(12) lgkmcnt(3)
	v_fma_f64 v[80:81], v[80:81], v[84:85], 0
	buffer_load_dword v85, off, s[0:3], 0 offset:140
	buffer_load_dword v84, off, s[0:3], 0 offset:136
	s_waitcnt vmcnt(12)
	v_fmac_f64_e32 v[80:81], v[100:101], v[86:87]
	s_waitcnt vmcnt(10) lgkmcnt(2)
	v_fmac_f64_e32 v[80:81], v[102:103], v[88:89]
	buffer_load_dword v89, off, s[0:3], 0 offset:148
	buffer_load_dword v88, off, s[0:3], 0 offset:144
	s_waitcnt vmcnt(10)
	v_fmac_f64_e32 v[80:81], v[104:105], v[90:91]
	s_waitcnt vmcnt(8) lgkmcnt(1)
	v_fmac_f64_e32 v[80:81], v[106:107], v[92:93]
	s_waitcnt vmcnt(6)
	v_fmac_f64_e32 v[80:81], v[108:109], v[94:95]
	s_waitcnt vmcnt(4) lgkmcnt(0)
	v_fmac_f64_e32 v[80:81], v[110:111], v[96:97]
	s_waitcnt vmcnt(2)
	v_fmac_f64_e32 v[80:81], v[84:85], v[98:99]
	ds_read_b128 v[84:87], v82 offset:448
	s_waitcnt vmcnt(0) lgkmcnt(0)
	v_fmac_f64_e32 v[80:81], v[88:89], v[84:85]
	buffer_load_dword v85, off, s[0:3], 0 offset:156
	buffer_load_dword v84, off, s[0:3], 0 offset:152
	buffer_load_dword v89, off, s[0:3], 0 offset:164
	buffer_load_dword v88, off, s[0:3], 0 offset:160
	s_waitcnt vmcnt(2)
	v_fmac_f64_e32 v[80:81], v[84:85], v[86:87]
	ds_read_b128 v[84:87], v82 offset:464
	s_waitcnt vmcnt(0) lgkmcnt(0)
	v_fmac_f64_e32 v[80:81], v[88:89], v[84:85]
	buffer_load_dword v85, off, s[0:3], 0 offset:172
	buffer_load_dword v84, off, s[0:3], 0 offset:168
	buffer_load_dword v89, off, s[0:3], 0 offset:180
	buffer_load_dword v88, off, s[0:3], 0 offset:176
	;; [unrolled: 9-line block ×8, first 2 shown]
	s_waitcnt vmcnt(2)
	v_fmac_f64_e32 v[80:81], v[84:85], v[86:87]
	ds_read_b128 v[84:87], v82 offset:576
	s_waitcnt vmcnt(0) lgkmcnt(0)
	v_fmac_f64_e32 v[80:81], v[88:89], v[84:85]
	buffer_load_dword v85, off, s[0:3], 0 offset:284
	buffer_load_dword v84, off, s[0:3], 0 offset:280
	s_waitcnt vmcnt(0)
	v_fmac_f64_e32 v[80:81], v[84:85], v[86:87]
	buffer_load_dword v87, off, s[0:3], 0 offset:292
	buffer_load_dword v86, off, s[0:3], 0 offset:288
	ds_read_b128 v[82:85], v82 offset:592
	s_waitcnt vmcnt(0) lgkmcnt(0)
	v_fmac_f64_e32 v[80:81], v[86:87], v[82:83]
	buffer_load_dword v83, off, s[0:3], 0 offset:300
	buffer_load_dword v82, off, s[0:3], 0 offset:296
	s_waitcnt vmcnt(0)
	v_fmac_f64_e32 v[80:81], v[82:83], v[84:85]
	v_add_f64 v[78:79], v[78:79], -v[80:81]
	buffer_store_dword v79, off, s[0:3], 0 offset:76
	buffer_store_dword v78, off, s[0:3], 0 offset:72
	s_and_saveexec_b64 s[4:5], vcc
	s_cbranch_execz .LBB101_219
; %bb.218:
	buffer_load_dword v78, off, s[0:3], 0 offset:64
	buffer_load_dword v79, off, s[0:3], 0 offset:68
	v_mov_b32_e32 v80, 0
	buffer_store_dword v80, off, s[0:3], 0 offset:64
	buffer_store_dword v80, off, s[0:3], 0 offset:68
	s_waitcnt vmcnt(2)
	ds_write_b64 v1, v[78:79]
.LBB101_219:
	s_or_b64 exec, exec, s[4:5]
	s_waitcnt lgkmcnt(0)
	; wave barrier
	s_waitcnt lgkmcnt(0)
	buffer_load_dword v78, off, s[0:3], 0 offset:64
	buffer_load_dword v79, off, s[0:3], 0 offset:68
	;; [unrolled: 1-line block ×16, first 2 shown]
	v_mov_b32_e32 v82, 0
	ds_read2_b64 v[84:87], v82 offset0:47 offset1:48
	v_cmp_lt_u32_e32 vcc, 7, v0
	s_waitcnt vmcnt(12) lgkmcnt(0)
	v_fma_f64 v[80:81], v[80:81], v[84:85], 0
	s_waitcnt vmcnt(10)
	v_fmac_f64_e32 v[80:81], v[88:89], v[86:87]
	ds_read2_b64 v[84:87], v82 offset0:49 offset1:50
	s_waitcnt vmcnt(8) lgkmcnt(0)
	v_fmac_f64_e32 v[80:81], v[90:91], v[84:85]
	s_waitcnt vmcnt(6)
	v_fmac_f64_e32 v[80:81], v[92:93], v[86:87]
	ds_read2_b64 v[84:87], v82 offset0:51 offset1:52
	s_waitcnt vmcnt(4) lgkmcnt(0)
	v_fmac_f64_e32 v[80:81], v[94:95], v[84:85]
	;; [unrolled: 5-line block ×3, first 2 shown]
	buffer_load_dword v85, off, s[0:3], 0 offset:132
	buffer_load_dword v84, off, s[0:3], 0 offset:128
	buffer_load_dword v89, off, s[0:3], 0 offset:140
	buffer_load_dword v88, off, s[0:3], 0 offset:136
	s_waitcnt vmcnt(2)
	v_fmac_f64_e32 v[80:81], v[84:85], v[86:87]
	ds_read2_b64 v[84:87], v82 offset0:55 offset1:56
	s_waitcnt vmcnt(0) lgkmcnt(0)
	v_fmac_f64_e32 v[80:81], v[88:89], v[84:85]
	buffer_load_dword v85, off, s[0:3], 0 offset:148
	buffer_load_dword v84, off, s[0:3], 0 offset:144
	buffer_load_dword v89, off, s[0:3], 0 offset:156
	buffer_load_dword v88, off, s[0:3], 0 offset:152
	s_waitcnt vmcnt(2)
	v_fmac_f64_e32 v[80:81], v[84:85], v[86:87]
	ds_read2_b64 v[84:87], v82 offset0:57 offset1:58
	s_waitcnt vmcnt(0) lgkmcnt(0)
	v_fmac_f64_e32 v[80:81], v[88:89], v[84:85]
	;; [unrolled: 9-line block ×10, first 2 shown]
	buffer_load_dword v85, off, s[0:3], 0 offset:292
	buffer_load_dword v84, off, s[0:3], 0 offset:288
	s_waitcnt vmcnt(0)
	v_fmac_f64_e32 v[80:81], v[84:85], v[86:87]
	buffer_load_dword v85, off, s[0:3], 0 offset:300
	buffer_load_dword v84, off, s[0:3], 0 offset:296
	ds_read_b64 v[86:87], v82 offset:600
	s_waitcnt vmcnt(0) lgkmcnt(0)
	v_fmac_f64_e32 v[80:81], v[84:85], v[86:87]
	v_add_f64 v[78:79], v[78:79], -v[80:81]
	buffer_store_dword v79, off, s[0:3], 0 offset:68
	buffer_store_dword v78, off, s[0:3], 0 offset:64
	s_and_saveexec_b64 s[4:5], vcc
	s_cbranch_execz .LBB101_221
; %bb.220:
	buffer_load_dword v78, off, s[0:3], 0 offset:56
	buffer_load_dword v79, off, s[0:3], 0 offset:60
	s_waitcnt vmcnt(0)
	ds_write_b64 v1, v[78:79]
	buffer_store_dword v82, off, s[0:3], 0 offset:56
	buffer_store_dword v82, off, s[0:3], 0 offset:60
.LBB101_221:
	s_or_b64 exec, exec, s[4:5]
	s_waitcnt lgkmcnt(0)
	; wave barrier
	s_waitcnt lgkmcnt(0)
	buffer_load_dword v78, off, s[0:3], 0 offset:56
	buffer_load_dword v79, off, s[0:3], 0 offset:60
	;; [unrolled: 1-line block ×16, first 2 shown]
	ds_read_b128 v[84:87], v82 offset:368
	ds_read_b128 v[88:91], v82 offset:384
	;; [unrolled: 1-line block ×4, first 2 shown]
	v_cmp_lt_u32_e32 vcc, 6, v0
	s_waitcnt vmcnt(12) lgkmcnt(3)
	v_fma_f64 v[80:81], v[80:81], v[84:85], 0
	buffer_load_dword v85, off, s[0:3], 0 offset:124
	buffer_load_dword v84, off, s[0:3], 0 offset:120
	s_waitcnt vmcnt(12)
	v_fmac_f64_e32 v[80:81], v[100:101], v[86:87]
	s_waitcnt vmcnt(10) lgkmcnt(2)
	v_fmac_f64_e32 v[80:81], v[102:103], v[88:89]
	buffer_load_dword v89, off, s[0:3], 0 offset:132
	buffer_load_dword v88, off, s[0:3], 0 offset:128
	s_waitcnt vmcnt(10)
	v_fmac_f64_e32 v[80:81], v[104:105], v[90:91]
	s_waitcnt vmcnt(8) lgkmcnt(1)
	v_fmac_f64_e32 v[80:81], v[106:107], v[92:93]
	s_waitcnt vmcnt(6)
	v_fmac_f64_e32 v[80:81], v[108:109], v[94:95]
	s_waitcnt vmcnt(4) lgkmcnt(0)
	v_fmac_f64_e32 v[80:81], v[110:111], v[96:97]
	s_waitcnt vmcnt(2)
	v_fmac_f64_e32 v[80:81], v[84:85], v[98:99]
	ds_read_b128 v[84:87], v82 offset:432
	s_waitcnt vmcnt(0) lgkmcnt(0)
	v_fmac_f64_e32 v[80:81], v[88:89], v[84:85]
	buffer_load_dword v85, off, s[0:3], 0 offset:140
	buffer_load_dword v84, off, s[0:3], 0 offset:136
	buffer_load_dword v89, off, s[0:3], 0 offset:148
	buffer_load_dword v88, off, s[0:3], 0 offset:144
	s_waitcnt vmcnt(2)
	v_fmac_f64_e32 v[80:81], v[84:85], v[86:87]
	ds_read_b128 v[84:87], v82 offset:448
	s_waitcnt vmcnt(0) lgkmcnt(0)
	v_fmac_f64_e32 v[80:81], v[88:89], v[84:85]
	buffer_load_dword v85, off, s[0:3], 0 offset:156
	buffer_load_dword v84, off, s[0:3], 0 offset:152
	buffer_load_dword v89, off, s[0:3], 0 offset:164
	buffer_load_dword v88, off, s[0:3], 0 offset:160
	;; [unrolled: 9-line block ×9, first 2 shown]
	s_waitcnt vmcnt(2)
	v_fmac_f64_e32 v[80:81], v[84:85], v[86:87]
	ds_read_b128 v[84:87], v82 offset:576
	s_waitcnt vmcnt(0) lgkmcnt(0)
	v_fmac_f64_e32 v[80:81], v[88:89], v[84:85]
	buffer_load_dword v85, off, s[0:3], 0 offset:284
	buffer_load_dword v84, off, s[0:3], 0 offset:280
	s_waitcnt vmcnt(0)
	v_fmac_f64_e32 v[80:81], v[84:85], v[86:87]
	buffer_load_dword v87, off, s[0:3], 0 offset:292
	buffer_load_dword v86, off, s[0:3], 0 offset:288
	ds_read_b128 v[82:85], v82 offset:592
	s_waitcnt vmcnt(0) lgkmcnt(0)
	v_fmac_f64_e32 v[80:81], v[86:87], v[82:83]
	buffer_load_dword v83, off, s[0:3], 0 offset:300
	buffer_load_dword v82, off, s[0:3], 0 offset:296
	s_waitcnt vmcnt(0)
	v_fmac_f64_e32 v[80:81], v[82:83], v[84:85]
	v_add_f64 v[78:79], v[78:79], -v[80:81]
	buffer_store_dword v79, off, s[0:3], 0 offset:60
	buffer_store_dword v78, off, s[0:3], 0 offset:56
	s_and_saveexec_b64 s[4:5], vcc
	s_cbranch_execz .LBB101_223
; %bb.222:
	buffer_load_dword v78, off, s[0:3], 0 offset:48
	buffer_load_dword v79, off, s[0:3], 0 offset:52
	v_mov_b32_e32 v80, 0
	buffer_store_dword v80, off, s[0:3], 0 offset:48
	buffer_store_dword v80, off, s[0:3], 0 offset:52
	s_waitcnt vmcnt(2)
	ds_write_b64 v1, v[78:79]
.LBB101_223:
	s_or_b64 exec, exec, s[4:5]
	s_waitcnt lgkmcnt(0)
	; wave barrier
	s_waitcnt lgkmcnt(0)
	buffer_load_dword v78, off, s[0:3], 0 offset:48
	buffer_load_dword v79, off, s[0:3], 0 offset:52
	;; [unrolled: 1-line block ×16, first 2 shown]
	v_mov_b32_e32 v82, 0
	ds_read2_b64 v[84:87], v82 offset0:45 offset1:46
	v_cmp_lt_u32_e32 vcc, 5, v0
	s_waitcnt vmcnt(12) lgkmcnt(0)
	v_fma_f64 v[80:81], v[80:81], v[84:85], 0
	s_waitcnt vmcnt(10)
	v_fmac_f64_e32 v[80:81], v[88:89], v[86:87]
	ds_read2_b64 v[84:87], v82 offset0:47 offset1:48
	s_waitcnt vmcnt(8) lgkmcnt(0)
	v_fmac_f64_e32 v[80:81], v[90:91], v[84:85]
	s_waitcnt vmcnt(6)
	v_fmac_f64_e32 v[80:81], v[92:93], v[86:87]
	ds_read2_b64 v[84:87], v82 offset0:49 offset1:50
	s_waitcnt vmcnt(4) lgkmcnt(0)
	v_fmac_f64_e32 v[80:81], v[94:95], v[84:85]
	s_waitcnt vmcnt(2)
	v_fmac_f64_e32 v[80:81], v[96:97], v[86:87]
	ds_read2_b64 v[84:87], v82 offset0:51 offset1:52
	s_waitcnt vmcnt(0) lgkmcnt(0)
	v_fmac_f64_e32 v[80:81], v[98:99], v[84:85]
	buffer_load_dword v85, off, s[0:3], 0 offset:116
	buffer_load_dword v84, off, s[0:3], 0 offset:112
	buffer_load_dword v89, off, s[0:3], 0 offset:124
	buffer_load_dword v88, off, s[0:3], 0 offset:120
	s_waitcnt vmcnt(2)
	v_fmac_f64_e32 v[80:81], v[84:85], v[86:87]
	ds_read2_b64 v[84:87], v82 offset0:53 offset1:54
	s_waitcnt vmcnt(0) lgkmcnt(0)
	v_fmac_f64_e32 v[80:81], v[88:89], v[84:85]
	buffer_load_dword v85, off, s[0:3], 0 offset:132
	buffer_load_dword v84, off, s[0:3], 0 offset:128
	buffer_load_dword v89, off, s[0:3], 0 offset:140
	buffer_load_dword v88, off, s[0:3], 0 offset:136
	s_waitcnt vmcnt(2)
	v_fmac_f64_e32 v[80:81], v[84:85], v[86:87]
	ds_read2_b64 v[84:87], v82 offset0:55 offset1:56
	s_waitcnt vmcnt(0) lgkmcnt(0)
	v_fmac_f64_e32 v[80:81], v[88:89], v[84:85]
	;; [unrolled: 9-line block ×11, first 2 shown]
	buffer_load_dword v85, off, s[0:3], 0 offset:292
	buffer_load_dword v84, off, s[0:3], 0 offset:288
	s_waitcnt vmcnt(0)
	v_fmac_f64_e32 v[80:81], v[84:85], v[86:87]
	buffer_load_dword v85, off, s[0:3], 0 offset:300
	buffer_load_dword v84, off, s[0:3], 0 offset:296
	ds_read_b64 v[86:87], v82 offset:600
	s_waitcnt vmcnt(0) lgkmcnt(0)
	v_fmac_f64_e32 v[80:81], v[84:85], v[86:87]
	v_add_f64 v[78:79], v[78:79], -v[80:81]
	buffer_store_dword v79, off, s[0:3], 0 offset:52
	buffer_store_dword v78, off, s[0:3], 0 offset:48
	s_and_saveexec_b64 s[4:5], vcc
	s_cbranch_execz .LBB101_225
; %bb.224:
	buffer_load_dword v78, off, s[0:3], 0 offset:40
	buffer_load_dword v79, off, s[0:3], 0 offset:44
	s_waitcnt vmcnt(0)
	ds_write_b64 v1, v[78:79]
	buffer_store_dword v82, off, s[0:3], 0 offset:40
	buffer_store_dword v82, off, s[0:3], 0 offset:44
.LBB101_225:
	s_or_b64 exec, exec, s[4:5]
	s_waitcnt lgkmcnt(0)
	; wave barrier
	s_waitcnt lgkmcnt(0)
	buffer_load_dword v78, off, s[0:3], 0 offset:40
	buffer_load_dword v79, off, s[0:3], 0 offset:44
	;; [unrolled: 1-line block ×16, first 2 shown]
	ds_read_b128 v[84:87], v82 offset:352
	ds_read_b128 v[88:91], v82 offset:368
	;; [unrolled: 1-line block ×4, first 2 shown]
	v_cmp_lt_u32_e32 vcc, 4, v0
	s_waitcnt vmcnt(12) lgkmcnt(3)
	v_fma_f64 v[80:81], v[80:81], v[84:85], 0
	buffer_load_dword v85, off, s[0:3], 0 offset:108
	buffer_load_dword v84, off, s[0:3], 0 offset:104
	s_waitcnt vmcnt(12)
	v_fmac_f64_e32 v[80:81], v[100:101], v[86:87]
	s_waitcnt vmcnt(10) lgkmcnt(2)
	v_fmac_f64_e32 v[80:81], v[102:103], v[88:89]
	buffer_load_dword v89, off, s[0:3], 0 offset:116
	buffer_load_dword v88, off, s[0:3], 0 offset:112
	s_waitcnt vmcnt(10)
	v_fmac_f64_e32 v[80:81], v[104:105], v[90:91]
	s_waitcnt vmcnt(8) lgkmcnt(1)
	v_fmac_f64_e32 v[80:81], v[106:107], v[92:93]
	s_waitcnt vmcnt(6)
	v_fmac_f64_e32 v[80:81], v[108:109], v[94:95]
	s_waitcnt vmcnt(4) lgkmcnt(0)
	v_fmac_f64_e32 v[80:81], v[110:111], v[96:97]
	s_waitcnt vmcnt(2)
	v_fmac_f64_e32 v[80:81], v[84:85], v[98:99]
	ds_read_b128 v[84:87], v82 offset:416
	s_waitcnt vmcnt(0) lgkmcnt(0)
	v_fmac_f64_e32 v[80:81], v[88:89], v[84:85]
	buffer_load_dword v85, off, s[0:3], 0 offset:124
	buffer_load_dword v84, off, s[0:3], 0 offset:120
	buffer_load_dword v89, off, s[0:3], 0 offset:132
	buffer_load_dword v88, off, s[0:3], 0 offset:128
	s_waitcnt vmcnt(2)
	v_fmac_f64_e32 v[80:81], v[84:85], v[86:87]
	ds_read_b128 v[84:87], v82 offset:432
	s_waitcnt vmcnt(0) lgkmcnt(0)
	v_fmac_f64_e32 v[80:81], v[88:89], v[84:85]
	buffer_load_dword v85, off, s[0:3], 0 offset:140
	buffer_load_dword v84, off, s[0:3], 0 offset:136
	buffer_load_dword v89, off, s[0:3], 0 offset:148
	buffer_load_dword v88, off, s[0:3], 0 offset:144
	;; [unrolled: 9-line block ×10, first 2 shown]
	s_waitcnt vmcnt(2)
	v_fmac_f64_e32 v[80:81], v[84:85], v[86:87]
	ds_read_b128 v[84:87], v82 offset:576
	s_waitcnt vmcnt(0) lgkmcnt(0)
	v_fmac_f64_e32 v[80:81], v[88:89], v[84:85]
	buffer_load_dword v85, off, s[0:3], 0 offset:284
	buffer_load_dword v84, off, s[0:3], 0 offset:280
	s_waitcnt vmcnt(0)
	v_fmac_f64_e32 v[80:81], v[84:85], v[86:87]
	buffer_load_dword v87, off, s[0:3], 0 offset:292
	buffer_load_dword v86, off, s[0:3], 0 offset:288
	ds_read_b128 v[82:85], v82 offset:592
	s_waitcnt vmcnt(0) lgkmcnt(0)
	v_fmac_f64_e32 v[80:81], v[86:87], v[82:83]
	buffer_load_dword v83, off, s[0:3], 0 offset:300
	buffer_load_dword v82, off, s[0:3], 0 offset:296
	s_waitcnt vmcnt(0)
	v_fmac_f64_e32 v[80:81], v[82:83], v[84:85]
	v_add_f64 v[78:79], v[78:79], -v[80:81]
	buffer_store_dword v79, off, s[0:3], 0 offset:44
	buffer_store_dword v78, off, s[0:3], 0 offset:40
	s_and_saveexec_b64 s[4:5], vcc
	s_cbranch_execz .LBB101_227
; %bb.226:
	buffer_load_dword v78, off, s[0:3], 0 offset:32
	buffer_load_dword v79, off, s[0:3], 0 offset:36
	v_mov_b32_e32 v80, 0
	buffer_store_dword v80, off, s[0:3], 0 offset:32
	buffer_store_dword v80, off, s[0:3], 0 offset:36
	s_waitcnt vmcnt(2)
	ds_write_b64 v1, v[78:79]
.LBB101_227:
	s_or_b64 exec, exec, s[4:5]
	s_waitcnt lgkmcnt(0)
	; wave barrier
	s_waitcnt lgkmcnt(0)
	buffer_load_dword v78, off, s[0:3], 0 offset:32
	buffer_load_dword v79, off, s[0:3], 0 offset:36
	;; [unrolled: 1-line block ×16, first 2 shown]
	v_mov_b32_e32 v82, 0
	ds_read2_b64 v[84:87], v82 offset0:43 offset1:44
	v_cmp_lt_u32_e32 vcc, 3, v0
	s_waitcnt vmcnt(12) lgkmcnt(0)
	v_fma_f64 v[80:81], v[80:81], v[84:85], 0
	s_waitcnt vmcnt(10)
	v_fmac_f64_e32 v[80:81], v[88:89], v[86:87]
	ds_read2_b64 v[84:87], v82 offset0:45 offset1:46
	s_waitcnt vmcnt(8) lgkmcnt(0)
	v_fmac_f64_e32 v[80:81], v[90:91], v[84:85]
	s_waitcnt vmcnt(6)
	v_fmac_f64_e32 v[80:81], v[92:93], v[86:87]
	ds_read2_b64 v[84:87], v82 offset0:47 offset1:48
	s_waitcnt vmcnt(4) lgkmcnt(0)
	v_fmac_f64_e32 v[80:81], v[94:95], v[84:85]
	;; [unrolled: 5-line block ×3, first 2 shown]
	buffer_load_dword v85, off, s[0:3], 0 offset:100
	buffer_load_dword v84, off, s[0:3], 0 offset:96
	buffer_load_dword v89, off, s[0:3], 0 offset:108
	buffer_load_dword v88, off, s[0:3], 0 offset:104
	s_waitcnt vmcnt(2)
	v_fmac_f64_e32 v[80:81], v[84:85], v[86:87]
	ds_read2_b64 v[84:87], v82 offset0:51 offset1:52
	s_waitcnt vmcnt(0) lgkmcnt(0)
	v_fmac_f64_e32 v[80:81], v[88:89], v[84:85]
	buffer_load_dword v85, off, s[0:3], 0 offset:116
	buffer_load_dword v84, off, s[0:3], 0 offset:112
	buffer_load_dword v89, off, s[0:3], 0 offset:124
	buffer_load_dword v88, off, s[0:3], 0 offset:120
	s_waitcnt vmcnt(2)
	v_fmac_f64_e32 v[80:81], v[84:85], v[86:87]
	ds_read2_b64 v[84:87], v82 offset0:53 offset1:54
	s_waitcnt vmcnt(0) lgkmcnt(0)
	v_fmac_f64_e32 v[80:81], v[88:89], v[84:85]
	;; [unrolled: 9-line block ×12, first 2 shown]
	buffer_load_dword v85, off, s[0:3], 0 offset:292
	buffer_load_dword v84, off, s[0:3], 0 offset:288
	s_waitcnt vmcnt(0)
	v_fmac_f64_e32 v[80:81], v[84:85], v[86:87]
	buffer_load_dword v85, off, s[0:3], 0 offset:300
	buffer_load_dword v84, off, s[0:3], 0 offset:296
	ds_read_b64 v[86:87], v82 offset:600
	s_waitcnt vmcnt(0) lgkmcnt(0)
	v_fmac_f64_e32 v[80:81], v[84:85], v[86:87]
	v_add_f64 v[78:79], v[78:79], -v[80:81]
	buffer_store_dword v79, off, s[0:3], 0 offset:36
	buffer_store_dword v78, off, s[0:3], 0 offset:32
	s_and_saveexec_b64 s[4:5], vcc
	s_cbranch_execz .LBB101_229
; %bb.228:
	buffer_load_dword v78, off, s[0:3], 0 offset:24
	buffer_load_dword v79, off, s[0:3], 0 offset:28
	s_waitcnt vmcnt(0)
	ds_write_b64 v1, v[78:79]
	buffer_store_dword v82, off, s[0:3], 0 offset:24
	buffer_store_dword v82, off, s[0:3], 0 offset:28
.LBB101_229:
	s_or_b64 exec, exec, s[4:5]
	s_waitcnt lgkmcnt(0)
	; wave barrier
	s_waitcnt lgkmcnt(0)
	buffer_load_dword v78, off, s[0:3], 0 offset:24
	buffer_load_dword v79, off, s[0:3], 0 offset:28
	;; [unrolled: 1-line block ×16, first 2 shown]
	ds_read_b128 v[84:87], v82 offset:336
	ds_read_b128 v[88:91], v82 offset:352
	;; [unrolled: 1-line block ×4, first 2 shown]
	v_cmp_lt_u32_e32 vcc, 2, v0
	s_waitcnt vmcnt(12) lgkmcnt(3)
	v_fma_f64 v[80:81], v[80:81], v[84:85], 0
	buffer_load_dword v85, off, s[0:3], 0 offset:92
	buffer_load_dword v84, off, s[0:3], 0 offset:88
	s_waitcnt vmcnt(12)
	v_fmac_f64_e32 v[80:81], v[100:101], v[86:87]
	s_waitcnt vmcnt(10) lgkmcnt(2)
	v_fmac_f64_e32 v[80:81], v[102:103], v[88:89]
	buffer_load_dword v89, off, s[0:3], 0 offset:100
	buffer_load_dword v88, off, s[0:3], 0 offset:96
	s_waitcnt vmcnt(10)
	v_fmac_f64_e32 v[80:81], v[104:105], v[90:91]
	s_waitcnt vmcnt(8) lgkmcnt(1)
	v_fmac_f64_e32 v[80:81], v[106:107], v[92:93]
	s_waitcnt vmcnt(6)
	v_fmac_f64_e32 v[80:81], v[108:109], v[94:95]
	s_waitcnt vmcnt(4) lgkmcnt(0)
	v_fmac_f64_e32 v[80:81], v[110:111], v[96:97]
	s_waitcnt vmcnt(2)
	v_fmac_f64_e32 v[80:81], v[84:85], v[98:99]
	ds_read_b128 v[84:87], v82 offset:400
	s_waitcnt vmcnt(0) lgkmcnt(0)
	v_fmac_f64_e32 v[80:81], v[88:89], v[84:85]
	buffer_load_dword v85, off, s[0:3], 0 offset:108
	buffer_load_dword v84, off, s[0:3], 0 offset:104
	buffer_load_dword v89, off, s[0:3], 0 offset:116
	buffer_load_dword v88, off, s[0:3], 0 offset:112
	s_waitcnt vmcnt(2)
	v_fmac_f64_e32 v[80:81], v[84:85], v[86:87]
	ds_read_b128 v[84:87], v82 offset:416
	s_waitcnt vmcnt(0) lgkmcnt(0)
	v_fmac_f64_e32 v[80:81], v[88:89], v[84:85]
	buffer_load_dword v85, off, s[0:3], 0 offset:124
	buffer_load_dword v84, off, s[0:3], 0 offset:120
	buffer_load_dword v89, off, s[0:3], 0 offset:132
	buffer_load_dword v88, off, s[0:3], 0 offset:128
	;; [unrolled: 9-line block ×11, first 2 shown]
	s_waitcnt vmcnt(2)
	v_fmac_f64_e32 v[80:81], v[84:85], v[86:87]
	ds_read_b128 v[84:87], v82 offset:576
	s_waitcnt vmcnt(0) lgkmcnt(0)
	v_fmac_f64_e32 v[80:81], v[88:89], v[84:85]
	buffer_load_dword v85, off, s[0:3], 0 offset:284
	buffer_load_dword v84, off, s[0:3], 0 offset:280
	s_waitcnt vmcnt(0)
	v_fmac_f64_e32 v[80:81], v[84:85], v[86:87]
	buffer_load_dword v87, off, s[0:3], 0 offset:292
	buffer_load_dword v86, off, s[0:3], 0 offset:288
	ds_read_b128 v[82:85], v82 offset:592
	s_waitcnt vmcnt(0) lgkmcnt(0)
	v_fmac_f64_e32 v[80:81], v[86:87], v[82:83]
	buffer_load_dword v83, off, s[0:3], 0 offset:300
	buffer_load_dword v82, off, s[0:3], 0 offset:296
	s_waitcnt vmcnt(0)
	v_fmac_f64_e32 v[80:81], v[82:83], v[84:85]
	v_add_f64 v[78:79], v[78:79], -v[80:81]
	buffer_store_dword v79, off, s[0:3], 0 offset:28
	buffer_store_dword v78, off, s[0:3], 0 offset:24
	s_and_saveexec_b64 s[4:5], vcc
	s_cbranch_execz .LBB101_231
; %bb.230:
	buffer_load_dword v78, off, s[0:3], 0 offset:16
	buffer_load_dword v79, off, s[0:3], 0 offset:20
	v_mov_b32_e32 v80, 0
	buffer_store_dword v80, off, s[0:3], 0 offset:16
	buffer_store_dword v80, off, s[0:3], 0 offset:20
	s_waitcnt vmcnt(2)
	ds_write_b64 v1, v[78:79]
.LBB101_231:
	s_or_b64 exec, exec, s[4:5]
	s_waitcnt lgkmcnt(0)
	; wave barrier
	s_waitcnt lgkmcnt(0)
	buffer_load_dword v78, off, s[0:3], 0 offset:16
	buffer_load_dword v79, off, s[0:3], 0 offset:20
	;; [unrolled: 1-line block ×16, first 2 shown]
	v_mov_b32_e32 v82, 0
	ds_read2_b64 v[84:87], v82 offset0:41 offset1:42
	v_cmp_lt_u32_e32 vcc, 1, v0
	s_waitcnt vmcnt(12) lgkmcnt(0)
	v_fma_f64 v[80:81], v[80:81], v[84:85], 0
	s_waitcnt vmcnt(10)
	v_fmac_f64_e32 v[80:81], v[88:89], v[86:87]
	ds_read2_b64 v[84:87], v82 offset0:43 offset1:44
	s_waitcnt vmcnt(8) lgkmcnt(0)
	v_fmac_f64_e32 v[80:81], v[90:91], v[84:85]
	s_waitcnt vmcnt(6)
	v_fmac_f64_e32 v[80:81], v[92:93], v[86:87]
	ds_read2_b64 v[84:87], v82 offset0:45 offset1:46
	s_waitcnt vmcnt(4) lgkmcnt(0)
	v_fmac_f64_e32 v[80:81], v[94:95], v[84:85]
	;; [unrolled: 5-line block ×3, first 2 shown]
	buffer_load_dword v85, off, s[0:3], 0 offset:84
	buffer_load_dword v84, off, s[0:3], 0 offset:80
	buffer_load_dword v89, off, s[0:3], 0 offset:92
	buffer_load_dword v88, off, s[0:3], 0 offset:88
	s_waitcnt vmcnt(2)
	v_fmac_f64_e32 v[80:81], v[84:85], v[86:87]
	ds_read2_b64 v[84:87], v82 offset0:49 offset1:50
	s_waitcnt vmcnt(0) lgkmcnt(0)
	v_fmac_f64_e32 v[80:81], v[88:89], v[84:85]
	buffer_load_dword v85, off, s[0:3], 0 offset:100
	buffer_load_dword v84, off, s[0:3], 0 offset:96
	buffer_load_dword v89, off, s[0:3], 0 offset:108
	buffer_load_dword v88, off, s[0:3], 0 offset:104
	s_waitcnt vmcnt(2)
	v_fmac_f64_e32 v[80:81], v[84:85], v[86:87]
	ds_read2_b64 v[84:87], v82 offset0:51 offset1:52
	s_waitcnt vmcnt(0) lgkmcnt(0)
	v_fmac_f64_e32 v[80:81], v[88:89], v[84:85]
	;; [unrolled: 9-line block ×13, first 2 shown]
	buffer_load_dword v85, off, s[0:3], 0 offset:292
	buffer_load_dword v84, off, s[0:3], 0 offset:288
	s_waitcnt vmcnt(0)
	v_fmac_f64_e32 v[80:81], v[84:85], v[86:87]
	buffer_load_dword v85, off, s[0:3], 0 offset:300
	buffer_load_dword v84, off, s[0:3], 0 offset:296
	ds_read_b64 v[86:87], v82 offset:600
	s_waitcnt vmcnt(0) lgkmcnt(0)
	v_fmac_f64_e32 v[80:81], v[84:85], v[86:87]
	v_add_f64 v[78:79], v[78:79], -v[80:81]
	buffer_store_dword v79, off, s[0:3], 0 offset:20
	buffer_store_dword v78, off, s[0:3], 0 offset:16
	s_and_saveexec_b64 s[4:5], vcc
	s_cbranch_execz .LBB101_233
; %bb.232:
	buffer_load_dword v78, off, s[0:3], 0 offset:8
	buffer_load_dword v79, off, s[0:3], 0 offset:12
	s_waitcnt vmcnt(0)
	ds_write_b64 v1, v[78:79]
	buffer_store_dword v82, off, s[0:3], 0 offset:8
	buffer_store_dword v82, off, s[0:3], 0 offset:12
.LBB101_233:
	s_or_b64 exec, exec, s[4:5]
	s_waitcnt lgkmcnt(0)
	; wave barrier
	s_waitcnt lgkmcnt(0)
	buffer_load_dword v78, off, s[0:3], 0 offset:8
	buffer_load_dword v79, off, s[0:3], 0 offset:12
	;; [unrolled: 1-line block ×16, first 2 shown]
	ds_read_b128 v[84:87], v82 offset:320
	ds_read_b128 v[88:91], v82 offset:336
	;; [unrolled: 1-line block ×4, first 2 shown]
	v_cmp_ne_u32_e32 vcc, 0, v0
	s_waitcnt vmcnt(12) lgkmcnt(3)
	v_fma_f64 v[80:81], v[80:81], v[84:85], 0
	buffer_load_dword v85, off, s[0:3], 0 offset:76
	buffer_load_dword v84, off, s[0:3], 0 offset:72
	s_waitcnt vmcnt(12)
	v_fmac_f64_e32 v[80:81], v[100:101], v[86:87]
	s_waitcnt vmcnt(10) lgkmcnt(2)
	v_fmac_f64_e32 v[80:81], v[102:103], v[88:89]
	buffer_load_dword v89, off, s[0:3], 0 offset:84
	buffer_load_dword v88, off, s[0:3], 0 offset:80
	s_waitcnt vmcnt(10)
	v_fmac_f64_e32 v[80:81], v[104:105], v[90:91]
	s_waitcnt vmcnt(8) lgkmcnt(1)
	v_fmac_f64_e32 v[80:81], v[106:107], v[92:93]
	s_waitcnt vmcnt(6)
	v_fmac_f64_e32 v[80:81], v[108:109], v[94:95]
	s_waitcnt vmcnt(4) lgkmcnt(0)
	v_fmac_f64_e32 v[80:81], v[110:111], v[96:97]
	s_waitcnt vmcnt(2)
	v_fmac_f64_e32 v[80:81], v[84:85], v[98:99]
	ds_read_b128 v[84:87], v82 offset:384
	s_waitcnt vmcnt(0) lgkmcnt(0)
	v_fmac_f64_e32 v[80:81], v[88:89], v[84:85]
	buffer_load_dword v85, off, s[0:3], 0 offset:92
	buffer_load_dword v84, off, s[0:3], 0 offset:88
	buffer_load_dword v89, off, s[0:3], 0 offset:100
	buffer_load_dword v88, off, s[0:3], 0 offset:96
	s_waitcnt vmcnt(2)
	v_fmac_f64_e32 v[80:81], v[84:85], v[86:87]
	ds_read_b128 v[84:87], v82 offset:400
	s_waitcnt vmcnt(0) lgkmcnt(0)
	v_fmac_f64_e32 v[80:81], v[88:89], v[84:85]
	buffer_load_dword v85, off, s[0:3], 0 offset:108
	buffer_load_dword v84, off, s[0:3], 0 offset:104
	buffer_load_dword v89, off, s[0:3], 0 offset:116
	buffer_load_dword v88, off, s[0:3], 0 offset:112
	;; [unrolled: 9-line block ×12, first 2 shown]
	s_waitcnt vmcnt(2)
	v_fmac_f64_e32 v[80:81], v[84:85], v[86:87]
	ds_read_b128 v[84:87], v82 offset:576
	s_waitcnt vmcnt(0) lgkmcnt(0)
	v_fmac_f64_e32 v[80:81], v[88:89], v[84:85]
	buffer_load_dword v85, off, s[0:3], 0 offset:284
	buffer_load_dword v84, off, s[0:3], 0 offset:280
	s_waitcnt vmcnt(0)
	v_fmac_f64_e32 v[80:81], v[84:85], v[86:87]
	buffer_load_dword v87, off, s[0:3], 0 offset:292
	buffer_load_dword v86, off, s[0:3], 0 offset:288
	ds_read_b128 v[82:85], v82 offset:592
	s_waitcnt vmcnt(0) lgkmcnt(0)
	v_fmac_f64_e32 v[80:81], v[86:87], v[82:83]
	buffer_load_dword v83, off, s[0:3], 0 offset:300
	buffer_load_dword v82, off, s[0:3], 0 offset:296
	s_waitcnt vmcnt(0)
	v_fmac_f64_e32 v[80:81], v[82:83], v[84:85]
	v_add_f64 v[78:79], v[78:79], -v[80:81]
	buffer_store_dword v79, off, s[0:3], 0 offset:12
	buffer_store_dword v78, off, s[0:3], 0 offset:8
	s_and_saveexec_b64 s[4:5], vcc
	s_cbranch_execz .LBB101_235
; %bb.234:
	buffer_load_dword v78, off, s[0:3], 0
	buffer_load_dword v79, off, s[0:3], 0 offset:4
	v_mov_b32_e32 v0, 0
	buffer_store_dword v0, off, s[0:3], 0
	buffer_store_dword v0, off, s[0:3], 0 offset:4
	s_waitcnt vmcnt(2)
	ds_write_b64 v1, v[78:79]
.LBB101_235:
	s_or_b64 exec, exec, s[4:5]
	s_waitcnt lgkmcnt(0)
	; wave barrier
	s_waitcnt lgkmcnt(0)
	buffer_load_dword v0, off, s[0:3], 0
	buffer_load_dword v1, off, s[0:3], 0 offset:4
	buffer_load_dword v84, off, s[0:3], 0 offset:8
	;; [unrolled: 1-line block ×15, first 2 shown]
	v_mov_b32_e32 v82, 0
	ds_read2_b64 v[78:81], v82 offset0:39 offset1:40
	s_and_b64 vcc, exec, s[16:17]
	s_waitcnt vmcnt(12) lgkmcnt(0)
	v_fma_f64 v[78:79], v[84:85], v[78:79], 0
	s_waitcnt vmcnt(10)
	v_fmac_f64_e32 v[78:79], v[86:87], v[80:81]
	ds_read2_b64 v[84:87], v82 offset0:41 offset1:42
	s_waitcnt vmcnt(8) lgkmcnt(0)
	v_fmac_f64_e32 v[78:79], v[88:89], v[84:85]
	s_waitcnt vmcnt(6)
	v_fmac_f64_e32 v[78:79], v[90:91], v[86:87]
	ds_read2_b64 v[84:87], v82 offset0:43 offset1:44
	s_waitcnt vmcnt(4) lgkmcnt(0)
	v_fmac_f64_e32 v[78:79], v[92:93], v[84:85]
	s_waitcnt vmcnt(2)
	v_fmac_f64_e32 v[78:79], v[94:95], v[86:87]
	ds_read2_b64 v[84:87], v82 offset0:45 offset1:46
	buffer_load_dword v81, off, s[0:3], 0 offset:68
	buffer_load_dword v80, off, s[0:3], 0 offset:64
	s_waitcnt vmcnt(2) lgkmcnt(0)
	v_fmac_f64_e32 v[78:79], v[96:97], v[84:85]
	s_waitcnt vmcnt(0)
	v_fmac_f64_e32 v[78:79], v[80:81], v[86:87]
	buffer_load_dword v81, off, s[0:3], 0 offset:76
	buffer_load_dword v80, off, s[0:3], 0 offset:72
	ds_read2_b64 v[84:87], v82 offset0:47 offset1:48
	s_waitcnt vmcnt(0) lgkmcnt(0)
	v_fmac_f64_e32 v[78:79], v[80:81], v[84:85]
	buffer_load_dword v81, off, s[0:3], 0 offset:84
	buffer_load_dword v80, off, s[0:3], 0 offset:80
	s_waitcnt vmcnt(0)
	v_fmac_f64_e32 v[78:79], v[80:81], v[86:87]
	buffer_load_dword v81, off, s[0:3], 0 offset:92
	buffer_load_dword v80, off, s[0:3], 0 offset:88
	ds_read2_b64 v[84:87], v82 offset0:49 offset1:50
	s_waitcnt vmcnt(0) lgkmcnt(0)
	v_fmac_f64_e32 v[78:79], v[80:81], v[84:85]
	buffer_load_dword v81, off, s[0:3], 0 offset:100
	buffer_load_dword v80, off, s[0:3], 0 offset:96
	s_waitcnt vmcnt(0)
	v_fmac_f64_e32 v[78:79], v[80:81], v[86:87]
	buffer_load_dword v81, off, s[0:3], 0 offset:108
	buffer_load_dword v80, off, s[0:3], 0 offset:104
	ds_read2_b64 v[84:87], v82 offset0:51 offset1:52
	s_waitcnt vmcnt(0) lgkmcnt(0)
	v_fmac_f64_e32 v[78:79], v[80:81], v[84:85]
	buffer_load_dword v81, off, s[0:3], 0 offset:116
	buffer_load_dword v80, off, s[0:3], 0 offset:112
	s_waitcnt vmcnt(0)
	v_fmac_f64_e32 v[78:79], v[80:81], v[86:87]
	buffer_load_dword v81, off, s[0:3], 0 offset:124
	buffer_load_dword v80, off, s[0:3], 0 offset:120
	ds_read2_b64 v[84:87], v82 offset0:53 offset1:54
	s_waitcnt vmcnt(0) lgkmcnt(0)
	v_fmac_f64_e32 v[78:79], v[80:81], v[84:85]
	buffer_load_dword v81, off, s[0:3], 0 offset:132
	buffer_load_dword v80, off, s[0:3], 0 offset:128
	s_waitcnt vmcnt(0)
	v_fmac_f64_e32 v[78:79], v[80:81], v[86:87]
	buffer_load_dword v81, off, s[0:3], 0 offset:140
	buffer_load_dword v80, off, s[0:3], 0 offset:136
	ds_read2_b64 v[84:87], v82 offset0:55 offset1:56
	s_waitcnt vmcnt(0) lgkmcnt(0)
	v_fmac_f64_e32 v[78:79], v[80:81], v[84:85]
	buffer_load_dword v81, off, s[0:3], 0 offset:148
	buffer_load_dword v80, off, s[0:3], 0 offset:144
	s_waitcnt vmcnt(0)
	v_fmac_f64_e32 v[78:79], v[80:81], v[86:87]
	buffer_load_dword v81, off, s[0:3], 0 offset:156
	buffer_load_dword v80, off, s[0:3], 0 offset:152
	ds_read2_b64 v[84:87], v82 offset0:57 offset1:58
	s_waitcnt vmcnt(0) lgkmcnt(0)
	v_fmac_f64_e32 v[78:79], v[80:81], v[84:85]
	buffer_load_dword v81, off, s[0:3], 0 offset:164
	buffer_load_dword v80, off, s[0:3], 0 offset:160
	s_waitcnt vmcnt(0)
	v_fmac_f64_e32 v[78:79], v[80:81], v[86:87]
	buffer_load_dword v81, off, s[0:3], 0 offset:172
	buffer_load_dword v80, off, s[0:3], 0 offset:168
	ds_read2_b64 v[84:87], v82 offset0:59 offset1:60
	s_waitcnt vmcnt(0) lgkmcnt(0)
	v_fmac_f64_e32 v[78:79], v[80:81], v[84:85]
	buffer_load_dword v81, off, s[0:3], 0 offset:180
	buffer_load_dword v80, off, s[0:3], 0 offset:176
	s_waitcnt vmcnt(0)
	v_fmac_f64_e32 v[78:79], v[80:81], v[86:87]
	buffer_load_dword v81, off, s[0:3], 0 offset:188
	buffer_load_dword v80, off, s[0:3], 0 offset:184
	ds_read2_b64 v[84:87], v82 offset0:61 offset1:62
	s_waitcnt vmcnt(0) lgkmcnt(0)
	v_fmac_f64_e32 v[78:79], v[80:81], v[84:85]
	buffer_load_dword v81, off, s[0:3], 0 offset:196
	buffer_load_dword v80, off, s[0:3], 0 offset:192
	s_waitcnt vmcnt(0)
	v_fmac_f64_e32 v[78:79], v[80:81], v[86:87]
	buffer_load_dword v81, off, s[0:3], 0 offset:204
	buffer_load_dword v80, off, s[0:3], 0 offset:200
	ds_read2_b64 v[84:87], v82 offset0:63 offset1:64
	s_waitcnt vmcnt(0) lgkmcnt(0)
	v_fmac_f64_e32 v[78:79], v[80:81], v[84:85]
	buffer_load_dword v81, off, s[0:3], 0 offset:212
	buffer_load_dword v80, off, s[0:3], 0 offset:208
	s_waitcnt vmcnt(0)
	v_fmac_f64_e32 v[78:79], v[80:81], v[86:87]
	buffer_load_dword v81, off, s[0:3], 0 offset:220
	buffer_load_dword v80, off, s[0:3], 0 offset:216
	ds_read2_b64 v[84:87], v82 offset0:65 offset1:66
	s_waitcnt vmcnt(0) lgkmcnt(0)
	v_fmac_f64_e32 v[78:79], v[80:81], v[84:85]
	buffer_load_dword v81, off, s[0:3], 0 offset:228
	buffer_load_dword v80, off, s[0:3], 0 offset:224
	s_waitcnt vmcnt(0)
	v_fmac_f64_e32 v[78:79], v[80:81], v[86:87]
	buffer_load_dword v81, off, s[0:3], 0 offset:236
	buffer_load_dword v80, off, s[0:3], 0 offset:232
	ds_read2_b64 v[84:87], v82 offset0:67 offset1:68
	s_waitcnt vmcnt(0) lgkmcnt(0)
	v_fmac_f64_e32 v[78:79], v[80:81], v[84:85]
	buffer_load_dword v81, off, s[0:3], 0 offset:244
	buffer_load_dword v80, off, s[0:3], 0 offset:240
	s_waitcnt vmcnt(0)
	v_fmac_f64_e32 v[78:79], v[80:81], v[86:87]
	buffer_load_dword v81, off, s[0:3], 0 offset:252
	buffer_load_dword v80, off, s[0:3], 0 offset:248
	ds_read2_b64 v[84:87], v82 offset0:69 offset1:70
	s_waitcnt vmcnt(0) lgkmcnt(0)
	v_fmac_f64_e32 v[78:79], v[80:81], v[84:85]
	buffer_load_dword v81, off, s[0:3], 0 offset:260
	buffer_load_dword v80, off, s[0:3], 0 offset:256
	s_waitcnt vmcnt(0)
	v_fmac_f64_e32 v[78:79], v[80:81], v[86:87]
	buffer_load_dword v81, off, s[0:3], 0 offset:268
	buffer_load_dword v80, off, s[0:3], 0 offset:264
	ds_read2_b64 v[84:87], v82 offset0:71 offset1:72
	s_waitcnt vmcnt(0) lgkmcnt(0)
	v_fmac_f64_e32 v[78:79], v[80:81], v[84:85]
	buffer_load_dword v81, off, s[0:3], 0 offset:276
	buffer_load_dword v80, off, s[0:3], 0 offset:272
	s_waitcnt vmcnt(0)
	v_fmac_f64_e32 v[78:79], v[80:81], v[86:87]
	buffer_load_dword v81, off, s[0:3], 0 offset:284
	buffer_load_dword v80, off, s[0:3], 0 offset:280
	ds_read2_b64 v[84:87], v82 offset0:73 offset1:74
	s_waitcnt vmcnt(0) lgkmcnt(0)
	v_fmac_f64_e32 v[78:79], v[80:81], v[84:85]
	buffer_load_dword v81, off, s[0:3], 0 offset:292
	buffer_load_dword v80, off, s[0:3], 0 offset:288
	buffer_load_dword v85, off, s[0:3], 0 offset:300
	buffer_load_dword v84, off, s[0:3], 0 offset:296
	ds_read_b64 v[82:83], v82 offset:600
	s_waitcnt vmcnt(2)
	v_fmac_f64_e32 v[78:79], v[80:81], v[86:87]
	s_waitcnt vmcnt(0) lgkmcnt(0)
	v_fmac_f64_e32 v[78:79], v[84:85], v[82:83]
	v_add_f64 v[0:1], v[0:1], -v[78:79]
	buffer_store_dword v1, off, s[0:3], 0 offset:4
	buffer_store_dword v0, off, s[0:3], 0
	s_cbranch_vccz .LBB101_311
; %bb.236:
	v_pk_mov_b32 v[0:1], s[10:11], s[10:11] op_sel:[0,1]
	flat_load_dword v0, v[0:1] offset:144
	s_waitcnt vmcnt(0) lgkmcnt(0)
	v_add_u32_e32 v0, -1, v0
	v_cmp_ne_u32_e32 vcc, 36, v0
	s_and_saveexec_b64 s[4:5], vcc
	s_cbranch_execz .LBB101_238
; %bb.237:
	v_mov_b32_e32 v1, 0
	v_lshl_add_u32 v0, v0, 3, v1
	buffer_load_dword v1, v0, s[0:3], 0 offen offset:4
	buffer_load_dword v78, v0, s[0:3], 0 offen
	s_waitcnt vmcnt(1)
	buffer_store_dword v1, off, s[0:3], 0 offset:292
	s_waitcnt vmcnt(1)
	buffer_store_dword v78, off, s[0:3], 0 offset:288
	buffer_store_dword v81, v0, s[0:3], 0 offen offset:4
	buffer_store_dword v80, v0, s[0:3], 0 offen
.LBB101_238:
	s_or_b64 exec, exec, s[4:5]
	v_pk_mov_b32 v[0:1], s[10:11], s[10:11] op_sel:[0,1]
	flat_load_dword v0, v[0:1] offset:140
	s_waitcnt vmcnt(0) lgkmcnt(0)
	v_add_u32_e32 v0, -1, v0
	v_cmp_ne_u32_e32 vcc, 35, v0
	s_and_saveexec_b64 s[4:5], vcc
	s_cbranch_execz .LBB101_240
; %bb.239:
	v_mov_b32_e32 v1, 0
	v_lshl_add_u32 v0, v0, 3, v1
	buffer_load_dword v1, v0, s[0:3], 0 offen
	buffer_load_dword v78, v0, s[0:3], 0 offen offset:4
	buffer_load_dword v79, off, s[0:3], 0 offset:280
	buffer_load_dword v80, off, s[0:3], 0 offset:284
	s_waitcnt vmcnt(3)
	buffer_store_dword v1, off, s[0:3], 0 offset:280
	s_waitcnt vmcnt(3)
	buffer_store_dword v78, off, s[0:3], 0 offset:284
	s_waitcnt vmcnt(3)
	buffer_store_dword v79, v0, s[0:3], 0 offen
	s_waitcnt vmcnt(3)
	buffer_store_dword v80, v0, s[0:3], 0 offen offset:4
.LBB101_240:
	s_or_b64 exec, exec, s[4:5]
	v_pk_mov_b32 v[0:1], s[10:11], s[10:11] op_sel:[0,1]
	flat_load_dword v0, v[0:1] offset:136
	s_waitcnt vmcnt(0) lgkmcnt(0)
	v_add_u32_e32 v0, -1, v0
	v_cmp_ne_u32_e32 vcc, 34, v0
	s_and_saveexec_b64 s[4:5], vcc
	s_cbranch_execz .LBB101_242
; %bb.241:
	v_mov_b32_e32 v1, 0
	v_lshl_add_u32 v0, v0, 3, v1
	buffer_load_dword v1, v0, s[0:3], 0 offen
	buffer_load_dword v78, v0, s[0:3], 0 offen offset:4
	buffer_load_dword v79, off, s[0:3], 0 offset:276
	buffer_load_dword v80, off, s[0:3], 0 offset:272
	s_waitcnt vmcnt(3)
	buffer_store_dword v1, off, s[0:3], 0 offset:272
	s_waitcnt vmcnt(3)
	buffer_store_dword v78, off, s[0:3], 0 offset:276
	s_waitcnt vmcnt(3)
	buffer_store_dword v79, v0, s[0:3], 0 offen offset:4
	s_waitcnt vmcnt(3)
	buffer_store_dword v80, v0, s[0:3], 0 offen
.LBB101_242:
	s_or_b64 exec, exec, s[4:5]
	v_pk_mov_b32 v[0:1], s[10:11], s[10:11] op_sel:[0,1]
	flat_load_dword v0, v[0:1] offset:132
	s_waitcnt vmcnt(0) lgkmcnt(0)
	v_add_u32_e32 v0, -1, v0
	v_cmp_ne_u32_e32 vcc, 33, v0
	s_and_saveexec_b64 s[4:5], vcc
	s_cbranch_execz .LBB101_244
; %bb.243:
	v_mov_b32_e32 v1, 0
	v_lshl_add_u32 v0, v0, 3, v1
	buffer_load_dword v1, v0, s[0:3], 0 offen
	buffer_load_dword v78, v0, s[0:3], 0 offen offset:4
	buffer_load_dword v79, off, s[0:3], 0 offset:264
	buffer_load_dword v80, off, s[0:3], 0 offset:268
	s_waitcnt vmcnt(3)
	buffer_store_dword v1, off, s[0:3], 0 offset:264
	s_waitcnt vmcnt(3)
	buffer_store_dword v78, off, s[0:3], 0 offset:268
	s_waitcnt vmcnt(3)
	buffer_store_dword v79, v0, s[0:3], 0 offen
	s_waitcnt vmcnt(3)
	buffer_store_dword v80, v0, s[0:3], 0 offen offset:4
.LBB101_244:
	s_or_b64 exec, exec, s[4:5]
	v_pk_mov_b32 v[0:1], s[10:11], s[10:11] op_sel:[0,1]
	flat_load_dword v0, v[0:1] offset:128
	s_waitcnt vmcnt(0) lgkmcnt(0)
	v_add_u32_e32 v0, -1, v0
	v_cmp_ne_u32_e32 vcc, 32, v0
	s_and_saveexec_b64 s[4:5], vcc
	s_cbranch_execz .LBB101_246
; %bb.245:
	v_mov_b32_e32 v1, 0
	v_lshl_add_u32 v0, v0, 3, v1
	buffer_load_dword v1, v0, s[0:3], 0 offen
	buffer_load_dword v78, v0, s[0:3], 0 offen offset:4
	buffer_load_dword v79, off, s[0:3], 0 offset:260
	buffer_load_dword v80, off, s[0:3], 0 offset:256
	s_waitcnt vmcnt(3)
	buffer_store_dword v1, off, s[0:3], 0 offset:256
	s_waitcnt vmcnt(3)
	buffer_store_dword v78, off, s[0:3], 0 offset:260
	s_waitcnt vmcnt(3)
	buffer_store_dword v79, v0, s[0:3], 0 offen offset:4
	s_waitcnt vmcnt(3)
	buffer_store_dword v80, v0, s[0:3], 0 offen
.LBB101_246:
	;; [unrolled: 48-line block ×17, first 2 shown]
	s_or_b64 exec, exec, s[4:5]
	v_pk_mov_b32 v[0:1], s[10:11], s[10:11] op_sel:[0,1]
	flat_load_dword v0, v[0:1] offset:4
	s_waitcnt vmcnt(0) lgkmcnt(0)
	v_add_u32_e32 v0, -1, v0
	v_cmp_ne_u32_e32 vcc, 1, v0
	s_and_saveexec_b64 s[4:5], vcc
	s_cbranch_execz .LBB101_308
; %bb.307:
	v_mov_b32_e32 v1, 0
	v_lshl_add_u32 v0, v0, 3, v1
	buffer_load_dword v1, v0, s[0:3], 0 offen
	buffer_load_dword v78, v0, s[0:3], 0 offen offset:4
	buffer_load_dword v79, off, s[0:3], 0 offset:8
	buffer_load_dword v80, off, s[0:3], 0 offset:12
	s_waitcnt vmcnt(3)
	buffer_store_dword v1, off, s[0:3], 0 offset:8
	s_waitcnt vmcnt(3)
	buffer_store_dword v78, off, s[0:3], 0 offset:12
	s_waitcnt vmcnt(3)
	buffer_store_dword v79, v0, s[0:3], 0 offen
	s_waitcnt vmcnt(3)
	buffer_store_dword v80, v0, s[0:3], 0 offen offset:4
.LBB101_308:
	s_or_b64 exec, exec, s[4:5]
	v_pk_mov_b32 v[0:1], s[10:11], s[10:11] op_sel:[0,1]
	flat_load_dword v78, v[0:1]
	s_nop 0
	buffer_load_dword v0, off, s[0:3], 0
	buffer_load_dword v1, off, s[0:3], 0 offset:4
	s_waitcnt vmcnt(0) lgkmcnt(0)
	v_add_u32_e32 v78, -1, v78
	v_cmp_ne_u32_e32 vcc, 0, v78
	s_and_saveexec_b64 s[4:5], vcc
	s_cbranch_execz .LBB101_310
; %bb.309:
	v_mov_b32_e32 v79, 0
	v_lshl_add_u32 v78, v78, 3, v79
	buffer_load_dword v79, v78, s[0:3], 0 offen offset:4
	buffer_load_dword v80, v78, s[0:3], 0 offen
	s_waitcnt vmcnt(1)
	buffer_store_dword v79, off, s[0:3], 0 offset:4
	s_waitcnt vmcnt(1)
	buffer_store_dword v80, off, s[0:3], 0
	buffer_store_dword v1, v78, s[0:3], 0 offen offset:4
	buffer_store_dword v0, v78, s[0:3], 0 offen
	buffer_load_dword v0, off, s[0:3], 0
	s_nop 0
	buffer_load_dword v1, off, s[0:3], 0 offset:4
.LBB101_310:
	s_or_b64 exec, exec, s[4:5]
.LBB101_311:
	s_waitcnt vmcnt(0)
	global_store_dwordx2 v[76:77], v[0:1], off
	buffer_load_dword v0, off, s[0:3], 0 offset:8
	s_nop 0
	buffer_load_dword v1, off, s[0:3], 0 offset:12
	buffer_load_dword v76, off, s[0:3], 0 offset:16
	;; [unrolled: 1-line block ×15, first 2 shown]
	s_waitcnt vmcnt(14)
	global_store_dwordx2 v[74:75], v[0:1], off
	s_waitcnt vmcnt(13)
	global_store_dwordx2 v[2:3], v[76:77], off
	;; [unrolled: 2-line block ×8, first 2 shown]
	buffer_load_dword v0, off, s[0:3], 0 offset:72
	buffer_load_dword v1, off, s[0:3], 0 offset:76
	s_waitcnt vmcnt(0)
	global_store_dwordx2 v[14:15], v[0:1], off
	buffer_load_dword v0, off, s[0:3], 0 offset:80
	s_nop 0
	buffer_load_dword v1, off, s[0:3], 0 offset:84
	s_waitcnt vmcnt(0)
	global_store_dwordx2 v[16:17], v[0:1], off
	buffer_load_dword v0, off, s[0:3], 0 offset:88
	s_nop 0
	;; [unrolled: 5-line block ×28, first 2 shown]
	buffer_load_dword v1, off, s[0:3], 0 offset:300
	s_waitcnt vmcnt(0)
	global_store_dwordx2 v[58:59], v[0:1], off
	s_endpgm
	.section	.rodata,"a",@progbits
	.p2align	6, 0x0
	.amdhsa_kernel _ZN9rocsolver6v33100L18getri_kernel_smallILi38EdPKPdEEvT1_iilPiilS6_bb
		.amdhsa_group_segment_fixed_size 616
		.amdhsa_private_segment_fixed_size 320
		.amdhsa_kernarg_size 60
		.amdhsa_user_sgpr_count 8
		.amdhsa_user_sgpr_private_segment_buffer 1
		.amdhsa_user_sgpr_dispatch_ptr 0
		.amdhsa_user_sgpr_queue_ptr 0
		.amdhsa_user_sgpr_kernarg_segment_ptr 1
		.amdhsa_user_sgpr_dispatch_id 0
		.amdhsa_user_sgpr_flat_scratch_init 1
		.amdhsa_user_sgpr_kernarg_preload_length 0
		.amdhsa_user_sgpr_kernarg_preload_offset 0
		.amdhsa_user_sgpr_private_segment_size 0
		.amdhsa_uses_dynamic_stack 0
		.amdhsa_system_sgpr_private_segment_wavefront_offset 1
		.amdhsa_system_sgpr_workgroup_id_x 1
		.amdhsa_system_sgpr_workgroup_id_y 0
		.amdhsa_system_sgpr_workgroup_id_z 0
		.amdhsa_system_sgpr_workgroup_info 0
		.amdhsa_system_vgpr_workitem_id 0
		.amdhsa_next_free_vgpr 126
		.amdhsa_next_free_sgpr 22
		.amdhsa_accum_offset 128
		.amdhsa_reserve_vcc 1
		.amdhsa_reserve_flat_scratch 1
		.amdhsa_float_round_mode_32 0
		.amdhsa_float_round_mode_16_64 0
		.amdhsa_float_denorm_mode_32 3
		.amdhsa_float_denorm_mode_16_64 3
		.amdhsa_dx10_clamp 1
		.amdhsa_ieee_mode 1
		.amdhsa_fp16_overflow 0
		.amdhsa_tg_split 0
		.amdhsa_exception_fp_ieee_invalid_op 0
		.amdhsa_exception_fp_denorm_src 0
		.amdhsa_exception_fp_ieee_div_zero 0
		.amdhsa_exception_fp_ieee_overflow 0
		.amdhsa_exception_fp_ieee_underflow 0
		.amdhsa_exception_fp_ieee_inexact 0
		.amdhsa_exception_int_div_zero 0
	.end_amdhsa_kernel
	.section	.text._ZN9rocsolver6v33100L18getri_kernel_smallILi38EdPKPdEEvT1_iilPiilS6_bb,"axG",@progbits,_ZN9rocsolver6v33100L18getri_kernel_smallILi38EdPKPdEEvT1_iilPiilS6_bb,comdat
.Lfunc_end101:
	.size	_ZN9rocsolver6v33100L18getri_kernel_smallILi38EdPKPdEEvT1_iilPiilS6_bb, .Lfunc_end101-_ZN9rocsolver6v33100L18getri_kernel_smallILi38EdPKPdEEvT1_iilPiilS6_bb
                                        ; -- End function
	.section	.AMDGPU.csdata,"",@progbits
; Kernel info:
; codeLenInByte = 39676
; NumSgprs: 28
; NumVgprs: 126
; NumAgprs: 0
; TotalNumVgprs: 126
; ScratchSize: 320
; MemoryBound: 0
; FloatMode: 240
; IeeeMode: 1
; LDSByteSize: 616 bytes/workgroup (compile time only)
; SGPRBlocks: 3
; VGPRBlocks: 15
; NumSGPRsForWavesPerEU: 28
; NumVGPRsForWavesPerEU: 126
; AccumOffset: 128
; Occupancy: 4
; WaveLimiterHint : 1
; COMPUTE_PGM_RSRC2:SCRATCH_EN: 1
; COMPUTE_PGM_RSRC2:USER_SGPR: 8
; COMPUTE_PGM_RSRC2:TRAP_HANDLER: 0
; COMPUTE_PGM_RSRC2:TGID_X_EN: 1
; COMPUTE_PGM_RSRC2:TGID_Y_EN: 0
; COMPUTE_PGM_RSRC2:TGID_Z_EN: 0
; COMPUTE_PGM_RSRC2:TIDIG_COMP_CNT: 0
; COMPUTE_PGM_RSRC3_GFX90A:ACCUM_OFFSET: 31
; COMPUTE_PGM_RSRC3_GFX90A:TG_SPLIT: 0
	.section	.text._ZN9rocsolver6v33100L18getri_kernel_smallILi39EdPKPdEEvT1_iilPiilS6_bb,"axG",@progbits,_ZN9rocsolver6v33100L18getri_kernel_smallILi39EdPKPdEEvT1_iilPiilS6_bb,comdat
	.globl	_ZN9rocsolver6v33100L18getri_kernel_smallILi39EdPKPdEEvT1_iilPiilS6_bb ; -- Begin function _ZN9rocsolver6v33100L18getri_kernel_smallILi39EdPKPdEEvT1_iilPiilS6_bb
	.p2align	8
	.type	_ZN9rocsolver6v33100L18getri_kernel_smallILi39EdPKPdEEvT1_iilPiilS6_bb,@function
_ZN9rocsolver6v33100L18getri_kernel_smallILi39EdPKPdEEvT1_iilPiilS6_bb: ; @_ZN9rocsolver6v33100L18getri_kernel_smallILi39EdPKPdEEvT1_iilPiilS6_bb
; %bb.0:
	s_add_u32 flat_scratch_lo, s6, s9
	s_addc_u32 flat_scratch_hi, s7, 0
	s_add_u32 s0, s0, s9
	s_addc_u32 s1, s1, 0
	v_cmp_gt_u32_e32 vcc, 39, v0
	s_and_saveexec_b64 s[6:7], vcc
	s_cbranch_execz .LBB102_164
; %bb.1:
	s_load_dword s18, s[4:5], 0x38
	s_load_dwordx2 s[6:7], s[4:5], 0x0
	s_load_dwordx4 s[12:15], s[4:5], 0x28
	s_waitcnt lgkmcnt(0)
	s_bitcmp1_b32 s18, 8
	s_cselect_b64 s[16:17], -1, 0
	s_ashr_i32 s9, s8, 31
	s_lshl_b64 s[10:11], s[8:9], 3
	s_add_u32 s6, s6, s10
	s_addc_u32 s7, s7, s11
	s_load_dwordx2 s[6:7], s[6:7], 0x0
	s_bfe_u32 s10, s18, 0x10008
	s_cmp_eq_u32 s10, 0
                                        ; implicit-def: $sgpr10_sgpr11
	s_cbranch_scc1 .LBB102_3
; %bb.2:
	s_load_dword s10, s[4:5], 0x20
	s_load_dwordx2 s[20:21], s[4:5], 0x18
	s_mul_i32 s11, s8, s13
	s_mul_hi_u32 s13, s8, s12
	s_add_i32 s13, s13, s11
	s_mul_i32 s19, s9, s12
	s_add_i32 s13, s13, s19
	s_mul_i32 s12, s8, s12
	s_waitcnt lgkmcnt(0)
	s_ashr_i32 s11, s10, 31
	s_lshl_b64 s[12:13], s[12:13], 2
	s_add_u32 s12, s20, s12
	s_addc_u32 s13, s21, s13
	s_lshl_b64 s[10:11], s[10:11], 2
	s_add_u32 s10, s12, s10
	s_addc_u32 s11, s13, s11
.LBB102_3:
	s_load_dwordx2 s[4:5], s[4:5], 0x8
	s_waitcnt lgkmcnt(0)
	s_ashr_i32 s13, s4, 31
	s_mov_b32 s12, s4
	s_lshl_b64 s[12:13], s[12:13], 3
	s_add_u32 s6, s6, s12
	s_addc_u32 s7, s7, s13
	s_add_i32 s4, s5, s5
	v_add_u32_e32 v4, s4, v0
	v_ashrrev_i32_e32 v5, 31, v4
	v_lshlrev_b64 v[2:3], 3, v[4:5]
	v_add_u32_e32 v6, s5, v4
	v_mov_b32_e32 v1, s7
	v_add_co_u32_e32 v2, vcc, s6, v2
	v_ashrrev_i32_e32 v7, 31, v6
	v_addc_co_u32_e32 v3, vcc, v1, v3, vcc
	v_lshlrev_b64 v[4:5], 3, v[6:7]
	v_add_u32_e32 v8, s5, v6
	v_add_co_u32_e32 v4, vcc, s6, v4
	v_ashrrev_i32_e32 v9, 31, v8
	v_addc_co_u32_e32 v5, vcc, v1, v5, vcc
	v_lshlrev_b64 v[6:7], 3, v[8:9]
	v_add_u32_e32 v10, s5, v8
	v_add_co_u32_e32 v6, vcc, s6, v6
	v_ashrrev_i32_e32 v11, 31, v10
	v_addc_co_u32_e32 v7, vcc, v1, v7, vcc
	v_lshlrev_b64 v[8:9], 3, v[10:11]
	v_add_u32_e32 v12, s5, v10
	v_add_co_u32_e32 v8, vcc, s6, v8
	v_ashrrev_i32_e32 v13, 31, v12
	v_addc_co_u32_e32 v9, vcc, v1, v9, vcc
	v_lshlrev_b64 v[10:11], 3, v[12:13]
	v_add_u32_e32 v14, s5, v12
	v_add_co_u32_e32 v10, vcc, s6, v10
	v_ashrrev_i32_e32 v15, 31, v14
	v_addc_co_u32_e32 v11, vcc, v1, v11, vcc
	v_lshlrev_b64 v[12:13], 3, v[14:15]
	v_add_u32_e32 v14, s5, v14
	v_add_co_u32_e32 v12, vcc, s6, v12
	v_ashrrev_i32_e32 v15, 31, v14
	v_addc_co_u32_e32 v13, vcc, v1, v13, vcc
	v_lshlrev_b64 v[16:17], 3, v[14:15]
	v_add_co_u32_e32 v18, vcc, s6, v16
	v_add_u32_e32 v16, s5, v14
	v_addc_co_u32_e32 v19, vcc, v1, v17, vcc
	v_ashrrev_i32_e32 v17, 31, v16
	v_lshlrev_b64 v[14:15], 3, v[16:17]
	v_add_u32_e32 v20, s5, v16
	v_add_co_u32_e32 v14, vcc, s6, v14
	v_ashrrev_i32_e32 v21, 31, v20
	v_addc_co_u32_e32 v15, vcc, v1, v15, vcc
	v_lshlrev_b64 v[16:17], 3, v[20:21]
	v_add_u32_e32 v22, s5, v20
	v_add_co_u32_e32 v16, vcc, s6, v16
	v_ashrrev_i32_e32 v23, 31, v22
	v_addc_co_u32_e32 v17, vcc, v1, v17, vcc
	v_lshlrev_b64 v[20:21], 3, v[22:23]
	v_add_u32_e32 v24, s5, v22
	v_add_co_u32_e32 v20, vcc, s6, v20
	v_ashrrev_i32_e32 v25, 31, v24
	v_addc_co_u32_e32 v21, vcc, v1, v21, vcc
	v_lshlrev_b64 v[22:23], 3, v[24:25]
	v_add_u32_e32 v26, s5, v24
	v_add_co_u32_e32 v22, vcc, s6, v22
	v_ashrrev_i32_e32 v27, 31, v26
	v_addc_co_u32_e32 v23, vcc, v1, v23, vcc
	v_lshlrev_b64 v[24:25], 3, v[26:27]
	v_add_u32_e32 v28, s5, v26
	v_add_co_u32_e32 v24, vcc, s6, v24
	v_ashrrev_i32_e32 v29, 31, v28
	v_addc_co_u32_e32 v25, vcc, v1, v25, vcc
	v_lshlrev_b64 v[26:27], 3, v[28:29]
	v_add_u32_e32 v30, s5, v28
	v_add_co_u32_e32 v26, vcc, s6, v26
	v_ashrrev_i32_e32 v31, 31, v30
	v_addc_co_u32_e32 v27, vcc, v1, v27, vcc
	v_lshlrev_b64 v[28:29], 3, v[30:31]
	v_add_u32_e32 v32, s5, v30
	v_add_co_u32_e32 v28, vcc, s6, v28
	v_ashrrev_i32_e32 v33, 31, v32
	v_addc_co_u32_e32 v29, vcc, v1, v29, vcc
	v_lshlrev_b64 v[30:31], 3, v[32:33]
	v_add_u32_e32 v34, s5, v32
	v_add_co_u32_e32 v30, vcc, s6, v30
	v_ashrrev_i32_e32 v35, 31, v34
	v_addc_co_u32_e32 v31, vcc, v1, v31, vcc
	v_lshlrev_b64 v[32:33], 3, v[34:35]
	v_add_u32_e32 v36, s5, v34
	v_add_co_u32_e32 v32, vcc, s6, v32
	v_ashrrev_i32_e32 v37, 31, v36
	v_addc_co_u32_e32 v33, vcc, v1, v33, vcc
	v_lshlrev_b64 v[34:35], 3, v[36:37]
	v_add_u32_e32 v38, s5, v36
	v_add_co_u32_e32 v34, vcc, s6, v34
	v_ashrrev_i32_e32 v39, 31, v38
	v_addc_co_u32_e32 v35, vcc, v1, v35, vcc
	v_lshlrev_b64 v[36:37], 3, v[38:39]
	v_add_u32_e32 v40, s5, v38
	v_add_co_u32_e32 v36, vcc, s6, v36
	v_ashrrev_i32_e32 v41, 31, v40
	v_addc_co_u32_e32 v37, vcc, v1, v37, vcc
	v_lshlrev_b64 v[38:39], 3, v[40:41]
	v_add_u32_e32 v42, s5, v40
	v_add_co_u32_e32 v38, vcc, s6, v38
	v_ashrrev_i32_e32 v43, 31, v42
	v_addc_co_u32_e32 v39, vcc, v1, v39, vcc
	v_lshlrev_b64 v[40:41], 3, v[42:43]
	v_add_u32_e32 v44, s5, v42
	v_add_co_u32_e32 v40, vcc, s6, v40
	v_ashrrev_i32_e32 v45, 31, v44
	v_addc_co_u32_e32 v41, vcc, v1, v41, vcc
	v_lshlrev_b64 v[42:43], 3, v[44:45]
	v_add_u32_e32 v46, s5, v44
	v_add_co_u32_e32 v42, vcc, s6, v42
	v_ashrrev_i32_e32 v47, 31, v46
	v_addc_co_u32_e32 v43, vcc, v1, v43, vcc
	v_lshlrev_b64 v[44:45], 3, v[46:47]
	v_add_u32_e32 v48, s5, v46
	v_add_co_u32_e32 v44, vcc, s6, v44
	v_ashrrev_i32_e32 v49, 31, v48
	v_addc_co_u32_e32 v45, vcc, v1, v45, vcc
	v_lshlrev_b64 v[46:47], 3, v[48:49]
	v_add_u32_e32 v50, s5, v48
	v_add_co_u32_e32 v46, vcc, s6, v46
	v_ashrrev_i32_e32 v51, 31, v50
	v_addc_co_u32_e32 v47, vcc, v1, v47, vcc
	v_lshlrev_b64 v[48:49], 3, v[50:51]
	v_add_u32_e32 v52, s5, v50
	v_add_co_u32_e32 v48, vcc, s6, v48
	v_ashrrev_i32_e32 v53, 31, v52
	v_addc_co_u32_e32 v49, vcc, v1, v49, vcc
	v_lshlrev_b64 v[50:51], 3, v[52:53]
	v_add_u32_e32 v54, s5, v52
	v_add_co_u32_e32 v50, vcc, s6, v50
	v_ashrrev_i32_e32 v55, 31, v54
	v_addc_co_u32_e32 v51, vcc, v1, v51, vcc
	v_lshlrev_b64 v[52:53], 3, v[54:55]
	v_add_u32_e32 v56, s5, v54
	v_add_co_u32_e32 v52, vcc, s6, v52
	v_ashrrev_i32_e32 v57, 31, v56
	v_addc_co_u32_e32 v53, vcc, v1, v53, vcc
	v_lshlrev_b64 v[54:55], 3, v[56:57]
	v_add_u32_e32 v58, s5, v56
	v_add_co_u32_e32 v54, vcc, s6, v54
	v_ashrrev_i32_e32 v59, 31, v58
	v_addc_co_u32_e32 v55, vcc, v1, v55, vcc
	v_lshlrev_b64 v[56:57], 3, v[58:59]
	v_add_u32_e32 v60, s5, v58
	v_add_co_u32_e32 v56, vcc, s6, v56
	v_ashrrev_i32_e32 v61, 31, v60
	v_addc_co_u32_e32 v57, vcc, v1, v57, vcc
	v_lshlrev_b64 v[58:59], 3, v[60:61]
	v_add_co_u32_e32 v58, vcc, s6, v58
	v_addc_co_u32_e32 v59, vcc, v1, v59, vcc
	v_lshlrev_b32_e32 v1, 3, v0
	v_mov_b32_e32 v62, s7
	v_add_co_u32_e32 v78, vcc, s6, v1
	s_ashr_i32 s13, s5, 31
	s_mov_b32 s12, s5
	v_addc_co_u32_e32 v79, vcc, 0, v62, vcc
	s_lshl_b64 s[12:13], s[12:13], 3
	v_mov_b32_e32 v62, s13
	v_add_co_u32_e32 v76, vcc, s12, v78
	v_addc_co_u32_e32 v77, vcc, v79, v62, vcc
	global_load_dwordx2 v[80:81], v1, s[6:7]
	global_load_dwordx2 v[82:83], v[76:77], off
	global_load_dwordx2 v[84:85], v[2:3], off
	;; [unrolled: 1-line block ×16, first 2 shown]
	v_add_u32_e32 v60, s5, v60
	v_ashrrev_i32_e32 v61, 31, v60
	v_lshlrev_b64 v[62:63], 3, v[60:61]
	v_add_u32_e32 v60, s5, v60
	v_mov_b32_e32 v64, s7
	v_add_co_u32_e32 v62, vcc, s6, v62
	v_ashrrev_i32_e32 v61, 31, v60
	v_addc_co_u32_e32 v63, vcc, v64, v63, vcc
	v_lshlrev_b64 v[64:65], 3, v[60:61]
	v_add_u32_e32 v60, s5, v60
	v_mov_b32_e32 v66, s7
	v_add_co_u32_e32 v64, vcc, s6, v64
	v_ashrrev_i32_e32 v61, 31, v60
	v_addc_co_u32_e32 v65, vcc, v66, v65, vcc
	;; [unrolled: 6-line block ×7, first 2 shown]
	v_lshlrev_b64 v[60:61], 3, v[60:61]
	v_add_co_u32_e32 v60, vcc, s6, v60
	v_addc_co_u32_e32 v61, vcc, v114, v61, vcc
	global_load_dwordx2 v[114:115], v[60:61], off
	s_waitcnt vmcnt(17)
	buffer_store_dword v81, off, s[0:3], 0 offset:4
	buffer_store_dword v80, off, s[0:3], 0
	s_waitcnt vmcnt(18)
	buffer_store_dword v83, off, s[0:3], 0 offset:12
	buffer_store_dword v82, off, s[0:3], 0 offset:8
	s_waitcnt vmcnt(19)
	buffer_store_dword v85, off, s[0:3], 0 offset:20
	buffer_store_dword v84, off, s[0:3], 0 offset:16
	s_waitcnt vmcnt(20)
	buffer_store_dword v87, off, s[0:3], 0 offset:28
	buffer_store_dword v86, off, s[0:3], 0 offset:24
	s_waitcnt vmcnt(21)
	buffer_store_dword v89, off, s[0:3], 0 offset:36
	buffer_store_dword v88, off, s[0:3], 0 offset:32
	s_waitcnt vmcnt(22)
	buffer_store_dword v91, off, s[0:3], 0 offset:44
	buffer_store_dword v90, off, s[0:3], 0 offset:40
	s_waitcnt vmcnt(23)
	buffer_store_dword v93, off, s[0:3], 0 offset:52
	buffer_store_dword v92, off, s[0:3], 0 offset:48
	global_load_dwordx2 v[80:81], v[32:33], off
	global_load_dwordx2 v[82:83], v[34:35], off
	;; [unrolled: 1-line block ×11, first 2 shown]
	s_bitcmp0_b32 s18, 0
	s_waitcnt vmcnt(35)
	buffer_store_dword v95, off, s[0:3], 0 offset:60
	buffer_store_dword v94, off, s[0:3], 0 offset:56
	global_load_dwordx2 v[94:95], v[46:47], off
	s_mov_b64 s[6:7], -1
	s_waitcnt vmcnt(35)
	buffer_store_dword v97, off, s[0:3], 0 offset:68
	buffer_store_dword v96, off, s[0:3], 0 offset:64
	global_load_dwordx2 v[96:97], v[48:49], off
	s_nop 0
	buffer_store_dword v98, off, s[0:3], 0 offset:72
	buffer_store_dword v99, off, s[0:3], 0 offset:76
	global_load_dwordx2 v[98:99], v[50:51], off
	s_nop 0
	buffer_store_dword v100, off, s[0:3], 0 offset:80
	buffer_store_dword v101, off, s[0:3], 0 offset:84
	global_load_dwordx2 v[100:101], v[52:53], off
	s_waitcnt vmcnt(43)
	buffer_store_dword v102, off, s[0:3], 0 offset:88
	buffer_store_dword v103, off, s[0:3], 0 offset:92
	global_load_dwordx2 v[102:103], v[54:55], off
	s_waitcnt vmcnt(45)
	;; [unrolled: 4-line block ×7, first 2 shown]
	buffer_store_dword v80, off, s[0:3], 0 offset:136
	buffer_store_dword v81, off, s[0:3], 0 offset:140
	s_waitcnt vmcnt(41)
	buffer_store_dword v82, off, s[0:3], 0 offset:144
	buffer_store_dword v83, off, s[0:3], 0 offset:148
	s_waitcnt vmcnt(42)
	buffer_store_dword v85, off, s[0:3], 0 offset:156
	buffer_store_dword v84, off, s[0:3], 0 offset:152
	s_waitcnt vmcnt(43)
	buffer_store_dword v87, off, s[0:3], 0 offset:164
	buffer_store_dword v86, off, s[0:3], 0 offset:160
	s_waitcnt vmcnt(44)
	buffer_store_dword v88, off, s[0:3], 0 offset:168
	buffer_store_dword v89, off, s[0:3], 0 offset:172
	s_waitcnt vmcnt(45)
	buffer_store_dword v90, off, s[0:3], 0 offset:176
	buffer_store_dword v91, off, s[0:3], 0 offset:180
	s_waitcnt vmcnt(46)
	buffer_store_dword v92, off, s[0:3], 0 offset:184
	buffer_store_dword v93, off, s[0:3], 0 offset:188
	s_waitcnt vmcnt(41)
	buffer_store_dword v94, off, s[0:3], 0 offset:192
	buffer_store_dword v95, off, s[0:3], 0 offset:196
	s_waitcnt vmcnt(40)
	buffer_store_dword v97, off, s[0:3], 0 offset:204
	buffer_store_dword v96, off, s[0:3], 0 offset:200
	s_waitcnt vmcnt(39)
	buffer_store_dword v99, off, s[0:3], 0 offset:212
	buffer_store_dword v98, off, s[0:3], 0 offset:208
	s_waitcnt vmcnt(38)
	buffer_store_dword v100, off, s[0:3], 0 offset:216
	buffer_store_dword v101, off, s[0:3], 0 offset:220
	s_waitcnt vmcnt(37)
	buffer_store_dword v102, off, s[0:3], 0 offset:224
	buffer_store_dword v103, off, s[0:3], 0 offset:228
	s_waitcnt vmcnt(36)
	buffer_store_dword v104, off, s[0:3], 0 offset:232
	buffer_store_dword v105, off, s[0:3], 0 offset:236
	buffer_store_dword v116, off, s[0:3], 0 offset:240
	buffer_store_dword v117, off, s[0:3], 0 offset:244
	s_waitcnt vmcnt(37)
	buffer_store_dword v107, off, s[0:3], 0 offset:252
	buffer_store_dword v106, off, s[0:3], 0 offset:248
	buffer_store_dword v119, off, s[0:3], 0 offset:260
	buffer_store_dword v118, off, s[0:3], 0 offset:256
	s_waitcnt vmcnt(38)
	;; [unrolled: 5-line block ×4, first 2 shown]
	buffer_store_dword v113, off, s[0:3], 0 offset:300
	buffer_store_dword v112, off, s[0:3], 0 offset:296
	;; [unrolled: 1-line block ×4, first 2 shown]
	s_cbranch_scc1 .LBB102_162
; %bb.4:
	v_cmp_eq_u32_e64 s[4:5], 0, v0
	s_and_saveexec_b64 s[6:7], s[4:5]
	s_cbranch_execz .LBB102_6
; %bb.5:
	v_mov_b32_e32 v80, 0
	ds_write_b32 v80, v80 offset:312
.LBB102_6:
	s_or_b64 exec, exec, s[6:7]
	v_mov_b32_e32 v80, 0
	v_lshl_add_u32 v80, v0, 3, v80
	s_waitcnt lgkmcnt(0)
	; wave barrier
	s_waitcnt lgkmcnt(0)
	buffer_load_dword v82, v80, s[0:3], 0 offen
	buffer_load_dword v83, v80, s[0:3], 0 offen offset:4
	s_waitcnt vmcnt(0)
	v_cmp_eq_f64_e32 vcc, 0, v[82:83]
	s_and_saveexec_b64 s[12:13], vcc
	s_cbranch_execz .LBB102_10
; %bb.7:
	v_mov_b32_e32 v81, 0
	ds_read_b32 v83, v81 offset:312
	v_add_u32_e32 v82, 1, v0
	s_waitcnt lgkmcnt(0)
	v_readfirstlane_b32 s6, v83
	s_cmp_eq_u32 s6, 0
	s_cselect_b64 s[18:19], -1, 0
	v_cmp_gt_i32_e32 vcc, s6, v82
	s_or_b64 s[18:19], s[18:19], vcc
	s_and_b64 exec, exec, s[18:19]
	s_cbranch_execz .LBB102_10
; %bb.8:
	s_mov_b64 s[18:19], 0
	v_mov_b32_e32 v83, s6
.LBB102_9:                              ; =>This Inner Loop Header: Depth=1
	ds_cmpst_rtn_b32 v83, v81, v83, v82 offset:312
	s_waitcnt lgkmcnt(0)
	v_cmp_ne_u32_e32 vcc, 0, v83
	v_cmp_le_i32_e64 s[6:7], v83, v82
	s_and_b64 s[6:7], vcc, s[6:7]
	s_and_b64 s[6:7], exec, s[6:7]
	s_or_b64 s[18:19], s[6:7], s[18:19]
	s_andn2_b64 exec, exec, s[18:19]
	s_cbranch_execnz .LBB102_9
.LBB102_10:
	s_or_b64 exec, exec, s[12:13]
	v_mov_b32_e32 v82, 0
	s_waitcnt lgkmcnt(0)
	; wave barrier
	ds_read_b32 v81, v82 offset:312
	s_and_saveexec_b64 s[6:7], s[4:5]
	s_cbranch_execz .LBB102_12
; %bb.11:
	s_lshl_b64 s[12:13], s[8:9], 2
	s_add_u32 s12, s14, s12
	s_addc_u32 s13, s15, s13
	s_waitcnt lgkmcnt(0)
	global_store_dword v82, v81, s[12:13]
.LBB102_12:
	s_or_b64 exec, exec, s[6:7]
	s_waitcnt lgkmcnt(0)
	v_cmp_ne_u32_e32 vcc, 0, v81
	s_mov_b64 s[6:7], 0
	s_cbranch_vccnz .LBB102_162
; %bb.13:
	buffer_load_dword v82, v80, s[0:3], 0 offen
	buffer_load_dword v83, v80, s[0:3], 0 offen offset:4
	s_waitcnt vmcnt(0)
	v_div_scale_f64 v[84:85], s[6:7], v[82:83], v[82:83], 1.0
	v_rcp_f64_e32 v[86:87], v[84:85]
	v_div_scale_f64 v[88:89], vcc, 1.0, v[82:83], 1.0
	v_fma_f64 v[90:91], -v[84:85], v[86:87], 1.0
	v_fmac_f64_e32 v[86:87], v[86:87], v[90:91]
	v_fma_f64 v[90:91], -v[84:85], v[86:87], 1.0
	v_fmac_f64_e32 v[86:87], v[86:87], v[90:91]
	v_mul_f64 v[90:91], v[88:89], v[86:87]
	v_fma_f64 v[84:85], -v[84:85], v[90:91], v[88:89]
	v_div_fmas_f64 v[84:85], v[84:85], v[86:87], v[90:91]
	v_div_fixup_f64 v[84:85], v[84:85], v[82:83], 1.0
	buffer_store_dword v85, v80, s[0:3], 0 offen offset:4
	buffer_store_dword v84, v80, s[0:3], 0 offen
	buffer_load_dword v87, off, s[0:3], 0 offset:12
	buffer_load_dword v86, off, s[0:3], 0 offset:8
	v_add_u32_e32 v82, 0x140, v1
	v_xor_b32_e32 v85, 0x80000000, v85
	s_waitcnt vmcnt(0)
	ds_write2_b64 v1, v[84:85], v[86:87] offset1:40
	s_waitcnt lgkmcnt(0)
	; wave barrier
	s_waitcnt lgkmcnt(0)
	s_and_saveexec_b64 s[6:7], s[4:5]
	s_cbranch_execz .LBB102_15
; %bb.14:
	buffer_load_dword v84, v80, s[0:3], 0 offen
	buffer_load_dword v85, v80, s[0:3], 0 offen offset:4
	v_mov_b32_e32 v81, 0
	ds_read_b64 v[86:87], v82
	ds_read_b64 v[88:89], v81 offset:8
	s_waitcnt vmcnt(0) lgkmcnt(1)
	v_fma_f64 v[84:85], v[84:85], v[86:87], 0
	s_waitcnt lgkmcnt(0)
	v_mul_f64 v[84:85], v[84:85], v[88:89]
	buffer_store_dword v84, off, s[0:3], 0 offset:8
	buffer_store_dword v85, off, s[0:3], 0 offset:12
.LBB102_15:
	s_or_b64 exec, exec, s[6:7]
	s_waitcnt lgkmcnt(0)
	; wave barrier
	buffer_load_dword v84, off, s[0:3], 0 offset:16
	buffer_load_dword v85, off, s[0:3], 0 offset:20
	v_cmp_gt_u32_e32 vcc, 2, v0
	s_waitcnt vmcnt(0)
	ds_write_b64 v82, v[84:85]
	s_waitcnt lgkmcnt(0)
	; wave barrier
	s_waitcnt lgkmcnt(0)
	s_and_saveexec_b64 s[6:7], vcc
	s_cbranch_execz .LBB102_17
; %bb.16:
	buffer_load_dword v81, v80, s[0:3], 0 offen offset:4
	buffer_load_dword v88, off, s[0:3], 0 offset:8
	s_nop 0
	buffer_load_dword v80, v80, s[0:3], 0 offen
	s_nop 0
	buffer_load_dword v89, off, s[0:3], 0 offset:12
	ds_read_b64 v[90:91], v82
	v_mov_b32_e32 v83, 0
	ds_read2_b64 v[84:87], v83 offset0:2 offset1:41
	s_waitcnt vmcnt(1) lgkmcnt(1)
	v_fma_f64 v[80:81], v[80:81], v[90:91], 0
	s_waitcnt vmcnt(0) lgkmcnt(0)
	v_fma_f64 v[86:87], v[88:89], v[86:87], v[80:81]
	v_cndmask_b32_e64 v81, v81, v87, s[4:5]
	v_cndmask_b32_e64 v80, v80, v86, s[4:5]
	v_mul_f64 v[80:81], v[80:81], v[84:85]
	buffer_store_dword v81, off, s[0:3], 0 offset:20
	buffer_store_dword v80, off, s[0:3], 0 offset:16
.LBB102_17:
	s_or_b64 exec, exec, s[6:7]
	s_waitcnt lgkmcnt(0)
	; wave barrier
	buffer_load_dword v80, off, s[0:3], 0 offset:24
	buffer_load_dword v81, off, s[0:3], 0 offset:28
	v_cmp_gt_u32_e32 vcc, 3, v0
	v_add_u32_e32 v83, -1, v0
	s_waitcnt vmcnt(0)
	ds_write_b64 v82, v[80:81]
	s_waitcnt lgkmcnt(0)
	; wave barrier
	s_waitcnt lgkmcnt(0)
	s_and_saveexec_b64 s[4:5], vcc
	s_cbranch_execz .LBB102_21
; %bb.18:
	v_add_u32_e32 v84, -1, v0
	v_add_u32_e32 v85, 0x140, v1
	v_add_u32_e32 v86, 0, v1
	s_mov_b64 s[6:7], 0
	v_pk_mov_b32 v[80:81], 0, 0
.LBB102_19:                             ; =>This Inner Loop Header: Depth=1
	buffer_load_dword v88, v86, s[0:3], 0 offen
	buffer_load_dword v89, v86, s[0:3], 0 offen offset:4
	ds_read_b64 v[90:91], v85
	v_add_u32_e32 v84, 1, v84
	v_cmp_lt_u32_e32 vcc, 1, v84
	v_add_u32_e32 v85, 8, v85
	v_add_u32_e32 v86, 8, v86
	s_or_b64 s[6:7], vcc, s[6:7]
	s_waitcnt vmcnt(0) lgkmcnt(0)
	v_fmac_f64_e32 v[80:81], v[88:89], v[90:91]
	s_andn2_b64 exec, exec, s[6:7]
	s_cbranch_execnz .LBB102_19
; %bb.20:
	s_or_b64 exec, exec, s[6:7]
	v_mov_b32_e32 v84, 0
	ds_read_b64 v[84:85], v84 offset:24
	s_waitcnt lgkmcnt(0)
	v_mul_f64 v[80:81], v[80:81], v[84:85]
	buffer_store_dword v81, off, s[0:3], 0 offset:28
	buffer_store_dword v80, off, s[0:3], 0 offset:24
.LBB102_21:
	s_or_b64 exec, exec, s[4:5]
	s_waitcnt lgkmcnt(0)
	; wave barrier
	buffer_load_dword v80, off, s[0:3], 0 offset:32
	buffer_load_dword v81, off, s[0:3], 0 offset:36
	v_cmp_gt_u32_e32 vcc, 4, v0
	s_waitcnt vmcnt(0)
	ds_write_b64 v82, v[80:81]
	s_waitcnt lgkmcnt(0)
	; wave barrier
	s_waitcnt lgkmcnt(0)
	s_and_saveexec_b64 s[4:5], vcc
	s_cbranch_execz .LBB102_25
; %bb.22:
	v_add_u32_e32 v84, -1, v0
	v_add_u32_e32 v85, 0x140, v1
	v_add_u32_e32 v86, 0, v1
	s_mov_b64 s[6:7], 0
	v_pk_mov_b32 v[80:81], 0, 0
.LBB102_23:                             ; =>This Inner Loop Header: Depth=1
	buffer_load_dword v88, v86, s[0:3], 0 offen
	buffer_load_dword v89, v86, s[0:3], 0 offen offset:4
	ds_read_b64 v[90:91], v85
	v_add_u32_e32 v84, 1, v84
	v_cmp_lt_u32_e32 vcc, 2, v84
	v_add_u32_e32 v85, 8, v85
	v_add_u32_e32 v86, 8, v86
	s_or_b64 s[6:7], vcc, s[6:7]
	s_waitcnt vmcnt(0) lgkmcnt(0)
	v_fmac_f64_e32 v[80:81], v[88:89], v[90:91]
	s_andn2_b64 exec, exec, s[6:7]
	s_cbranch_execnz .LBB102_23
; %bb.24:
	s_or_b64 exec, exec, s[6:7]
	v_mov_b32_e32 v84, 0
	ds_read_b64 v[84:85], v84 offset:32
	s_waitcnt lgkmcnt(0)
	v_mul_f64 v[80:81], v[80:81], v[84:85]
	buffer_store_dword v81, off, s[0:3], 0 offset:36
	buffer_store_dword v80, off, s[0:3], 0 offset:32
.LBB102_25:
	s_or_b64 exec, exec, s[4:5]
	s_waitcnt lgkmcnt(0)
	; wave barrier
	buffer_load_dword v80, off, s[0:3], 0 offset:40
	buffer_load_dword v81, off, s[0:3], 0 offset:44
	v_cmp_gt_u32_e32 vcc, 5, v0
	;; [unrolled: 41-line block ×21, first 2 shown]
	s_waitcnt vmcnt(0)
	ds_write_b64 v82, v[80:81]
	s_waitcnt lgkmcnt(0)
	; wave barrier
	s_waitcnt lgkmcnt(0)
	s_and_saveexec_b64 s[4:5], vcc
	s_cbranch_execz .LBB102_105
; %bb.102:
	v_add_u32_e32 v84, -1, v0
	v_add_u32_e32 v85, 0x140, v1
	v_add_u32_e32 v86, 0, v1
	s_mov_b64 s[6:7], 0
	v_pk_mov_b32 v[80:81], 0, 0
.LBB102_103:                            ; =>This Inner Loop Header: Depth=1
	buffer_load_dword v88, v86, s[0:3], 0 offen
	buffer_load_dword v89, v86, s[0:3], 0 offen offset:4
	ds_read_b64 v[90:91], v85
	v_add_u32_e32 v84, 1, v84
	v_cmp_lt_u32_e32 vcc, 22, v84
	v_add_u32_e32 v85, 8, v85
	v_add_u32_e32 v86, 8, v86
	s_or_b64 s[6:7], vcc, s[6:7]
	s_waitcnt vmcnt(0) lgkmcnt(0)
	v_fmac_f64_e32 v[80:81], v[88:89], v[90:91]
	s_andn2_b64 exec, exec, s[6:7]
	s_cbranch_execnz .LBB102_103
; %bb.104:
	s_or_b64 exec, exec, s[6:7]
	v_mov_b32_e32 v84, 0
	ds_read_b64 v[84:85], v84 offset:192
	s_waitcnt lgkmcnt(0)
	v_mul_f64 v[80:81], v[80:81], v[84:85]
	buffer_store_dword v81, off, s[0:3], 0 offset:196
	buffer_store_dword v80, off, s[0:3], 0 offset:192
.LBB102_105:
	s_or_b64 exec, exec, s[4:5]
	s_waitcnt lgkmcnt(0)
	; wave barrier
	buffer_load_dword v80, off, s[0:3], 0 offset:200
	buffer_load_dword v81, off, s[0:3], 0 offset:204
	v_cmp_gt_u32_e32 vcc, 25, v0
	s_waitcnt vmcnt(0)
	ds_write_b64 v82, v[80:81]
	s_waitcnt lgkmcnt(0)
	; wave barrier
	s_waitcnt lgkmcnt(0)
	s_and_saveexec_b64 s[4:5], vcc
	s_cbranch_execz .LBB102_109
; %bb.106:
	v_add_u32_e32 v84, -1, v0
	v_add_u32_e32 v85, 0x140, v1
	v_add_u32_e32 v86, 0, v1
	s_mov_b64 s[6:7], 0
	v_pk_mov_b32 v[80:81], 0, 0
.LBB102_107:                            ; =>This Inner Loop Header: Depth=1
	buffer_load_dword v88, v86, s[0:3], 0 offen
	buffer_load_dword v89, v86, s[0:3], 0 offen offset:4
	ds_read_b64 v[90:91], v85
	v_add_u32_e32 v84, 1, v84
	v_cmp_lt_u32_e32 vcc, 23, v84
	v_add_u32_e32 v85, 8, v85
	v_add_u32_e32 v86, 8, v86
	s_or_b64 s[6:7], vcc, s[6:7]
	s_waitcnt vmcnt(0) lgkmcnt(0)
	v_fmac_f64_e32 v[80:81], v[88:89], v[90:91]
	s_andn2_b64 exec, exec, s[6:7]
	s_cbranch_execnz .LBB102_107
; %bb.108:
	s_or_b64 exec, exec, s[6:7]
	v_mov_b32_e32 v84, 0
	ds_read_b64 v[84:85], v84 offset:200
	s_waitcnt lgkmcnt(0)
	v_mul_f64 v[80:81], v[80:81], v[84:85]
	buffer_store_dword v81, off, s[0:3], 0 offset:204
	buffer_store_dword v80, off, s[0:3], 0 offset:200
.LBB102_109:
	s_or_b64 exec, exec, s[4:5]
	s_waitcnt lgkmcnt(0)
	; wave barrier
	buffer_load_dword v80, off, s[0:3], 0 offset:208
	buffer_load_dword v81, off, s[0:3], 0 offset:212
	v_cmp_gt_u32_e32 vcc, 26, v0
	;; [unrolled: 41-line block ×13, first 2 shown]
	s_waitcnt vmcnt(0)
	ds_write_b64 v82, v[80:81]
	s_waitcnt lgkmcnt(0)
	; wave barrier
	s_waitcnt lgkmcnt(0)
	s_and_saveexec_b64 s[4:5], vcc
	s_cbranch_execz .LBB102_157
; %bb.154:
	v_add_u32_e32 v84, -1, v0
	v_add_u32_e32 v85, 0x140, v1
	v_add_u32_e32 v86, 0, v1
	s_mov_b64 s[6:7], 0
	v_pk_mov_b32 v[80:81], 0, 0
.LBB102_155:                            ; =>This Inner Loop Header: Depth=1
	buffer_load_dword v88, v86, s[0:3], 0 offen
	buffer_load_dword v89, v86, s[0:3], 0 offen offset:4
	ds_read_b64 v[90:91], v85
	v_add_u32_e32 v84, 1, v84
	v_cmp_lt_u32_e32 vcc, 35, v84
	v_add_u32_e32 v85, 8, v85
	v_add_u32_e32 v86, 8, v86
	s_or_b64 s[6:7], vcc, s[6:7]
	s_waitcnt vmcnt(0) lgkmcnt(0)
	v_fmac_f64_e32 v[80:81], v[88:89], v[90:91]
	s_andn2_b64 exec, exec, s[6:7]
	s_cbranch_execnz .LBB102_155
; %bb.156:
	s_or_b64 exec, exec, s[6:7]
	v_mov_b32_e32 v84, 0
	ds_read_b64 v[84:85], v84 offset:296
	s_waitcnt lgkmcnt(0)
	v_mul_f64 v[80:81], v[80:81], v[84:85]
	buffer_store_dword v81, off, s[0:3], 0 offset:300
	buffer_store_dword v80, off, s[0:3], 0 offset:296
.LBB102_157:
	s_or_b64 exec, exec, s[4:5]
	s_waitcnt lgkmcnt(0)
	; wave barrier
	buffer_load_dword v80, off, s[0:3], 0 offset:304
	buffer_load_dword v81, off, s[0:3], 0 offset:308
	v_cmp_ne_u32_e32 vcc, 38, v0
	s_waitcnt vmcnt(0)
	ds_write_b64 v82, v[80:81]
	s_waitcnt lgkmcnt(0)
	; wave barrier
	s_waitcnt lgkmcnt(0)
	s_and_saveexec_b64 s[4:5], vcc
	s_cbranch_execz .LBB102_161
; %bb.158:
	v_add_u32_e32 v82, 0x140, v1
	v_add_u32_e32 v1, 0, v1
	s_mov_b64 s[6:7], 0
	v_pk_mov_b32 v[80:81], 0, 0
.LBB102_159:                            ; =>This Inner Loop Header: Depth=1
	buffer_load_dword v84, v1, s[0:3], 0 offen
	buffer_load_dword v85, v1, s[0:3], 0 offen offset:4
	ds_read_b64 v[86:87], v82
	v_add_u32_e32 v83, 1, v83
	v_cmp_lt_u32_e32 vcc, 36, v83
	v_add_u32_e32 v82, 8, v82
	v_add_u32_e32 v1, 8, v1
	s_or_b64 s[6:7], vcc, s[6:7]
	s_waitcnt vmcnt(0) lgkmcnt(0)
	v_fmac_f64_e32 v[80:81], v[84:85], v[86:87]
	s_andn2_b64 exec, exec, s[6:7]
	s_cbranch_execnz .LBB102_159
; %bb.160:
	s_or_b64 exec, exec, s[6:7]
	v_mov_b32_e32 v1, 0
	ds_read_b64 v[82:83], v1 offset:304
	s_waitcnt lgkmcnt(0)
	v_mul_f64 v[80:81], v[80:81], v[82:83]
	buffer_store_dword v81, off, s[0:3], 0 offset:308
	buffer_store_dword v80, off, s[0:3], 0 offset:304
.LBB102_161:
	s_or_b64 exec, exec, s[4:5]
	s_mov_b64 s[6:7], -1
	s_waitcnt lgkmcnt(0)
	; wave barrier
.LBB102_162:
	s_and_b64 vcc, exec, s[6:7]
	s_cbranch_vccz .LBB102_164
; %bb.163:
	s_lshl_b64 s[4:5], s[8:9], 2
	s_add_u32 s4, s14, s4
	s_addc_u32 s5, s15, s5
	v_mov_b32_e32 v1, 0
	global_load_dword v1, v1, s[4:5]
	s_waitcnt vmcnt(0)
	v_cmp_ne_u32_e32 vcc, 0, v1
	s_cbranch_vccz .LBB102_165
.LBB102_164:
	s_endpgm
.LBB102_165:
	v_mov_b32_e32 v1, 0x140
	v_lshl_add_u32 v1, v0, 3, v1
	v_cmp_eq_u32_e32 vcc, 38, v0
	s_and_saveexec_b64 s[4:5], vcc
	s_cbranch_execz .LBB102_167
; %bb.166:
	buffer_load_dword v80, off, s[0:3], 0 offset:296
	buffer_load_dword v81, off, s[0:3], 0 offset:300
	v_mov_b32_e32 v82, 0
	buffer_store_dword v82, off, s[0:3], 0 offset:296
	buffer_store_dword v82, off, s[0:3], 0 offset:300
	s_waitcnt vmcnt(2)
	ds_write_b64 v1, v[80:81]
.LBB102_167:
	s_or_b64 exec, exec, s[4:5]
	s_waitcnt lgkmcnt(0)
	; wave barrier
	s_waitcnt lgkmcnt(0)
	buffer_load_dword v82, off, s[0:3], 0 offset:304
	buffer_load_dword v83, off, s[0:3], 0 offset:308
	;; [unrolled: 1-line block ×4, first 2 shown]
	v_mov_b32_e32 v80, 0
	ds_read_b64 v[86:87], v80 offset:624
	v_cmp_lt_u32_e32 vcc, 36, v0
	s_waitcnt vmcnt(2) lgkmcnt(0)
	v_fma_f64 v[82:83], v[82:83], v[86:87], 0
	s_waitcnt vmcnt(0)
	v_add_f64 v[82:83], v[84:85], -v[82:83]
	buffer_store_dword v82, off, s[0:3], 0 offset:296
	buffer_store_dword v83, off, s[0:3], 0 offset:300
	s_and_saveexec_b64 s[4:5], vcc
	s_cbranch_execz .LBB102_169
; %bb.168:
	buffer_load_dword v82, off, s[0:3], 0 offset:288
	buffer_load_dword v83, off, s[0:3], 0 offset:292
	s_waitcnt vmcnt(0)
	ds_write_b64 v1, v[82:83]
	buffer_store_dword v80, off, s[0:3], 0 offset:288
	buffer_store_dword v80, off, s[0:3], 0 offset:292
.LBB102_169:
	s_or_b64 exec, exec, s[4:5]
	s_waitcnt lgkmcnt(0)
	; wave barrier
	s_waitcnt lgkmcnt(0)
	buffer_load_dword v84, off, s[0:3], 0 offset:296
	buffer_load_dword v85, off, s[0:3], 0 offset:300
	;; [unrolled: 1-line block ×6, first 2 shown]
	ds_read2_b64 v[80:83], v80 offset0:77 offset1:78
	v_cmp_lt_u32_e32 vcc, 35, v0
	s_waitcnt vmcnt(4) lgkmcnt(0)
	v_fma_f64 v[80:81], v[84:85], v[80:81], 0
	s_waitcnt vmcnt(2)
	v_fmac_f64_e32 v[80:81], v[86:87], v[82:83]
	s_waitcnt vmcnt(0)
	v_add_f64 v[80:81], v[88:89], -v[80:81]
	buffer_store_dword v80, off, s[0:3], 0 offset:288
	buffer_store_dword v81, off, s[0:3], 0 offset:292
	s_and_saveexec_b64 s[4:5], vcc
	s_cbranch_execz .LBB102_171
; %bb.170:
	buffer_load_dword v80, off, s[0:3], 0 offset:280
	buffer_load_dword v81, off, s[0:3], 0 offset:284
	v_mov_b32_e32 v82, 0
	buffer_store_dword v82, off, s[0:3], 0 offset:280
	buffer_store_dword v82, off, s[0:3], 0 offset:284
	s_waitcnt vmcnt(2)
	ds_write_b64 v1, v[80:81]
.LBB102_171:
	s_or_b64 exec, exec, s[4:5]
	s_waitcnt lgkmcnt(0)
	; wave barrier
	s_waitcnt lgkmcnt(0)
	buffer_load_dword v86, off, s[0:3], 0 offset:288
	buffer_load_dword v87, off, s[0:3], 0 offset:292
	;; [unrolled: 1-line block ×8, first 2 shown]
	v_mov_b32_e32 v80, 0
	ds_read_b128 v[82:85], v80 offset:608
	ds_read_b64 v[94:95], v80 offset:624
	v_cmp_lt_u32_e32 vcc, 34, v0
	s_waitcnt vmcnt(6) lgkmcnt(1)
	v_fma_f64 v[82:83], v[86:87], v[82:83], 0
	s_waitcnt vmcnt(4)
	v_fmac_f64_e32 v[82:83], v[88:89], v[84:85]
	s_waitcnt vmcnt(2) lgkmcnt(0)
	v_fmac_f64_e32 v[82:83], v[90:91], v[94:95]
	s_waitcnt vmcnt(0)
	v_add_f64 v[82:83], v[92:93], -v[82:83]
	buffer_store_dword v82, off, s[0:3], 0 offset:280
	buffer_store_dword v83, off, s[0:3], 0 offset:284
	s_and_saveexec_b64 s[4:5], vcc
	s_cbranch_execz .LBB102_173
; %bb.172:
	buffer_load_dword v82, off, s[0:3], 0 offset:272
	buffer_load_dword v83, off, s[0:3], 0 offset:276
	s_waitcnt vmcnt(0)
	ds_write_b64 v1, v[82:83]
	buffer_store_dword v80, off, s[0:3], 0 offset:272
	buffer_store_dword v80, off, s[0:3], 0 offset:276
.LBB102_173:
	s_or_b64 exec, exec, s[4:5]
	s_waitcnt lgkmcnt(0)
	; wave barrier
	s_waitcnt lgkmcnt(0)
	buffer_load_dword v90, off, s[0:3], 0 offset:280
	buffer_load_dword v91, off, s[0:3], 0 offset:284
	;; [unrolled: 1-line block ×10, first 2 shown]
	ds_read2_b64 v[82:85], v80 offset0:75 offset1:76
	ds_read2_b64 v[86:89], v80 offset0:77 offset1:78
	v_cmp_lt_u32_e32 vcc, 33, v0
	s_waitcnt vmcnt(8) lgkmcnt(1)
	v_fma_f64 v[80:81], v[90:91], v[82:83], 0
	s_waitcnt vmcnt(6)
	v_fmac_f64_e32 v[80:81], v[92:93], v[84:85]
	s_waitcnt vmcnt(4) lgkmcnt(0)
	v_fmac_f64_e32 v[80:81], v[94:95], v[86:87]
	s_waitcnt vmcnt(2)
	v_fmac_f64_e32 v[80:81], v[96:97], v[88:89]
	s_waitcnt vmcnt(0)
	v_add_f64 v[80:81], v[98:99], -v[80:81]
	buffer_store_dword v80, off, s[0:3], 0 offset:272
	buffer_store_dword v81, off, s[0:3], 0 offset:276
	s_and_saveexec_b64 s[4:5], vcc
	s_cbranch_execz .LBB102_175
; %bb.174:
	buffer_load_dword v80, off, s[0:3], 0 offset:264
	buffer_load_dword v81, off, s[0:3], 0 offset:268
	v_mov_b32_e32 v82, 0
	buffer_store_dword v82, off, s[0:3], 0 offset:264
	buffer_store_dword v82, off, s[0:3], 0 offset:268
	s_waitcnt vmcnt(2)
	ds_write_b64 v1, v[80:81]
.LBB102_175:
	s_or_b64 exec, exec, s[4:5]
	s_waitcnt lgkmcnt(0)
	; wave barrier
	s_waitcnt lgkmcnt(0)
	buffer_load_dword v90, off, s[0:3], 0 offset:272
	buffer_load_dword v91, off, s[0:3], 0 offset:276
	buffer_load_dword v92, off, s[0:3], 0 offset:280
	buffer_load_dword v93, off, s[0:3], 0 offset:284
	buffer_load_dword v94, off, s[0:3], 0 offset:288
	buffer_load_dword v95, off, s[0:3], 0 offset:292
	buffer_load_dword v96, off, s[0:3], 0 offset:296
	buffer_load_dword v97, off, s[0:3], 0 offset:300
	buffer_load_dword v98, off, s[0:3], 0 offset:304
	buffer_load_dword v99, off, s[0:3], 0 offset:308
	buffer_load_dword v100, off, s[0:3], 0 offset:264
	buffer_load_dword v101, off, s[0:3], 0 offset:268
	v_mov_b32_e32 v80, 0
	ds_read_b128 v[82:85], v80 offset:592
	ds_read_b128 v[86:89], v80 offset:608
	ds_read_b64 v[102:103], v80 offset:624
	v_cmp_lt_u32_e32 vcc, 32, v0
	s_waitcnt vmcnt(10) lgkmcnt(2)
	v_fma_f64 v[82:83], v[90:91], v[82:83], 0
	s_waitcnt vmcnt(8)
	v_fmac_f64_e32 v[82:83], v[92:93], v[84:85]
	s_waitcnt vmcnt(6) lgkmcnt(1)
	v_fmac_f64_e32 v[82:83], v[94:95], v[86:87]
	s_waitcnt vmcnt(4)
	v_fmac_f64_e32 v[82:83], v[96:97], v[88:89]
	s_waitcnt vmcnt(2) lgkmcnt(0)
	v_fmac_f64_e32 v[82:83], v[98:99], v[102:103]
	s_waitcnt vmcnt(0)
	v_add_f64 v[82:83], v[100:101], -v[82:83]
	buffer_store_dword v82, off, s[0:3], 0 offset:264
	buffer_store_dword v83, off, s[0:3], 0 offset:268
	s_and_saveexec_b64 s[4:5], vcc
	s_cbranch_execz .LBB102_177
; %bb.176:
	buffer_load_dword v82, off, s[0:3], 0 offset:256
	buffer_load_dword v83, off, s[0:3], 0 offset:260
	s_waitcnt vmcnt(0)
	ds_write_b64 v1, v[82:83]
	buffer_store_dword v80, off, s[0:3], 0 offset:256
	buffer_store_dword v80, off, s[0:3], 0 offset:260
.LBB102_177:
	s_or_b64 exec, exec, s[4:5]
	s_waitcnt lgkmcnt(0)
	; wave barrier
	s_waitcnt lgkmcnt(0)
	buffer_load_dword v94, off, s[0:3], 0 offset:264
	buffer_load_dword v95, off, s[0:3], 0 offset:268
	;; [unrolled: 1-line block ×14, first 2 shown]
	ds_read2_b64 v[82:85], v80 offset0:73 offset1:74
	ds_read2_b64 v[86:89], v80 offset0:75 offset1:76
	;; [unrolled: 1-line block ×3, first 2 shown]
	v_cmp_lt_u32_e32 vcc, 31, v0
	s_waitcnt vmcnt(12) lgkmcnt(2)
	v_fma_f64 v[80:81], v[94:95], v[82:83], 0
	s_waitcnt vmcnt(10)
	v_fmac_f64_e32 v[80:81], v[96:97], v[84:85]
	s_waitcnt vmcnt(8) lgkmcnt(1)
	v_fmac_f64_e32 v[80:81], v[98:99], v[86:87]
	s_waitcnt vmcnt(6)
	v_fmac_f64_e32 v[80:81], v[100:101], v[88:89]
	s_waitcnt vmcnt(4) lgkmcnt(0)
	v_fmac_f64_e32 v[80:81], v[102:103], v[90:91]
	s_waitcnt vmcnt(2)
	v_fmac_f64_e32 v[80:81], v[104:105], v[92:93]
	s_waitcnt vmcnt(0)
	v_add_f64 v[80:81], v[106:107], -v[80:81]
	buffer_store_dword v80, off, s[0:3], 0 offset:256
	buffer_store_dword v81, off, s[0:3], 0 offset:260
	s_and_saveexec_b64 s[4:5], vcc
	s_cbranch_execz .LBB102_179
; %bb.178:
	buffer_load_dword v80, off, s[0:3], 0 offset:248
	buffer_load_dword v81, off, s[0:3], 0 offset:252
	v_mov_b32_e32 v82, 0
	buffer_store_dword v82, off, s[0:3], 0 offset:248
	buffer_store_dword v82, off, s[0:3], 0 offset:252
	s_waitcnt vmcnt(2)
	ds_write_b64 v1, v[80:81]
.LBB102_179:
	s_or_b64 exec, exec, s[4:5]
	s_waitcnt lgkmcnt(0)
	; wave barrier
	s_waitcnt lgkmcnt(0)
	buffer_load_dword v94, off, s[0:3], 0 offset:256
	buffer_load_dword v95, off, s[0:3], 0 offset:260
	;; [unrolled: 1-line block ×16, first 2 shown]
	v_mov_b32_e32 v80, 0
	ds_read_b128 v[82:85], v80 offset:576
	ds_read_b128 v[86:89], v80 offset:592
	;; [unrolled: 1-line block ×3, first 2 shown]
	ds_read_b64 v[110:111], v80 offset:624
	v_cmp_lt_u32_e32 vcc, 30, v0
	s_waitcnt vmcnt(14) lgkmcnt(3)
	v_fma_f64 v[82:83], v[94:95], v[82:83], 0
	s_waitcnt vmcnt(12)
	v_fmac_f64_e32 v[82:83], v[96:97], v[84:85]
	s_waitcnt vmcnt(10) lgkmcnt(2)
	v_fmac_f64_e32 v[82:83], v[98:99], v[86:87]
	s_waitcnt vmcnt(8)
	v_fmac_f64_e32 v[82:83], v[100:101], v[88:89]
	s_waitcnt vmcnt(6) lgkmcnt(1)
	v_fmac_f64_e32 v[82:83], v[102:103], v[90:91]
	;; [unrolled: 4-line block ×3, first 2 shown]
	s_waitcnt vmcnt(0)
	v_add_f64 v[82:83], v[108:109], -v[82:83]
	buffer_store_dword v82, off, s[0:3], 0 offset:248
	buffer_store_dword v83, off, s[0:3], 0 offset:252
	s_and_saveexec_b64 s[4:5], vcc
	s_cbranch_execz .LBB102_181
; %bb.180:
	buffer_load_dword v82, off, s[0:3], 0 offset:240
	buffer_load_dword v83, off, s[0:3], 0 offset:244
	s_waitcnt vmcnt(0)
	ds_write_b64 v1, v[82:83]
	buffer_store_dword v80, off, s[0:3], 0 offset:240
	buffer_store_dword v80, off, s[0:3], 0 offset:244
.LBB102_181:
	s_or_b64 exec, exec, s[4:5]
	s_waitcnt lgkmcnt(0)
	; wave barrier
	s_waitcnt lgkmcnt(0)
	buffer_load_dword v98, off, s[0:3], 0 offset:248
	buffer_load_dword v99, off, s[0:3], 0 offset:252
	;; [unrolled: 1-line block ×18, first 2 shown]
	ds_read2_b64 v[82:85], v80 offset0:71 offset1:72
	ds_read2_b64 v[86:89], v80 offset0:73 offset1:74
	;; [unrolled: 1-line block ×4, first 2 shown]
	v_cmp_lt_u32_e32 vcc, 29, v0
	s_waitcnt vmcnt(16) lgkmcnt(3)
	v_fma_f64 v[80:81], v[98:99], v[82:83], 0
	s_waitcnt vmcnt(14)
	v_fmac_f64_e32 v[80:81], v[100:101], v[84:85]
	s_waitcnt vmcnt(12) lgkmcnt(2)
	v_fmac_f64_e32 v[80:81], v[102:103], v[86:87]
	s_waitcnt vmcnt(10)
	v_fmac_f64_e32 v[80:81], v[104:105], v[88:89]
	s_waitcnt vmcnt(8) lgkmcnt(1)
	v_fmac_f64_e32 v[80:81], v[106:107], v[90:91]
	;; [unrolled: 4-line block ×3, first 2 shown]
	s_waitcnt vmcnt(2)
	v_fmac_f64_e32 v[80:81], v[112:113], v[96:97]
	s_waitcnt vmcnt(0)
	v_add_f64 v[80:81], v[114:115], -v[80:81]
	buffer_store_dword v80, off, s[0:3], 0 offset:240
	buffer_store_dword v81, off, s[0:3], 0 offset:244
	s_and_saveexec_b64 s[4:5], vcc
	s_cbranch_execz .LBB102_183
; %bb.182:
	buffer_load_dword v80, off, s[0:3], 0 offset:232
	buffer_load_dword v81, off, s[0:3], 0 offset:236
	v_mov_b32_e32 v82, 0
	buffer_store_dword v82, off, s[0:3], 0 offset:232
	buffer_store_dword v82, off, s[0:3], 0 offset:236
	s_waitcnt vmcnt(2)
	ds_write_b64 v1, v[80:81]
.LBB102_183:
	s_or_b64 exec, exec, s[4:5]
	s_waitcnt lgkmcnt(0)
	; wave barrier
	s_waitcnt lgkmcnt(0)
	buffer_load_dword v98, off, s[0:3], 0 offset:240
	buffer_load_dword v99, off, s[0:3], 0 offset:244
	;; [unrolled: 1-line block ×20, first 2 shown]
	v_mov_b32_e32 v80, 0
	ds_read_b128 v[82:85], v80 offset:560
	ds_read_b128 v[86:89], v80 offset:576
	;; [unrolled: 1-line block ×4, first 2 shown]
	ds_read_b64 v[118:119], v80 offset:624
	v_cmp_lt_u32_e32 vcc, 28, v0
	s_waitcnt vmcnt(18) lgkmcnt(4)
	v_fma_f64 v[82:83], v[98:99], v[82:83], 0
	s_waitcnt vmcnt(16)
	v_fmac_f64_e32 v[82:83], v[100:101], v[84:85]
	s_waitcnt vmcnt(14) lgkmcnt(3)
	v_fmac_f64_e32 v[82:83], v[102:103], v[86:87]
	s_waitcnt vmcnt(12)
	v_fmac_f64_e32 v[82:83], v[104:105], v[88:89]
	s_waitcnt vmcnt(10) lgkmcnt(2)
	v_fmac_f64_e32 v[82:83], v[106:107], v[90:91]
	;; [unrolled: 4-line block ×3, first 2 shown]
	s_waitcnt vmcnt(2)
	v_fmac_f64_e32 v[82:83], v[114:115], v[96:97]
	s_waitcnt lgkmcnt(0)
	v_fmac_f64_e32 v[82:83], v[112:113], v[118:119]
	s_waitcnt vmcnt(0)
	v_add_f64 v[82:83], v[116:117], -v[82:83]
	buffer_store_dword v82, off, s[0:3], 0 offset:232
	buffer_store_dword v83, off, s[0:3], 0 offset:236
	s_and_saveexec_b64 s[4:5], vcc
	s_cbranch_execz .LBB102_185
; %bb.184:
	buffer_load_dword v82, off, s[0:3], 0 offset:224
	buffer_load_dword v83, off, s[0:3], 0 offset:228
	s_waitcnt vmcnt(0)
	ds_write_b64 v1, v[82:83]
	buffer_store_dword v80, off, s[0:3], 0 offset:224
	buffer_store_dword v80, off, s[0:3], 0 offset:228
.LBB102_185:
	s_or_b64 exec, exec, s[4:5]
	s_waitcnt lgkmcnt(0)
	; wave barrier
	s_waitcnt lgkmcnt(0)
	buffer_load_dword v102, off, s[0:3], 0 offset:232
	buffer_load_dword v103, off, s[0:3], 0 offset:236
	;; [unrolled: 1-line block ×22, first 2 shown]
	ds_read2_b64 v[82:85], v80 offset0:69 offset1:70
	ds_read2_b64 v[86:89], v80 offset0:71 offset1:72
	;; [unrolled: 1-line block ×5, first 2 shown]
	v_cmp_lt_u32_e32 vcc, 27, v0
	s_waitcnt vmcnt(20) lgkmcnt(4)
	v_fma_f64 v[80:81], v[102:103], v[82:83], 0
	s_waitcnt vmcnt(18)
	v_fmac_f64_e32 v[80:81], v[104:105], v[84:85]
	s_waitcnt vmcnt(16) lgkmcnt(3)
	v_fmac_f64_e32 v[80:81], v[106:107], v[86:87]
	s_waitcnt vmcnt(14)
	v_fmac_f64_e32 v[80:81], v[108:109], v[88:89]
	s_waitcnt vmcnt(12) lgkmcnt(2)
	v_fmac_f64_e32 v[80:81], v[110:111], v[90:91]
	;; [unrolled: 4-line block ×3, first 2 shown]
	s_waitcnt vmcnt(3)
	v_fmac_f64_e32 v[80:81], v[120:121], v[96:97]
	s_waitcnt lgkmcnt(0)
	v_fmac_f64_e32 v[80:81], v[118:119], v[98:99]
	s_waitcnt vmcnt(2)
	v_fmac_f64_e32 v[80:81], v[116:117], v[100:101]
	s_waitcnt vmcnt(0)
	v_add_f64 v[80:81], v[122:123], -v[80:81]
	buffer_store_dword v80, off, s[0:3], 0 offset:224
	buffer_store_dword v81, off, s[0:3], 0 offset:228
	s_and_saveexec_b64 s[4:5], vcc
	s_cbranch_execz .LBB102_187
; %bb.186:
	buffer_load_dword v80, off, s[0:3], 0 offset:216
	buffer_load_dword v81, off, s[0:3], 0 offset:220
	v_mov_b32_e32 v82, 0
	buffer_store_dword v82, off, s[0:3], 0 offset:216
	buffer_store_dword v82, off, s[0:3], 0 offset:220
	s_waitcnt vmcnt(2)
	ds_write_b64 v1, v[80:81]
.LBB102_187:
	s_or_b64 exec, exec, s[4:5]
	s_waitcnt lgkmcnt(0)
	; wave barrier
	s_waitcnt lgkmcnt(0)
	buffer_load_dword v98, off, s[0:3], 0 offset:216
	buffer_load_dword v99, off, s[0:3], 0 offset:220
	;; [unrolled: 1-line block ×16, first 2 shown]
	v_mov_b32_e32 v80, 0
	ds_read_b128 v[82:85], v80 offset:544
	ds_read_b128 v[86:89], v80 offset:560
	ds_read_b128 v[90:93], v80 offset:576
	ds_read_b128 v[94:97], v80 offset:592
	v_cmp_lt_u32_e32 vcc, 26, v0
	s_waitcnt vmcnt(12) lgkmcnt(3)
	v_fma_f64 v[100:101], v[100:101], v[82:83], 0
	buffer_load_dword v83, off, s[0:3], 0 offset:284
	buffer_load_dword v82, off, s[0:3], 0 offset:280
	s_waitcnt vmcnt(12)
	v_fmac_f64_e32 v[100:101], v[102:103], v[84:85]
	s_waitcnt vmcnt(10) lgkmcnt(2)
	v_fmac_f64_e32 v[100:101], v[104:105], v[86:87]
	buffer_load_dword v87, off, s[0:3], 0 offset:292
	buffer_load_dword v86, off, s[0:3], 0 offset:288
	s_waitcnt vmcnt(10)
	v_fmac_f64_e32 v[100:101], v[106:107], v[88:89]
	s_waitcnt vmcnt(8) lgkmcnt(1)
	v_fmac_f64_e32 v[100:101], v[108:109], v[90:91]
	s_waitcnt vmcnt(6)
	v_fmac_f64_e32 v[100:101], v[110:111], v[92:93]
	s_waitcnt vmcnt(4) lgkmcnt(0)
	v_fmac_f64_e32 v[100:101], v[112:113], v[94:95]
	s_waitcnt vmcnt(2)
	v_fmac_f64_e32 v[100:101], v[82:83], v[96:97]
	ds_read_b128 v[82:85], v80 offset:608
	s_waitcnt vmcnt(0) lgkmcnt(0)
	v_fmac_f64_e32 v[100:101], v[86:87], v[82:83]
	buffer_load_dword v83, off, s[0:3], 0 offset:300
	buffer_load_dword v82, off, s[0:3], 0 offset:296
	s_waitcnt vmcnt(0)
	v_fmac_f64_e32 v[100:101], v[82:83], v[84:85]
	buffer_load_dword v83, off, s[0:3], 0 offset:308
	buffer_load_dword v82, off, s[0:3], 0 offset:304
	ds_read_b64 v[84:85], v80 offset:624
	s_waitcnt vmcnt(0) lgkmcnt(0)
	v_fmac_f64_e32 v[100:101], v[82:83], v[84:85]
	v_add_f64 v[82:83], v[98:99], -v[100:101]
	buffer_store_dword v83, off, s[0:3], 0 offset:220
	buffer_store_dword v82, off, s[0:3], 0 offset:216
	s_and_saveexec_b64 s[4:5], vcc
	s_cbranch_execz .LBB102_189
; %bb.188:
	buffer_load_dword v82, off, s[0:3], 0 offset:208
	buffer_load_dword v83, off, s[0:3], 0 offset:212
	s_waitcnt vmcnt(0)
	ds_write_b64 v1, v[82:83]
	buffer_store_dword v80, off, s[0:3], 0 offset:208
	buffer_store_dword v80, off, s[0:3], 0 offset:212
.LBB102_189:
	s_or_b64 exec, exec, s[4:5]
	s_waitcnt lgkmcnt(0)
	; wave barrier
	s_waitcnt lgkmcnt(0)
	buffer_load_dword v86, off, s[0:3], 0 offset:208
	buffer_load_dword v87, off, s[0:3], 0 offset:212
	;; [unrolled: 1-line block ×16, first 2 shown]
	ds_read2_b64 v[82:85], v80 offset0:67 offset1:68
	v_cmp_lt_u32_e32 vcc, 25, v0
	s_waitcnt vmcnt(12) lgkmcnt(0)
	v_fma_f64 v[88:89], v[88:89], v[82:83], 0
	s_waitcnt vmcnt(10)
	v_fmac_f64_e32 v[88:89], v[90:91], v[84:85]
	ds_read2_b64 v[82:85], v80 offset0:69 offset1:70
	s_waitcnt vmcnt(8) lgkmcnt(0)
	v_fmac_f64_e32 v[88:89], v[92:93], v[82:83]
	s_waitcnt vmcnt(6)
	v_fmac_f64_e32 v[88:89], v[94:95], v[84:85]
	ds_read2_b64 v[82:85], v80 offset0:71 offset1:72
	s_waitcnt vmcnt(4) lgkmcnt(0)
	v_fmac_f64_e32 v[88:89], v[96:97], v[82:83]
	;; [unrolled: 5-line block ×3, first 2 shown]
	buffer_load_dword v83, off, s[0:3], 0 offset:276
	buffer_load_dword v82, off, s[0:3], 0 offset:272
	;; [unrolled: 1-line block ×4, first 2 shown]
	s_waitcnt vmcnt(2)
	v_fmac_f64_e32 v[88:89], v[82:83], v[84:85]
	ds_read2_b64 v[82:85], v80 offset0:75 offset1:76
	s_waitcnt vmcnt(0) lgkmcnt(0)
	v_fmac_f64_e32 v[88:89], v[90:91], v[82:83]
	buffer_load_dword v83, off, s[0:3], 0 offset:292
	buffer_load_dword v82, off, s[0:3], 0 offset:288
	s_waitcnt vmcnt(0)
	v_fmac_f64_e32 v[88:89], v[82:83], v[84:85]
	buffer_load_dword v85, off, s[0:3], 0 offset:300
	buffer_load_dword v84, off, s[0:3], 0 offset:296
	ds_read2_b64 v[80:83], v80 offset0:77 offset1:78
	s_waitcnt vmcnt(0) lgkmcnt(0)
	v_fmac_f64_e32 v[88:89], v[84:85], v[80:81]
	buffer_load_dword v81, off, s[0:3], 0 offset:308
	buffer_load_dword v80, off, s[0:3], 0 offset:304
	s_waitcnt vmcnt(0)
	v_fmac_f64_e32 v[88:89], v[80:81], v[82:83]
	v_add_f64 v[80:81], v[86:87], -v[88:89]
	buffer_store_dword v81, off, s[0:3], 0 offset:212
	buffer_store_dword v80, off, s[0:3], 0 offset:208
	s_and_saveexec_b64 s[4:5], vcc
	s_cbranch_execz .LBB102_191
; %bb.190:
	buffer_load_dword v80, off, s[0:3], 0 offset:200
	buffer_load_dword v81, off, s[0:3], 0 offset:204
	v_mov_b32_e32 v82, 0
	buffer_store_dword v82, off, s[0:3], 0 offset:200
	buffer_store_dword v82, off, s[0:3], 0 offset:204
	s_waitcnt vmcnt(2)
	ds_write_b64 v1, v[80:81]
.LBB102_191:
	s_or_b64 exec, exec, s[4:5]
	s_waitcnt lgkmcnt(0)
	; wave barrier
	s_waitcnt lgkmcnt(0)
	buffer_load_dword v98, off, s[0:3], 0 offset:200
	buffer_load_dword v99, off, s[0:3], 0 offset:204
	;; [unrolled: 1-line block ×16, first 2 shown]
	v_mov_b32_e32 v80, 0
	ds_read_b128 v[82:85], v80 offset:528
	ds_read_b128 v[86:89], v80 offset:544
	ds_read_b128 v[90:93], v80 offset:560
	ds_read_b128 v[94:97], v80 offset:576
	v_cmp_lt_u32_e32 vcc, 24, v0
	s_waitcnt vmcnt(12) lgkmcnt(3)
	v_fma_f64 v[100:101], v[100:101], v[82:83], 0
	buffer_load_dword v83, off, s[0:3], 0 offset:268
	buffer_load_dword v82, off, s[0:3], 0 offset:264
	s_waitcnt vmcnt(12)
	v_fmac_f64_e32 v[100:101], v[102:103], v[84:85]
	s_waitcnt vmcnt(10) lgkmcnt(2)
	v_fmac_f64_e32 v[100:101], v[104:105], v[86:87]
	buffer_load_dword v87, off, s[0:3], 0 offset:276
	buffer_load_dword v86, off, s[0:3], 0 offset:272
	s_waitcnt vmcnt(10)
	v_fmac_f64_e32 v[100:101], v[106:107], v[88:89]
	s_waitcnt vmcnt(8) lgkmcnt(1)
	v_fmac_f64_e32 v[100:101], v[108:109], v[90:91]
	s_waitcnt vmcnt(6)
	v_fmac_f64_e32 v[100:101], v[110:111], v[92:93]
	s_waitcnt vmcnt(4) lgkmcnt(0)
	v_fmac_f64_e32 v[100:101], v[112:113], v[94:95]
	s_waitcnt vmcnt(2)
	v_fmac_f64_e32 v[100:101], v[82:83], v[96:97]
	ds_read_b128 v[82:85], v80 offset:592
	s_waitcnt vmcnt(0) lgkmcnt(0)
	v_fmac_f64_e32 v[100:101], v[86:87], v[82:83]
	buffer_load_dword v83, off, s[0:3], 0 offset:284
	buffer_load_dword v82, off, s[0:3], 0 offset:280
	;; [unrolled: 1-line block ×4, first 2 shown]
	s_waitcnt vmcnt(2)
	v_fmac_f64_e32 v[100:101], v[82:83], v[84:85]
	ds_read_b128 v[82:85], v80 offset:608
	s_waitcnt vmcnt(0) lgkmcnt(0)
	v_fmac_f64_e32 v[100:101], v[86:87], v[82:83]
	buffer_load_dword v83, off, s[0:3], 0 offset:300
	buffer_load_dword v82, off, s[0:3], 0 offset:296
	s_waitcnt vmcnt(0)
	v_fmac_f64_e32 v[100:101], v[82:83], v[84:85]
	buffer_load_dword v83, off, s[0:3], 0 offset:308
	buffer_load_dword v82, off, s[0:3], 0 offset:304
	ds_read_b64 v[84:85], v80 offset:624
	s_waitcnt vmcnt(0) lgkmcnt(0)
	v_fmac_f64_e32 v[100:101], v[82:83], v[84:85]
	v_add_f64 v[82:83], v[98:99], -v[100:101]
	buffer_store_dword v83, off, s[0:3], 0 offset:204
	buffer_store_dword v82, off, s[0:3], 0 offset:200
	s_and_saveexec_b64 s[4:5], vcc
	s_cbranch_execz .LBB102_193
; %bb.192:
	buffer_load_dword v82, off, s[0:3], 0 offset:192
	buffer_load_dword v83, off, s[0:3], 0 offset:196
	s_waitcnt vmcnt(0)
	ds_write_b64 v1, v[82:83]
	buffer_store_dword v80, off, s[0:3], 0 offset:192
	buffer_store_dword v80, off, s[0:3], 0 offset:196
.LBB102_193:
	s_or_b64 exec, exec, s[4:5]
	s_waitcnt lgkmcnt(0)
	; wave barrier
	s_waitcnt lgkmcnt(0)
	buffer_load_dword v86, off, s[0:3], 0 offset:192
	buffer_load_dword v87, off, s[0:3], 0 offset:196
	;; [unrolled: 1-line block ×16, first 2 shown]
	ds_read2_b64 v[82:85], v80 offset0:65 offset1:66
	v_cmp_lt_u32_e32 vcc, 23, v0
	s_waitcnt vmcnt(12) lgkmcnt(0)
	v_fma_f64 v[88:89], v[88:89], v[82:83], 0
	s_waitcnt vmcnt(10)
	v_fmac_f64_e32 v[88:89], v[90:91], v[84:85]
	ds_read2_b64 v[82:85], v80 offset0:67 offset1:68
	s_waitcnt vmcnt(8) lgkmcnt(0)
	v_fmac_f64_e32 v[88:89], v[92:93], v[82:83]
	s_waitcnt vmcnt(6)
	v_fmac_f64_e32 v[88:89], v[94:95], v[84:85]
	ds_read2_b64 v[82:85], v80 offset0:69 offset1:70
	s_waitcnt vmcnt(4) lgkmcnt(0)
	v_fmac_f64_e32 v[88:89], v[96:97], v[82:83]
	;; [unrolled: 5-line block ×3, first 2 shown]
	buffer_load_dword v83, off, s[0:3], 0 offset:260
	buffer_load_dword v82, off, s[0:3], 0 offset:256
	;; [unrolled: 1-line block ×4, first 2 shown]
	s_waitcnt vmcnt(2)
	v_fmac_f64_e32 v[88:89], v[82:83], v[84:85]
	ds_read2_b64 v[82:85], v80 offset0:73 offset1:74
	s_waitcnt vmcnt(0) lgkmcnt(0)
	v_fmac_f64_e32 v[88:89], v[90:91], v[82:83]
	buffer_load_dword v83, off, s[0:3], 0 offset:276
	buffer_load_dword v82, off, s[0:3], 0 offset:272
	;; [unrolled: 1-line block ×4, first 2 shown]
	s_waitcnt vmcnt(2)
	v_fmac_f64_e32 v[88:89], v[82:83], v[84:85]
	ds_read2_b64 v[82:85], v80 offset0:75 offset1:76
	s_waitcnt vmcnt(0) lgkmcnt(0)
	v_fmac_f64_e32 v[88:89], v[90:91], v[82:83]
	buffer_load_dword v83, off, s[0:3], 0 offset:292
	buffer_load_dword v82, off, s[0:3], 0 offset:288
	s_waitcnt vmcnt(0)
	v_fmac_f64_e32 v[88:89], v[82:83], v[84:85]
	buffer_load_dword v85, off, s[0:3], 0 offset:300
	buffer_load_dword v84, off, s[0:3], 0 offset:296
	ds_read2_b64 v[80:83], v80 offset0:77 offset1:78
	s_waitcnt vmcnt(0) lgkmcnt(0)
	v_fmac_f64_e32 v[88:89], v[84:85], v[80:81]
	buffer_load_dword v81, off, s[0:3], 0 offset:308
	buffer_load_dword v80, off, s[0:3], 0 offset:304
	s_waitcnt vmcnt(0)
	v_fmac_f64_e32 v[88:89], v[80:81], v[82:83]
	v_add_f64 v[80:81], v[86:87], -v[88:89]
	buffer_store_dword v81, off, s[0:3], 0 offset:196
	buffer_store_dword v80, off, s[0:3], 0 offset:192
	s_and_saveexec_b64 s[4:5], vcc
	s_cbranch_execz .LBB102_195
; %bb.194:
	buffer_load_dword v80, off, s[0:3], 0 offset:184
	buffer_load_dword v81, off, s[0:3], 0 offset:188
	v_mov_b32_e32 v82, 0
	buffer_store_dword v82, off, s[0:3], 0 offset:184
	buffer_store_dword v82, off, s[0:3], 0 offset:188
	s_waitcnt vmcnt(2)
	ds_write_b64 v1, v[80:81]
.LBB102_195:
	s_or_b64 exec, exec, s[4:5]
	s_waitcnt lgkmcnt(0)
	; wave barrier
	s_waitcnt lgkmcnt(0)
	buffer_load_dword v98, off, s[0:3], 0 offset:184
	buffer_load_dword v99, off, s[0:3], 0 offset:188
	;; [unrolled: 1-line block ×16, first 2 shown]
	v_mov_b32_e32 v80, 0
	ds_read_b128 v[82:85], v80 offset:512
	ds_read_b128 v[86:89], v80 offset:528
	;; [unrolled: 1-line block ×4, first 2 shown]
	v_cmp_lt_u32_e32 vcc, 22, v0
	s_waitcnt vmcnt(12) lgkmcnt(3)
	v_fma_f64 v[100:101], v[100:101], v[82:83], 0
	buffer_load_dword v83, off, s[0:3], 0 offset:252
	buffer_load_dword v82, off, s[0:3], 0 offset:248
	s_waitcnt vmcnt(12)
	v_fmac_f64_e32 v[100:101], v[102:103], v[84:85]
	s_waitcnt vmcnt(10) lgkmcnt(2)
	v_fmac_f64_e32 v[100:101], v[104:105], v[86:87]
	buffer_load_dword v87, off, s[0:3], 0 offset:260
	buffer_load_dword v86, off, s[0:3], 0 offset:256
	s_waitcnt vmcnt(10)
	v_fmac_f64_e32 v[100:101], v[106:107], v[88:89]
	s_waitcnt vmcnt(8) lgkmcnt(1)
	v_fmac_f64_e32 v[100:101], v[108:109], v[90:91]
	s_waitcnt vmcnt(6)
	v_fmac_f64_e32 v[100:101], v[110:111], v[92:93]
	s_waitcnt vmcnt(4) lgkmcnt(0)
	v_fmac_f64_e32 v[100:101], v[112:113], v[94:95]
	s_waitcnt vmcnt(2)
	v_fmac_f64_e32 v[100:101], v[82:83], v[96:97]
	ds_read_b128 v[82:85], v80 offset:576
	s_waitcnt vmcnt(0) lgkmcnt(0)
	v_fmac_f64_e32 v[100:101], v[86:87], v[82:83]
	buffer_load_dword v83, off, s[0:3], 0 offset:268
	buffer_load_dword v82, off, s[0:3], 0 offset:264
	;; [unrolled: 1-line block ×4, first 2 shown]
	s_waitcnt vmcnt(2)
	v_fmac_f64_e32 v[100:101], v[82:83], v[84:85]
	ds_read_b128 v[82:85], v80 offset:592
	s_waitcnt vmcnt(0) lgkmcnt(0)
	v_fmac_f64_e32 v[100:101], v[86:87], v[82:83]
	buffer_load_dword v83, off, s[0:3], 0 offset:284
	buffer_load_dword v82, off, s[0:3], 0 offset:280
	;; [unrolled: 1-line block ×4, first 2 shown]
	s_waitcnt vmcnt(2)
	v_fmac_f64_e32 v[100:101], v[82:83], v[84:85]
	ds_read_b128 v[82:85], v80 offset:608
	s_waitcnt vmcnt(0) lgkmcnt(0)
	v_fmac_f64_e32 v[100:101], v[86:87], v[82:83]
	buffer_load_dword v83, off, s[0:3], 0 offset:300
	buffer_load_dword v82, off, s[0:3], 0 offset:296
	s_waitcnt vmcnt(0)
	v_fmac_f64_e32 v[100:101], v[82:83], v[84:85]
	buffer_load_dword v83, off, s[0:3], 0 offset:308
	buffer_load_dword v82, off, s[0:3], 0 offset:304
	ds_read_b64 v[84:85], v80 offset:624
	s_waitcnt vmcnt(0) lgkmcnt(0)
	v_fmac_f64_e32 v[100:101], v[82:83], v[84:85]
	v_add_f64 v[82:83], v[98:99], -v[100:101]
	buffer_store_dword v83, off, s[0:3], 0 offset:188
	buffer_store_dword v82, off, s[0:3], 0 offset:184
	s_and_saveexec_b64 s[4:5], vcc
	s_cbranch_execz .LBB102_197
; %bb.196:
	buffer_load_dword v82, off, s[0:3], 0 offset:176
	buffer_load_dword v83, off, s[0:3], 0 offset:180
	s_waitcnt vmcnt(0)
	ds_write_b64 v1, v[82:83]
	buffer_store_dword v80, off, s[0:3], 0 offset:176
	buffer_store_dword v80, off, s[0:3], 0 offset:180
.LBB102_197:
	s_or_b64 exec, exec, s[4:5]
	s_waitcnt lgkmcnt(0)
	; wave barrier
	s_waitcnt lgkmcnt(0)
	buffer_load_dword v86, off, s[0:3], 0 offset:176
	buffer_load_dword v87, off, s[0:3], 0 offset:180
	;; [unrolled: 1-line block ×16, first 2 shown]
	ds_read2_b64 v[82:85], v80 offset0:63 offset1:64
	v_cmp_lt_u32_e32 vcc, 21, v0
	s_waitcnt vmcnt(12) lgkmcnt(0)
	v_fma_f64 v[88:89], v[88:89], v[82:83], 0
	s_waitcnt vmcnt(10)
	v_fmac_f64_e32 v[88:89], v[90:91], v[84:85]
	ds_read2_b64 v[82:85], v80 offset0:65 offset1:66
	s_waitcnt vmcnt(8) lgkmcnt(0)
	v_fmac_f64_e32 v[88:89], v[92:93], v[82:83]
	s_waitcnt vmcnt(6)
	v_fmac_f64_e32 v[88:89], v[94:95], v[84:85]
	ds_read2_b64 v[82:85], v80 offset0:67 offset1:68
	s_waitcnt vmcnt(4) lgkmcnt(0)
	v_fmac_f64_e32 v[88:89], v[96:97], v[82:83]
	s_waitcnt vmcnt(2)
	v_fmac_f64_e32 v[88:89], v[98:99], v[84:85]
	ds_read2_b64 v[82:85], v80 offset0:69 offset1:70
	s_waitcnt vmcnt(0) lgkmcnt(0)
	v_fmac_f64_e32 v[88:89], v[100:101], v[82:83]
	buffer_load_dword v83, off, s[0:3], 0 offset:244
	buffer_load_dword v82, off, s[0:3], 0 offset:240
	buffer_load_dword v91, off, s[0:3], 0 offset:252
	buffer_load_dword v90, off, s[0:3], 0 offset:248
	s_waitcnt vmcnt(2)
	v_fmac_f64_e32 v[88:89], v[82:83], v[84:85]
	ds_read2_b64 v[82:85], v80 offset0:71 offset1:72
	s_waitcnt vmcnt(0) lgkmcnt(0)
	v_fmac_f64_e32 v[88:89], v[90:91], v[82:83]
	buffer_load_dword v83, off, s[0:3], 0 offset:260
	buffer_load_dword v82, off, s[0:3], 0 offset:256
	buffer_load_dword v91, off, s[0:3], 0 offset:268
	buffer_load_dword v90, off, s[0:3], 0 offset:264
	s_waitcnt vmcnt(2)
	v_fmac_f64_e32 v[88:89], v[82:83], v[84:85]
	ds_read2_b64 v[82:85], v80 offset0:73 offset1:74
	s_waitcnt vmcnt(0) lgkmcnt(0)
	v_fmac_f64_e32 v[88:89], v[90:91], v[82:83]
	;; [unrolled: 9-line block ×3, first 2 shown]
	buffer_load_dword v83, off, s[0:3], 0 offset:292
	buffer_load_dword v82, off, s[0:3], 0 offset:288
	s_waitcnt vmcnt(0)
	v_fmac_f64_e32 v[88:89], v[82:83], v[84:85]
	buffer_load_dword v85, off, s[0:3], 0 offset:300
	buffer_load_dword v84, off, s[0:3], 0 offset:296
	ds_read2_b64 v[80:83], v80 offset0:77 offset1:78
	s_waitcnt vmcnt(0) lgkmcnt(0)
	v_fmac_f64_e32 v[88:89], v[84:85], v[80:81]
	buffer_load_dword v81, off, s[0:3], 0 offset:308
	buffer_load_dword v80, off, s[0:3], 0 offset:304
	s_waitcnt vmcnt(0)
	v_fmac_f64_e32 v[88:89], v[80:81], v[82:83]
	v_add_f64 v[80:81], v[86:87], -v[88:89]
	buffer_store_dword v81, off, s[0:3], 0 offset:180
	buffer_store_dword v80, off, s[0:3], 0 offset:176
	s_and_saveexec_b64 s[4:5], vcc
	s_cbranch_execz .LBB102_199
; %bb.198:
	buffer_load_dword v80, off, s[0:3], 0 offset:168
	buffer_load_dword v81, off, s[0:3], 0 offset:172
	v_mov_b32_e32 v82, 0
	buffer_store_dword v82, off, s[0:3], 0 offset:168
	buffer_store_dword v82, off, s[0:3], 0 offset:172
	s_waitcnt vmcnt(2)
	ds_write_b64 v1, v[80:81]
.LBB102_199:
	s_or_b64 exec, exec, s[4:5]
	s_waitcnt lgkmcnt(0)
	; wave barrier
	s_waitcnt lgkmcnt(0)
	buffer_load_dword v80, off, s[0:3], 0 offset:168
	buffer_load_dword v81, off, s[0:3], 0 offset:172
	;; [unrolled: 1-line block ×16, first 2 shown]
	v_mov_b32_e32 v84, 0
	ds_read_b128 v[86:89], v84 offset:496
	ds_read_b128 v[90:93], v84 offset:512
	;; [unrolled: 1-line block ×4, first 2 shown]
	v_cmp_lt_u32_e32 vcc, 20, v0
	s_waitcnt vmcnt(12) lgkmcnt(3)
	v_fma_f64 v[82:83], v[82:83], v[86:87], 0
	buffer_load_dword v87, off, s[0:3], 0 offset:236
	buffer_load_dword v86, off, s[0:3], 0 offset:232
	s_waitcnt vmcnt(12)
	v_fmac_f64_e32 v[82:83], v[102:103], v[88:89]
	s_waitcnt vmcnt(10) lgkmcnt(2)
	v_fmac_f64_e32 v[82:83], v[104:105], v[90:91]
	buffer_load_dword v91, off, s[0:3], 0 offset:244
	buffer_load_dword v90, off, s[0:3], 0 offset:240
	s_waitcnt vmcnt(10)
	v_fmac_f64_e32 v[82:83], v[106:107], v[92:93]
	s_waitcnt vmcnt(8) lgkmcnt(1)
	v_fmac_f64_e32 v[82:83], v[108:109], v[94:95]
	s_waitcnt vmcnt(6)
	v_fmac_f64_e32 v[82:83], v[110:111], v[96:97]
	s_waitcnt vmcnt(4) lgkmcnt(0)
	v_fmac_f64_e32 v[82:83], v[112:113], v[98:99]
	s_waitcnt vmcnt(2)
	v_fmac_f64_e32 v[82:83], v[86:87], v[100:101]
	ds_read_b128 v[86:89], v84 offset:560
	s_waitcnt vmcnt(0) lgkmcnt(0)
	v_fmac_f64_e32 v[82:83], v[90:91], v[86:87]
	buffer_load_dword v87, off, s[0:3], 0 offset:252
	buffer_load_dword v86, off, s[0:3], 0 offset:248
	buffer_load_dword v91, off, s[0:3], 0 offset:260
	buffer_load_dword v90, off, s[0:3], 0 offset:256
	s_waitcnt vmcnt(2)
	v_fmac_f64_e32 v[82:83], v[86:87], v[88:89]
	ds_read_b128 v[86:89], v84 offset:576
	s_waitcnt vmcnt(0) lgkmcnt(0)
	v_fmac_f64_e32 v[82:83], v[90:91], v[86:87]
	buffer_load_dword v87, off, s[0:3], 0 offset:268
	buffer_load_dword v86, off, s[0:3], 0 offset:264
	buffer_load_dword v91, off, s[0:3], 0 offset:276
	buffer_load_dword v90, off, s[0:3], 0 offset:272
	;; [unrolled: 9-line block ×3, first 2 shown]
	s_waitcnt vmcnt(2)
	v_fmac_f64_e32 v[82:83], v[86:87], v[88:89]
	ds_read_b128 v[86:89], v84 offset:608
	s_waitcnt vmcnt(0) lgkmcnt(0)
	v_fmac_f64_e32 v[82:83], v[90:91], v[86:87]
	buffer_load_dword v87, off, s[0:3], 0 offset:300
	buffer_load_dword v86, off, s[0:3], 0 offset:296
	s_waitcnt vmcnt(0)
	v_fmac_f64_e32 v[82:83], v[86:87], v[88:89]
	buffer_load_dword v87, off, s[0:3], 0 offset:308
	buffer_load_dword v86, off, s[0:3], 0 offset:304
	ds_read_b64 v[88:89], v84 offset:624
	s_waitcnt vmcnt(0) lgkmcnt(0)
	v_fmac_f64_e32 v[82:83], v[86:87], v[88:89]
	v_add_f64 v[80:81], v[80:81], -v[82:83]
	buffer_store_dword v81, off, s[0:3], 0 offset:172
	buffer_store_dword v80, off, s[0:3], 0 offset:168
	s_and_saveexec_b64 s[4:5], vcc
	s_cbranch_execz .LBB102_201
; %bb.200:
	buffer_load_dword v80, off, s[0:3], 0 offset:160
	buffer_load_dword v81, off, s[0:3], 0 offset:164
	s_waitcnt vmcnt(0)
	ds_write_b64 v1, v[80:81]
	buffer_store_dword v84, off, s[0:3], 0 offset:160
	buffer_store_dword v84, off, s[0:3], 0 offset:164
.LBB102_201:
	s_or_b64 exec, exec, s[4:5]
	s_waitcnt lgkmcnt(0)
	; wave barrier
	s_waitcnt lgkmcnt(0)
	buffer_load_dword v80, off, s[0:3], 0 offset:160
	buffer_load_dword v81, off, s[0:3], 0 offset:164
	;; [unrolled: 1-line block ×16, first 2 shown]
	ds_read2_b64 v[86:89], v84 offset0:61 offset1:62
	v_cmp_lt_u32_e32 vcc, 19, v0
	s_waitcnt vmcnt(12) lgkmcnt(0)
	v_fma_f64 v[82:83], v[82:83], v[86:87], 0
	s_waitcnt vmcnt(10)
	v_fmac_f64_e32 v[82:83], v[90:91], v[88:89]
	ds_read2_b64 v[86:89], v84 offset0:63 offset1:64
	s_waitcnt vmcnt(8) lgkmcnt(0)
	v_fmac_f64_e32 v[82:83], v[92:93], v[86:87]
	s_waitcnt vmcnt(6)
	v_fmac_f64_e32 v[82:83], v[94:95], v[88:89]
	ds_read2_b64 v[86:89], v84 offset0:65 offset1:66
	s_waitcnt vmcnt(4) lgkmcnt(0)
	v_fmac_f64_e32 v[82:83], v[96:97], v[86:87]
	;; [unrolled: 5-line block ×3, first 2 shown]
	buffer_load_dword v87, off, s[0:3], 0 offset:228
	buffer_load_dword v86, off, s[0:3], 0 offset:224
	buffer_load_dword v91, off, s[0:3], 0 offset:236
	buffer_load_dword v90, off, s[0:3], 0 offset:232
	s_waitcnt vmcnt(2)
	v_fmac_f64_e32 v[82:83], v[86:87], v[88:89]
	ds_read2_b64 v[86:89], v84 offset0:69 offset1:70
	s_waitcnt vmcnt(0) lgkmcnt(0)
	v_fmac_f64_e32 v[82:83], v[90:91], v[86:87]
	buffer_load_dword v87, off, s[0:3], 0 offset:244
	buffer_load_dword v86, off, s[0:3], 0 offset:240
	buffer_load_dword v91, off, s[0:3], 0 offset:252
	buffer_load_dword v90, off, s[0:3], 0 offset:248
	s_waitcnt vmcnt(2)
	v_fmac_f64_e32 v[82:83], v[86:87], v[88:89]
	ds_read2_b64 v[86:89], v84 offset0:71 offset1:72
	s_waitcnt vmcnt(0) lgkmcnt(0)
	v_fmac_f64_e32 v[82:83], v[90:91], v[86:87]
	;; [unrolled: 9-line block ×4, first 2 shown]
	buffer_load_dword v87, off, s[0:3], 0 offset:292
	buffer_load_dword v86, off, s[0:3], 0 offset:288
	s_waitcnt vmcnt(0)
	v_fmac_f64_e32 v[82:83], v[86:87], v[88:89]
	buffer_load_dword v89, off, s[0:3], 0 offset:300
	buffer_load_dword v88, off, s[0:3], 0 offset:296
	ds_read2_b64 v[84:87], v84 offset0:77 offset1:78
	s_waitcnt vmcnt(0) lgkmcnt(0)
	v_fmac_f64_e32 v[82:83], v[88:89], v[84:85]
	buffer_load_dword v85, off, s[0:3], 0 offset:308
	buffer_load_dword v84, off, s[0:3], 0 offset:304
	s_waitcnt vmcnt(0)
	v_fmac_f64_e32 v[82:83], v[84:85], v[86:87]
	v_add_f64 v[80:81], v[80:81], -v[82:83]
	buffer_store_dword v81, off, s[0:3], 0 offset:164
	buffer_store_dword v80, off, s[0:3], 0 offset:160
	s_and_saveexec_b64 s[4:5], vcc
	s_cbranch_execz .LBB102_203
; %bb.202:
	buffer_load_dword v80, off, s[0:3], 0 offset:152
	buffer_load_dword v81, off, s[0:3], 0 offset:156
	v_mov_b32_e32 v82, 0
	buffer_store_dword v82, off, s[0:3], 0 offset:152
	buffer_store_dword v82, off, s[0:3], 0 offset:156
	s_waitcnt vmcnt(2)
	ds_write_b64 v1, v[80:81]
.LBB102_203:
	s_or_b64 exec, exec, s[4:5]
	s_waitcnt lgkmcnt(0)
	; wave barrier
	s_waitcnt lgkmcnt(0)
	buffer_load_dword v80, off, s[0:3], 0 offset:152
	buffer_load_dword v81, off, s[0:3], 0 offset:156
	buffer_load_dword v82, off, s[0:3], 0 offset:160
	buffer_load_dword v83, off, s[0:3], 0 offset:164
	buffer_load_dword v102, off, s[0:3], 0 offset:168
	buffer_load_dword v103, off, s[0:3], 0 offset:172
	buffer_load_dword v104, off, s[0:3], 0 offset:176
	buffer_load_dword v105, off, s[0:3], 0 offset:180
	buffer_load_dword v106, off, s[0:3], 0 offset:184
	buffer_load_dword v107, off, s[0:3], 0 offset:188
	buffer_load_dword v108, off, s[0:3], 0 offset:192
	buffer_load_dword v109, off, s[0:3], 0 offset:196
	buffer_load_dword v110, off, s[0:3], 0 offset:200
	buffer_load_dword v111, off, s[0:3], 0 offset:204
	buffer_load_dword v112, off, s[0:3], 0 offset:208
	buffer_load_dword v113, off, s[0:3], 0 offset:212
	v_mov_b32_e32 v84, 0
	ds_read_b128 v[86:89], v84 offset:480
	ds_read_b128 v[90:93], v84 offset:496
	ds_read_b128 v[94:97], v84 offset:512
	ds_read_b128 v[98:101], v84 offset:528
	v_cmp_lt_u32_e32 vcc, 18, v0
	s_waitcnt vmcnt(12) lgkmcnt(3)
	v_fma_f64 v[82:83], v[82:83], v[86:87], 0
	buffer_load_dword v87, off, s[0:3], 0 offset:220
	buffer_load_dword v86, off, s[0:3], 0 offset:216
	s_waitcnt vmcnt(12)
	v_fmac_f64_e32 v[82:83], v[102:103], v[88:89]
	s_waitcnt vmcnt(10) lgkmcnt(2)
	v_fmac_f64_e32 v[82:83], v[104:105], v[90:91]
	buffer_load_dword v91, off, s[0:3], 0 offset:228
	buffer_load_dword v90, off, s[0:3], 0 offset:224
	s_waitcnt vmcnt(10)
	v_fmac_f64_e32 v[82:83], v[106:107], v[92:93]
	s_waitcnt vmcnt(8) lgkmcnt(1)
	v_fmac_f64_e32 v[82:83], v[108:109], v[94:95]
	s_waitcnt vmcnt(6)
	v_fmac_f64_e32 v[82:83], v[110:111], v[96:97]
	s_waitcnt vmcnt(4) lgkmcnt(0)
	v_fmac_f64_e32 v[82:83], v[112:113], v[98:99]
	s_waitcnt vmcnt(2)
	v_fmac_f64_e32 v[82:83], v[86:87], v[100:101]
	ds_read_b128 v[86:89], v84 offset:544
	s_waitcnt vmcnt(0) lgkmcnt(0)
	v_fmac_f64_e32 v[82:83], v[90:91], v[86:87]
	buffer_load_dword v87, off, s[0:3], 0 offset:236
	buffer_load_dword v86, off, s[0:3], 0 offset:232
	buffer_load_dword v91, off, s[0:3], 0 offset:244
	buffer_load_dword v90, off, s[0:3], 0 offset:240
	s_waitcnt vmcnt(2)
	v_fmac_f64_e32 v[82:83], v[86:87], v[88:89]
	ds_read_b128 v[86:89], v84 offset:560
	s_waitcnt vmcnt(0) lgkmcnt(0)
	v_fmac_f64_e32 v[82:83], v[90:91], v[86:87]
	buffer_load_dword v87, off, s[0:3], 0 offset:252
	buffer_load_dword v86, off, s[0:3], 0 offset:248
	buffer_load_dword v91, off, s[0:3], 0 offset:260
	buffer_load_dword v90, off, s[0:3], 0 offset:256
	;; [unrolled: 9-line block ×4, first 2 shown]
	s_waitcnt vmcnt(2)
	v_fmac_f64_e32 v[82:83], v[86:87], v[88:89]
	ds_read_b128 v[86:89], v84 offset:608
	s_waitcnt vmcnt(0) lgkmcnt(0)
	v_fmac_f64_e32 v[82:83], v[90:91], v[86:87]
	buffer_load_dword v87, off, s[0:3], 0 offset:300
	buffer_load_dword v86, off, s[0:3], 0 offset:296
	s_waitcnt vmcnt(0)
	v_fmac_f64_e32 v[82:83], v[86:87], v[88:89]
	buffer_load_dword v87, off, s[0:3], 0 offset:308
	buffer_load_dword v86, off, s[0:3], 0 offset:304
	ds_read_b64 v[88:89], v84 offset:624
	s_waitcnt vmcnt(0) lgkmcnt(0)
	v_fmac_f64_e32 v[82:83], v[86:87], v[88:89]
	v_add_f64 v[80:81], v[80:81], -v[82:83]
	buffer_store_dword v81, off, s[0:3], 0 offset:156
	buffer_store_dword v80, off, s[0:3], 0 offset:152
	s_and_saveexec_b64 s[4:5], vcc
	s_cbranch_execz .LBB102_205
; %bb.204:
	buffer_load_dword v80, off, s[0:3], 0 offset:144
	buffer_load_dword v81, off, s[0:3], 0 offset:148
	s_waitcnt vmcnt(0)
	ds_write_b64 v1, v[80:81]
	buffer_store_dword v84, off, s[0:3], 0 offset:144
	buffer_store_dword v84, off, s[0:3], 0 offset:148
.LBB102_205:
	s_or_b64 exec, exec, s[4:5]
	s_waitcnt lgkmcnt(0)
	; wave barrier
	s_waitcnt lgkmcnt(0)
	buffer_load_dword v80, off, s[0:3], 0 offset:144
	buffer_load_dword v81, off, s[0:3], 0 offset:148
	;; [unrolled: 1-line block ×16, first 2 shown]
	ds_read2_b64 v[86:89], v84 offset0:59 offset1:60
	v_cmp_lt_u32_e32 vcc, 17, v0
	s_waitcnt vmcnt(12) lgkmcnt(0)
	v_fma_f64 v[82:83], v[82:83], v[86:87], 0
	s_waitcnt vmcnt(10)
	v_fmac_f64_e32 v[82:83], v[90:91], v[88:89]
	ds_read2_b64 v[86:89], v84 offset0:61 offset1:62
	s_waitcnt vmcnt(8) lgkmcnt(0)
	v_fmac_f64_e32 v[82:83], v[92:93], v[86:87]
	s_waitcnt vmcnt(6)
	v_fmac_f64_e32 v[82:83], v[94:95], v[88:89]
	ds_read2_b64 v[86:89], v84 offset0:63 offset1:64
	s_waitcnt vmcnt(4) lgkmcnt(0)
	v_fmac_f64_e32 v[82:83], v[96:97], v[86:87]
	;; [unrolled: 5-line block ×3, first 2 shown]
	buffer_load_dword v87, off, s[0:3], 0 offset:212
	buffer_load_dword v86, off, s[0:3], 0 offset:208
	buffer_load_dword v91, off, s[0:3], 0 offset:220
	buffer_load_dword v90, off, s[0:3], 0 offset:216
	s_waitcnt vmcnt(2)
	v_fmac_f64_e32 v[82:83], v[86:87], v[88:89]
	ds_read2_b64 v[86:89], v84 offset0:67 offset1:68
	s_waitcnt vmcnt(0) lgkmcnt(0)
	v_fmac_f64_e32 v[82:83], v[90:91], v[86:87]
	buffer_load_dword v87, off, s[0:3], 0 offset:228
	buffer_load_dword v86, off, s[0:3], 0 offset:224
	buffer_load_dword v91, off, s[0:3], 0 offset:236
	buffer_load_dword v90, off, s[0:3], 0 offset:232
	s_waitcnt vmcnt(2)
	v_fmac_f64_e32 v[82:83], v[86:87], v[88:89]
	ds_read2_b64 v[86:89], v84 offset0:69 offset1:70
	s_waitcnt vmcnt(0) lgkmcnt(0)
	v_fmac_f64_e32 v[82:83], v[90:91], v[86:87]
	;; [unrolled: 9-line block ×5, first 2 shown]
	buffer_load_dword v87, off, s[0:3], 0 offset:292
	buffer_load_dword v86, off, s[0:3], 0 offset:288
	s_waitcnt vmcnt(0)
	v_fmac_f64_e32 v[82:83], v[86:87], v[88:89]
	buffer_load_dword v89, off, s[0:3], 0 offset:300
	buffer_load_dword v88, off, s[0:3], 0 offset:296
	ds_read2_b64 v[84:87], v84 offset0:77 offset1:78
	s_waitcnt vmcnt(0) lgkmcnt(0)
	v_fmac_f64_e32 v[82:83], v[88:89], v[84:85]
	buffer_load_dword v85, off, s[0:3], 0 offset:308
	buffer_load_dword v84, off, s[0:3], 0 offset:304
	s_waitcnt vmcnt(0)
	v_fmac_f64_e32 v[82:83], v[84:85], v[86:87]
	v_add_f64 v[80:81], v[80:81], -v[82:83]
	buffer_store_dword v81, off, s[0:3], 0 offset:148
	buffer_store_dword v80, off, s[0:3], 0 offset:144
	s_and_saveexec_b64 s[4:5], vcc
	s_cbranch_execz .LBB102_207
; %bb.206:
	buffer_load_dword v80, off, s[0:3], 0 offset:136
	buffer_load_dword v81, off, s[0:3], 0 offset:140
	v_mov_b32_e32 v82, 0
	buffer_store_dword v82, off, s[0:3], 0 offset:136
	buffer_store_dword v82, off, s[0:3], 0 offset:140
	s_waitcnt vmcnt(2)
	ds_write_b64 v1, v[80:81]
.LBB102_207:
	s_or_b64 exec, exec, s[4:5]
	s_waitcnt lgkmcnt(0)
	; wave barrier
	s_waitcnt lgkmcnt(0)
	buffer_load_dword v80, off, s[0:3], 0 offset:136
	buffer_load_dword v81, off, s[0:3], 0 offset:140
	;; [unrolled: 1-line block ×16, first 2 shown]
	v_mov_b32_e32 v84, 0
	ds_read_b128 v[86:89], v84 offset:464
	ds_read_b128 v[90:93], v84 offset:480
	;; [unrolled: 1-line block ×4, first 2 shown]
	v_cmp_lt_u32_e32 vcc, 16, v0
	s_waitcnt vmcnt(12) lgkmcnt(3)
	v_fma_f64 v[82:83], v[82:83], v[86:87], 0
	buffer_load_dword v87, off, s[0:3], 0 offset:204
	buffer_load_dword v86, off, s[0:3], 0 offset:200
	s_waitcnt vmcnt(12)
	v_fmac_f64_e32 v[82:83], v[102:103], v[88:89]
	s_waitcnt vmcnt(10) lgkmcnt(2)
	v_fmac_f64_e32 v[82:83], v[104:105], v[90:91]
	buffer_load_dword v91, off, s[0:3], 0 offset:212
	buffer_load_dword v90, off, s[0:3], 0 offset:208
	s_waitcnt vmcnt(10)
	v_fmac_f64_e32 v[82:83], v[106:107], v[92:93]
	s_waitcnt vmcnt(8) lgkmcnt(1)
	v_fmac_f64_e32 v[82:83], v[108:109], v[94:95]
	s_waitcnt vmcnt(6)
	v_fmac_f64_e32 v[82:83], v[110:111], v[96:97]
	s_waitcnt vmcnt(4) lgkmcnt(0)
	v_fmac_f64_e32 v[82:83], v[112:113], v[98:99]
	s_waitcnt vmcnt(2)
	v_fmac_f64_e32 v[82:83], v[86:87], v[100:101]
	ds_read_b128 v[86:89], v84 offset:528
	s_waitcnt vmcnt(0) lgkmcnt(0)
	v_fmac_f64_e32 v[82:83], v[90:91], v[86:87]
	buffer_load_dword v87, off, s[0:3], 0 offset:220
	buffer_load_dword v86, off, s[0:3], 0 offset:216
	buffer_load_dword v91, off, s[0:3], 0 offset:228
	buffer_load_dword v90, off, s[0:3], 0 offset:224
	s_waitcnt vmcnt(2)
	v_fmac_f64_e32 v[82:83], v[86:87], v[88:89]
	ds_read_b128 v[86:89], v84 offset:544
	s_waitcnt vmcnt(0) lgkmcnt(0)
	v_fmac_f64_e32 v[82:83], v[90:91], v[86:87]
	buffer_load_dword v87, off, s[0:3], 0 offset:236
	buffer_load_dword v86, off, s[0:3], 0 offset:232
	buffer_load_dword v91, off, s[0:3], 0 offset:244
	buffer_load_dword v90, off, s[0:3], 0 offset:240
	;; [unrolled: 9-line block ×5, first 2 shown]
	s_waitcnt vmcnt(2)
	v_fmac_f64_e32 v[82:83], v[86:87], v[88:89]
	ds_read_b128 v[86:89], v84 offset:608
	s_waitcnt vmcnt(0) lgkmcnt(0)
	v_fmac_f64_e32 v[82:83], v[90:91], v[86:87]
	buffer_load_dword v87, off, s[0:3], 0 offset:300
	buffer_load_dword v86, off, s[0:3], 0 offset:296
	s_waitcnt vmcnt(0)
	v_fmac_f64_e32 v[82:83], v[86:87], v[88:89]
	buffer_load_dword v87, off, s[0:3], 0 offset:308
	buffer_load_dword v86, off, s[0:3], 0 offset:304
	ds_read_b64 v[88:89], v84 offset:624
	s_waitcnt vmcnt(0) lgkmcnt(0)
	v_fmac_f64_e32 v[82:83], v[86:87], v[88:89]
	v_add_f64 v[80:81], v[80:81], -v[82:83]
	buffer_store_dword v81, off, s[0:3], 0 offset:140
	buffer_store_dword v80, off, s[0:3], 0 offset:136
	s_and_saveexec_b64 s[4:5], vcc
	s_cbranch_execz .LBB102_209
; %bb.208:
	buffer_load_dword v80, off, s[0:3], 0 offset:128
	buffer_load_dword v81, off, s[0:3], 0 offset:132
	s_waitcnt vmcnt(0)
	ds_write_b64 v1, v[80:81]
	buffer_store_dword v84, off, s[0:3], 0 offset:128
	buffer_store_dword v84, off, s[0:3], 0 offset:132
.LBB102_209:
	s_or_b64 exec, exec, s[4:5]
	s_waitcnt lgkmcnt(0)
	; wave barrier
	s_waitcnt lgkmcnt(0)
	buffer_load_dword v80, off, s[0:3], 0 offset:128
	buffer_load_dword v81, off, s[0:3], 0 offset:132
	;; [unrolled: 1-line block ×16, first 2 shown]
	ds_read2_b64 v[86:89], v84 offset0:57 offset1:58
	v_cmp_lt_u32_e32 vcc, 15, v0
	s_waitcnt vmcnt(12) lgkmcnt(0)
	v_fma_f64 v[82:83], v[82:83], v[86:87], 0
	s_waitcnt vmcnt(10)
	v_fmac_f64_e32 v[82:83], v[90:91], v[88:89]
	ds_read2_b64 v[86:89], v84 offset0:59 offset1:60
	s_waitcnt vmcnt(8) lgkmcnt(0)
	v_fmac_f64_e32 v[82:83], v[92:93], v[86:87]
	s_waitcnt vmcnt(6)
	v_fmac_f64_e32 v[82:83], v[94:95], v[88:89]
	ds_read2_b64 v[86:89], v84 offset0:61 offset1:62
	s_waitcnt vmcnt(4) lgkmcnt(0)
	v_fmac_f64_e32 v[82:83], v[96:97], v[86:87]
	;; [unrolled: 5-line block ×3, first 2 shown]
	buffer_load_dword v87, off, s[0:3], 0 offset:196
	buffer_load_dword v86, off, s[0:3], 0 offset:192
	buffer_load_dword v91, off, s[0:3], 0 offset:204
	buffer_load_dword v90, off, s[0:3], 0 offset:200
	s_waitcnt vmcnt(2)
	v_fmac_f64_e32 v[82:83], v[86:87], v[88:89]
	ds_read2_b64 v[86:89], v84 offset0:65 offset1:66
	s_waitcnt vmcnt(0) lgkmcnt(0)
	v_fmac_f64_e32 v[82:83], v[90:91], v[86:87]
	buffer_load_dword v87, off, s[0:3], 0 offset:212
	buffer_load_dword v86, off, s[0:3], 0 offset:208
	buffer_load_dword v91, off, s[0:3], 0 offset:220
	buffer_load_dword v90, off, s[0:3], 0 offset:216
	s_waitcnt vmcnt(2)
	v_fmac_f64_e32 v[82:83], v[86:87], v[88:89]
	ds_read2_b64 v[86:89], v84 offset0:67 offset1:68
	s_waitcnt vmcnt(0) lgkmcnt(0)
	v_fmac_f64_e32 v[82:83], v[90:91], v[86:87]
	;; [unrolled: 9-line block ×6, first 2 shown]
	buffer_load_dword v87, off, s[0:3], 0 offset:292
	buffer_load_dword v86, off, s[0:3], 0 offset:288
	s_waitcnt vmcnt(0)
	v_fmac_f64_e32 v[82:83], v[86:87], v[88:89]
	buffer_load_dword v89, off, s[0:3], 0 offset:300
	buffer_load_dword v88, off, s[0:3], 0 offset:296
	ds_read2_b64 v[84:87], v84 offset0:77 offset1:78
	s_waitcnt vmcnt(0) lgkmcnt(0)
	v_fmac_f64_e32 v[82:83], v[88:89], v[84:85]
	buffer_load_dword v85, off, s[0:3], 0 offset:308
	buffer_load_dword v84, off, s[0:3], 0 offset:304
	s_waitcnt vmcnt(0)
	v_fmac_f64_e32 v[82:83], v[84:85], v[86:87]
	v_add_f64 v[80:81], v[80:81], -v[82:83]
	buffer_store_dword v81, off, s[0:3], 0 offset:132
	buffer_store_dword v80, off, s[0:3], 0 offset:128
	s_and_saveexec_b64 s[4:5], vcc
	s_cbranch_execz .LBB102_211
; %bb.210:
	buffer_load_dword v80, off, s[0:3], 0 offset:120
	buffer_load_dword v81, off, s[0:3], 0 offset:124
	v_mov_b32_e32 v82, 0
	buffer_store_dword v82, off, s[0:3], 0 offset:120
	buffer_store_dword v82, off, s[0:3], 0 offset:124
	s_waitcnt vmcnt(2)
	ds_write_b64 v1, v[80:81]
.LBB102_211:
	s_or_b64 exec, exec, s[4:5]
	s_waitcnt lgkmcnt(0)
	; wave barrier
	s_waitcnt lgkmcnt(0)
	buffer_load_dword v80, off, s[0:3], 0 offset:120
	buffer_load_dword v81, off, s[0:3], 0 offset:124
	;; [unrolled: 1-line block ×16, first 2 shown]
	v_mov_b32_e32 v84, 0
	ds_read_b128 v[86:89], v84 offset:448
	ds_read_b128 v[90:93], v84 offset:464
	;; [unrolled: 1-line block ×4, first 2 shown]
	v_cmp_lt_u32_e32 vcc, 14, v0
	s_waitcnt vmcnt(12) lgkmcnt(3)
	v_fma_f64 v[82:83], v[82:83], v[86:87], 0
	buffer_load_dword v87, off, s[0:3], 0 offset:188
	buffer_load_dword v86, off, s[0:3], 0 offset:184
	s_waitcnt vmcnt(12)
	v_fmac_f64_e32 v[82:83], v[102:103], v[88:89]
	s_waitcnt vmcnt(10) lgkmcnt(2)
	v_fmac_f64_e32 v[82:83], v[104:105], v[90:91]
	buffer_load_dword v91, off, s[0:3], 0 offset:196
	buffer_load_dword v90, off, s[0:3], 0 offset:192
	s_waitcnt vmcnt(10)
	v_fmac_f64_e32 v[82:83], v[106:107], v[92:93]
	s_waitcnt vmcnt(8) lgkmcnt(1)
	v_fmac_f64_e32 v[82:83], v[108:109], v[94:95]
	s_waitcnt vmcnt(6)
	v_fmac_f64_e32 v[82:83], v[110:111], v[96:97]
	s_waitcnt vmcnt(4) lgkmcnt(0)
	v_fmac_f64_e32 v[82:83], v[112:113], v[98:99]
	s_waitcnt vmcnt(2)
	v_fmac_f64_e32 v[82:83], v[86:87], v[100:101]
	ds_read_b128 v[86:89], v84 offset:512
	s_waitcnt vmcnt(0) lgkmcnt(0)
	v_fmac_f64_e32 v[82:83], v[90:91], v[86:87]
	buffer_load_dword v87, off, s[0:3], 0 offset:204
	buffer_load_dword v86, off, s[0:3], 0 offset:200
	buffer_load_dword v91, off, s[0:3], 0 offset:212
	buffer_load_dword v90, off, s[0:3], 0 offset:208
	s_waitcnt vmcnt(2)
	v_fmac_f64_e32 v[82:83], v[86:87], v[88:89]
	ds_read_b128 v[86:89], v84 offset:528
	s_waitcnt vmcnt(0) lgkmcnt(0)
	v_fmac_f64_e32 v[82:83], v[90:91], v[86:87]
	buffer_load_dword v87, off, s[0:3], 0 offset:220
	buffer_load_dword v86, off, s[0:3], 0 offset:216
	buffer_load_dword v91, off, s[0:3], 0 offset:228
	buffer_load_dword v90, off, s[0:3], 0 offset:224
	;; [unrolled: 9-line block ×6, first 2 shown]
	s_waitcnt vmcnt(2)
	v_fmac_f64_e32 v[82:83], v[86:87], v[88:89]
	ds_read_b128 v[86:89], v84 offset:608
	s_waitcnt vmcnt(0) lgkmcnt(0)
	v_fmac_f64_e32 v[82:83], v[90:91], v[86:87]
	buffer_load_dword v87, off, s[0:3], 0 offset:300
	buffer_load_dword v86, off, s[0:3], 0 offset:296
	s_waitcnt vmcnt(0)
	v_fmac_f64_e32 v[82:83], v[86:87], v[88:89]
	buffer_load_dword v87, off, s[0:3], 0 offset:308
	buffer_load_dword v86, off, s[0:3], 0 offset:304
	ds_read_b64 v[88:89], v84 offset:624
	s_waitcnt vmcnt(0) lgkmcnt(0)
	v_fmac_f64_e32 v[82:83], v[86:87], v[88:89]
	v_add_f64 v[80:81], v[80:81], -v[82:83]
	buffer_store_dword v81, off, s[0:3], 0 offset:124
	buffer_store_dword v80, off, s[0:3], 0 offset:120
	s_and_saveexec_b64 s[4:5], vcc
	s_cbranch_execz .LBB102_213
; %bb.212:
	buffer_load_dword v80, off, s[0:3], 0 offset:112
	buffer_load_dword v81, off, s[0:3], 0 offset:116
	s_waitcnt vmcnt(0)
	ds_write_b64 v1, v[80:81]
	buffer_store_dword v84, off, s[0:3], 0 offset:112
	buffer_store_dword v84, off, s[0:3], 0 offset:116
.LBB102_213:
	s_or_b64 exec, exec, s[4:5]
	s_waitcnt lgkmcnt(0)
	; wave barrier
	s_waitcnt lgkmcnt(0)
	buffer_load_dword v80, off, s[0:3], 0 offset:112
	buffer_load_dword v81, off, s[0:3], 0 offset:116
	;; [unrolled: 1-line block ×16, first 2 shown]
	ds_read2_b64 v[86:89], v84 offset0:55 offset1:56
	v_cmp_lt_u32_e32 vcc, 13, v0
	s_waitcnt vmcnt(12) lgkmcnt(0)
	v_fma_f64 v[82:83], v[82:83], v[86:87], 0
	s_waitcnt vmcnt(10)
	v_fmac_f64_e32 v[82:83], v[90:91], v[88:89]
	ds_read2_b64 v[86:89], v84 offset0:57 offset1:58
	s_waitcnt vmcnt(8) lgkmcnt(0)
	v_fmac_f64_e32 v[82:83], v[92:93], v[86:87]
	s_waitcnt vmcnt(6)
	v_fmac_f64_e32 v[82:83], v[94:95], v[88:89]
	ds_read2_b64 v[86:89], v84 offset0:59 offset1:60
	s_waitcnt vmcnt(4) lgkmcnt(0)
	v_fmac_f64_e32 v[82:83], v[96:97], v[86:87]
	;; [unrolled: 5-line block ×3, first 2 shown]
	buffer_load_dword v87, off, s[0:3], 0 offset:180
	buffer_load_dword v86, off, s[0:3], 0 offset:176
	buffer_load_dword v91, off, s[0:3], 0 offset:188
	buffer_load_dword v90, off, s[0:3], 0 offset:184
	s_waitcnt vmcnt(2)
	v_fmac_f64_e32 v[82:83], v[86:87], v[88:89]
	ds_read2_b64 v[86:89], v84 offset0:63 offset1:64
	s_waitcnt vmcnt(0) lgkmcnt(0)
	v_fmac_f64_e32 v[82:83], v[90:91], v[86:87]
	buffer_load_dword v87, off, s[0:3], 0 offset:196
	buffer_load_dword v86, off, s[0:3], 0 offset:192
	buffer_load_dword v91, off, s[0:3], 0 offset:204
	buffer_load_dword v90, off, s[0:3], 0 offset:200
	s_waitcnt vmcnt(2)
	v_fmac_f64_e32 v[82:83], v[86:87], v[88:89]
	ds_read2_b64 v[86:89], v84 offset0:65 offset1:66
	s_waitcnt vmcnt(0) lgkmcnt(0)
	v_fmac_f64_e32 v[82:83], v[90:91], v[86:87]
	;; [unrolled: 9-line block ×7, first 2 shown]
	buffer_load_dword v87, off, s[0:3], 0 offset:292
	buffer_load_dword v86, off, s[0:3], 0 offset:288
	s_waitcnt vmcnt(0)
	v_fmac_f64_e32 v[82:83], v[86:87], v[88:89]
	buffer_load_dword v89, off, s[0:3], 0 offset:300
	buffer_load_dword v88, off, s[0:3], 0 offset:296
	ds_read2_b64 v[84:87], v84 offset0:77 offset1:78
	s_waitcnt vmcnt(0) lgkmcnt(0)
	v_fmac_f64_e32 v[82:83], v[88:89], v[84:85]
	buffer_load_dword v85, off, s[0:3], 0 offset:308
	buffer_load_dword v84, off, s[0:3], 0 offset:304
	s_waitcnt vmcnt(0)
	v_fmac_f64_e32 v[82:83], v[84:85], v[86:87]
	v_add_f64 v[80:81], v[80:81], -v[82:83]
	buffer_store_dword v81, off, s[0:3], 0 offset:116
	buffer_store_dword v80, off, s[0:3], 0 offset:112
	s_and_saveexec_b64 s[4:5], vcc
	s_cbranch_execz .LBB102_215
; %bb.214:
	buffer_load_dword v80, off, s[0:3], 0 offset:104
	buffer_load_dword v81, off, s[0:3], 0 offset:108
	v_mov_b32_e32 v82, 0
	buffer_store_dword v82, off, s[0:3], 0 offset:104
	buffer_store_dword v82, off, s[0:3], 0 offset:108
	s_waitcnt vmcnt(2)
	ds_write_b64 v1, v[80:81]
.LBB102_215:
	s_or_b64 exec, exec, s[4:5]
	s_waitcnt lgkmcnt(0)
	; wave barrier
	s_waitcnt lgkmcnt(0)
	buffer_load_dword v80, off, s[0:3], 0 offset:104
	buffer_load_dword v81, off, s[0:3], 0 offset:108
	;; [unrolled: 1-line block ×16, first 2 shown]
	v_mov_b32_e32 v84, 0
	ds_read_b128 v[86:89], v84 offset:432
	ds_read_b128 v[90:93], v84 offset:448
	;; [unrolled: 1-line block ×4, first 2 shown]
	v_cmp_lt_u32_e32 vcc, 12, v0
	s_waitcnt vmcnt(12) lgkmcnt(3)
	v_fma_f64 v[82:83], v[82:83], v[86:87], 0
	buffer_load_dword v87, off, s[0:3], 0 offset:172
	buffer_load_dword v86, off, s[0:3], 0 offset:168
	s_waitcnt vmcnt(12)
	v_fmac_f64_e32 v[82:83], v[102:103], v[88:89]
	s_waitcnt vmcnt(10) lgkmcnt(2)
	v_fmac_f64_e32 v[82:83], v[104:105], v[90:91]
	buffer_load_dword v91, off, s[0:3], 0 offset:180
	buffer_load_dword v90, off, s[0:3], 0 offset:176
	s_waitcnt vmcnt(10)
	v_fmac_f64_e32 v[82:83], v[106:107], v[92:93]
	s_waitcnt vmcnt(8) lgkmcnt(1)
	v_fmac_f64_e32 v[82:83], v[108:109], v[94:95]
	s_waitcnt vmcnt(6)
	v_fmac_f64_e32 v[82:83], v[110:111], v[96:97]
	s_waitcnt vmcnt(4) lgkmcnt(0)
	v_fmac_f64_e32 v[82:83], v[112:113], v[98:99]
	s_waitcnt vmcnt(2)
	v_fmac_f64_e32 v[82:83], v[86:87], v[100:101]
	ds_read_b128 v[86:89], v84 offset:496
	s_waitcnt vmcnt(0) lgkmcnt(0)
	v_fmac_f64_e32 v[82:83], v[90:91], v[86:87]
	buffer_load_dword v87, off, s[0:3], 0 offset:188
	buffer_load_dword v86, off, s[0:3], 0 offset:184
	buffer_load_dword v91, off, s[0:3], 0 offset:196
	buffer_load_dword v90, off, s[0:3], 0 offset:192
	s_waitcnt vmcnt(2)
	v_fmac_f64_e32 v[82:83], v[86:87], v[88:89]
	ds_read_b128 v[86:89], v84 offset:512
	s_waitcnt vmcnt(0) lgkmcnt(0)
	v_fmac_f64_e32 v[82:83], v[90:91], v[86:87]
	buffer_load_dword v87, off, s[0:3], 0 offset:204
	buffer_load_dword v86, off, s[0:3], 0 offset:200
	buffer_load_dword v91, off, s[0:3], 0 offset:212
	buffer_load_dword v90, off, s[0:3], 0 offset:208
	;; [unrolled: 9-line block ×7, first 2 shown]
	s_waitcnt vmcnt(2)
	v_fmac_f64_e32 v[82:83], v[86:87], v[88:89]
	ds_read_b128 v[86:89], v84 offset:608
	s_waitcnt vmcnt(0) lgkmcnt(0)
	v_fmac_f64_e32 v[82:83], v[90:91], v[86:87]
	buffer_load_dword v87, off, s[0:3], 0 offset:300
	buffer_load_dword v86, off, s[0:3], 0 offset:296
	s_waitcnt vmcnt(0)
	v_fmac_f64_e32 v[82:83], v[86:87], v[88:89]
	buffer_load_dword v87, off, s[0:3], 0 offset:308
	buffer_load_dword v86, off, s[0:3], 0 offset:304
	ds_read_b64 v[88:89], v84 offset:624
	s_waitcnt vmcnt(0) lgkmcnt(0)
	v_fmac_f64_e32 v[82:83], v[86:87], v[88:89]
	v_add_f64 v[80:81], v[80:81], -v[82:83]
	buffer_store_dword v81, off, s[0:3], 0 offset:108
	buffer_store_dword v80, off, s[0:3], 0 offset:104
	s_and_saveexec_b64 s[4:5], vcc
	s_cbranch_execz .LBB102_217
; %bb.216:
	buffer_load_dword v80, off, s[0:3], 0 offset:96
	buffer_load_dword v81, off, s[0:3], 0 offset:100
	s_waitcnt vmcnt(0)
	ds_write_b64 v1, v[80:81]
	buffer_store_dword v84, off, s[0:3], 0 offset:96
	buffer_store_dword v84, off, s[0:3], 0 offset:100
.LBB102_217:
	s_or_b64 exec, exec, s[4:5]
	s_waitcnt lgkmcnt(0)
	; wave barrier
	s_waitcnt lgkmcnt(0)
	buffer_load_dword v80, off, s[0:3], 0 offset:96
	buffer_load_dword v81, off, s[0:3], 0 offset:100
	buffer_load_dword v82, off, s[0:3], 0 offset:104
	buffer_load_dword v83, off, s[0:3], 0 offset:108
	buffer_load_dword v90, off, s[0:3], 0 offset:112
	buffer_load_dword v91, off, s[0:3], 0 offset:116
	buffer_load_dword v92, off, s[0:3], 0 offset:120
	buffer_load_dword v93, off, s[0:3], 0 offset:124
	buffer_load_dword v94, off, s[0:3], 0 offset:128
	buffer_load_dword v95, off, s[0:3], 0 offset:132
	buffer_load_dword v96, off, s[0:3], 0 offset:136
	buffer_load_dword v97, off, s[0:3], 0 offset:140
	buffer_load_dword v98, off, s[0:3], 0 offset:144
	buffer_load_dword v99, off, s[0:3], 0 offset:148
	buffer_load_dword v100, off, s[0:3], 0 offset:152
	buffer_load_dword v101, off, s[0:3], 0 offset:156
	ds_read2_b64 v[86:89], v84 offset0:53 offset1:54
	v_cmp_lt_u32_e32 vcc, 11, v0
	s_waitcnt vmcnt(12) lgkmcnt(0)
	v_fma_f64 v[82:83], v[82:83], v[86:87], 0
	s_waitcnt vmcnt(10)
	v_fmac_f64_e32 v[82:83], v[90:91], v[88:89]
	ds_read2_b64 v[86:89], v84 offset0:55 offset1:56
	s_waitcnt vmcnt(8) lgkmcnt(0)
	v_fmac_f64_e32 v[82:83], v[92:93], v[86:87]
	s_waitcnt vmcnt(6)
	v_fmac_f64_e32 v[82:83], v[94:95], v[88:89]
	ds_read2_b64 v[86:89], v84 offset0:57 offset1:58
	s_waitcnt vmcnt(4) lgkmcnt(0)
	v_fmac_f64_e32 v[82:83], v[96:97], v[86:87]
	;; [unrolled: 5-line block ×3, first 2 shown]
	buffer_load_dword v87, off, s[0:3], 0 offset:164
	buffer_load_dword v86, off, s[0:3], 0 offset:160
	buffer_load_dword v91, off, s[0:3], 0 offset:172
	buffer_load_dword v90, off, s[0:3], 0 offset:168
	s_waitcnt vmcnt(2)
	v_fmac_f64_e32 v[82:83], v[86:87], v[88:89]
	ds_read2_b64 v[86:89], v84 offset0:61 offset1:62
	s_waitcnt vmcnt(0) lgkmcnt(0)
	v_fmac_f64_e32 v[82:83], v[90:91], v[86:87]
	buffer_load_dword v87, off, s[0:3], 0 offset:180
	buffer_load_dword v86, off, s[0:3], 0 offset:176
	buffer_load_dword v91, off, s[0:3], 0 offset:188
	buffer_load_dword v90, off, s[0:3], 0 offset:184
	s_waitcnt vmcnt(2)
	v_fmac_f64_e32 v[82:83], v[86:87], v[88:89]
	ds_read2_b64 v[86:89], v84 offset0:63 offset1:64
	s_waitcnt vmcnt(0) lgkmcnt(0)
	v_fmac_f64_e32 v[82:83], v[90:91], v[86:87]
	;; [unrolled: 9-line block ×8, first 2 shown]
	buffer_load_dword v87, off, s[0:3], 0 offset:292
	buffer_load_dword v86, off, s[0:3], 0 offset:288
	s_waitcnt vmcnt(0)
	v_fmac_f64_e32 v[82:83], v[86:87], v[88:89]
	buffer_load_dword v89, off, s[0:3], 0 offset:300
	buffer_load_dword v88, off, s[0:3], 0 offset:296
	ds_read2_b64 v[84:87], v84 offset0:77 offset1:78
	s_waitcnt vmcnt(0) lgkmcnt(0)
	v_fmac_f64_e32 v[82:83], v[88:89], v[84:85]
	buffer_load_dword v85, off, s[0:3], 0 offset:308
	buffer_load_dword v84, off, s[0:3], 0 offset:304
	s_waitcnt vmcnt(0)
	v_fmac_f64_e32 v[82:83], v[84:85], v[86:87]
	v_add_f64 v[80:81], v[80:81], -v[82:83]
	buffer_store_dword v81, off, s[0:3], 0 offset:100
	buffer_store_dword v80, off, s[0:3], 0 offset:96
	s_and_saveexec_b64 s[4:5], vcc
	s_cbranch_execz .LBB102_219
; %bb.218:
	buffer_load_dword v80, off, s[0:3], 0 offset:88
	buffer_load_dword v81, off, s[0:3], 0 offset:92
	v_mov_b32_e32 v82, 0
	buffer_store_dword v82, off, s[0:3], 0 offset:88
	buffer_store_dword v82, off, s[0:3], 0 offset:92
	s_waitcnt vmcnt(2)
	ds_write_b64 v1, v[80:81]
.LBB102_219:
	s_or_b64 exec, exec, s[4:5]
	s_waitcnt lgkmcnt(0)
	; wave barrier
	s_waitcnt lgkmcnt(0)
	buffer_load_dword v80, off, s[0:3], 0 offset:88
	buffer_load_dword v81, off, s[0:3], 0 offset:92
	;; [unrolled: 1-line block ×16, first 2 shown]
	v_mov_b32_e32 v84, 0
	ds_read_b128 v[86:89], v84 offset:416
	ds_read_b128 v[90:93], v84 offset:432
	;; [unrolled: 1-line block ×4, first 2 shown]
	v_cmp_lt_u32_e32 vcc, 10, v0
	s_waitcnt vmcnt(12) lgkmcnt(3)
	v_fma_f64 v[82:83], v[82:83], v[86:87], 0
	buffer_load_dword v87, off, s[0:3], 0 offset:156
	buffer_load_dword v86, off, s[0:3], 0 offset:152
	s_waitcnt vmcnt(12)
	v_fmac_f64_e32 v[82:83], v[102:103], v[88:89]
	s_waitcnt vmcnt(10) lgkmcnt(2)
	v_fmac_f64_e32 v[82:83], v[104:105], v[90:91]
	buffer_load_dword v91, off, s[0:3], 0 offset:164
	buffer_load_dword v90, off, s[0:3], 0 offset:160
	s_waitcnt vmcnt(10)
	v_fmac_f64_e32 v[82:83], v[106:107], v[92:93]
	s_waitcnt vmcnt(8) lgkmcnt(1)
	v_fmac_f64_e32 v[82:83], v[108:109], v[94:95]
	s_waitcnt vmcnt(6)
	v_fmac_f64_e32 v[82:83], v[110:111], v[96:97]
	s_waitcnt vmcnt(4) lgkmcnt(0)
	v_fmac_f64_e32 v[82:83], v[112:113], v[98:99]
	s_waitcnt vmcnt(2)
	v_fmac_f64_e32 v[82:83], v[86:87], v[100:101]
	ds_read_b128 v[86:89], v84 offset:480
	s_waitcnt vmcnt(0) lgkmcnt(0)
	v_fmac_f64_e32 v[82:83], v[90:91], v[86:87]
	buffer_load_dword v87, off, s[0:3], 0 offset:172
	buffer_load_dword v86, off, s[0:3], 0 offset:168
	buffer_load_dword v91, off, s[0:3], 0 offset:180
	buffer_load_dword v90, off, s[0:3], 0 offset:176
	s_waitcnt vmcnt(2)
	v_fmac_f64_e32 v[82:83], v[86:87], v[88:89]
	ds_read_b128 v[86:89], v84 offset:496
	s_waitcnt vmcnt(0) lgkmcnt(0)
	v_fmac_f64_e32 v[82:83], v[90:91], v[86:87]
	buffer_load_dword v87, off, s[0:3], 0 offset:188
	buffer_load_dword v86, off, s[0:3], 0 offset:184
	buffer_load_dword v91, off, s[0:3], 0 offset:196
	buffer_load_dword v90, off, s[0:3], 0 offset:192
	s_waitcnt vmcnt(2)
	v_fmac_f64_e32 v[82:83], v[86:87], v[88:89]
	ds_read_b128 v[86:89], v84 offset:512
	s_waitcnt vmcnt(0) lgkmcnt(0)
	v_fmac_f64_e32 v[82:83], v[90:91], v[86:87]
	buffer_load_dword v87, off, s[0:3], 0 offset:204
	buffer_load_dword v86, off, s[0:3], 0 offset:200
	buffer_load_dword v91, off, s[0:3], 0 offset:212
	buffer_load_dword v90, off, s[0:3], 0 offset:208
	s_waitcnt vmcnt(2)
	v_fmac_f64_e32 v[82:83], v[86:87], v[88:89]
	ds_read_b128 v[86:89], v84 offset:528
	s_waitcnt vmcnt(0) lgkmcnt(0)
	v_fmac_f64_e32 v[82:83], v[90:91], v[86:87]
	buffer_load_dword v87, off, s[0:3], 0 offset:220
	buffer_load_dword v86, off, s[0:3], 0 offset:216
	buffer_load_dword v91, off, s[0:3], 0 offset:228
	buffer_load_dword v90, off, s[0:3], 0 offset:224
	s_waitcnt vmcnt(2)
	v_fmac_f64_e32 v[82:83], v[86:87], v[88:89]
	ds_read_b128 v[86:89], v84 offset:544
	s_waitcnt vmcnt(0) lgkmcnt(0)
	v_fmac_f64_e32 v[82:83], v[90:91], v[86:87]
	buffer_load_dword v87, off, s[0:3], 0 offset:236
	buffer_load_dword v86, off, s[0:3], 0 offset:232
	buffer_load_dword v91, off, s[0:3], 0 offset:244
	buffer_load_dword v90, off, s[0:3], 0 offset:240
	s_waitcnt vmcnt(2)
	v_fmac_f64_e32 v[82:83], v[86:87], v[88:89]
	ds_read_b128 v[86:89], v84 offset:560
	s_waitcnt vmcnt(0) lgkmcnt(0)
	v_fmac_f64_e32 v[82:83], v[90:91], v[86:87]
	buffer_load_dword v87, off, s[0:3], 0 offset:252
	buffer_load_dword v86, off, s[0:3], 0 offset:248
	buffer_load_dword v91, off, s[0:3], 0 offset:260
	buffer_load_dword v90, off, s[0:3], 0 offset:256
	s_waitcnt vmcnt(2)
	v_fmac_f64_e32 v[82:83], v[86:87], v[88:89]
	ds_read_b128 v[86:89], v84 offset:576
	s_waitcnt vmcnt(0) lgkmcnt(0)
	v_fmac_f64_e32 v[82:83], v[90:91], v[86:87]
	buffer_load_dword v87, off, s[0:3], 0 offset:268
	buffer_load_dword v86, off, s[0:3], 0 offset:264
	buffer_load_dword v91, off, s[0:3], 0 offset:276
	buffer_load_dword v90, off, s[0:3], 0 offset:272
	s_waitcnt vmcnt(2)
	v_fmac_f64_e32 v[82:83], v[86:87], v[88:89]
	ds_read_b128 v[86:89], v84 offset:592
	s_waitcnt vmcnt(0) lgkmcnt(0)
	v_fmac_f64_e32 v[82:83], v[90:91], v[86:87]
	buffer_load_dword v87, off, s[0:3], 0 offset:284
	buffer_load_dword v86, off, s[0:3], 0 offset:280
	buffer_load_dword v91, off, s[0:3], 0 offset:292
	buffer_load_dword v90, off, s[0:3], 0 offset:288
	s_waitcnt vmcnt(2)
	v_fmac_f64_e32 v[82:83], v[86:87], v[88:89]
	ds_read_b128 v[86:89], v84 offset:608
	s_waitcnt vmcnt(0) lgkmcnt(0)
	v_fmac_f64_e32 v[82:83], v[90:91], v[86:87]
	buffer_load_dword v87, off, s[0:3], 0 offset:300
	buffer_load_dword v86, off, s[0:3], 0 offset:296
	s_waitcnt vmcnt(0)
	v_fmac_f64_e32 v[82:83], v[86:87], v[88:89]
	buffer_load_dword v87, off, s[0:3], 0 offset:308
	buffer_load_dword v86, off, s[0:3], 0 offset:304
	ds_read_b64 v[88:89], v84 offset:624
	s_waitcnt vmcnt(0) lgkmcnt(0)
	v_fmac_f64_e32 v[82:83], v[86:87], v[88:89]
	v_add_f64 v[80:81], v[80:81], -v[82:83]
	buffer_store_dword v81, off, s[0:3], 0 offset:92
	buffer_store_dword v80, off, s[0:3], 0 offset:88
	s_and_saveexec_b64 s[4:5], vcc
	s_cbranch_execz .LBB102_221
; %bb.220:
	buffer_load_dword v80, off, s[0:3], 0 offset:80
	buffer_load_dword v81, off, s[0:3], 0 offset:84
	s_waitcnt vmcnt(0)
	ds_write_b64 v1, v[80:81]
	buffer_store_dword v84, off, s[0:3], 0 offset:80
	buffer_store_dword v84, off, s[0:3], 0 offset:84
.LBB102_221:
	s_or_b64 exec, exec, s[4:5]
	s_waitcnt lgkmcnt(0)
	; wave barrier
	s_waitcnt lgkmcnt(0)
	buffer_load_dword v80, off, s[0:3], 0 offset:80
	buffer_load_dword v81, off, s[0:3], 0 offset:84
	;; [unrolled: 1-line block ×16, first 2 shown]
	ds_read2_b64 v[86:89], v84 offset0:51 offset1:52
	v_cmp_lt_u32_e32 vcc, 9, v0
	s_waitcnt vmcnt(12) lgkmcnt(0)
	v_fma_f64 v[82:83], v[82:83], v[86:87], 0
	s_waitcnt vmcnt(10)
	v_fmac_f64_e32 v[82:83], v[90:91], v[88:89]
	ds_read2_b64 v[86:89], v84 offset0:53 offset1:54
	s_waitcnt vmcnt(8) lgkmcnt(0)
	v_fmac_f64_e32 v[82:83], v[92:93], v[86:87]
	s_waitcnt vmcnt(6)
	v_fmac_f64_e32 v[82:83], v[94:95], v[88:89]
	ds_read2_b64 v[86:89], v84 offset0:55 offset1:56
	s_waitcnt vmcnt(4) lgkmcnt(0)
	v_fmac_f64_e32 v[82:83], v[96:97], v[86:87]
	;; [unrolled: 5-line block ×3, first 2 shown]
	buffer_load_dword v87, off, s[0:3], 0 offset:148
	buffer_load_dword v86, off, s[0:3], 0 offset:144
	buffer_load_dword v91, off, s[0:3], 0 offset:156
	buffer_load_dword v90, off, s[0:3], 0 offset:152
	s_waitcnt vmcnt(2)
	v_fmac_f64_e32 v[82:83], v[86:87], v[88:89]
	ds_read2_b64 v[86:89], v84 offset0:59 offset1:60
	s_waitcnt vmcnt(0) lgkmcnt(0)
	v_fmac_f64_e32 v[82:83], v[90:91], v[86:87]
	buffer_load_dword v87, off, s[0:3], 0 offset:164
	buffer_load_dword v86, off, s[0:3], 0 offset:160
	buffer_load_dword v91, off, s[0:3], 0 offset:172
	buffer_load_dword v90, off, s[0:3], 0 offset:168
	s_waitcnt vmcnt(2)
	v_fmac_f64_e32 v[82:83], v[86:87], v[88:89]
	ds_read2_b64 v[86:89], v84 offset0:61 offset1:62
	s_waitcnt vmcnt(0) lgkmcnt(0)
	v_fmac_f64_e32 v[82:83], v[90:91], v[86:87]
	;; [unrolled: 9-line block ×9, first 2 shown]
	buffer_load_dword v87, off, s[0:3], 0 offset:292
	buffer_load_dword v86, off, s[0:3], 0 offset:288
	s_waitcnt vmcnt(0)
	v_fmac_f64_e32 v[82:83], v[86:87], v[88:89]
	buffer_load_dword v89, off, s[0:3], 0 offset:300
	buffer_load_dword v88, off, s[0:3], 0 offset:296
	ds_read2_b64 v[84:87], v84 offset0:77 offset1:78
	s_waitcnt vmcnt(0) lgkmcnt(0)
	v_fmac_f64_e32 v[82:83], v[88:89], v[84:85]
	buffer_load_dword v85, off, s[0:3], 0 offset:308
	buffer_load_dword v84, off, s[0:3], 0 offset:304
	s_waitcnt vmcnt(0)
	v_fmac_f64_e32 v[82:83], v[84:85], v[86:87]
	v_add_f64 v[80:81], v[80:81], -v[82:83]
	buffer_store_dword v81, off, s[0:3], 0 offset:84
	buffer_store_dword v80, off, s[0:3], 0 offset:80
	s_and_saveexec_b64 s[4:5], vcc
	s_cbranch_execz .LBB102_223
; %bb.222:
	buffer_load_dword v80, off, s[0:3], 0 offset:72
	buffer_load_dword v81, off, s[0:3], 0 offset:76
	v_mov_b32_e32 v82, 0
	buffer_store_dword v82, off, s[0:3], 0 offset:72
	buffer_store_dword v82, off, s[0:3], 0 offset:76
	s_waitcnt vmcnt(2)
	ds_write_b64 v1, v[80:81]
.LBB102_223:
	s_or_b64 exec, exec, s[4:5]
	s_waitcnt lgkmcnt(0)
	; wave barrier
	s_waitcnt lgkmcnt(0)
	buffer_load_dword v80, off, s[0:3], 0 offset:72
	buffer_load_dword v81, off, s[0:3], 0 offset:76
	;; [unrolled: 1-line block ×16, first 2 shown]
	v_mov_b32_e32 v84, 0
	ds_read_b128 v[86:89], v84 offset:400
	ds_read_b128 v[90:93], v84 offset:416
	;; [unrolled: 1-line block ×4, first 2 shown]
	v_cmp_lt_u32_e32 vcc, 8, v0
	s_waitcnt vmcnt(12) lgkmcnt(3)
	v_fma_f64 v[82:83], v[82:83], v[86:87], 0
	buffer_load_dword v87, off, s[0:3], 0 offset:140
	buffer_load_dword v86, off, s[0:3], 0 offset:136
	s_waitcnt vmcnt(12)
	v_fmac_f64_e32 v[82:83], v[102:103], v[88:89]
	s_waitcnt vmcnt(10) lgkmcnt(2)
	v_fmac_f64_e32 v[82:83], v[104:105], v[90:91]
	buffer_load_dword v91, off, s[0:3], 0 offset:148
	buffer_load_dword v90, off, s[0:3], 0 offset:144
	s_waitcnt vmcnt(10)
	v_fmac_f64_e32 v[82:83], v[106:107], v[92:93]
	s_waitcnt vmcnt(8) lgkmcnt(1)
	v_fmac_f64_e32 v[82:83], v[108:109], v[94:95]
	s_waitcnt vmcnt(6)
	v_fmac_f64_e32 v[82:83], v[110:111], v[96:97]
	s_waitcnt vmcnt(4) lgkmcnt(0)
	v_fmac_f64_e32 v[82:83], v[112:113], v[98:99]
	s_waitcnt vmcnt(2)
	v_fmac_f64_e32 v[82:83], v[86:87], v[100:101]
	ds_read_b128 v[86:89], v84 offset:464
	s_waitcnt vmcnt(0) lgkmcnt(0)
	v_fmac_f64_e32 v[82:83], v[90:91], v[86:87]
	buffer_load_dword v87, off, s[0:3], 0 offset:156
	buffer_load_dword v86, off, s[0:3], 0 offset:152
	buffer_load_dword v91, off, s[0:3], 0 offset:164
	buffer_load_dword v90, off, s[0:3], 0 offset:160
	s_waitcnt vmcnt(2)
	v_fmac_f64_e32 v[82:83], v[86:87], v[88:89]
	ds_read_b128 v[86:89], v84 offset:480
	s_waitcnt vmcnt(0) lgkmcnt(0)
	v_fmac_f64_e32 v[82:83], v[90:91], v[86:87]
	buffer_load_dword v87, off, s[0:3], 0 offset:172
	buffer_load_dword v86, off, s[0:3], 0 offset:168
	buffer_load_dword v91, off, s[0:3], 0 offset:180
	buffer_load_dword v90, off, s[0:3], 0 offset:176
	;; [unrolled: 9-line block ×9, first 2 shown]
	s_waitcnt vmcnt(2)
	v_fmac_f64_e32 v[82:83], v[86:87], v[88:89]
	ds_read_b128 v[86:89], v84 offset:608
	s_waitcnt vmcnt(0) lgkmcnt(0)
	v_fmac_f64_e32 v[82:83], v[90:91], v[86:87]
	buffer_load_dword v87, off, s[0:3], 0 offset:300
	buffer_load_dword v86, off, s[0:3], 0 offset:296
	s_waitcnt vmcnt(0)
	v_fmac_f64_e32 v[82:83], v[86:87], v[88:89]
	buffer_load_dword v87, off, s[0:3], 0 offset:308
	buffer_load_dword v86, off, s[0:3], 0 offset:304
	ds_read_b64 v[88:89], v84 offset:624
	s_waitcnt vmcnt(0) lgkmcnt(0)
	v_fmac_f64_e32 v[82:83], v[86:87], v[88:89]
	v_add_f64 v[80:81], v[80:81], -v[82:83]
	buffer_store_dword v81, off, s[0:3], 0 offset:76
	buffer_store_dword v80, off, s[0:3], 0 offset:72
	s_and_saveexec_b64 s[4:5], vcc
	s_cbranch_execz .LBB102_225
; %bb.224:
	buffer_load_dword v80, off, s[0:3], 0 offset:64
	buffer_load_dword v81, off, s[0:3], 0 offset:68
	s_waitcnt vmcnt(0)
	ds_write_b64 v1, v[80:81]
	buffer_store_dword v84, off, s[0:3], 0 offset:64
	buffer_store_dword v84, off, s[0:3], 0 offset:68
.LBB102_225:
	s_or_b64 exec, exec, s[4:5]
	s_waitcnt lgkmcnt(0)
	; wave barrier
	s_waitcnt lgkmcnt(0)
	buffer_load_dword v80, off, s[0:3], 0 offset:64
	buffer_load_dword v81, off, s[0:3], 0 offset:68
	buffer_load_dword v82, off, s[0:3], 0 offset:72
	buffer_load_dword v83, off, s[0:3], 0 offset:76
	buffer_load_dword v90, off, s[0:3], 0 offset:80
	buffer_load_dword v91, off, s[0:3], 0 offset:84
	buffer_load_dword v92, off, s[0:3], 0 offset:88
	buffer_load_dword v93, off, s[0:3], 0 offset:92
	buffer_load_dword v94, off, s[0:3], 0 offset:96
	buffer_load_dword v95, off, s[0:3], 0 offset:100
	buffer_load_dword v96, off, s[0:3], 0 offset:104
	buffer_load_dword v97, off, s[0:3], 0 offset:108
	buffer_load_dword v98, off, s[0:3], 0 offset:112
	buffer_load_dword v99, off, s[0:3], 0 offset:116
	buffer_load_dword v100, off, s[0:3], 0 offset:120
	buffer_load_dword v101, off, s[0:3], 0 offset:124
	ds_read2_b64 v[86:89], v84 offset0:49 offset1:50
	v_cmp_lt_u32_e32 vcc, 7, v0
	s_waitcnt vmcnt(12) lgkmcnt(0)
	v_fma_f64 v[82:83], v[82:83], v[86:87], 0
	s_waitcnt vmcnt(10)
	v_fmac_f64_e32 v[82:83], v[90:91], v[88:89]
	ds_read2_b64 v[86:89], v84 offset0:51 offset1:52
	s_waitcnt vmcnt(8) lgkmcnt(0)
	v_fmac_f64_e32 v[82:83], v[92:93], v[86:87]
	s_waitcnt vmcnt(6)
	v_fmac_f64_e32 v[82:83], v[94:95], v[88:89]
	ds_read2_b64 v[86:89], v84 offset0:53 offset1:54
	s_waitcnt vmcnt(4) lgkmcnt(0)
	v_fmac_f64_e32 v[82:83], v[96:97], v[86:87]
	;; [unrolled: 5-line block ×3, first 2 shown]
	buffer_load_dword v87, off, s[0:3], 0 offset:132
	buffer_load_dword v86, off, s[0:3], 0 offset:128
	buffer_load_dword v91, off, s[0:3], 0 offset:140
	buffer_load_dword v90, off, s[0:3], 0 offset:136
	s_waitcnt vmcnt(2)
	v_fmac_f64_e32 v[82:83], v[86:87], v[88:89]
	ds_read2_b64 v[86:89], v84 offset0:57 offset1:58
	s_waitcnt vmcnt(0) lgkmcnt(0)
	v_fmac_f64_e32 v[82:83], v[90:91], v[86:87]
	buffer_load_dword v87, off, s[0:3], 0 offset:148
	buffer_load_dword v86, off, s[0:3], 0 offset:144
	buffer_load_dword v91, off, s[0:3], 0 offset:156
	buffer_load_dword v90, off, s[0:3], 0 offset:152
	s_waitcnt vmcnt(2)
	v_fmac_f64_e32 v[82:83], v[86:87], v[88:89]
	ds_read2_b64 v[86:89], v84 offset0:59 offset1:60
	s_waitcnt vmcnt(0) lgkmcnt(0)
	v_fmac_f64_e32 v[82:83], v[90:91], v[86:87]
	;; [unrolled: 9-line block ×10, first 2 shown]
	buffer_load_dword v87, off, s[0:3], 0 offset:292
	buffer_load_dword v86, off, s[0:3], 0 offset:288
	s_waitcnt vmcnt(0)
	v_fmac_f64_e32 v[82:83], v[86:87], v[88:89]
	buffer_load_dword v89, off, s[0:3], 0 offset:300
	buffer_load_dword v88, off, s[0:3], 0 offset:296
	ds_read2_b64 v[84:87], v84 offset0:77 offset1:78
	s_waitcnt vmcnt(0) lgkmcnt(0)
	v_fmac_f64_e32 v[82:83], v[88:89], v[84:85]
	buffer_load_dword v85, off, s[0:3], 0 offset:308
	buffer_load_dword v84, off, s[0:3], 0 offset:304
	s_waitcnt vmcnt(0)
	v_fmac_f64_e32 v[82:83], v[84:85], v[86:87]
	v_add_f64 v[80:81], v[80:81], -v[82:83]
	buffer_store_dword v81, off, s[0:3], 0 offset:68
	buffer_store_dword v80, off, s[0:3], 0 offset:64
	s_and_saveexec_b64 s[4:5], vcc
	s_cbranch_execz .LBB102_227
; %bb.226:
	buffer_load_dword v80, off, s[0:3], 0 offset:56
	buffer_load_dword v81, off, s[0:3], 0 offset:60
	v_mov_b32_e32 v82, 0
	buffer_store_dword v82, off, s[0:3], 0 offset:56
	buffer_store_dword v82, off, s[0:3], 0 offset:60
	s_waitcnt vmcnt(2)
	ds_write_b64 v1, v[80:81]
.LBB102_227:
	s_or_b64 exec, exec, s[4:5]
	s_waitcnt lgkmcnt(0)
	; wave barrier
	s_waitcnt lgkmcnt(0)
	buffer_load_dword v80, off, s[0:3], 0 offset:56
	buffer_load_dword v81, off, s[0:3], 0 offset:60
	;; [unrolled: 1-line block ×16, first 2 shown]
	v_mov_b32_e32 v84, 0
	ds_read_b128 v[86:89], v84 offset:384
	ds_read_b128 v[90:93], v84 offset:400
	ds_read_b128 v[94:97], v84 offset:416
	ds_read_b128 v[98:101], v84 offset:432
	v_cmp_lt_u32_e32 vcc, 6, v0
	s_waitcnt vmcnt(12) lgkmcnt(3)
	v_fma_f64 v[82:83], v[82:83], v[86:87], 0
	buffer_load_dword v87, off, s[0:3], 0 offset:124
	buffer_load_dword v86, off, s[0:3], 0 offset:120
	s_waitcnt vmcnt(12)
	v_fmac_f64_e32 v[82:83], v[102:103], v[88:89]
	s_waitcnt vmcnt(10) lgkmcnt(2)
	v_fmac_f64_e32 v[82:83], v[104:105], v[90:91]
	buffer_load_dword v91, off, s[0:3], 0 offset:132
	buffer_load_dword v90, off, s[0:3], 0 offset:128
	s_waitcnt vmcnt(10)
	v_fmac_f64_e32 v[82:83], v[106:107], v[92:93]
	s_waitcnt vmcnt(8) lgkmcnt(1)
	v_fmac_f64_e32 v[82:83], v[108:109], v[94:95]
	s_waitcnt vmcnt(6)
	v_fmac_f64_e32 v[82:83], v[110:111], v[96:97]
	s_waitcnt vmcnt(4) lgkmcnt(0)
	v_fmac_f64_e32 v[82:83], v[112:113], v[98:99]
	s_waitcnt vmcnt(2)
	v_fmac_f64_e32 v[82:83], v[86:87], v[100:101]
	ds_read_b128 v[86:89], v84 offset:448
	s_waitcnt vmcnt(0) lgkmcnt(0)
	v_fmac_f64_e32 v[82:83], v[90:91], v[86:87]
	buffer_load_dword v87, off, s[0:3], 0 offset:140
	buffer_load_dword v86, off, s[0:3], 0 offset:136
	buffer_load_dword v91, off, s[0:3], 0 offset:148
	buffer_load_dword v90, off, s[0:3], 0 offset:144
	s_waitcnt vmcnt(2)
	v_fmac_f64_e32 v[82:83], v[86:87], v[88:89]
	ds_read_b128 v[86:89], v84 offset:464
	s_waitcnt vmcnt(0) lgkmcnt(0)
	v_fmac_f64_e32 v[82:83], v[90:91], v[86:87]
	buffer_load_dword v87, off, s[0:3], 0 offset:156
	buffer_load_dword v86, off, s[0:3], 0 offset:152
	buffer_load_dword v91, off, s[0:3], 0 offset:164
	buffer_load_dword v90, off, s[0:3], 0 offset:160
	;; [unrolled: 9-line block ×10, first 2 shown]
	s_waitcnt vmcnt(2)
	v_fmac_f64_e32 v[82:83], v[86:87], v[88:89]
	ds_read_b128 v[86:89], v84 offset:608
	s_waitcnt vmcnt(0) lgkmcnt(0)
	v_fmac_f64_e32 v[82:83], v[90:91], v[86:87]
	buffer_load_dword v87, off, s[0:3], 0 offset:300
	buffer_load_dword v86, off, s[0:3], 0 offset:296
	s_waitcnt vmcnt(0)
	v_fmac_f64_e32 v[82:83], v[86:87], v[88:89]
	buffer_load_dword v87, off, s[0:3], 0 offset:308
	buffer_load_dword v86, off, s[0:3], 0 offset:304
	ds_read_b64 v[88:89], v84 offset:624
	s_waitcnt vmcnt(0) lgkmcnt(0)
	v_fmac_f64_e32 v[82:83], v[86:87], v[88:89]
	v_add_f64 v[80:81], v[80:81], -v[82:83]
	buffer_store_dword v81, off, s[0:3], 0 offset:60
	buffer_store_dword v80, off, s[0:3], 0 offset:56
	s_and_saveexec_b64 s[4:5], vcc
	s_cbranch_execz .LBB102_229
; %bb.228:
	buffer_load_dword v80, off, s[0:3], 0 offset:48
	buffer_load_dword v81, off, s[0:3], 0 offset:52
	s_waitcnt vmcnt(0)
	ds_write_b64 v1, v[80:81]
	buffer_store_dword v84, off, s[0:3], 0 offset:48
	buffer_store_dword v84, off, s[0:3], 0 offset:52
.LBB102_229:
	s_or_b64 exec, exec, s[4:5]
	s_waitcnt lgkmcnt(0)
	; wave barrier
	s_waitcnt lgkmcnt(0)
	buffer_load_dword v80, off, s[0:3], 0 offset:48
	buffer_load_dword v81, off, s[0:3], 0 offset:52
	;; [unrolled: 1-line block ×16, first 2 shown]
	ds_read2_b64 v[86:89], v84 offset0:47 offset1:48
	v_cmp_lt_u32_e32 vcc, 5, v0
	s_waitcnt vmcnt(12) lgkmcnt(0)
	v_fma_f64 v[82:83], v[82:83], v[86:87], 0
	s_waitcnt vmcnt(10)
	v_fmac_f64_e32 v[82:83], v[90:91], v[88:89]
	ds_read2_b64 v[86:89], v84 offset0:49 offset1:50
	s_waitcnt vmcnt(8) lgkmcnt(0)
	v_fmac_f64_e32 v[82:83], v[92:93], v[86:87]
	s_waitcnt vmcnt(6)
	v_fmac_f64_e32 v[82:83], v[94:95], v[88:89]
	ds_read2_b64 v[86:89], v84 offset0:51 offset1:52
	s_waitcnt vmcnt(4) lgkmcnt(0)
	v_fmac_f64_e32 v[82:83], v[96:97], v[86:87]
	s_waitcnt vmcnt(2)
	v_fmac_f64_e32 v[82:83], v[98:99], v[88:89]
	ds_read2_b64 v[86:89], v84 offset0:53 offset1:54
	s_waitcnt vmcnt(0) lgkmcnt(0)
	v_fmac_f64_e32 v[82:83], v[100:101], v[86:87]
	buffer_load_dword v87, off, s[0:3], 0 offset:116
	buffer_load_dword v86, off, s[0:3], 0 offset:112
	buffer_load_dword v91, off, s[0:3], 0 offset:124
	buffer_load_dword v90, off, s[0:3], 0 offset:120
	s_waitcnt vmcnt(2)
	v_fmac_f64_e32 v[82:83], v[86:87], v[88:89]
	ds_read2_b64 v[86:89], v84 offset0:55 offset1:56
	s_waitcnt vmcnt(0) lgkmcnt(0)
	v_fmac_f64_e32 v[82:83], v[90:91], v[86:87]
	buffer_load_dword v87, off, s[0:3], 0 offset:132
	buffer_load_dword v86, off, s[0:3], 0 offset:128
	buffer_load_dword v91, off, s[0:3], 0 offset:140
	buffer_load_dword v90, off, s[0:3], 0 offset:136
	s_waitcnt vmcnt(2)
	v_fmac_f64_e32 v[82:83], v[86:87], v[88:89]
	ds_read2_b64 v[86:89], v84 offset0:57 offset1:58
	s_waitcnt vmcnt(0) lgkmcnt(0)
	v_fmac_f64_e32 v[82:83], v[90:91], v[86:87]
	;; [unrolled: 9-line block ×11, first 2 shown]
	buffer_load_dword v87, off, s[0:3], 0 offset:292
	buffer_load_dword v86, off, s[0:3], 0 offset:288
	s_waitcnt vmcnt(0)
	v_fmac_f64_e32 v[82:83], v[86:87], v[88:89]
	buffer_load_dword v89, off, s[0:3], 0 offset:300
	buffer_load_dword v88, off, s[0:3], 0 offset:296
	ds_read2_b64 v[84:87], v84 offset0:77 offset1:78
	s_waitcnt vmcnt(0) lgkmcnt(0)
	v_fmac_f64_e32 v[82:83], v[88:89], v[84:85]
	buffer_load_dword v85, off, s[0:3], 0 offset:308
	buffer_load_dword v84, off, s[0:3], 0 offset:304
	s_waitcnt vmcnt(0)
	v_fmac_f64_e32 v[82:83], v[84:85], v[86:87]
	v_add_f64 v[80:81], v[80:81], -v[82:83]
	buffer_store_dword v81, off, s[0:3], 0 offset:52
	buffer_store_dword v80, off, s[0:3], 0 offset:48
	s_and_saveexec_b64 s[4:5], vcc
	s_cbranch_execz .LBB102_231
; %bb.230:
	buffer_load_dword v80, off, s[0:3], 0 offset:40
	buffer_load_dword v81, off, s[0:3], 0 offset:44
	v_mov_b32_e32 v82, 0
	buffer_store_dword v82, off, s[0:3], 0 offset:40
	buffer_store_dword v82, off, s[0:3], 0 offset:44
	s_waitcnt vmcnt(2)
	ds_write_b64 v1, v[80:81]
.LBB102_231:
	s_or_b64 exec, exec, s[4:5]
	s_waitcnt lgkmcnt(0)
	; wave barrier
	s_waitcnt lgkmcnt(0)
	buffer_load_dword v80, off, s[0:3], 0 offset:40
	buffer_load_dword v81, off, s[0:3], 0 offset:44
	;; [unrolled: 1-line block ×16, first 2 shown]
	v_mov_b32_e32 v84, 0
	ds_read_b128 v[86:89], v84 offset:368
	ds_read_b128 v[90:93], v84 offset:384
	;; [unrolled: 1-line block ×4, first 2 shown]
	v_cmp_lt_u32_e32 vcc, 4, v0
	s_waitcnt vmcnt(12) lgkmcnt(3)
	v_fma_f64 v[82:83], v[82:83], v[86:87], 0
	buffer_load_dword v87, off, s[0:3], 0 offset:108
	buffer_load_dword v86, off, s[0:3], 0 offset:104
	s_waitcnt vmcnt(12)
	v_fmac_f64_e32 v[82:83], v[102:103], v[88:89]
	s_waitcnt vmcnt(10) lgkmcnt(2)
	v_fmac_f64_e32 v[82:83], v[104:105], v[90:91]
	buffer_load_dword v91, off, s[0:3], 0 offset:116
	buffer_load_dword v90, off, s[0:3], 0 offset:112
	s_waitcnt vmcnt(10)
	v_fmac_f64_e32 v[82:83], v[106:107], v[92:93]
	s_waitcnt vmcnt(8) lgkmcnt(1)
	v_fmac_f64_e32 v[82:83], v[108:109], v[94:95]
	s_waitcnt vmcnt(6)
	v_fmac_f64_e32 v[82:83], v[110:111], v[96:97]
	s_waitcnt vmcnt(4) lgkmcnt(0)
	v_fmac_f64_e32 v[82:83], v[112:113], v[98:99]
	s_waitcnt vmcnt(2)
	v_fmac_f64_e32 v[82:83], v[86:87], v[100:101]
	ds_read_b128 v[86:89], v84 offset:432
	s_waitcnt vmcnt(0) lgkmcnt(0)
	v_fmac_f64_e32 v[82:83], v[90:91], v[86:87]
	buffer_load_dword v87, off, s[0:3], 0 offset:124
	buffer_load_dword v86, off, s[0:3], 0 offset:120
	buffer_load_dword v91, off, s[0:3], 0 offset:132
	buffer_load_dword v90, off, s[0:3], 0 offset:128
	s_waitcnt vmcnt(2)
	v_fmac_f64_e32 v[82:83], v[86:87], v[88:89]
	ds_read_b128 v[86:89], v84 offset:448
	s_waitcnt vmcnt(0) lgkmcnt(0)
	v_fmac_f64_e32 v[82:83], v[90:91], v[86:87]
	buffer_load_dword v87, off, s[0:3], 0 offset:140
	buffer_load_dword v86, off, s[0:3], 0 offset:136
	buffer_load_dword v91, off, s[0:3], 0 offset:148
	buffer_load_dword v90, off, s[0:3], 0 offset:144
	;; [unrolled: 9-line block ×11, first 2 shown]
	s_waitcnt vmcnt(2)
	v_fmac_f64_e32 v[82:83], v[86:87], v[88:89]
	ds_read_b128 v[86:89], v84 offset:608
	s_waitcnt vmcnt(0) lgkmcnt(0)
	v_fmac_f64_e32 v[82:83], v[90:91], v[86:87]
	buffer_load_dword v87, off, s[0:3], 0 offset:300
	buffer_load_dword v86, off, s[0:3], 0 offset:296
	s_waitcnt vmcnt(0)
	v_fmac_f64_e32 v[82:83], v[86:87], v[88:89]
	buffer_load_dword v87, off, s[0:3], 0 offset:308
	buffer_load_dword v86, off, s[0:3], 0 offset:304
	ds_read_b64 v[88:89], v84 offset:624
	s_waitcnt vmcnt(0) lgkmcnt(0)
	v_fmac_f64_e32 v[82:83], v[86:87], v[88:89]
	v_add_f64 v[80:81], v[80:81], -v[82:83]
	buffer_store_dword v81, off, s[0:3], 0 offset:44
	buffer_store_dword v80, off, s[0:3], 0 offset:40
	s_and_saveexec_b64 s[4:5], vcc
	s_cbranch_execz .LBB102_233
; %bb.232:
	buffer_load_dword v80, off, s[0:3], 0 offset:32
	buffer_load_dword v81, off, s[0:3], 0 offset:36
	s_waitcnt vmcnt(0)
	ds_write_b64 v1, v[80:81]
	buffer_store_dword v84, off, s[0:3], 0 offset:32
	buffer_store_dword v84, off, s[0:3], 0 offset:36
.LBB102_233:
	s_or_b64 exec, exec, s[4:5]
	s_waitcnt lgkmcnt(0)
	; wave barrier
	s_waitcnt lgkmcnt(0)
	buffer_load_dword v80, off, s[0:3], 0 offset:32
	buffer_load_dword v81, off, s[0:3], 0 offset:36
	;; [unrolled: 1-line block ×16, first 2 shown]
	ds_read2_b64 v[86:89], v84 offset0:45 offset1:46
	v_cmp_lt_u32_e32 vcc, 3, v0
	s_waitcnt vmcnt(12) lgkmcnt(0)
	v_fma_f64 v[82:83], v[82:83], v[86:87], 0
	s_waitcnt vmcnt(10)
	v_fmac_f64_e32 v[82:83], v[90:91], v[88:89]
	ds_read2_b64 v[86:89], v84 offset0:47 offset1:48
	s_waitcnt vmcnt(8) lgkmcnt(0)
	v_fmac_f64_e32 v[82:83], v[92:93], v[86:87]
	s_waitcnt vmcnt(6)
	v_fmac_f64_e32 v[82:83], v[94:95], v[88:89]
	ds_read2_b64 v[86:89], v84 offset0:49 offset1:50
	s_waitcnt vmcnt(4) lgkmcnt(0)
	v_fmac_f64_e32 v[82:83], v[96:97], v[86:87]
	s_waitcnt vmcnt(2)
	v_fmac_f64_e32 v[82:83], v[98:99], v[88:89]
	ds_read2_b64 v[86:89], v84 offset0:51 offset1:52
	s_waitcnt vmcnt(0) lgkmcnt(0)
	v_fmac_f64_e32 v[82:83], v[100:101], v[86:87]
	buffer_load_dword v87, off, s[0:3], 0 offset:100
	buffer_load_dword v86, off, s[0:3], 0 offset:96
	buffer_load_dword v91, off, s[0:3], 0 offset:108
	buffer_load_dword v90, off, s[0:3], 0 offset:104
	s_waitcnt vmcnt(2)
	v_fmac_f64_e32 v[82:83], v[86:87], v[88:89]
	ds_read2_b64 v[86:89], v84 offset0:53 offset1:54
	s_waitcnt vmcnt(0) lgkmcnt(0)
	v_fmac_f64_e32 v[82:83], v[90:91], v[86:87]
	buffer_load_dword v87, off, s[0:3], 0 offset:116
	buffer_load_dword v86, off, s[0:3], 0 offset:112
	buffer_load_dword v91, off, s[0:3], 0 offset:124
	buffer_load_dword v90, off, s[0:3], 0 offset:120
	s_waitcnt vmcnt(2)
	v_fmac_f64_e32 v[82:83], v[86:87], v[88:89]
	ds_read2_b64 v[86:89], v84 offset0:55 offset1:56
	s_waitcnt vmcnt(0) lgkmcnt(0)
	v_fmac_f64_e32 v[82:83], v[90:91], v[86:87]
	;; [unrolled: 9-line block ×12, first 2 shown]
	buffer_load_dword v87, off, s[0:3], 0 offset:292
	buffer_load_dword v86, off, s[0:3], 0 offset:288
	s_waitcnt vmcnt(0)
	v_fmac_f64_e32 v[82:83], v[86:87], v[88:89]
	buffer_load_dword v89, off, s[0:3], 0 offset:300
	buffer_load_dword v88, off, s[0:3], 0 offset:296
	ds_read2_b64 v[84:87], v84 offset0:77 offset1:78
	s_waitcnt vmcnt(0) lgkmcnt(0)
	v_fmac_f64_e32 v[82:83], v[88:89], v[84:85]
	buffer_load_dword v85, off, s[0:3], 0 offset:308
	buffer_load_dword v84, off, s[0:3], 0 offset:304
	s_waitcnt vmcnt(0)
	v_fmac_f64_e32 v[82:83], v[84:85], v[86:87]
	v_add_f64 v[80:81], v[80:81], -v[82:83]
	buffer_store_dword v81, off, s[0:3], 0 offset:36
	buffer_store_dword v80, off, s[0:3], 0 offset:32
	s_and_saveexec_b64 s[4:5], vcc
	s_cbranch_execz .LBB102_235
; %bb.234:
	buffer_load_dword v80, off, s[0:3], 0 offset:24
	buffer_load_dword v81, off, s[0:3], 0 offset:28
	v_mov_b32_e32 v82, 0
	buffer_store_dword v82, off, s[0:3], 0 offset:24
	buffer_store_dword v82, off, s[0:3], 0 offset:28
	s_waitcnt vmcnt(2)
	ds_write_b64 v1, v[80:81]
.LBB102_235:
	s_or_b64 exec, exec, s[4:5]
	s_waitcnt lgkmcnt(0)
	; wave barrier
	s_waitcnt lgkmcnt(0)
	buffer_load_dword v80, off, s[0:3], 0 offset:24
	buffer_load_dword v81, off, s[0:3], 0 offset:28
	;; [unrolled: 1-line block ×16, first 2 shown]
	v_mov_b32_e32 v84, 0
	ds_read_b128 v[86:89], v84 offset:352
	ds_read_b128 v[90:93], v84 offset:368
	;; [unrolled: 1-line block ×4, first 2 shown]
	v_cmp_lt_u32_e32 vcc, 2, v0
	s_waitcnt vmcnt(12) lgkmcnt(3)
	v_fma_f64 v[82:83], v[82:83], v[86:87], 0
	buffer_load_dword v87, off, s[0:3], 0 offset:92
	buffer_load_dword v86, off, s[0:3], 0 offset:88
	s_waitcnt vmcnt(12)
	v_fmac_f64_e32 v[82:83], v[102:103], v[88:89]
	s_waitcnt vmcnt(10) lgkmcnt(2)
	v_fmac_f64_e32 v[82:83], v[104:105], v[90:91]
	buffer_load_dword v91, off, s[0:3], 0 offset:100
	buffer_load_dword v90, off, s[0:3], 0 offset:96
	s_waitcnt vmcnt(10)
	v_fmac_f64_e32 v[82:83], v[106:107], v[92:93]
	s_waitcnt vmcnt(8) lgkmcnt(1)
	v_fmac_f64_e32 v[82:83], v[108:109], v[94:95]
	s_waitcnt vmcnt(6)
	v_fmac_f64_e32 v[82:83], v[110:111], v[96:97]
	s_waitcnt vmcnt(4) lgkmcnt(0)
	v_fmac_f64_e32 v[82:83], v[112:113], v[98:99]
	s_waitcnt vmcnt(2)
	v_fmac_f64_e32 v[82:83], v[86:87], v[100:101]
	ds_read_b128 v[86:89], v84 offset:416
	s_waitcnt vmcnt(0) lgkmcnt(0)
	v_fmac_f64_e32 v[82:83], v[90:91], v[86:87]
	buffer_load_dword v87, off, s[0:3], 0 offset:108
	buffer_load_dword v86, off, s[0:3], 0 offset:104
	buffer_load_dword v91, off, s[0:3], 0 offset:116
	buffer_load_dword v90, off, s[0:3], 0 offset:112
	s_waitcnt vmcnt(2)
	v_fmac_f64_e32 v[82:83], v[86:87], v[88:89]
	ds_read_b128 v[86:89], v84 offset:432
	s_waitcnt vmcnt(0) lgkmcnt(0)
	v_fmac_f64_e32 v[82:83], v[90:91], v[86:87]
	buffer_load_dword v87, off, s[0:3], 0 offset:124
	buffer_load_dword v86, off, s[0:3], 0 offset:120
	buffer_load_dword v91, off, s[0:3], 0 offset:132
	buffer_load_dword v90, off, s[0:3], 0 offset:128
	;; [unrolled: 9-line block ×12, first 2 shown]
	s_waitcnt vmcnt(2)
	v_fmac_f64_e32 v[82:83], v[86:87], v[88:89]
	ds_read_b128 v[86:89], v84 offset:608
	s_waitcnt vmcnt(0) lgkmcnt(0)
	v_fmac_f64_e32 v[82:83], v[90:91], v[86:87]
	buffer_load_dword v87, off, s[0:3], 0 offset:300
	buffer_load_dword v86, off, s[0:3], 0 offset:296
	s_waitcnt vmcnt(0)
	v_fmac_f64_e32 v[82:83], v[86:87], v[88:89]
	buffer_load_dword v87, off, s[0:3], 0 offset:308
	buffer_load_dword v86, off, s[0:3], 0 offset:304
	ds_read_b64 v[88:89], v84 offset:624
	s_waitcnt vmcnt(0) lgkmcnt(0)
	v_fmac_f64_e32 v[82:83], v[86:87], v[88:89]
	v_add_f64 v[80:81], v[80:81], -v[82:83]
	buffer_store_dword v81, off, s[0:3], 0 offset:28
	buffer_store_dword v80, off, s[0:3], 0 offset:24
	s_and_saveexec_b64 s[4:5], vcc
	s_cbranch_execz .LBB102_237
; %bb.236:
	buffer_load_dword v80, off, s[0:3], 0 offset:16
	buffer_load_dword v81, off, s[0:3], 0 offset:20
	s_waitcnt vmcnt(0)
	ds_write_b64 v1, v[80:81]
	buffer_store_dword v84, off, s[0:3], 0 offset:16
	buffer_store_dword v84, off, s[0:3], 0 offset:20
.LBB102_237:
	s_or_b64 exec, exec, s[4:5]
	s_waitcnt lgkmcnt(0)
	; wave barrier
	s_waitcnt lgkmcnt(0)
	buffer_load_dword v80, off, s[0:3], 0 offset:16
	buffer_load_dword v81, off, s[0:3], 0 offset:20
	;; [unrolled: 1-line block ×16, first 2 shown]
	ds_read2_b64 v[86:89], v84 offset0:43 offset1:44
	v_cmp_lt_u32_e32 vcc, 1, v0
	s_waitcnt vmcnt(12) lgkmcnt(0)
	v_fma_f64 v[82:83], v[82:83], v[86:87], 0
	s_waitcnt vmcnt(10)
	v_fmac_f64_e32 v[82:83], v[90:91], v[88:89]
	ds_read2_b64 v[86:89], v84 offset0:45 offset1:46
	s_waitcnt vmcnt(8) lgkmcnt(0)
	v_fmac_f64_e32 v[82:83], v[92:93], v[86:87]
	s_waitcnt vmcnt(6)
	v_fmac_f64_e32 v[82:83], v[94:95], v[88:89]
	ds_read2_b64 v[86:89], v84 offset0:47 offset1:48
	s_waitcnt vmcnt(4) lgkmcnt(0)
	v_fmac_f64_e32 v[82:83], v[96:97], v[86:87]
	;; [unrolled: 5-line block ×3, first 2 shown]
	buffer_load_dword v87, off, s[0:3], 0 offset:84
	buffer_load_dword v86, off, s[0:3], 0 offset:80
	buffer_load_dword v91, off, s[0:3], 0 offset:92
	buffer_load_dword v90, off, s[0:3], 0 offset:88
	s_waitcnt vmcnt(2)
	v_fmac_f64_e32 v[82:83], v[86:87], v[88:89]
	ds_read2_b64 v[86:89], v84 offset0:51 offset1:52
	s_waitcnt vmcnt(0) lgkmcnt(0)
	v_fmac_f64_e32 v[82:83], v[90:91], v[86:87]
	buffer_load_dword v87, off, s[0:3], 0 offset:100
	buffer_load_dword v86, off, s[0:3], 0 offset:96
	buffer_load_dword v91, off, s[0:3], 0 offset:108
	buffer_load_dword v90, off, s[0:3], 0 offset:104
	s_waitcnt vmcnt(2)
	v_fmac_f64_e32 v[82:83], v[86:87], v[88:89]
	ds_read2_b64 v[86:89], v84 offset0:53 offset1:54
	s_waitcnt vmcnt(0) lgkmcnt(0)
	v_fmac_f64_e32 v[82:83], v[90:91], v[86:87]
	;; [unrolled: 9-line block ×13, first 2 shown]
	buffer_load_dword v87, off, s[0:3], 0 offset:292
	buffer_load_dword v86, off, s[0:3], 0 offset:288
	s_waitcnt vmcnt(0)
	v_fmac_f64_e32 v[82:83], v[86:87], v[88:89]
	buffer_load_dword v89, off, s[0:3], 0 offset:300
	buffer_load_dword v88, off, s[0:3], 0 offset:296
	ds_read2_b64 v[84:87], v84 offset0:77 offset1:78
	s_waitcnt vmcnt(0) lgkmcnt(0)
	v_fmac_f64_e32 v[82:83], v[88:89], v[84:85]
	buffer_load_dword v85, off, s[0:3], 0 offset:308
	buffer_load_dword v84, off, s[0:3], 0 offset:304
	s_waitcnt vmcnt(0)
	v_fmac_f64_e32 v[82:83], v[84:85], v[86:87]
	v_add_f64 v[80:81], v[80:81], -v[82:83]
	buffer_store_dword v81, off, s[0:3], 0 offset:20
	buffer_store_dword v80, off, s[0:3], 0 offset:16
	s_and_saveexec_b64 s[4:5], vcc
	s_cbranch_execz .LBB102_239
; %bb.238:
	buffer_load_dword v80, off, s[0:3], 0 offset:8
	buffer_load_dword v81, off, s[0:3], 0 offset:12
	v_mov_b32_e32 v82, 0
	buffer_store_dword v82, off, s[0:3], 0 offset:8
	buffer_store_dword v82, off, s[0:3], 0 offset:12
	s_waitcnt vmcnt(2)
	ds_write_b64 v1, v[80:81]
.LBB102_239:
	s_or_b64 exec, exec, s[4:5]
	s_waitcnt lgkmcnt(0)
	; wave barrier
	s_waitcnt lgkmcnt(0)
	buffer_load_dword v80, off, s[0:3], 0 offset:8
	buffer_load_dword v81, off, s[0:3], 0 offset:12
	buffer_load_dword v82, off, s[0:3], 0 offset:16
	buffer_load_dword v83, off, s[0:3], 0 offset:20
	buffer_load_dword v102, off, s[0:3], 0 offset:24
	buffer_load_dword v103, off, s[0:3], 0 offset:28
	buffer_load_dword v104, off, s[0:3], 0 offset:32
	buffer_load_dword v105, off, s[0:3], 0 offset:36
	buffer_load_dword v106, off, s[0:3], 0 offset:40
	buffer_load_dword v107, off, s[0:3], 0 offset:44
	buffer_load_dword v108, off, s[0:3], 0 offset:48
	buffer_load_dword v109, off, s[0:3], 0 offset:52
	buffer_load_dword v110, off, s[0:3], 0 offset:56
	buffer_load_dword v111, off, s[0:3], 0 offset:60
	buffer_load_dword v112, off, s[0:3], 0 offset:64
	buffer_load_dword v113, off, s[0:3], 0 offset:68
	v_mov_b32_e32 v84, 0
	ds_read_b128 v[86:89], v84 offset:336
	ds_read_b128 v[90:93], v84 offset:352
	;; [unrolled: 1-line block ×4, first 2 shown]
	v_cmp_ne_u32_e32 vcc, 0, v0
	s_waitcnt vmcnt(12) lgkmcnt(3)
	v_fma_f64 v[82:83], v[82:83], v[86:87], 0
	buffer_load_dword v87, off, s[0:3], 0 offset:76
	buffer_load_dword v86, off, s[0:3], 0 offset:72
	s_waitcnt vmcnt(12)
	v_fmac_f64_e32 v[82:83], v[102:103], v[88:89]
	s_waitcnt vmcnt(10) lgkmcnt(2)
	v_fmac_f64_e32 v[82:83], v[104:105], v[90:91]
	buffer_load_dword v91, off, s[0:3], 0 offset:84
	buffer_load_dword v90, off, s[0:3], 0 offset:80
	s_waitcnt vmcnt(10)
	v_fmac_f64_e32 v[82:83], v[106:107], v[92:93]
	s_waitcnt vmcnt(8) lgkmcnt(1)
	v_fmac_f64_e32 v[82:83], v[108:109], v[94:95]
	s_waitcnt vmcnt(6)
	v_fmac_f64_e32 v[82:83], v[110:111], v[96:97]
	s_waitcnt vmcnt(4) lgkmcnt(0)
	v_fmac_f64_e32 v[82:83], v[112:113], v[98:99]
	s_waitcnt vmcnt(2)
	v_fmac_f64_e32 v[82:83], v[86:87], v[100:101]
	ds_read_b128 v[86:89], v84 offset:400
	s_waitcnt vmcnt(0) lgkmcnt(0)
	v_fmac_f64_e32 v[82:83], v[90:91], v[86:87]
	buffer_load_dword v87, off, s[0:3], 0 offset:92
	buffer_load_dword v86, off, s[0:3], 0 offset:88
	buffer_load_dword v91, off, s[0:3], 0 offset:100
	buffer_load_dword v90, off, s[0:3], 0 offset:96
	s_waitcnt vmcnt(2)
	v_fmac_f64_e32 v[82:83], v[86:87], v[88:89]
	ds_read_b128 v[86:89], v84 offset:416
	s_waitcnt vmcnt(0) lgkmcnt(0)
	v_fmac_f64_e32 v[82:83], v[90:91], v[86:87]
	buffer_load_dword v87, off, s[0:3], 0 offset:108
	buffer_load_dword v86, off, s[0:3], 0 offset:104
	buffer_load_dword v91, off, s[0:3], 0 offset:116
	buffer_load_dword v90, off, s[0:3], 0 offset:112
	;; [unrolled: 9-line block ×13, first 2 shown]
	s_waitcnt vmcnt(2)
	v_fmac_f64_e32 v[82:83], v[86:87], v[88:89]
	ds_read_b128 v[86:89], v84 offset:608
	s_waitcnt vmcnt(0) lgkmcnt(0)
	v_fmac_f64_e32 v[82:83], v[90:91], v[86:87]
	buffer_load_dword v87, off, s[0:3], 0 offset:300
	buffer_load_dword v86, off, s[0:3], 0 offset:296
	s_waitcnt vmcnt(0)
	v_fmac_f64_e32 v[82:83], v[86:87], v[88:89]
	buffer_load_dword v87, off, s[0:3], 0 offset:308
	buffer_load_dword v86, off, s[0:3], 0 offset:304
	ds_read_b64 v[88:89], v84 offset:624
	s_waitcnt vmcnt(0) lgkmcnt(0)
	v_fmac_f64_e32 v[82:83], v[86:87], v[88:89]
	v_add_f64 v[80:81], v[80:81], -v[82:83]
	buffer_store_dword v81, off, s[0:3], 0 offset:12
	buffer_store_dword v80, off, s[0:3], 0 offset:8
	s_and_saveexec_b64 s[4:5], vcc
	s_cbranch_execz .LBB102_241
; %bb.240:
	buffer_load_dword v80, off, s[0:3], 0
	buffer_load_dword v81, off, s[0:3], 0 offset:4
	s_waitcnt vmcnt(0)
	ds_write_b64 v1, v[80:81]
	buffer_store_dword v84, off, s[0:3], 0
	buffer_store_dword v84, off, s[0:3], 0 offset:4
.LBB102_241:
	s_or_b64 exec, exec, s[4:5]
	s_waitcnt lgkmcnt(0)
	; wave barrier
	s_waitcnt lgkmcnt(0)
	buffer_load_dword v0, off, s[0:3], 0
	buffer_load_dword v1, off, s[0:3], 0 offset:4
	buffer_load_dword v86, off, s[0:3], 0 offset:8
	;; [unrolled: 1-line block ×15, first 2 shown]
	ds_read2_b64 v[80:83], v84 offset0:41 offset1:42
	s_and_b64 vcc, exec, s[16:17]
	s_waitcnt vmcnt(12) lgkmcnt(0)
	v_fma_f64 v[80:81], v[86:87], v[80:81], 0
	s_waitcnt vmcnt(10)
	v_fmac_f64_e32 v[80:81], v[88:89], v[82:83]
	ds_read2_b64 v[86:89], v84 offset0:43 offset1:44
	s_waitcnt vmcnt(8) lgkmcnt(0)
	v_fmac_f64_e32 v[80:81], v[90:91], v[86:87]
	s_waitcnt vmcnt(6)
	v_fmac_f64_e32 v[80:81], v[92:93], v[88:89]
	ds_read2_b64 v[86:89], v84 offset0:45 offset1:46
	s_waitcnt vmcnt(4) lgkmcnt(0)
	v_fmac_f64_e32 v[80:81], v[94:95], v[86:87]
	s_waitcnt vmcnt(2)
	v_fmac_f64_e32 v[80:81], v[96:97], v[88:89]
	ds_read2_b64 v[86:89], v84 offset0:47 offset1:48
	buffer_load_dword v83, off, s[0:3], 0 offset:68
	buffer_load_dword v82, off, s[0:3], 0 offset:64
	s_waitcnt vmcnt(2) lgkmcnt(0)
	v_fmac_f64_e32 v[80:81], v[98:99], v[86:87]
	s_waitcnt vmcnt(0)
	v_fmac_f64_e32 v[80:81], v[82:83], v[88:89]
	buffer_load_dword v83, off, s[0:3], 0 offset:76
	buffer_load_dword v82, off, s[0:3], 0 offset:72
	ds_read2_b64 v[86:89], v84 offset0:49 offset1:50
	s_waitcnt vmcnt(0) lgkmcnt(0)
	v_fmac_f64_e32 v[80:81], v[82:83], v[86:87]
	buffer_load_dword v83, off, s[0:3], 0 offset:84
	buffer_load_dword v82, off, s[0:3], 0 offset:80
	s_waitcnt vmcnt(0)
	v_fmac_f64_e32 v[80:81], v[82:83], v[88:89]
	buffer_load_dword v83, off, s[0:3], 0 offset:92
	buffer_load_dword v82, off, s[0:3], 0 offset:88
	ds_read2_b64 v[86:89], v84 offset0:51 offset1:52
	s_waitcnt vmcnt(0) lgkmcnt(0)
	v_fmac_f64_e32 v[80:81], v[82:83], v[86:87]
	buffer_load_dword v83, off, s[0:3], 0 offset:100
	buffer_load_dword v82, off, s[0:3], 0 offset:96
	;; [unrolled: 9-line block ×15, first 2 shown]
	s_waitcnt vmcnt(0)
	v_fmac_f64_e32 v[80:81], v[84:85], v[86:87]
	v_add_f64 v[0:1], v[0:1], -v[80:81]
	buffer_store_dword v1, off, s[0:3], 0 offset:4
	buffer_store_dword v0, off, s[0:3], 0
	s_cbranch_vccz .LBB102_319
; %bb.242:
	v_pk_mov_b32 v[0:1], s[10:11], s[10:11] op_sel:[0,1]
	flat_load_dword v0, v[0:1] offset:148
	s_waitcnt vmcnt(0) lgkmcnt(0)
	v_add_u32_e32 v0, -1, v0
	v_cmp_ne_u32_e32 vcc, 37, v0
	s_and_saveexec_b64 s[4:5], vcc
	s_cbranch_execz .LBB102_244
; %bb.243:
	v_mov_b32_e32 v1, 0
	v_lshl_add_u32 v0, v0, 3, v1
	buffer_load_dword v1, v0, s[0:3], 0 offen
	buffer_load_dword v80, v0, s[0:3], 0 offen offset:4
	s_waitcnt vmcnt(1)
	buffer_store_dword v1, off, s[0:3], 0 offset:296
	s_waitcnt vmcnt(1)
	buffer_store_dword v80, off, s[0:3], 0 offset:300
	buffer_store_dword v82, v0, s[0:3], 0 offen
	buffer_store_dword v83, v0, s[0:3], 0 offen offset:4
.LBB102_244:
	s_or_b64 exec, exec, s[4:5]
	v_pk_mov_b32 v[0:1], s[10:11], s[10:11] op_sel:[0,1]
	flat_load_dword v0, v[0:1] offset:144
	s_waitcnt vmcnt(0) lgkmcnt(0)
	v_add_u32_e32 v0, -1, v0
	v_cmp_ne_u32_e32 vcc, 36, v0
	s_and_saveexec_b64 s[4:5], vcc
	s_cbranch_execz .LBB102_246
; %bb.245:
	v_mov_b32_e32 v1, 0
	v_lshl_add_u32 v0, v0, 3, v1
	buffer_load_dword v1, v0, s[0:3], 0 offen
	buffer_load_dword v80, v0, s[0:3], 0 offen offset:4
	buffer_load_dword v81, off, s[0:3], 0 offset:292
	buffer_load_dword v82, off, s[0:3], 0 offset:288
	s_waitcnt vmcnt(3)
	buffer_store_dword v1, off, s[0:3], 0 offset:288
	s_waitcnt vmcnt(3)
	buffer_store_dword v80, off, s[0:3], 0 offset:292
	s_waitcnt vmcnt(3)
	buffer_store_dword v81, v0, s[0:3], 0 offen offset:4
	s_waitcnt vmcnt(3)
	buffer_store_dword v82, v0, s[0:3], 0 offen
.LBB102_246:
	s_or_b64 exec, exec, s[4:5]
	v_pk_mov_b32 v[0:1], s[10:11], s[10:11] op_sel:[0,1]
	flat_load_dword v0, v[0:1] offset:140
	s_waitcnt vmcnt(0) lgkmcnt(0)
	v_add_u32_e32 v0, -1, v0
	v_cmp_ne_u32_e32 vcc, 35, v0
	s_and_saveexec_b64 s[4:5], vcc
	s_cbranch_execz .LBB102_248
; %bb.247:
	v_mov_b32_e32 v1, 0
	v_lshl_add_u32 v0, v0, 3, v1
	buffer_load_dword v1, v0, s[0:3], 0 offen
	buffer_load_dword v80, v0, s[0:3], 0 offen offset:4
	buffer_load_dword v81, off, s[0:3], 0 offset:280
	buffer_load_dword v82, off, s[0:3], 0 offset:284
	s_waitcnt vmcnt(3)
	buffer_store_dword v1, off, s[0:3], 0 offset:280
	s_waitcnt vmcnt(3)
	buffer_store_dword v80, off, s[0:3], 0 offset:284
	s_waitcnt vmcnt(3)
	buffer_store_dword v81, v0, s[0:3], 0 offen
	s_waitcnt vmcnt(3)
	buffer_store_dword v82, v0, s[0:3], 0 offen offset:4
.LBB102_248:
	s_or_b64 exec, exec, s[4:5]
	v_pk_mov_b32 v[0:1], s[10:11], s[10:11] op_sel:[0,1]
	flat_load_dword v0, v[0:1] offset:136
	s_waitcnt vmcnt(0) lgkmcnt(0)
	v_add_u32_e32 v0, -1, v0
	v_cmp_ne_u32_e32 vcc, 34, v0
	s_and_saveexec_b64 s[4:5], vcc
	s_cbranch_execz .LBB102_250
; %bb.249:
	v_mov_b32_e32 v1, 0
	v_lshl_add_u32 v0, v0, 3, v1
	buffer_load_dword v1, v0, s[0:3], 0 offen
	buffer_load_dword v80, v0, s[0:3], 0 offen offset:4
	buffer_load_dword v81, off, s[0:3], 0 offset:276
	buffer_load_dword v82, off, s[0:3], 0 offset:272
	s_waitcnt vmcnt(3)
	buffer_store_dword v1, off, s[0:3], 0 offset:272
	s_waitcnt vmcnt(3)
	buffer_store_dword v80, off, s[0:3], 0 offset:276
	s_waitcnt vmcnt(3)
	buffer_store_dword v81, v0, s[0:3], 0 offen offset:4
	s_waitcnt vmcnt(3)
	buffer_store_dword v82, v0, s[0:3], 0 offen
.LBB102_250:
	s_or_b64 exec, exec, s[4:5]
	v_pk_mov_b32 v[0:1], s[10:11], s[10:11] op_sel:[0,1]
	flat_load_dword v0, v[0:1] offset:132
	s_waitcnt vmcnt(0) lgkmcnt(0)
	v_add_u32_e32 v0, -1, v0
	v_cmp_ne_u32_e32 vcc, 33, v0
	s_and_saveexec_b64 s[4:5], vcc
	s_cbranch_execz .LBB102_252
; %bb.251:
	v_mov_b32_e32 v1, 0
	v_lshl_add_u32 v0, v0, 3, v1
	buffer_load_dword v1, v0, s[0:3], 0 offen
	buffer_load_dword v80, v0, s[0:3], 0 offen offset:4
	buffer_load_dword v81, off, s[0:3], 0 offset:264
	buffer_load_dword v82, off, s[0:3], 0 offset:268
	s_waitcnt vmcnt(3)
	buffer_store_dword v1, off, s[0:3], 0 offset:264
	s_waitcnt vmcnt(3)
	buffer_store_dword v80, off, s[0:3], 0 offset:268
	s_waitcnt vmcnt(3)
	buffer_store_dword v81, v0, s[0:3], 0 offen
	s_waitcnt vmcnt(3)
	buffer_store_dword v82, v0, s[0:3], 0 offen offset:4
.LBB102_252:
	;; [unrolled: 48-line block ×18, first 2 shown]
	s_or_b64 exec, exec, s[4:5]
	v_pk_mov_b32 v[0:1], s[10:11], s[10:11] op_sel:[0,1]
	flat_load_dword v80, v[0:1]
	s_nop 0
	buffer_load_dword v0, off, s[0:3], 0
	buffer_load_dword v1, off, s[0:3], 0 offset:4
	s_waitcnt vmcnt(0) lgkmcnt(0)
	v_add_u32_e32 v80, -1, v80
	v_cmp_ne_u32_e32 vcc, 0, v80
	s_and_saveexec_b64 s[4:5], vcc
	s_cbranch_execz .LBB102_318
; %bb.317:
	v_mov_b32_e32 v81, 0
	v_lshl_add_u32 v80, v80, 3, v81
	buffer_load_dword v81, v80, s[0:3], 0 offen offset:4
	buffer_load_dword v82, v80, s[0:3], 0 offen
	s_waitcnt vmcnt(1)
	buffer_store_dword v81, off, s[0:3], 0 offset:4
	s_waitcnt vmcnt(1)
	buffer_store_dword v82, off, s[0:3], 0
	buffer_store_dword v1, v80, s[0:3], 0 offen offset:4
	buffer_store_dword v0, v80, s[0:3], 0 offen
	buffer_load_dword v0, off, s[0:3], 0
	s_nop 0
	buffer_load_dword v1, off, s[0:3], 0 offset:4
.LBB102_318:
	s_or_b64 exec, exec, s[4:5]
.LBB102_319:
	s_waitcnt vmcnt(0)
	global_store_dwordx2 v[78:79], v[0:1], off
	buffer_load_dword v0, off, s[0:3], 0 offset:8
	s_nop 0
	buffer_load_dword v1, off, s[0:3], 0 offset:12
	buffer_load_dword v78, off, s[0:3], 0 offset:16
	;; [unrolled: 1-line block ×15, first 2 shown]
	s_waitcnt vmcnt(14)
	global_store_dwordx2 v[76:77], v[0:1], off
	s_waitcnt vmcnt(13)
	global_store_dwordx2 v[2:3], v[78:79], off
	;; [unrolled: 2-line block ×8, first 2 shown]
	buffer_load_dword v0, off, s[0:3], 0 offset:72
	buffer_load_dword v1, off, s[0:3], 0 offset:76
	s_waitcnt vmcnt(0)
	global_store_dwordx2 v[14:15], v[0:1], off
	buffer_load_dword v0, off, s[0:3], 0 offset:80
	s_nop 0
	buffer_load_dword v1, off, s[0:3], 0 offset:84
	s_waitcnt vmcnt(0)
	global_store_dwordx2 v[16:17], v[0:1], off
	buffer_load_dword v0, off, s[0:3], 0 offset:88
	s_nop 0
	;; [unrolled: 5-line block ×29, first 2 shown]
	buffer_load_dword v1, off, s[0:3], 0 offset:308
	s_waitcnt vmcnt(0)
	global_store_dwordx2 v[60:61], v[0:1], off
	s_endpgm
	.section	.rodata,"a",@progbits
	.p2align	6, 0x0
	.amdhsa_kernel _ZN9rocsolver6v33100L18getri_kernel_smallILi39EdPKPdEEvT1_iilPiilS6_bb
		.amdhsa_group_segment_fixed_size 632
		.amdhsa_private_segment_fixed_size 320
		.amdhsa_kernarg_size 60
		.amdhsa_user_sgpr_count 8
		.amdhsa_user_sgpr_private_segment_buffer 1
		.amdhsa_user_sgpr_dispatch_ptr 0
		.amdhsa_user_sgpr_queue_ptr 0
		.amdhsa_user_sgpr_kernarg_segment_ptr 1
		.amdhsa_user_sgpr_dispatch_id 0
		.amdhsa_user_sgpr_flat_scratch_init 1
		.amdhsa_user_sgpr_kernarg_preload_length 0
		.amdhsa_user_sgpr_kernarg_preload_offset 0
		.amdhsa_user_sgpr_private_segment_size 0
		.amdhsa_uses_dynamic_stack 0
		.amdhsa_system_sgpr_private_segment_wavefront_offset 1
		.amdhsa_system_sgpr_workgroup_id_x 1
		.amdhsa_system_sgpr_workgroup_id_y 0
		.amdhsa_system_sgpr_workgroup_id_z 0
		.amdhsa_system_sgpr_workgroup_info 0
		.amdhsa_system_vgpr_workitem_id 0
		.amdhsa_next_free_vgpr 124
		.amdhsa_next_free_sgpr 22
		.amdhsa_accum_offset 124
		.amdhsa_reserve_vcc 1
		.amdhsa_reserve_flat_scratch 1
		.amdhsa_float_round_mode_32 0
		.amdhsa_float_round_mode_16_64 0
		.amdhsa_float_denorm_mode_32 3
		.amdhsa_float_denorm_mode_16_64 3
		.amdhsa_dx10_clamp 1
		.amdhsa_ieee_mode 1
		.amdhsa_fp16_overflow 0
		.amdhsa_tg_split 0
		.amdhsa_exception_fp_ieee_invalid_op 0
		.amdhsa_exception_fp_denorm_src 0
		.amdhsa_exception_fp_ieee_div_zero 0
		.amdhsa_exception_fp_ieee_overflow 0
		.amdhsa_exception_fp_ieee_underflow 0
		.amdhsa_exception_fp_ieee_inexact 0
		.amdhsa_exception_int_div_zero 0
	.end_amdhsa_kernel
	.section	.text._ZN9rocsolver6v33100L18getri_kernel_smallILi39EdPKPdEEvT1_iilPiilS6_bb,"axG",@progbits,_ZN9rocsolver6v33100L18getri_kernel_smallILi39EdPKPdEEvT1_iilPiilS6_bb,comdat
.Lfunc_end102:
	.size	_ZN9rocsolver6v33100L18getri_kernel_smallILi39EdPKPdEEvT1_iilPiilS6_bb, .Lfunc_end102-_ZN9rocsolver6v33100L18getri_kernel_smallILi39EdPKPdEEvT1_iilPiilS6_bb
                                        ; -- End function
	.section	.AMDGPU.csdata,"",@progbits
; Kernel info:
; codeLenInByte = 41272
; NumSgprs: 28
; NumVgprs: 124
; NumAgprs: 0
; TotalNumVgprs: 124
; ScratchSize: 320
; MemoryBound: 0
; FloatMode: 240
; IeeeMode: 1
; LDSByteSize: 632 bytes/workgroup (compile time only)
; SGPRBlocks: 3
; VGPRBlocks: 15
; NumSGPRsForWavesPerEU: 28
; NumVGPRsForWavesPerEU: 124
; AccumOffset: 124
; Occupancy: 4
; WaveLimiterHint : 1
; COMPUTE_PGM_RSRC2:SCRATCH_EN: 1
; COMPUTE_PGM_RSRC2:USER_SGPR: 8
; COMPUTE_PGM_RSRC2:TRAP_HANDLER: 0
; COMPUTE_PGM_RSRC2:TGID_X_EN: 1
; COMPUTE_PGM_RSRC2:TGID_Y_EN: 0
; COMPUTE_PGM_RSRC2:TGID_Z_EN: 0
; COMPUTE_PGM_RSRC2:TIDIG_COMP_CNT: 0
; COMPUTE_PGM_RSRC3_GFX90A:ACCUM_OFFSET: 30
; COMPUTE_PGM_RSRC3_GFX90A:TG_SPLIT: 0
	.section	.text._ZN9rocsolver6v33100L18getri_kernel_smallILi40EdPKPdEEvT1_iilPiilS6_bb,"axG",@progbits,_ZN9rocsolver6v33100L18getri_kernel_smallILi40EdPKPdEEvT1_iilPiilS6_bb,comdat
	.globl	_ZN9rocsolver6v33100L18getri_kernel_smallILi40EdPKPdEEvT1_iilPiilS6_bb ; -- Begin function _ZN9rocsolver6v33100L18getri_kernel_smallILi40EdPKPdEEvT1_iilPiilS6_bb
	.p2align	8
	.type	_ZN9rocsolver6v33100L18getri_kernel_smallILi40EdPKPdEEvT1_iilPiilS6_bb,@function
_ZN9rocsolver6v33100L18getri_kernel_smallILi40EdPKPdEEvT1_iilPiilS6_bb: ; @_ZN9rocsolver6v33100L18getri_kernel_smallILi40EdPKPdEEvT1_iilPiilS6_bb
; %bb.0:
	s_add_u32 flat_scratch_lo, s6, s9
	s_addc_u32 flat_scratch_hi, s7, 0
	s_add_u32 s0, s0, s9
	s_addc_u32 s1, s1, 0
	v_cmp_gt_u32_e32 vcc, 40, v0
	s_and_saveexec_b64 s[6:7], vcc
	s_cbranch_execz .LBB103_168
; %bb.1:
	s_load_dword s18, s[4:5], 0x38
	s_load_dwordx2 s[6:7], s[4:5], 0x0
	s_load_dwordx4 s[12:15], s[4:5], 0x28
	s_waitcnt lgkmcnt(0)
	s_bitcmp1_b32 s18, 8
	s_cselect_b64 s[16:17], -1, 0
	s_ashr_i32 s9, s8, 31
	s_lshl_b64 s[10:11], s[8:9], 3
	s_add_u32 s6, s6, s10
	s_addc_u32 s7, s7, s11
	s_load_dwordx2 s[6:7], s[6:7], 0x0
	s_bfe_u32 s10, s18, 0x10008
	s_cmp_eq_u32 s10, 0
                                        ; implicit-def: $sgpr10_sgpr11
	s_cbranch_scc1 .LBB103_3
; %bb.2:
	s_load_dword s10, s[4:5], 0x20
	s_load_dwordx2 s[20:21], s[4:5], 0x18
	s_mul_i32 s11, s8, s13
	s_mul_hi_u32 s13, s8, s12
	s_add_i32 s13, s13, s11
	s_mul_i32 s19, s9, s12
	s_add_i32 s13, s13, s19
	s_mul_i32 s12, s8, s12
	s_waitcnt lgkmcnt(0)
	s_ashr_i32 s11, s10, 31
	s_lshl_b64 s[12:13], s[12:13], 2
	s_add_u32 s12, s20, s12
	s_addc_u32 s13, s21, s13
	s_lshl_b64 s[10:11], s[10:11], 2
	s_add_u32 s10, s12, s10
	s_addc_u32 s11, s13, s11
.LBB103_3:
	s_load_dwordx2 s[4:5], s[4:5], 0x8
	s_waitcnt lgkmcnt(0)
	s_ashr_i32 s13, s4, 31
	s_mov_b32 s12, s4
	s_lshl_b64 s[12:13], s[12:13], 3
	s_add_u32 s6, s6, s12
	s_addc_u32 s7, s7, s13
	s_add_i32 s4, s5, s5
	v_add_u32_e32 v4, s4, v0
	v_ashrrev_i32_e32 v5, 31, v4
	v_lshlrev_b64 v[2:3], 3, v[4:5]
	v_add_u32_e32 v6, s5, v4
	v_mov_b32_e32 v1, s7
	v_add_co_u32_e32 v2, vcc, s6, v2
	v_ashrrev_i32_e32 v7, 31, v6
	v_addc_co_u32_e32 v3, vcc, v1, v3, vcc
	v_lshlrev_b64 v[4:5], 3, v[6:7]
	v_add_u32_e32 v8, s5, v6
	v_add_co_u32_e32 v4, vcc, s6, v4
	v_ashrrev_i32_e32 v9, 31, v8
	v_addc_co_u32_e32 v5, vcc, v1, v5, vcc
	v_lshlrev_b64 v[6:7], 3, v[8:9]
	v_add_u32_e32 v10, s5, v8
	;; [unrolled: 5-line block ×5, first 2 shown]
	v_add_co_u32_e32 v12, vcc, s6, v12
	v_ashrrev_i32_e32 v15, 31, v14
	v_addc_co_u32_e32 v13, vcc, v1, v13, vcc
	v_lshlrev_b64 v[16:17], 3, v[14:15]
	v_add_co_u32_e32 v18, vcc, s6, v16
	v_add_u32_e32 v16, s5, v14
	v_addc_co_u32_e32 v19, vcc, v1, v17, vcc
	v_ashrrev_i32_e32 v17, 31, v16
	v_lshlrev_b64 v[14:15], 3, v[16:17]
	v_add_u32_e32 v20, s5, v16
	v_add_co_u32_e32 v14, vcc, s6, v14
	v_ashrrev_i32_e32 v21, 31, v20
	v_addc_co_u32_e32 v15, vcc, v1, v15, vcc
	v_lshlrev_b64 v[16:17], 3, v[20:21]
	v_add_u32_e32 v22, s5, v20
	v_add_co_u32_e32 v16, vcc, s6, v16
	v_ashrrev_i32_e32 v23, 31, v22
	v_addc_co_u32_e32 v17, vcc, v1, v17, vcc
	;; [unrolled: 5-line block ×22, first 2 shown]
	v_lshlrev_b64 v[60:61], 3, v[62:63]
	v_add_co_u32_e32 v60, vcc, s6, v60
	v_add_u32_e32 v64, s5, v62
	v_addc_co_u32_e32 v61, vcc, v1, v61, vcc
	v_ashrrev_i32_e32 v65, 31, v64
	v_lshlrev_b32_e32 v1, 3, v0
	v_lshlrev_b64 v[62:63], 3, v[64:65]
	v_mov_b32_e32 v65, s7
	v_add_co_u32_e32 v80, vcc, s6, v1
	s_ashr_i32 s13, s5, 31
	s_mov_b32 s12, s5
	v_addc_co_u32_e32 v81, vcc, 0, v65, vcc
	s_lshl_b64 s[12:13], s[12:13], 3
	v_mov_b32_e32 v65, s13
	v_add_co_u32_e32 v78, vcc, s12, v80
	v_addc_co_u32_e32 v79, vcc, v81, v65, vcc
	global_load_dwordx2 v[82:83], v1, s[6:7]
	global_load_dwordx2 v[84:85], v[78:79], off
	global_load_dwordx2 v[86:87], v[2:3], off
	global_load_dwordx2 v[88:89], v[4:5], off
	global_load_dwordx2 v[90:91], v[6:7], off
	global_load_dwordx2 v[92:93], v[8:9], off
	global_load_dwordx2 v[94:95], v[10:11], off
	global_load_dwordx2 v[96:97], v[12:13], off
	global_load_dwordx2 v[98:99], v[18:19], off
	global_load_dwordx2 v[100:101], v[14:15], off
	global_load_dwordx2 v[102:103], v[16:17], off
	global_load_dwordx2 v[104:105], v[20:21], off
	global_load_dwordx2 v[106:107], v[22:23], off
	global_load_dwordx2 v[108:109], v[24:25], off
	global_load_dwordx2 v[110:111], v[26:27], off
	global_load_dwordx2 v[112:113], v[28:29], off
	global_load_dwordx2 v[114:115], v[30:31], off
	global_load_dwordx2 v[116:117], v[32:33], off
	global_load_dwordx2 v[118:119], v[34:35], off
	v_add_u32_e32 v64, s5, v64
	v_mov_b32_e32 v66, s7
	v_add_co_u32_e32 v62, vcc, s6, v62
	v_ashrrev_i32_e32 v65, 31, v64
	v_addc_co_u32_e32 v63, vcc, v66, v63, vcc
	v_lshlrev_b64 v[66:67], 3, v[64:65]
	v_add_u32_e32 v64, s5, v64
	v_mov_b32_e32 v68, s7
	v_add_co_u32_e32 v66, vcc, s6, v66
	v_ashrrev_i32_e32 v65, 31, v64
	v_addc_co_u32_e32 v67, vcc, v68, v67, vcc
	v_lshlrev_b64 v[68:69], 3, v[64:65]
	;; [unrolled: 6-line block ×7, first 2 shown]
	v_add_co_u32_e32 v64, vcc, s6, v64
	v_addc_co_u32_e32 v65, vcc, v120, v65, vcc
	global_load_dwordx2 v[120:121], v[64:65], off
	s_waitcnt vmcnt(19)
	buffer_store_dword v83, off, s[0:3], 0 offset:4
	buffer_store_dword v82, off, s[0:3], 0
	s_waitcnt vmcnt(20)
	buffer_store_dword v85, off, s[0:3], 0 offset:12
	buffer_store_dword v84, off, s[0:3], 0 offset:8
	s_waitcnt vmcnt(21)
	buffer_store_dword v87, off, s[0:3], 0 offset:20
	buffer_store_dword v86, off, s[0:3], 0 offset:16
	;; [unrolled: 3-line block ×8, first 2 shown]
	s_waitcnt vmcnt(28)
	buffer_store_dword v100, off, s[0:3], 0 offset:72
	global_load_dwordx2 v[82:83], v[36:37], off
	global_load_dwordx2 v[84:85], v[38:39], off
	;; [unrolled: 1-line block ×10, first 2 shown]
	s_bitcmp0_b32 s18, 0
	buffer_store_dword v101, off, s[0:3], 0 offset:76
	global_load_dwordx2 v[100:101], v[54:55], off
	s_mov_b64 s[6:7], -1
	s_waitcnt vmcnt(40)
	buffer_store_dword v102, off, s[0:3], 0 offset:80
	buffer_store_dword v103, off, s[0:3], 0 offset:84
	global_load_dwordx2 v[102:103], v[56:57], off
	s_waitcnt vmcnt(42)
	buffer_store_dword v104, off, s[0:3], 0 offset:88
	buffer_store_dword v105, off, s[0:3], 0 offset:92
	global_load_dwordx2 v[104:105], v[58:59], off
	;; [unrolled: 4-line block ×9, first 2 shown]
	s_waitcnt vmcnt(38)
	buffer_store_dword v83, off, s[0:3], 0 offset:156
	buffer_store_dword v82, off, s[0:3], 0 offset:152
	s_waitcnt vmcnt(39)
	buffer_store_dword v85, off, s[0:3], 0 offset:164
	buffer_store_dword v84, off, s[0:3], 0 offset:160
	;; [unrolled: 3-line block ×18, first 2 shown]
	buffer_store_dword v123, off, s[0:3], 0 offset:300
	buffer_store_dword v122, off, s[0:3], 0 offset:296
	s_waitcnt vmcnt(38)
	buffer_store_dword v119, off, s[0:3], 0 offset:308
	buffer_store_dword v118, off, s[0:3], 0 offset:304
	;; [unrolled: 1-line block ×4, first 2 shown]
	s_cbranch_scc1 .LBB103_166
; %bb.4:
	v_cmp_eq_u32_e64 s[4:5], 0, v0
	s_and_saveexec_b64 s[6:7], s[4:5]
	s_cbranch_execz .LBB103_6
; %bb.5:
	v_mov_b32_e32 v82, 0
	ds_write_b32 v82, v82 offset:640
.LBB103_6:
	s_or_b64 exec, exec, s[6:7]
	v_mov_b32_e32 v82, 0
	v_lshl_add_u32 v82, v0, 3, v82
	s_waitcnt lgkmcnt(0)
	; wave barrier
	s_waitcnt lgkmcnt(0)
	buffer_load_dword v84, v82, s[0:3], 0 offen
	buffer_load_dword v85, v82, s[0:3], 0 offen offset:4
	s_waitcnt vmcnt(0)
	v_cmp_eq_f64_e32 vcc, 0, v[84:85]
	s_and_saveexec_b64 s[12:13], vcc
	s_cbranch_execz .LBB103_10
; %bb.7:
	v_mov_b32_e32 v83, 0
	ds_read_b32 v85, v83 offset:640
	v_add_u32_e32 v84, 1, v0
	s_waitcnt lgkmcnt(0)
	v_readfirstlane_b32 s6, v85
	s_cmp_eq_u32 s6, 0
	s_cselect_b64 s[18:19], -1, 0
	v_cmp_gt_i32_e32 vcc, s6, v84
	s_or_b64 s[18:19], s[18:19], vcc
	s_and_b64 exec, exec, s[18:19]
	s_cbranch_execz .LBB103_10
; %bb.8:
	s_mov_b64 s[18:19], 0
	v_mov_b32_e32 v85, s6
.LBB103_9:                              ; =>This Inner Loop Header: Depth=1
	ds_cmpst_rtn_b32 v85, v83, v85, v84 offset:640
	s_waitcnt lgkmcnt(0)
	v_cmp_ne_u32_e32 vcc, 0, v85
	v_cmp_le_i32_e64 s[6:7], v85, v84
	s_and_b64 s[6:7], vcc, s[6:7]
	s_and_b64 s[6:7], exec, s[6:7]
	s_or_b64 s[18:19], s[6:7], s[18:19]
	s_andn2_b64 exec, exec, s[18:19]
	s_cbranch_execnz .LBB103_9
.LBB103_10:
	s_or_b64 exec, exec, s[12:13]
	v_mov_b32_e32 v84, 0
	s_waitcnt lgkmcnt(0)
	; wave barrier
	ds_read_b32 v83, v84 offset:640
	s_and_saveexec_b64 s[6:7], s[4:5]
	s_cbranch_execz .LBB103_12
; %bb.11:
	s_lshl_b64 s[12:13], s[8:9], 2
	s_add_u32 s12, s14, s12
	s_addc_u32 s13, s15, s13
	s_waitcnt lgkmcnt(0)
	global_store_dword v84, v83, s[12:13]
.LBB103_12:
	s_or_b64 exec, exec, s[6:7]
	s_waitcnt lgkmcnt(0)
	v_cmp_ne_u32_e32 vcc, 0, v83
	s_mov_b64 s[6:7], 0
	s_cbranch_vccnz .LBB103_166
; %bb.13:
	buffer_load_dword v84, v82, s[0:3], 0 offen
	buffer_load_dword v85, v82, s[0:3], 0 offen offset:4
	s_waitcnt vmcnt(0)
	v_div_scale_f64 v[86:87], s[6:7], v[84:85], v[84:85], 1.0
	v_rcp_f64_e32 v[88:89], v[86:87]
	v_div_scale_f64 v[90:91], vcc, 1.0, v[84:85], 1.0
	v_fma_f64 v[92:93], -v[86:87], v[88:89], 1.0
	v_fmac_f64_e32 v[88:89], v[88:89], v[92:93]
	v_fma_f64 v[92:93], -v[86:87], v[88:89], 1.0
	v_fmac_f64_e32 v[88:89], v[88:89], v[92:93]
	v_mul_f64 v[92:93], v[90:91], v[88:89]
	v_fma_f64 v[86:87], -v[86:87], v[92:93], v[90:91]
	v_div_fmas_f64 v[86:87], v[86:87], v[88:89], v[92:93]
	v_div_fixup_f64 v[86:87], v[86:87], v[84:85], 1.0
	buffer_store_dword v87, v82, s[0:3], 0 offen offset:4
	buffer_store_dword v86, v82, s[0:3], 0 offen
	buffer_load_dword v89, off, s[0:3], 0 offset:12
	buffer_load_dword v88, off, s[0:3], 0 offset:8
	v_add_u32_e32 v84, 0x140, v1
	v_xor_b32_e32 v87, 0x80000000, v87
	s_waitcnt vmcnt(0)
	ds_write2_b64 v1, v[86:87], v[88:89] offset1:40
	s_waitcnt lgkmcnt(0)
	; wave barrier
	s_waitcnt lgkmcnt(0)
	s_and_saveexec_b64 s[6:7], s[4:5]
	s_cbranch_execz .LBB103_15
; %bb.14:
	buffer_load_dword v86, v82, s[0:3], 0 offen
	buffer_load_dword v87, v82, s[0:3], 0 offen offset:4
	v_mov_b32_e32 v83, 0
	ds_read_b64 v[88:89], v84
	ds_read_b64 v[90:91], v83 offset:8
	s_waitcnt vmcnt(0) lgkmcnt(1)
	v_fma_f64 v[86:87], v[86:87], v[88:89], 0
	s_waitcnt lgkmcnt(0)
	v_mul_f64 v[86:87], v[86:87], v[90:91]
	buffer_store_dword v86, off, s[0:3], 0 offset:8
	buffer_store_dword v87, off, s[0:3], 0 offset:12
.LBB103_15:
	s_or_b64 exec, exec, s[6:7]
	s_waitcnt lgkmcnt(0)
	; wave barrier
	buffer_load_dword v86, off, s[0:3], 0 offset:16
	buffer_load_dword v87, off, s[0:3], 0 offset:20
	v_cmp_gt_u32_e32 vcc, 2, v0
	s_waitcnt vmcnt(0)
	ds_write_b64 v84, v[86:87]
	s_waitcnt lgkmcnt(0)
	; wave barrier
	s_waitcnt lgkmcnt(0)
	s_and_saveexec_b64 s[6:7], vcc
	s_cbranch_execz .LBB103_17
; %bb.16:
	buffer_load_dword v83, v82, s[0:3], 0 offen offset:4
	buffer_load_dword v90, off, s[0:3], 0 offset:8
	s_nop 0
	buffer_load_dword v82, v82, s[0:3], 0 offen
	s_nop 0
	buffer_load_dword v91, off, s[0:3], 0 offset:12
	ds_read_b64 v[92:93], v84
	v_mov_b32_e32 v85, 0
	ds_read2_b64 v[86:89], v85 offset0:2 offset1:41
	s_waitcnt vmcnt(1) lgkmcnt(1)
	v_fma_f64 v[82:83], v[82:83], v[92:93], 0
	s_waitcnt vmcnt(0) lgkmcnt(0)
	v_fma_f64 v[88:89], v[90:91], v[88:89], v[82:83]
	v_cndmask_b32_e64 v83, v83, v89, s[4:5]
	v_cndmask_b32_e64 v82, v82, v88, s[4:5]
	v_mul_f64 v[82:83], v[82:83], v[86:87]
	buffer_store_dword v83, off, s[0:3], 0 offset:20
	buffer_store_dword v82, off, s[0:3], 0 offset:16
.LBB103_17:
	s_or_b64 exec, exec, s[6:7]
	s_waitcnt lgkmcnt(0)
	; wave barrier
	buffer_load_dword v82, off, s[0:3], 0 offset:24
	buffer_load_dword v83, off, s[0:3], 0 offset:28
	v_cmp_gt_u32_e32 vcc, 3, v0
	v_add_u32_e32 v85, -1, v0
	s_waitcnt vmcnt(0)
	ds_write_b64 v84, v[82:83]
	s_waitcnt lgkmcnt(0)
	; wave barrier
	s_waitcnt lgkmcnt(0)
	s_and_saveexec_b64 s[4:5], vcc
	s_cbranch_execz .LBB103_21
; %bb.18:
	v_add_u32_e32 v86, -1, v0
	v_add_u32_e32 v87, 0x140, v1
	v_add_u32_e32 v88, 0, v1
	s_mov_b64 s[6:7], 0
	v_pk_mov_b32 v[82:83], 0, 0
.LBB103_19:                             ; =>This Inner Loop Header: Depth=1
	buffer_load_dword v90, v88, s[0:3], 0 offen
	buffer_load_dword v91, v88, s[0:3], 0 offen offset:4
	ds_read_b64 v[92:93], v87
	v_add_u32_e32 v86, 1, v86
	v_cmp_lt_u32_e32 vcc, 1, v86
	v_add_u32_e32 v87, 8, v87
	v_add_u32_e32 v88, 8, v88
	s_or_b64 s[6:7], vcc, s[6:7]
	s_waitcnt vmcnt(0) lgkmcnt(0)
	v_fmac_f64_e32 v[82:83], v[90:91], v[92:93]
	s_andn2_b64 exec, exec, s[6:7]
	s_cbranch_execnz .LBB103_19
; %bb.20:
	s_or_b64 exec, exec, s[6:7]
	v_mov_b32_e32 v86, 0
	ds_read_b64 v[86:87], v86 offset:24
	s_waitcnt lgkmcnt(0)
	v_mul_f64 v[82:83], v[82:83], v[86:87]
	buffer_store_dword v83, off, s[0:3], 0 offset:28
	buffer_store_dword v82, off, s[0:3], 0 offset:24
.LBB103_21:
	s_or_b64 exec, exec, s[4:5]
	s_waitcnt lgkmcnt(0)
	; wave barrier
	buffer_load_dword v82, off, s[0:3], 0 offset:32
	buffer_load_dword v83, off, s[0:3], 0 offset:36
	v_cmp_gt_u32_e32 vcc, 4, v0
	s_waitcnt vmcnt(0)
	ds_write_b64 v84, v[82:83]
	s_waitcnt lgkmcnt(0)
	; wave barrier
	s_waitcnt lgkmcnt(0)
	s_and_saveexec_b64 s[4:5], vcc
	s_cbranch_execz .LBB103_25
; %bb.22:
	v_add_u32_e32 v86, -1, v0
	v_add_u32_e32 v87, 0x140, v1
	v_add_u32_e32 v88, 0, v1
	s_mov_b64 s[6:7], 0
	v_pk_mov_b32 v[82:83], 0, 0
.LBB103_23:                             ; =>This Inner Loop Header: Depth=1
	buffer_load_dword v90, v88, s[0:3], 0 offen
	buffer_load_dword v91, v88, s[0:3], 0 offen offset:4
	ds_read_b64 v[92:93], v87
	v_add_u32_e32 v86, 1, v86
	v_cmp_lt_u32_e32 vcc, 2, v86
	v_add_u32_e32 v87, 8, v87
	v_add_u32_e32 v88, 8, v88
	s_or_b64 s[6:7], vcc, s[6:7]
	s_waitcnt vmcnt(0) lgkmcnt(0)
	v_fmac_f64_e32 v[82:83], v[90:91], v[92:93]
	s_andn2_b64 exec, exec, s[6:7]
	s_cbranch_execnz .LBB103_23
; %bb.24:
	s_or_b64 exec, exec, s[6:7]
	v_mov_b32_e32 v86, 0
	ds_read_b64 v[86:87], v86 offset:32
	s_waitcnt lgkmcnt(0)
	v_mul_f64 v[82:83], v[82:83], v[86:87]
	buffer_store_dword v83, off, s[0:3], 0 offset:36
	buffer_store_dword v82, off, s[0:3], 0 offset:32
.LBB103_25:
	s_or_b64 exec, exec, s[4:5]
	s_waitcnt lgkmcnt(0)
	; wave barrier
	buffer_load_dword v82, off, s[0:3], 0 offset:40
	buffer_load_dword v83, off, s[0:3], 0 offset:44
	v_cmp_gt_u32_e32 vcc, 5, v0
	;; [unrolled: 41-line block ×21, first 2 shown]
	s_waitcnt vmcnt(0)
	ds_write_b64 v84, v[82:83]
	s_waitcnt lgkmcnt(0)
	; wave barrier
	s_waitcnt lgkmcnt(0)
	s_and_saveexec_b64 s[4:5], vcc
	s_cbranch_execz .LBB103_105
; %bb.102:
	v_add_u32_e32 v86, -1, v0
	v_add_u32_e32 v87, 0x140, v1
	v_add_u32_e32 v88, 0, v1
	s_mov_b64 s[6:7], 0
	v_pk_mov_b32 v[82:83], 0, 0
.LBB103_103:                            ; =>This Inner Loop Header: Depth=1
	buffer_load_dword v90, v88, s[0:3], 0 offen
	buffer_load_dword v91, v88, s[0:3], 0 offen offset:4
	ds_read_b64 v[92:93], v87
	v_add_u32_e32 v86, 1, v86
	v_cmp_lt_u32_e32 vcc, 22, v86
	v_add_u32_e32 v87, 8, v87
	v_add_u32_e32 v88, 8, v88
	s_or_b64 s[6:7], vcc, s[6:7]
	s_waitcnt vmcnt(0) lgkmcnt(0)
	v_fmac_f64_e32 v[82:83], v[90:91], v[92:93]
	s_andn2_b64 exec, exec, s[6:7]
	s_cbranch_execnz .LBB103_103
; %bb.104:
	s_or_b64 exec, exec, s[6:7]
	v_mov_b32_e32 v86, 0
	ds_read_b64 v[86:87], v86 offset:192
	s_waitcnt lgkmcnt(0)
	v_mul_f64 v[82:83], v[82:83], v[86:87]
	buffer_store_dword v83, off, s[0:3], 0 offset:196
	buffer_store_dword v82, off, s[0:3], 0 offset:192
.LBB103_105:
	s_or_b64 exec, exec, s[4:5]
	s_waitcnt lgkmcnt(0)
	; wave barrier
	buffer_load_dword v82, off, s[0:3], 0 offset:200
	buffer_load_dword v83, off, s[0:3], 0 offset:204
	v_cmp_gt_u32_e32 vcc, 25, v0
	s_waitcnt vmcnt(0)
	ds_write_b64 v84, v[82:83]
	s_waitcnt lgkmcnt(0)
	; wave barrier
	s_waitcnt lgkmcnt(0)
	s_and_saveexec_b64 s[4:5], vcc
	s_cbranch_execz .LBB103_109
; %bb.106:
	v_add_u32_e32 v86, -1, v0
	v_add_u32_e32 v87, 0x140, v1
	v_add_u32_e32 v88, 0, v1
	s_mov_b64 s[6:7], 0
	v_pk_mov_b32 v[82:83], 0, 0
.LBB103_107:                            ; =>This Inner Loop Header: Depth=1
	buffer_load_dword v90, v88, s[0:3], 0 offen
	buffer_load_dword v91, v88, s[0:3], 0 offen offset:4
	ds_read_b64 v[92:93], v87
	v_add_u32_e32 v86, 1, v86
	v_cmp_lt_u32_e32 vcc, 23, v86
	v_add_u32_e32 v87, 8, v87
	v_add_u32_e32 v88, 8, v88
	s_or_b64 s[6:7], vcc, s[6:7]
	s_waitcnt vmcnt(0) lgkmcnt(0)
	v_fmac_f64_e32 v[82:83], v[90:91], v[92:93]
	s_andn2_b64 exec, exec, s[6:7]
	s_cbranch_execnz .LBB103_107
; %bb.108:
	s_or_b64 exec, exec, s[6:7]
	v_mov_b32_e32 v86, 0
	ds_read_b64 v[86:87], v86 offset:200
	s_waitcnt lgkmcnt(0)
	v_mul_f64 v[82:83], v[82:83], v[86:87]
	buffer_store_dword v83, off, s[0:3], 0 offset:204
	buffer_store_dword v82, off, s[0:3], 0 offset:200
.LBB103_109:
	s_or_b64 exec, exec, s[4:5]
	s_waitcnt lgkmcnt(0)
	; wave barrier
	buffer_load_dword v82, off, s[0:3], 0 offset:208
	buffer_load_dword v83, off, s[0:3], 0 offset:212
	v_cmp_gt_u32_e32 vcc, 26, v0
	;; [unrolled: 41-line block ×14, first 2 shown]
	s_waitcnt vmcnt(0)
	ds_write_b64 v84, v[82:83]
	s_waitcnt lgkmcnt(0)
	; wave barrier
	s_waitcnt lgkmcnt(0)
	s_and_saveexec_b64 s[4:5], vcc
	s_cbranch_execz .LBB103_161
; %bb.158:
	v_add_u32_e32 v86, -1, v0
	v_add_u32_e32 v87, 0x140, v1
	v_add_u32_e32 v88, 0, v1
	s_mov_b64 s[6:7], 0
	v_pk_mov_b32 v[82:83], 0, 0
.LBB103_159:                            ; =>This Inner Loop Header: Depth=1
	buffer_load_dword v90, v88, s[0:3], 0 offen
	buffer_load_dword v91, v88, s[0:3], 0 offen offset:4
	ds_read_b64 v[92:93], v87
	v_add_u32_e32 v86, 1, v86
	v_cmp_lt_u32_e32 vcc, 36, v86
	v_add_u32_e32 v87, 8, v87
	v_add_u32_e32 v88, 8, v88
	s_or_b64 s[6:7], vcc, s[6:7]
	s_waitcnt vmcnt(0) lgkmcnt(0)
	v_fmac_f64_e32 v[82:83], v[90:91], v[92:93]
	s_andn2_b64 exec, exec, s[6:7]
	s_cbranch_execnz .LBB103_159
; %bb.160:
	s_or_b64 exec, exec, s[6:7]
	v_mov_b32_e32 v86, 0
	ds_read_b64 v[86:87], v86 offset:304
	s_waitcnt lgkmcnt(0)
	v_mul_f64 v[82:83], v[82:83], v[86:87]
	buffer_store_dword v83, off, s[0:3], 0 offset:308
	buffer_store_dword v82, off, s[0:3], 0 offset:304
.LBB103_161:
	s_or_b64 exec, exec, s[4:5]
	s_waitcnt lgkmcnt(0)
	; wave barrier
	buffer_load_dword v82, off, s[0:3], 0 offset:312
	buffer_load_dword v83, off, s[0:3], 0 offset:316
	v_cmp_ne_u32_e32 vcc, 39, v0
	s_waitcnt vmcnt(0)
	ds_write_b64 v84, v[82:83]
	s_waitcnt lgkmcnt(0)
	; wave barrier
	s_waitcnt lgkmcnt(0)
	s_and_saveexec_b64 s[4:5], vcc
	s_cbranch_execz .LBB103_165
; %bb.162:
	v_add_u32_e32 v84, 0x140, v1
	v_add_u32_e32 v1, 0, v1
	s_mov_b64 s[6:7], 0
	v_pk_mov_b32 v[82:83], 0, 0
.LBB103_163:                            ; =>This Inner Loop Header: Depth=1
	buffer_load_dword v86, v1, s[0:3], 0 offen
	buffer_load_dword v87, v1, s[0:3], 0 offen offset:4
	ds_read_b64 v[88:89], v84
	v_add_u32_e32 v85, 1, v85
	v_cmp_lt_u32_e32 vcc, 37, v85
	v_add_u32_e32 v84, 8, v84
	v_add_u32_e32 v1, 8, v1
	s_or_b64 s[6:7], vcc, s[6:7]
	s_waitcnt vmcnt(0) lgkmcnt(0)
	v_fmac_f64_e32 v[82:83], v[86:87], v[88:89]
	s_andn2_b64 exec, exec, s[6:7]
	s_cbranch_execnz .LBB103_163
; %bb.164:
	s_or_b64 exec, exec, s[6:7]
	v_mov_b32_e32 v1, 0
	ds_read_b64 v[84:85], v1 offset:312
	s_waitcnt lgkmcnt(0)
	v_mul_f64 v[82:83], v[82:83], v[84:85]
	buffer_store_dword v83, off, s[0:3], 0 offset:316
	buffer_store_dword v82, off, s[0:3], 0 offset:312
.LBB103_165:
	s_or_b64 exec, exec, s[4:5]
	s_mov_b64 s[6:7], -1
	s_waitcnt lgkmcnt(0)
	; wave barrier
.LBB103_166:
	s_and_b64 vcc, exec, s[6:7]
	s_cbranch_vccz .LBB103_168
; %bb.167:
	s_lshl_b64 s[4:5], s[8:9], 2
	s_add_u32 s4, s14, s4
	s_addc_u32 s5, s15, s5
	v_mov_b32_e32 v1, 0
	global_load_dword v1, v1, s[4:5]
	s_waitcnt vmcnt(0)
	v_cmp_ne_u32_e32 vcc, 0, v1
	s_cbranch_vccz .LBB103_169
.LBB103_168:
	s_endpgm
.LBB103_169:
	v_mov_b32_e32 v1, 0x140
	v_lshl_add_u32 v1, v0, 3, v1
	v_cmp_eq_u32_e32 vcc, 39, v0
	s_and_saveexec_b64 s[4:5], vcc
	s_cbranch_execz .LBB103_171
; %bb.170:
	buffer_load_dword v82, off, s[0:3], 0 offset:304
	buffer_load_dword v83, off, s[0:3], 0 offset:308
	v_mov_b32_e32 v84, 0
	buffer_store_dword v84, off, s[0:3], 0 offset:304
	buffer_store_dword v84, off, s[0:3], 0 offset:308
	s_waitcnt vmcnt(2)
	ds_write_b64 v1, v[82:83]
.LBB103_171:
	s_or_b64 exec, exec, s[4:5]
	s_waitcnt lgkmcnt(0)
	; wave barrier
	s_waitcnt lgkmcnt(0)
	buffer_load_dword v84, off, s[0:3], 0 offset:312
	buffer_load_dword v85, off, s[0:3], 0 offset:316
	;; [unrolled: 1-line block ×4, first 2 shown]
	v_mov_b32_e32 v82, 0
	ds_read_b64 v[88:89], v82 offset:632
	v_cmp_lt_u32_e32 vcc, 37, v0
	s_waitcnt vmcnt(2) lgkmcnt(0)
	v_fma_f64 v[84:85], v[84:85], v[88:89], 0
	s_waitcnt vmcnt(0)
	v_add_f64 v[84:85], v[86:87], -v[84:85]
	buffer_store_dword v84, off, s[0:3], 0 offset:304
	buffer_store_dword v85, off, s[0:3], 0 offset:308
	s_and_saveexec_b64 s[4:5], vcc
	s_cbranch_execz .LBB103_173
; %bb.172:
	buffer_load_dword v84, off, s[0:3], 0 offset:296
	buffer_load_dword v85, off, s[0:3], 0 offset:300
	s_waitcnt vmcnt(0)
	ds_write_b64 v1, v[84:85]
	buffer_store_dword v82, off, s[0:3], 0 offset:296
	buffer_store_dword v82, off, s[0:3], 0 offset:300
.LBB103_173:
	s_or_b64 exec, exec, s[4:5]
	s_waitcnt lgkmcnt(0)
	; wave barrier
	s_waitcnt lgkmcnt(0)
	buffer_load_dword v86, off, s[0:3], 0 offset:304
	buffer_load_dword v87, off, s[0:3], 0 offset:308
	;; [unrolled: 1-line block ×6, first 2 shown]
	ds_read_b128 v[82:85], v82 offset:624
	v_cmp_lt_u32_e32 vcc, 36, v0
	s_waitcnt vmcnt(4) lgkmcnt(0)
	v_fma_f64 v[82:83], v[86:87], v[82:83], 0
	s_waitcnt vmcnt(2)
	v_fmac_f64_e32 v[82:83], v[88:89], v[84:85]
	s_waitcnt vmcnt(0)
	v_add_f64 v[82:83], v[90:91], -v[82:83]
	buffer_store_dword v82, off, s[0:3], 0 offset:296
	buffer_store_dword v83, off, s[0:3], 0 offset:300
	s_and_saveexec_b64 s[4:5], vcc
	s_cbranch_execz .LBB103_175
; %bb.174:
	buffer_load_dword v82, off, s[0:3], 0 offset:288
	buffer_load_dword v83, off, s[0:3], 0 offset:292
	v_mov_b32_e32 v84, 0
	buffer_store_dword v84, off, s[0:3], 0 offset:288
	buffer_store_dword v84, off, s[0:3], 0 offset:292
	s_waitcnt vmcnt(2)
	ds_write_b64 v1, v[82:83]
.LBB103_175:
	s_or_b64 exec, exec, s[4:5]
	s_waitcnt lgkmcnt(0)
	; wave barrier
	s_waitcnt lgkmcnt(0)
	buffer_load_dword v88, off, s[0:3], 0 offset:296
	buffer_load_dword v89, off, s[0:3], 0 offset:300
	;; [unrolled: 1-line block ×8, first 2 shown]
	v_mov_b32_e32 v82, 0
	ds_read2_b64 v[84:87], v82 offset0:77 offset1:78
	ds_read_b64 v[96:97], v82 offset:632
	v_cmp_lt_u32_e32 vcc, 35, v0
	s_waitcnt vmcnt(6) lgkmcnt(1)
	v_fma_f64 v[84:85], v[88:89], v[84:85], 0
	s_waitcnt vmcnt(4)
	v_fmac_f64_e32 v[84:85], v[90:91], v[86:87]
	s_waitcnt vmcnt(2) lgkmcnt(0)
	v_fmac_f64_e32 v[84:85], v[92:93], v[96:97]
	s_waitcnt vmcnt(0)
	v_add_f64 v[84:85], v[94:95], -v[84:85]
	buffer_store_dword v84, off, s[0:3], 0 offset:288
	buffer_store_dword v85, off, s[0:3], 0 offset:292
	s_and_saveexec_b64 s[4:5], vcc
	s_cbranch_execz .LBB103_177
; %bb.176:
	buffer_load_dword v84, off, s[0:3], 0 offset:280
	buffer_load_dword v85, off, s[0:3], 0 offset:284
	s_waitcnt vmcnt(0)
	ds_write_b64 v1, v[84:85]
	buffer_store_dword v82, off, s[0:3], 0 offset:280
	buffer_store_dword v82, off, s[0:3], 0 offset:284
.LBB103_177:
	s_or_b64 exec, exec, s[4:5]
	s_waitcnt lgkmcnt(0)
	; wave barrier
	s_waitcnt lgkmcnt(0)
	buffer_load_dword v92, off, s[0:3], 0 offset:288
	buffer_load_dword v93, off, s[0:3], 0 offset:292
	;; [unrolled: 1-line block ×10, first 2 shown]
	ds_read_b128 v[84:87], v82 offset:608
	ds_read_b128 v[88:91], v82 offset:624
	v_cmp_lt_u32_e32 vcc, 34, v0
	s_waitcnt vmcnt(8) lgkmcnt(1)
	v_fma_f64 v[82:83], v[92:93], v[84:85], 0
	s_waitcnt vmcnt(6)
	v_fmac_f64_e32 v[82:83], v[94:95], v[86:87]
	s_waitcnt vmcnt(4) lgkmcnt(0)
	v_fmac_f64_e32 v[82:83], v[96:97], v[88:89]
	s_waitcnt vmcnt(2)
	v_fmac_f64_e32 v[82:83], v[98:99], v[90:91]
	s_waitcnt vmcnt(0)
	v_add_f64 v[82:83], v[100:101], -v[82:83]
	buffer_store_dword v82, off, s[0:3], 0 offset:280
	buffer_store_dword v83, off, s[0:3], 0 offset:284
	s_and_saveexec_b64 s[4:5], vcc
	s_cbranch_execz .LBB103_179
; %bb.178:
	buffer_load_dword v82, off, s[0:3], 0 offset:272
	buffer_load_dword v83, off, s[0:3], 0 offset:276
	v_mov_b32_e32 v84, 0
	buffer_store_dword v84, off, s[0:3], 0 offset:272
	buffer_store_dword v84, off, s[0:3], 0 offset:276
	s_waitcnt vmcnt(2)
	ds_write_b64 v1, v[82:83]
.LBB103_179:
	s_or_b64 exec, exec, s[4:5]
	s_waitcnt lgkmcnt(0)
	; wave barrier
	s_waitcnt lgkmcnt(0)
	buffer_load_dword v92, off, s[0:3], 0 offset:280
	buffer_load_dword v93, off, s[0:3], 0 offset:284
	;; [unrolled: 1-line block ×12, first 2 shown]
	v_mov_b32_e32 v82, 0
	ds_read2_b64 v[84:87], v82 offset0:75 offset1:76
	ds_read2_b64 v[88:91], v82 offset0:77 offset1:78
	ds_read_b64 v[104:105], v82 offset:632
	v_cmp_lt_u32_e32 vcc, 33, v0
	s_waitcnt vmcnt(10) lgkmcnt(2)
	v_fma_f64 v[84:85], v[92:93], v[84:85], 0
	s_waitcnt vmcnt(8)
	v_fmac_f64_e32 v[84:85], v[94:95], v[86:87]
	s_waitcnt vmcnt(6) lgkmcnt(1)
	v_fmac_f64_e32 v[84:85], v[96:97], v[88:89]
	s_waitcnt vmcnt(4)
	v_fmac_f64_e32 v[84:85], v[98:99], v[90:91]
	s_waitcnt vmcnt(2) lgkmcnt(0)
	v_fmac_f64_e32 v[84:85], v[100:101], v[104:105]
	s_waitcnt vmcnt(0)
	v_add_f64 v[84:85], v[102:103], -v[84:85]
	buffer_store_dword v84, off, s[0:3], 0 offset:272
	buffer_store_dword v85, off, s[0:3], 0 offset:276
	s_and_saveexec_b64 s[4:5], vcc
	s_cbranch_execz .LBB103_181
; %bb.180:
	buffer_load_dword v84, off, s[0:3], 0 offset:264
	buffer_load_dword v85, off, s[0:3], 0 offset:268
	s_waitcnt vmcnt(0)
	ds_write_b64 v1, v[84:85]
	buffer_store_dword v82, off, s[0:3], 0 offset:264
	buffer_store_dword v82, off, s[0:3], 0 offset:268
.LBB103_181:
	s_or_b64 exec, exec, s[4:5]
	s_waitcnt lgkmcnt(0)
	; wave barrier
	s_waitcnt lgkmcnt(0)
	buffer_load_dword v96, off, s[0:3], 0 offset:272
	buffer_load_dword v97, off, s[0:3], 0 offset:276
	;; [unrolled: 1-line block ×14, first 2 shown]
	ds_read_b128 v[84:87], v82 offset:592
	ds_read_b128 v[88:91], v82 offset:608
	;; [unrolled: 1-line block ×3, first 2 shown]
	v_cmp_lt_u32_e32 vcc, 32, v0
	s_waitcnt vmcnt(12) lgkmcnt(2)
	v_fma_f64 v[82:83], v[96:97], v[84:85], 0
	s_waitcnt vmcnt(10)
	v_fmac_f64_e32 v[82:83], v[98:99], v[86:87]
	s_waitcnt vmcnt(8) lgkmcnt(1)
	v_fmac_f64_e32 v[82:83], v[100:101], v[88:89]
	s_waitcnt vmcnt(6)
	v_fmac_f64_e32 v[82:83], v[102:103], v[90:91]
	s_waitcnt vmcnt(4) lgkmcnt(0)
	v_fmac_f64_e32 v[82:83], v[104:105], v[92:93]
	s_waitcnt vmcnt(2)
	v_fmac_f64_e32 v[82:83], v[106:107], v[94:95]
	s_waitcnt vmcnt(0)
	v_add_f64 v[82:83], v[108:109], -v[82:83]
	buffer_store_dword v82, off, s[0:3], 0 offset:264
	buffer_store_dword v83, off, s[0:3], 0 offset:268
	s_and_saveexec_b64 s[4:5], vcc
	s_cbranch_execz .LBB103_183
; %bb.182:
	buffer_load_dword v82, off, s[0:3], 0 offset:256
	buffer_load_dword v83, off, s[0:3], 0 offset:260
	v_mov_b32_e32 v84, 0
	buffer_store_dword v84, off, s[0:3], 0 offset:256
	buffer_store_dword v84, off, s[0:3], 0 offset:260
	s_waitcnt vmcnt(2)
	ds_write_b64 v1, v[82:83]
.LBB103_183:
	s_or_b64 exec, exec, s[4:5]
	s_waitcnt lgkmcnt(0)
	; wave barrier
	s_waitcnt lgkmcnt(0)
	buffer_load_dword v96, off, s[0:3], 0 offset:264
	buffer_load_dword v97, off, s[0:3], 0 offset:268
	;; [unrolled: 1-line block ×16, first 2 shown]
	v_mov_b32_e32 v82, 0
	ds_read2_b64 v[84:87], v82 offset0:73 offset1:74
	ds_read2_b64 v[88:91], v82 offset0:75 offset1:76
	;; [unrolled: 1-line block ×3, first 2 shown]
	ds_read_b64 v[112:113], v82 offset:632
	v_cmp_lt_u32_e32 vcc, 31, v0
	s_waitcnt vmcnt(14) lgkmcnt(3)
	v_fma_f64 v[84:85], v[96:97], v[84:85], 0
	s_waitcnt vmcnt(12)
	v_fmac_f64_e32 v[84:85], v[98:99], v[86:87]
	s_waitcnt vmcnt(10) lgkmcnt(2)
	v_fmac_f64_e32 v[84:85], v[100:101], v[88:89]
	s_waitcnt vmcnt(8)
	v_fmac_f64_e32 v[84:85], v[102:103], v[90:91]
	s_waitcnt vmcnt(6) lgkmcnt(1)
	v_fmac_f64_e32 v[84:85], v[104:105], v[92:93]
	s_waitcnt vmcnt(4)
	v_fmac_f64_e32 v[84:85], v[106:107], v[94:95]
	s_waitcnt vmcnt(2) lgkmcnt(0)
	v_fmac_f64_e32 v[84:85], v[108:109], v[112:113]
	s_waitcnt vmcnt(0)
	v_add_f64 v[84:85], v[110:111], -v[84:85]
	buffer_store_dword v84, off, s[0:3], 0 offset:256
	buffer_store_dword v85, off, s[0:3], 0 offset:260
	s_and_saveexec_b64 s[4:5], vcc
	s_cbranch_execz .LBB103_185
; %bb.184:
	buffer_load_dword v84, off, s[0:3], 0 offset:248
	buffer_load_dword v85, off, s[0:3], 0 offset:252
	s_waitcnt vmcnt(0)
	ds_write_b64 v1, v[84:85]
	buffer_store_dword v82, off, s[0:3], 0 offset:248
	buffer_store_dword v82, off, s[0:3], 0 offset:252
.LBB103_185:
	s_or_b64 exec, exec, s[4:5]
	s_waitcnt lgkmcnt(0)
	; wave barrier
	s_waitcnt lgkmcnt(0)
	buffer_load_dword v100, off, s[0:3], 0 offset:256
	buffer_load_dword v101, off, s[0:3], 0 offset:260
	;; [unrolled: 1-line block ×18, first 2 shown]
	ds_read_b128 v[84:87], v82 offset:576
	ds_read_b128 v[88:91], v82 offset:592
	;; [unrolled: 1-line block ×4, first 2 shown]
	v_cmp_lt_u32_e32 vcc, 30, v0
	s_waitcnt vmcnt(16) lgkmcnt(3)
	v_fma_f64 v[82:83], v[100:101], v[84:85], 0
	s_waitcnt vmcnt(14)
	v_fmac_f64_e32 v[82:83], v[102:103], v[86:87]
	s_waitcnt vmcnt(12) lgkmcnt(2)
	v_fmac_f64_e32 v[82:83], v[104:105], v[88:89]
	s_waitcnt vmcnt(10)
	v_fmac_f64_e32 v[82:83], v[106:107], v[90:91]
	s_waitcnt vmcnt(8) lgkmcnt(1)
	v_fmac_f64_e32 v[82:83], v[108:109], v[92:93]
	;; [unrolled: 4-line block ×3, first 2 shown]
	s_waitcnt vmcnt(2)
	v_fmac_f64_e32 v[82:83], v[114:115], v[98:99]
	s_waitcnt vmcnt(0)
	v_add_f64 v[82:83], v[116:117], -v[82:83]
	buffer_store_dword v82, off, s[0:3], 0 offset:248
	buffer_store_dword v83, off, s[0:3], 0 offset:252
	s_and_saveexec_b64 s[4:5], vcc
	s_cbranch_execz .LBB103_187
; %bb.186:
	buffer_load_dword v82, off, s[0:3], 0 offset:240
	buffer_load_dword v83, off, s[0:3], 0 offset:244
	v_mov_b32_e32 v84, 0
	buffer_store_dword v84, off, s[0:3], 0 offset:240
	buffer_store_dword v84, off, s[0:3], 0 offset:244
	s_waitcnt vmcnt(2)
	ds_write_b64 v1, v[82:83]
.LBB103_187:
	s_or_b64 exec, exec, s[4:5]
	s_waitcnt lgkmcnt(0)
	; wave barrier
	s_waitcnt lgkmcnt(0)
	buffer_load_dword v100, off, s[0:3], 0 offset:248
	buffer_load_dword v101, off, s[0:3], 0 offset:252
	;; [unrolled: 1-line block ×20, first 2 shown]
	v_mov_b32_e32 v82, 0
	ds_read2_b64 v[84:87], v82 offset0:71 offset1:72
	ds_read2_b64 v[88:91], v82 offset0:73 offset1:74
	;; [unrolled: 1-line block ×4, first 2 shown]
	ds_read_b64 v[120:121], v82 offset:632
	v_cmp_lt_u32_e32 vcc, 29, v0
	s_waitcnt vmcnt(18) lgkmcnt(4)
	v_fma_f64 v[84:85], v[100:101], v[84:85], 0
	s_waitcnt vmcnt(16)
	v_fmac_f64_e32 v[84:85], v[102:103], v[86:87]
	s_waitcnt vmcnt(14) lgkmcnt(3)
	v_fmac_f64_e32 v[84:85], v[104:105], v[88:89]
	s_waitcnt vmcnt(12)
	v_fmac_f64_e32 v[84:85], v[106:107], v[90:91]
	s_waitcnt vmcnt(10) lgkmcnt(2)
	v_fmac_f64_e32 v[84:85], v[108:109], v[92:93]
	;; [unrolled: 4-line block ×3, first 2 shown]
	s_waitcnt vmcnt(2)
	v_fmac_f64_e32 v[84:85], v[116:117], v[98:99]
	s_waitcnt lgkmcnt(0)
	v_fmac_f64_e32 v[84:85], v[114:115], v[120:121]
	s_waitcnt vmcnt(0)
	v_add_f64 v[84:85], v[118:119], -v[84:85]
	buffer_store_dword v84, off, s[0:3], 0 offset:240
	buffer_store_dword v85, off, s[0:3], 0 offset:244
	s_and_saveexec_b64 s[4:5], vcc
	s_cbranch_execz .LBB103_189
; %bb.188:
	buffer_load_dword v84, off, s[0:3], 0 offset:232
	buffer_load_dword v85, off, s[0:3], 0 offset:236
	s_waitcnt vmcnt(0)
	ds_write_b64 v1, v[84:85]
	buffer_store_dword v82, off, s[0:3], 0 offset:232
	buffer_store_dword v82, off, s[0:3], 0 offset:236
.LBB103_189:
	s_or_b64 exec, exec, s[4:5]
	s_waitcnt lgkmcnt(0)
	; wave barrier
	s_waitcnt lgkmcnt(0)
	buffer_load_dword v104, off, s[0:3], 0 offset:240
	buffer_load_dword v105, off, s[0:3], 0 offset:244
	;; [unrolled: 1-line block ×22, first 2 shown]
	ds_read_b128 v[84:87], v82 offset:560
	ds_read_b128 v[88:91], v82 offset:576
	;; [unrolled: 1-line block ×5, first 2 shown]
	v_cmp_lt_u32_e32 vcc, 28, v0
	s_waitcnt vmcnt(20) lgkmcnt(4)
	v_fma_f64 v[82:83], v[104:105], v[84:85], 0
	s_waitcnt vmcnt(18)
	v_fmac_f64_e32 v[82:83], v[106:107], v[86:87]
	s_waitcnt vmcnt(16) lgkmcnt(3)
	v_fmac_f64_e32 v[82:83], v[108:109], v[88:89]
	s_waitcnt vmcnt(14)
	v_fmac_f64_e32 v[82:83], v[110:111], v[90:91]
	s_waitcnt vmcnt(12) lgkmcnt(2)
	v_fmac_f64_e32 v[82:83], v[112:113], v[92:93]
	;; [unrolled: 4-line block ×3, first 2 shown]
	s_waitcnt vmcnt(3)
	v_fmac_f64_e32 v[82:83], v[122:123], v[98:99]
	s_waitcnt lgkmcnt(0)
	v_fmac_f64_e32 v[82:83], v[120:121], v[100:101]
	s_waitcnt vmcnt(2)
	v_fmac_f64_e32 v[82:83], v[118:119], v[102:103]
	s_waitcnt vmcnt(0)
	v_add_f64 v[82:83], v[124:125], -v[82:83]
	buffer_store_dword v82, off, s[0:3], 0 offset:232
	buffer_store_dword v83, off, s[0:3], 0 offset:236
	s_and_saveexec_b64 s[4:5], vcc
	s_cbranch_execz .LBB103_191
; %bb.190:
	buffer_load_dword v82, off, s[0:3], 0 offset:224
	buffer_load_dword v83, off, s[0:3], 0 offset:228
	v_mov_b32_e32 v84, 0
	buffer_store_dword v84, off, s[0:3], 0 offset:224
	buffer_store_dword v84, off, s[0:3], 0 offset:228
	s_waitcnt vmcnt(2)
	ds_write_b64 v1, v[82:83]
.LBB103_191:
	s_or_b64 exec, exec, s[4:5]
	s_waitcnt lgkmcnt(0)
	; wave barrier
	s_waitcnt lgkmcnt(0)
	buffer_load_dword v88, off, s[0:3], 0 offset:224
	buffer_load_dword v89, off, s[0:3], 0 offset:228
	;; [unrolled: 1-line block ×16, first 2 shown]
	v_mov_b32_e32 v82, 0
	ds_read2_b64 v[84:87], v82 offset0:69 offset1:70
	v_cmp_lt_u32_e32 vcc, 27, v0
	s_waitcnt vmcnt(12) lgkmcnt(0)
	v_fma_f64 v[90:91], v[90:91], v[84:85], 0
	s_waitcnt vmcnt(10)
	v_fmac_f64_e32 v[90:91], v[92:93], v[86:87]
	ds_read2_b64 v[84:87], v82 offset0:71 offset1:72
	s_waitcnt vmcnt(8) lgkmcnt(0)
	v_fmac_f64_e32 v[90:91], v[94:95], v[84:85]
	s_waitcnt vmcnt(6)
	v_fmac_f64_e32 v[90:91], v[96:97], v[86:87]
	ds_read2_b64 v[84:87], v82 offset0:73 offset1:74
	s_waitcnt vmcnt(4) lgkmcnt(0)
	v_fmac_f64_e32 v[90:91], v[98:99], v[84:85]
	;; [unrolled: 5-line block ×3, first 2 shown]
	buffer_load_dword v85, off, s[0:3], 0 offset:292
	buffer_load_dword v84, off, s[0:3], 0 offset:288
	;; [unrolled: 1-line block ×4, first 2 shown]
	s_waitcnt vmcnt(2)
	v_fmac_f64_e32 v[90:91], v[84:85], v[86:87]
	ds_read2_b64 v[84:87], v82 offset0:77 offset1:78
	s_waitcnt vmcnt(0) lgkmcnt(0)
	v_fmac_f64_e32 v[90:91], v[92:93], v[84:85]
	buffer_load_dword v85, off, s[0:3], 0 offset:308
	buffer_load_dword v84, off, s[0:3], 0 offset:304
	s_waitcnt vmcnt(0)
	v_fmac_f64_e32 v[90:91], v[84:85], v[86:87]
	buffer_load_dword v85, off, s[0:3], 0 offset:316
	buffer_load_dword v84, off, s[0:3], 0 offset:312
	ds_read_b64 v[86:87], v82 offset:632
	s_waitcnt vmcnt(0) lgkmcnt(0)
	v_fmac_f64_e32 v[90:91], v[84:85], v[86:87]
	v_add_f64 v[84:85], v[88:89], -v[90:91]
	buffer_store_dword v85, off, s[0:3], 0 offset:228
	buffer_store_dword v84, off, s[0:3], 0 offset:224
	s_and_saveexec_b64 s[4:5], vcc
	s_cbranch_execz .LBB103_193
; %bb.192:
	buffer_load_dword v84, off, s[0:3], 0 offset:216
	buffer_load_dword v85, off, s[0:3], 0 offset:220
	s_waitcnt vmcnt(0)
	ds_write_b64 v1, v[84:85]
	buffer_store_dword v82, off, s[0:3], 0 offset:216
	buffer_store_dword v82, off, s[0:3], 0 offset:220
.LBB103_193:
	s_or_b64 exec, exec, s[4:5]
	s_waitcnt lgkmcnt(0)
	; wave barrier
	s_waitcnt lgkmcnt(0)
	buffer_load_dword v100, off, s[0:3], 0 offset:216
	buffer_load_dword v101, off, s[0:3], 0 offset:220
	;; [unrolled: 1-line block ×16, first 2 shown]
	ds_read_b128 v[84:87], v82 offset:544
	ds_read_b128 v[88:91], v82 offset:560
	;; [unrolled: 1-line block ×4, first 2 shown]
	v_cmp_lt_u32_e32 vcc, 26, v0
	s_waitcnt vmcnt(12) lgkmcnt(3)
	v_fma_f64 v[102:103], v[102:103], v[84:85], 0
	buffer_load_dword v85, off, s[0:3], 0 offset:284
	buffer_load_dword v84, off, s[0:3], 0 offset:280
	s_waitcnt vmcnt(12)
	v_fmac_f64_e32 v[102:103], v[104:105], v[86:87]
	s_waitcnt vmcnt(10) lgkmcnt(2)
	v_fmac_f64_e32 v[102:103], v[106:107], v[88:89]
	buffer_load_dword v89, off, s[0:3], 0 offset:292
	buffer_load_dword v88, off, s[0:3], 0 offset:288
	s_waitcnt vmcnt(10)
	v_fmac_f64_e32 v[102:103], v[108:109], v[90:91]
	s_waitcnt vmcnt(8) lgkmcnt(1)
	v_fmac_f64_e32 v[102:103], v[110:111], v[92:93]
	s_waitcnt vmcnt(6)
	v_fmac_f64_e32 v[102:103], v[112:113], v[94:95]
	s_waitcnt vmcnt(4) lgkmcnt(0)
	v_fmac_f64_e32 v[102:103], v[114:115], v[96:97]
	s_waitcnt vmcnt(2)
	v_fmac_f64_e32 v[102:103], v[84:85], v[98:99]
	ds_read_b128 v[84:87], v82 offset:608
	s_waitcnt vmcnt(0) lgkmcnt(0)
	v_fmac_f64_e32 v[102:103], v[88:89], v[84:85]
	buffer_load_dword v85, off, s[0:3], 0 offset:300
	buffer_load_dword v84, off, s[0:3], 0 offset:296
	s_waitcnt vmcnt(0)
	v_fmac_f64_e32 v[102:103], v[84:85], v[86:87]
	buffer_load_dword v87, off, s[0:3], 0 offset:308
	buffer_load_dword v86, off, s[0:3], 0 offset:304
	ds_read_b128 v[82:85], v82 offset:624
	s_waitcnt vmcnt(0) lgkmcnt(0)
	v_fmac_f64_e32 v[102:103], v[86:87], v[82:83]
	buffer_load_dword v83, off, s[0:3], 0 offset:316
	buffer_load_dword v82, off, s[0:3], 0 offset:312
	s_waitcnt vmcnt(0)
	v_fmac_f64_e32 v[102:103], v[82:83], v[84:85]
	v_add_f64 v[82:83], v[100:101], -v[102:103]
	buffer_store_dword v83, off, s[0:3], 0 offset:220
	buffer_store_dword v82, off, s[0:3], 0 offset:216
	s_and_saveexec_b64 s[4:5], vcc
	s_cbranch_execz .LBB103_195
; %bb.194:
	buffer_load_dword v82, off, s[0:3], 0 offset:208
	buffer_load_dword v83, off, s[0:3], 0 offset:212
	v_mov_b32_e32 v84, 0
	buffer_store_dword v84, off, s[0:3], 0 offset:208
	buffer_store_dword v84, off, s[0:3], 0 offset:212
	s_waitcnt vmcnt(2)
	ds_write_b64 v1, v[82:83]
.LBB103_195:
	s_or_b64 exec, exec, s[4:5]
	s_waitcnt lgkmcnt(0)
	; wave barrier
	s_waitcnt lgkmcnt(0)
	buffer_load_dword v88, off, s[0:3], 0 offset:208
	buffer_load_dword v89, off, s[0:3], 0 offset:212
	;; [unrolled: 1-line block ×16, first 2 shown]
	v_mov_b32_e32 v82, 0
	ds_read2_b64 v[84:87], v82 offset0:67 offset1:68
	v_cmp_lt_u32_e32 vcc, 25, v0
	s_waitcnt vmcnt(12) lgkmcnt(0)
	v_fma_f64 v[90:91], v[90:91], v[84:85], 0
	s_waitcnt vmcnt(10)
	v_fmac_f64_e32 v[90:91], v[92:93], v[86:87]
	ds_read2_b64 v[84:87], v82 offset0:69 offset1:70
	s_waitcnt vmcnt(8) lgkmcnt(0)
	v_fmac_f64_e32 v[90:91], v[94:95], v[84:85]
	s_waitcnt vmcnt(6)
	v_fmac_f64_e32 v[90:91], v[96:97], v[86:87]
	ds_read2_b64 v[84:87], v82 offset0:71 offset1:72
	s_waitcnt vmcnt(4) lgkmcnt(0)
	v_fmac_f64_e32 v[90:91], v[98:99], v[84:85]
	;; [unrolled: 5-line block ×3, first 2 shown]
	buffer_load_dword v85, off, s[0:3], 0 offset:276
	buffer_load_dword v84, off, s[0:3], 0 offset:272
	;; [unrolled: 1-line block ×4, first 2 shown]
	s_waitcnt vmcnt(2)
	v_fmac_f64_e32 v[90:91], v[84:85], v[86:87]
	ds_read2_b64 v[84:87], v82 offset0:75 offset1:76
	s_waitcnt vmcnt(0) lgkmcnt(0)
	v_fmac_f64_e32 v[90:91], v[92:93], v[84:85]
	buffer_load_dword v85, off, s[0:3], 0 offset:292
	buffer_load_dword v84, off, s[0:3], 0 offset:288
	;; [unrolled: 1-line block ×4, first 2 shown]
	s_waitcnt vmcnt(2)
	v_fmac_f64_e32 v[90:91], v[84:85], v[86:87]
	ds_read2_b64 v[84:87], v82 offset0:77 offset1:78
	s_waitcnt vmcnt(0) lgkmcnt(0)
	v_fmac_f64_e32 v[90:91], v[92:93], v[84:85]
	buffer_load_dword v85, off, s[0:3], 0 offset:308
	buffer_load_dword v84, off, s[0:3], 0 offset:304
	s_waitcnt vmcnt(0)
	v_fmac_f64_e32 v[90:91], v[84:85], v[86:87]
	buffer_load_dword v85, off, s[0:3], 0 offset:316
	buffer_load_dword v84, off, s[0:3], 0 offset:312
	ds_read_b64 v[86:87], v82 offset:632
	s_waitcnt vmcnt(0) lgkmcnt(0)
	v_fmac_f64_e32 v[90:91], v[84:85], v[86:87]
	v_add_f64 v[84:85], v[88:89], -v[90:91]
	buffer_store_dword v85, off, s[0:3], 0 offset:212
	buffer_store_dword v84, off, s[0:3], 0 offset:208
	s_and_saveexec_b64 s[4:5], vcc
	s_cbranch_execz .LBB103_197
; %bb.196:
	buffer_load_dword v84, off, s[0:3], 0 offset:200
	buffer_load_dword v85, off, s[0:3], 0 offset:204
	s_waitcnt vmcnt(0)
	ds_write_b64 v1, v[84:85]
	buffer_store_dword v82, off, s[0:3], 0 offset:200
	buffer_store_dword v82, off, s[0:3], 0 offset:204
.LBB103_197:
	s_or_b64 exec, exec, s[4:5]
	s_waitcnt lgkmcnt(0)
	; wave barrier
	s_waitcnt lgkmcnt(0)
	buffer_load_dword v100, off, s[0:3], 0 offset:200
	buffer_load_dword v101, off, s[0:3], 0 offset:204
	;; [unrolled: 1-line block ×16, first 2 shown]
	ds_read_b128 v[84:87], v82 offset:528
	ds_read_b128 v[88:91], v82 offset:544
	;; [unrolled: 1-line block ×4, first 2 shown]
	v_cmp_lt_u32_e32 vcc, 24, v0
	s_waitcnt vmcnt(12) lgkmcnt(3)
	v_fma_f64 v[102:103], v[102:103], v[84:85], 0
	buffer_load_dword v85, off, s[0:3], 0 offset:268
	buffer_load_dword v84, off, s[0:3], 0 offset:264
	s_waitcnt vmcnt(12)
	v_fmac_f64_e32 v[102:103], v[104:105], v[86:87]
	s_waitcnt vmcnt(10) lgkmcnt(2)
	v_fmac_f64_e32 v[102:103], v[106:107], v[88:89]
	buffer_load_dword v89, off, s[0:3], 0 offset:276
	buffer_load_dword v88, off, s[0:3], 0 offset:272
	s_waitcnt vmcnt(10)
	v_fmac_f64_e32 v[102:103], v[108:109], v[90:91]
	s_waitcnt vmcnt(8) lgkmcnt(1)
	v_fmac_f64_e32 v[102:103], v[110:111], v[92:93]
	s_waitcnt vmcnt(6)
	v_fmac_f64_e32 v[102:103], v[112:113], v[94:95]
	s_waitcnt vmcnt(4) lgkmcnt(0)
	v_fmac_f64_e32 v[102:103], v[114:115], v[96:97]
	s_waitcnt vmcnt(2)
	v_fmac_f64_e32 v[102:103], v[84:85], v[98:99]
	ds_read_b128 v[84:87], v82 offset:592
	s_waitcnt vmcnt(0) lgkmcnt(0)
	v_fmac_f64_e32 v[102:103], v[88:89], v[84:85]
	buffer_load_dword v85, off, s[0:3], 0 offset:284
	buffer_load_dword v84, off, s[0:3], 0 offset:280
	;; [unrolled: 1-line block ×4, first 2 shown]
	s_waitcnt vmcnt(2)
	v_fmac_f64_e32 v[102:103], v[84:85], v[86:87]
	ds_read_b128 v[84:87], v82 offset:608
	s_waitcnt vmcnt(0) lgkmcnt(0)
	v_fmac_f64_e32 v[102:103], v[88:89], v[84:85]
	buffer_load_dword v85, off, s[0:3], 0 offset:300
	buffer_load_dword v84, off, s[0:3], 0 offset:296
	s_waitcnt vmcnt(0)
	v_fmac_f64_e32 v[102:103], v[84:85], v[86:87]
	buffer_load_dword v87, off, s[0:3], 0 offset:308
	buffer_load_dword v86, off, s[0:3], 0 offset:304
	ds_read_b128 v[82:85], v82 offset:624
	s_waitcnt vmcnt(0) lgkmcnt(0)
	v_fmac_f64_e32 v[102:103], v[86:87], v[82:83]
	buffer_load_dword v83, off, s[0:3], 0 offset:316
	buffer_load_dword v82, off, s[0:3], 0 offset:312
	s_waitcnt vmcnt(0)
	v_fmac_f64_e32 v[102:103], v[82:83], v[84:85]
	v_add_f64 v[82:83], v[100:101], -v[102:103]
	buffer_store_dword v83, off, s[0:3], 0 offset:204
	buffer_store_dword v82, off, s[0:3], 0 offset:200
	s_and_saveexec_b64 s[4:5], vcc
	s_cbranch_execz .LBB103_199
; %bb.198:
	buffer_load_dword v82, off, s[0:3], 0 offset:192
	buffer_load_dword v83, off, s[0:3], 0 offset:196
	v_mov_b32_e32 v84, 0
	buffer_store_dword v84, off, s[0:3], 0 offset:192
	buffer_store_dword v84, off, s[0:3], 0 offset:196
	s_waitcnt vmcnt(2)
	ds_write_b64 v1, v[82:83]
.LBB103_199:
	s_or_b64 exec, exec, s[4:5]
	s_waitcnt lgkmcnt(0)
	; wave barrier
	s_waitcnt lgkmcnt(0)
	buffer_load_dword v88, off, s[0:3], 0 offset:192
	buffer_load_dword v89, off, s[0:3], 0 offset:196
	;; [unrolled: 1-line block ×16, first 2 shown]
	v_mov_b32_e32 v82, 0
	ds_read2_b64 v[84:87], v82 offset0:65 offset1:66
	v_cmp_lt_u32_e32 vcc, 23, v0
	s_waitcnt vmcnt(12) lgkmcnt(0)
	v_fma_f64 v[90:91], v[90:91], v[84:85], 0
	s_waitcnt vmcnt(10)
	v_fmac_f64_e32 v[90:91], v[92:93], v[86:87]
	ds_read2_b64 v[84:87], v82 offset0:67 offset1:68
	s_waitcnt vmcnt(8) lgkmcnt(0)
	v_fmac_f64_e32 v[90:91], v[94:95], v[84:85]
	s_waitcnt vmcnt(6)
	v_fmac_f64_e32 v[90:91], v[96:97], v[86:87]
	ds_read2_b64 v[84:87], v82 offset0:69 offset1:70
	s_waitcnt vmcnt(4) lgkmcnt(0)
	v_fmac_f64_e32 v[90:91], v[98:99], v[84:85]
	;; [unrolled: 5-line block ×3, first 2 shown]
	buffer_load_dword v85, off, s[0:3], 0 offset:260
	buffer_load_dword v84, off, s[0:3], 0 offset:256
	buffer_load_dword v93, off, s[0:3], 0 offset:268
	buffer_load_dword v92, off, s[0:3], 0 offset:264
	s_waitcnt vmcnt(2)
	v_fmac_f64_e32 v[90:91], v[84:85], v[86:87]
	ds_read2_b64 v[84:87], v82 offset0:73 offset1:74
	s_waitcnt vmcnt(0) lgkmcnt(0)
	v_fmac_f64_e32 v[90:91], v[92:93], v[84:85]
	buffer_load_dword v85, off, s[0:3], 0 offset:276
	buffer_load_dword v84, off, s[0:3], 0 offset:272
	buffer_load_dword v93, off, s[0:3], 0 offset:284
	buffer_load_dword v92, off, s[0:3], 0 offset:280
	s_waitcnt vmcnt(2)
	v_fmac_f64_e32 v[90:91], v[84:85], v[86:87]
	ds_read2_b64 v[84:87], v82 offset0:75 offset1:76
	s_waitcnt vmcnt(0) lgkmcnt(0)
	v_fmac_f64_e32 v[90:91], v[92:93], v[84:85]
	;; [unrolled: 9-line block ×3, first 2 shown]
	buffer_load_dword v85, off, s[0:3], 0 offset:308
	buffer_load_dword v84, off, s[0:3], 0 offset:304
	s_waitcnt vmcnt(0)
	v_fmac_f64_e32 v[90:91], v[84:85], v[86:87]
	buffer_load_dword v85, off, s[0:3], 0 offset:316
	buffer_load_dword v84, off, s[0:3], 0 offset:312
	ds_read_b64 v[86:87], v82 offset:632
	s_waitcnt vmcnt(0) lgkmcnt(0)
	v_fmac_f64_e32 v[90:91], v[84:85], v[86:87]
	v_add_f64 v[84:85], v[88:89], -v[90:91]
	buffer_store_dword v85, off, s[0:3], 0 offset:196
	buffer_store_dword v84, off, s[0:3], 0 offset:192
	s_and_saveexec_b64 s[4:5], vcc
	s_cbranch_execz .LBB103_201
; %bb.200:
	buffer_load_dword v84, off, s[0:3], 0 offset:184
	buffer_load_dword v85, off, s[0:3], 0 offset:188
	s_waitcnt vmcnt(0)
	ds_write_b64 v1, v[84:85]
	buffer_store_dword v82, off, s[0:3], 0 offset:184
	buffer_store_dword v82, off, s[0:3], 0 offset:188
.LBB103_201:
	s_or_b64 exec, exec, s[4:5]
	s_waitcnt lgkmcnt(0)
	; wave barrier
	s_waitcnt lgkmcnt(0)
	buffer_load_dword v100, off, s[0:3], 0 offset:184
	buffer_load_dword v101, off, s[0:3], 0 offset:188
	;; [unrolled: 1-line block ×16, first 2 shown]
	ds_read_b128 v[84:87], v82 offset:512
	ds_read_b128 v[88:91], v82 offset:528
	;; [unrolled: 1-line block ×4, first 2 shown]
	v_cmp_lt_u32_e32 vcc, 22, v0
	s_waitcnt vmcnt(12) lgkmcnt(3)
	v_fma_f64 v[102:103], v[102:103], v[84:85], 0
	buffer_load_dword v85, off, s[0:3], 0 offset:252
	buffer_load_dword v84, off, s[0:3], 0 offset:248
	s_waitcnt vmcnt(12)
	v_fmac_f64_e32 v[102:103], v[104:105], v[86:87]
	s_waitcnt vmcnt(10) lgkmcnt(2)
	v_fmac_f64_e32 v[102:103], v[106:107], v[88:89]
	buffer_load_dword v89, off, s[0:3], 0 offset:260
	buffer_load_dword v88, off, s[0:3], 0 offset:256
	s_waitcnt vmcnt(10)
	v_fmac_f64_e32 v[102:103], v[108:109], v[90:91]
	s_waitcnt vmcnt(8) lgkmcnt(1)
	v_fmac_f64_e32 v[102:103], v[110:111], v[92:93]
	s_waitcnt vmcnt(6)
	v_fmac_f64_e32 v[102:103], v[112:113], v[94:95]
	s_waitcnt vmcnt(4) lgkmcnt(0)
	v_fmac_f64_e32 v[102:103], v[114:115], v[96:97]
	s_waitcnt vmcnt(2)
	v_fmac_f64_e32 v[102:103], v[84:85], v[98:99]
	ds_read_b128 v[84:87], v82 offset:576
	s_waitcnt vmcnt(0) lgkmcnt(0)
	v_fmac_f64_e32 v[102:103], v[88:89], v[84:85]
	buffer_load_dword v85, off, s[0:3], 0 offset:268
	buffer_load_dword v84, off, s[0:3], 0 offset:264
	;; [unrolled: 1-line block ×4, first 2 shown]
	s_waitcnt vmcnt(2)
	v_fmac_f64_e32 v[102:103], v[84:85], v[86:87]
	ds_read_b128 v[84:87], v82 offset:592
	s_waitcnt vmcnt(0) lgkmcnt(0)
	v_fmac_f64_e32 v[102:103], v[88:89], v[84:85]
	buffer_load_dword v85, off, s[0:3], 0 offset:284
	buffer_load_dword v84, off, s[0:3], 0 offset:280
	;; [unrolled: 1-line block ×4, first 2 shown]
	s_waitcnt vmcnt(2)
	v_fmac_f64_e32 v[102:103], v[84:85], v[86:87]
	ds_read_b128 v[84:87], v82 offset:608
	s_waitcnt vmcnt(0) lgkmcnt(0)
	v_fmac_f64_e32 v[102:103], v[88:89], v[84:85]
	buffer_load_dword v85, off, s[0:3], 0 offset:300
	buffer_load_dword v84, off, s[0:3], 0 offset:296
	s_waitcnt vmcnt(0)
	v_fmac_f64_e32 v[102:103], v[84:85], v[86:87]
	buffer_load_dword v87, off, s[0:3], 0 offset:308
	buffer_load_dword v86, off, s[0:3], 0 offset:304
	ds_read_b128 v[82:85], v82 offset:624
	s_waitcnt vmcnt(0) lgkmcnt(0)
	v_fmac_f64_e32 v[102:103], v[86:87], v[82:83]
	buffer_load_dword v83, off, s[0:3], 0 offset:316
	buffer_load_dword v82, off, s[0:3], 0 offset:312
	s_waitcnt vmcnt(0)
	v_fmac_f64_e32 v[102:103], v[82:83], v[84:85]
	v_add_f64 v[82:83], v[100:101], -v[102:103]
	buffer_store_dword v83, off, s[0:3], 0 offset:188
	buffer_store_dword v82, off, s[0:3], 0 offset:184
	s_and_saveexec_b64 s[4:5], vcc
	s_cbranch_execz .LBB103_203
; %bb.202:
	buffer_load_dword v82, off, s[0:3], 0 offset:176
	buffer_load_dword v83, off, s[0:3], 0 offset:180
	v_mov_b32_e32 v84, 0
	buffer_store_dword v84, off, s[0:3], 0 offset:176
	buffer_store_dword v84, off, s[0:3], 0 offset:180
	s_waitcnt vmcnt(2)
	ds_write_b64 v1, v[82:83]
.LBB103_203:
	s_or_b64 exec, exec, s[4:5]
	s_waitcnt lgkmcnt(0)
	; wave barrier
	s_waitcnt lgkmcnt(0)
	buffer_load_dword v82, off, s[0:3], 0 offset:176
	buffer_load_dword v83, off, s[0:3], 0 offset:180
	;; [unrolled: 1-line block ×16, first 2 shown]
	v_mov_b32_e32 v86, 0
	ds_read2_b64 v[88:91], v86 offset0:63 offset1:64
	v_cmp_lt_u32_e32 vcc, 21, v0
	s_waitcnt vmcnt(12) lgkmcnt(0)
	v_fma_f64 v[84:85], v[84:85], v[88:89], 0
	s_waitcnt vmcnt(10)
	v_fmac_f64_e32 v[84:85], v[92:93], v[90:91]
	ds_read2_b64 v[88:91], v86 offset0:65 offset1:66
	s_waitcnt vmcnt(8) lgkmcnt(0)
	v_fmac_f64_e32 v[84:85], v[94:95], v[88:89]
	s_waitcnt vmcnt(6)
	v_fmac_f64_e32 v[84:85], v[96:97], v[90:91]
	ds_read2_b64 v[88:91], v86 offset0:67 offset1:68
	s_waitcnt vmcnt(4) lgkmcnt(0)
	v_fmac_f64_e32 v[84:85], v[98:99], v[88:89]
	;; [unrolled: 5-line block ×3, first 2 shown]
	buffer_load_dword v89, off, s[0:3], 0 offset:244
	buffer_load_dword v88, off, s[0:3], 0 offset:240
	buffer_load_dword v93, off, s[0:3], 0 offset:252
	buffer_load_dword v92, off, s[0:3], 0 offset:248
	s_waitcnt vmcnt(2)
	v_fmac_f64_e32 v[84:85], v[88:89], v[90:91]
	ds_read2_b64 v[88:91], v86 offset0:71 offset1:72
	s_waitcnt vmcnt(0) lgkmcnt(0)
	v_fmac_f64_e32 v[84:85], v[92:93], v[88:89]
	buffer_load_dword v89, off, s[0:3], 0 offset:260
	buffer_load_dword v88, off, s[0:3], 0 offset:256
	buffer_load_dword v93, off, s[0:3], 0 offset:268
	buffer_load_dword v92, off, s[0:3], 0 offset:264
	s_waitcnt vmcnt(2)
	v_fmac_f64_e32 v[84:85], v[88:89], v[90:91]
	ds_read2_b64 v[88:91], v86 offset0:73 offset1:74
	s_waitcnt vmcnt(0) lgkmcnt(0)
	v_fmac_f64_e32 v[84:85], v[92:93], v[88:89]
	;; [unrolled: 9-line block ×4, first 2 shown]
	buffer_load_dword v89, off, s[0:3], 0 offset:308
	buffer_load_dword v88, off, s[0:3], 0 offset:304
	s_waitcnt vmcnt(0)
	v_fmac_f64_e32 v[84:85], v[88:89], v[90:91]
	buffer_load_dword v89, off, s[0:3], 0 offset:316
	buffer_load_dword v88, off, s[0:3], 0 offset:312
	ds_read_b64 v[90:91], v86 offset:632
	s_waitcnt vmcnt(0) lgkmcnt(0)
	v_fmac_f64_e32 v[84:85], v[88:89], v[90:91]
	v_add_f64 v[82:83], v[82:83], -v[84:85]
	buffer_store_dword v83, off, s[0:3], 0 offset:180
	buffer_store_dword v82, off, s[0:3], 0 offset:176
	s_and_saveexec_b64 s[4:5], vcc
	s_cbranch_execz .LBB103_205
; %bb.204:
	buffer_load_dword v82, off, s[0:3], 0 offset:168
	buffer_load_dword v83, off, s[0:3], 0 offset:172
	s_waitcnt vmcnt(0)
	ds_write_b64 v1, v[82:83]
	buffer_store_dword v86, off, s[0:3], 0 offset:168
	buffer_store_dword v86, off, s[0:3], 0 offset:172
.LBB103_205:
	s_or_b64 exec, exec, s[4:5]
	s_waitcnt lgkmcnt(0)
	; wave barrier
	s_waitcnt lgkmcnt(0)
	buffer_load_dword v82, off, s[0:3], 0 offset:168
	buffer_load_dword v83, off, s[0:3], 0 offset:172
	;; [unrolled: 1-line block ×16, first 2 shown]
	ds_read_b128 v[88:91], v86 offset:496
	ds_read_b128 v[92:95], v86 offset:512
	;; [unrolled: 1-line block ×4, first 2 shown]
	v_cmp_lt_u32_e32 vcc, 20, v0
	s_waitcnt vmcnt(12) lgkmcnt(3)
	v_fma_f64 v[84:85], v[84:85], v[88:89], 0
	buffer_load_dword v89, off, s[0:3], 0 offset:236
	buffer_load_dword v88, off, s[0:3], 0 offset:232
	s_waitcnt vmcnt(12)
	v_fmac_f64_e32 v[84:85], v[104:105], v[90:91]
	s_waitcnt vmcnt(10) lgkmcnt(2)
	v_fmac_f64_e32 v[84:85], v[106:107], v[92:93]
	buffer_load_dword v93, off, s[0:3], 0 offset:244
	buffer_load_dword v92, off, s[0:3], 0 offset:240
	s_waitcnt vmcnt(10)
	v_fmac_f64_e32 v[84:85], v[108:109], v[94:95]
	s_waitcnt vmcnt(8) lgkmcnt(1)
	v_fmac_f64_e32 v[84:85], v[110:111], v[96:97]
	s_waitcnt vmcnt(6)
	v_fmac_f64_e32 v[84:85], v[112:113], v[98:99]
	s_waitcnt vmcnt(4) lgkmcnt(0)
	v_fmac_f64_e32 v[84:85], v[114:115], v[100:101]
	s_waitcnt vmcnt(2)
	v_fmac_f64_e32 v[84:85], v[88:89], v[102:103]
	ds_read_b128 v[88:91], v86 offset:560
	s_waitcnt vmcnt(0) lgkmcnt(0)
	v_fmac_f64_e32 v[84:85], v[92:93], v[88:89]
	buffer_load_dword v89, off, s[0:3], 0 offset:252
	buffer_load_dword v88, off, s[0:3], 0 offset:248
	buffer_load_dword v93, off, s[0:3], 0 offset:260
	buffer_load_dword v92, off, s[0:3], 0 offset:256
	s_waitcnt vmcnt(2)
	v_fmac_f64_e32 v[84:85], v[88:89], v[90:91]
	ds_read_b128 v[88:91], v86 offset:576
	s_waitcnt vmcnt(0) lgkmcnt(0)
	v_fmac_f64_e32 v[84:85], v[92:93], v[88:89]
	buffer_load_dword v89, off, s[0:3], 0 offset:268
	buffer_load_dword v88, off, s[0:3], 0 offset:264
	buffer_load_dword v93, off, s[0:3], 0 offset:276
	buffer_load_dword v92, off, s[0:3], 0 offset:272
	;; [unrolled: 9-line block ×3, first 2 shown]
	s_waitcnt vmcnt(2)
	v_fmac_f64_e32 v[84:85], v[88:89], v[90:91]
	ds_read_b128 v[88:91], v86 offset:608
	s_waitcnt vmcnt(0) lgkmcnt(0)
	v_fmac_f64_e32 v[84:85], v[92:93], v[88:89]
	buffer_load_dword v89, off, s[0:3], 0 offset:300
	buffer_load_dword v88, off, s[0:3], 0 offset:296
	s_waitcnt vmcnt(0)
	v_fmac_f64_e32 v[84:85], v[88:89], v[90:91]
	buffer_load_dword v91, off, s[0:3], 0 offset:308
	buffer_load_dword v90, off, s[0:3], 0 offset:304
	ds_read_b128 v[86:89], v86 offset:624
	s_waitcnt vmcnt(0) lgkmcnt(0)
	v_fmac_f64_e32 v[84:85], v[90:91], v[86:87]
	buffer_load_dword v87, off, s[0:3], 0 offset:316
	buffer_load_dword v86, off, s[0:3], 0 offset:312
	s_waitcnt vmcnt(0)
	v_fmac_f64_e32 v[84:85], v[86:87], v[88:89]
	v_add_f64 v[82:83], v[82:83], -v[84:85]
	buffer_store_dword v83, off, s[0:3], 0 offset:172
	buffer_store_dword v82, off, s[0:3], 0 offset:168
	s_and_saveexec_b64 s[4:5], vcc
	s_cbranch_execz .LBB103_207
; %bb.206:
	buffer_load_dword v82, off, s[0:3], 0 offset:160
	buffer_load_dword v83, off, s[0:3], 0 offset:164
	v_mov_b32_e32 v84, 0
	buffer_store_dword v84, off, s[0:3], 0 offset:160
	buffer_store_dword v84, off, s[0:3], 0 offset:164
	s_waitcnt vmcnt(2)
	ds_write_b64 v1, v[82:83]
.LBB103_207:
	s_or_b64 exec, exec, s[4:5]
	s_waitcnt lgkmcnt(0)
	; wave barrier
	s_waitcnt lgkmcnt(0)
	buffer_load_dword v82, off, s[0:3], 0 offset:160
	buffer_load_dword v83, off, s[0:3], 0 offset:164
	buffer_load_dword v84, off, s[0:3], 0 offset:168
	buffer_load_dword v85, off, s[0:3], 0 offset:172
	buffer_load_dword v92, off, s[0:3], 0 offset:176
	buffer_load_dword v93, off, s[0:3], 0 offset:180
	buffer_load_dword v94, off, s[0:3], 0 offset:184
	buffer_load_dword v95, off, s[0:3], 0 offset:188
	buffer_load_dword v96, off, s[0:3], 0 offset:192
	buffer_load_dword v97, off, s[0:3], 0 offset:196
	buffer_load_dword v98, off, s[0:3], 0 offset:200
	buffer_load_dword v99, off, s[0:3], 0 offset:204
	buffer_load_dword v100, off, s[0:3], 0 offset:208
	buffer_load_dword v101, off, s[0:3], 0 offset:212
	buffer_load_dword v102, off, s[0:3], 0 offset:216
	buffer_load_dword v103, off, s[0:3], 0 offset:220
	v_mov_b32_e32 v86, 0
	ds_read2_b64 v[88:91], v86 offset0:61 offset1:62
	v_cmp_lt_u32_e32 vcc, 19, v0
	s_waitcnt vmcnt(12) lgkmcnt(0)
	v_fma_f64 v[84:85], v[84:85], v[88:89], 0
	s_waitcnt vmcnt(10)
	v_fmac_f64_e32 v[84:85], v[92:93], v[90:91]
	ds_read2_b64 v[88:91], v86 offset0:63 offset1:64
	s_waitcnt vmcnt(8) lgkmcnt(0)
	v_fmac_f64_e32 v[84:85], v[94:95], v[88:89]
	s_waitcnt vmcnt(6)
	v_fmac_f64_e32 v[84:85], v[96:97], v[90:91]
	ds_read2_b64 v[88:91], v86 offset0:65 offset1:66
	s_waitcnt vmcnt(4) lgkmcnt(0)
	v_fmac_f64_e32 v[84:85], v[98:99], v[88:89]
	;; [unrolled: 5-line block ×3, first 2 shown]
	buffer_load_dword v89, off, s[0:3], 0 offset:228
	buffer_load_dword v88, off, s[0:3], 0 offset:224
	buffer_load_dword v93, off, s[0:3], 0 offset:236
	buffer_load_dword v92, off, s[0:3], 0 offset:232
	s_waitcnt vmcnt(2)
	v_fmac_f64_e32 v[84:85], v[88:89], v[90:91]
	ds_read2_b64 v[88:91], v86 offset0:69 offset1:70
	s_waitcnt vmcnt(0) lgkmcnt(0)
	v_fmac_f64_e32 v[84:85], v[92:93], v[88:89]
	buffer_load_dword v89, off, s[0:3], 0 offset:244
	buffer_load_dword v88, off, s[0:3], 0 offset:240
	buffer_load_dword v93, off, s[0:3], 0 offset:252
	buffer_load_dword v92, off, s[0:3], 0 offset:248
	s_waitcnt vmcnt(2)
	v_fmac_f64_e32 v[84:85], v[88:89], v[90:91]
	ds_read2_b64 v[88:91], v86 offset0:71 offset1:72
	s_waitcnt vmcnt(0) lgkmcnt(0)
	v_fmac_f64_e32 v[84:85], v[92:93], v[88:89]
	;; [unrolled: 9-line block ×5, first 2 shown]
	buffer_load_dword v89, off, s[0:3], 0 offset:308
	buffer_load_dword v88, off, s[0:3], 0 offset:304
	s_waitcnt vmcnt(0)
	v_fmac_f64_e32 v[84:85], v[88:89], v[90:91]
	buffer_load_dword v89, off, s[0:3], 0 offset:316
	buffer_load_dword v88, off, s[0:3], 0 offset:312
	ds_read_b64 v[90:91], v86 offset:632
	s_waitcnt vmcnt(0) lgkmcnt(0)
	v_fmac_f64_e32 v[84:85], v[88:89], v[90:91]
	v_add_f64 v[82:83], v[82:83], -v[84:85]
	buffer_store_dword v83, off, s[0:3], 0 offset:164
	buffer_store_dword v82, off, s[0:3], 0 offset:160
	s_and_saveexec_b64 s[4:5], vcc
	s_cbranch_execz .LBB103_209
; %bb.208:
	buffer_load_dword v82, off, s[0:3], 0 offset:152
	buffer_load_dword v83, off, s[0:3], 0 offset:156
	s_waitcnt vmcnt(0)
	ds_write_b64 v1, v[82:83]
	buffer_store_dword v86, off, s[0:3], 0 offset:152
	buffer_store_dword v86, off, s[0:3], 0 offset:156
.LBB103_209:
	s_or_b64 exec, exec, s[4:5]
	s_waitcnt lgkmcnt(0)
	; wave barrier
	s_waitcnt lgkmcnt(0)
	buffer_load_dword v82, off, s[0:3], 0 offset:152
	buffer_load_dword v83, off, s[0:3], 0 offset:156
	;; [unrolled: 1-line block ×16, first 2 shown]
	ds_read_b128 v[88:91], v86 offset:480
	ds_read_b128 v[92:95], v86 offset:496
	;; [unrolled: 1-line block ×4, first 2 shown]
	v_cmp_lt_u32_e32 vcc, 18, v0
	s_waitcnt vmcnt(12) lgkmcnt(3)
	v_fma_f64 v[84:85], v[84:85], v[88:89], 0
	buffer_load_dword v89, off, s[0:3], 0 offset:220
	buffer_load_dword v88, off, s[0:3], 0 offset:216
	s_waitcnt vmcnt(12)
	v_fmac_f64_e32 v[84:85], v[104:105], v[90:91]
	s_waitcnt vmcnt(10) lgkmcnt(2)
	v_fmac_f64_e32 v[84:85], v[106:107], v[92:93]
	buffer_load_dword v93, off, s[0:3], 0 offset:228
	buffer_load_dword v92, off, s[0:3], 0 offset:224
	s_waitcnt vmcnt(10)
	v_fmac_f64_e32 v[84:85], v[108:109], v[94:95]
	s_waitcnt vmcnt(8) lgkmcnt(1)
	v_fmac_f64_e32 v[84:85], v[110:111], v[96:97]
	s_waitcnt vmcnt(6)
	v_fmac_f64_e32 v[84:85], v[112:113], v[98:99]
	s_waitcnt vmcnt(4) lgkmcnt(0)
	v_fmac_f64_e32 v[84:85], v[114:115], v[100:101]
	s_waitcnt vmcnt(2)
	v_fmac_f64_e32 v[84:85], v[88:89], v[102:103]
	ds_read_b128 v[88:91], v86 offset:544
	s_waitcnt vmcnt(0) lgkmcnt(0)
	v_fmac_f64_e32 v[84:85], v[92:93], v[88:89]
	buffer_load_dword v89, off, s[0:3], 0 offset:236
	buffer_load_dword v88, off, s[0:3], 0 offset:232
	buffer_load_dword v93, off, s[0:3], 0 offset:244
	buffer_load_dword v92, off, s[0:3], 0 offset:240
	s_waitcnt vmcnt(2)
	v_fmac_f64_e32 v[84:85], v[88:89], v[90:91]
	ds_read_b128 v[88:91], v86 offset:560
	s_waitcnt vmcnt(0) lgkmcnt(0)
	v_fmac_f64_e32 v[84:85], v[92:93], v[88:89]
	buffer_load_dword v89, off, s[0:3], 0 offset:252
	buffer_load_dword v88, off, s[0:3], 0 offset:248
	buffer_load_dword v93, off, s[0:3], 0 offset:260
	buffer_load_dword v92, off, s[0:3], 0 offset:256
	;; [unrolled: 9-line block ×4, first 2 shown]
	s_waitcnt vmcnt(2)
	v_fmac_f64_e32 v[84:85], v[88:89], v[90:91]
	ds_read_b128 v[88:91], v86 offset:608
	s_waitcnt vmcnt(0) lgkmcnt(0)
	v_fmac_f64_e32 v[84:85], v[92:93], v[88:89]
	buffer_load_dword v89, off, s[0:3], 0 offset:300
	buffer_load_dword v88, off, s[0:3], 0 offset:296
	s_waitcnt vmcnt(0)
	v_fmac_f64_e32 v[84:85], v[88:89], v[90:91]
	buffer_load_dword v91, off, s[0:3], 0 offset:308
	buffer_load_dword v90, off, s[0:3], 0 offset:304
	ds_read_b128 v[86:89], v86 offset:624
	s_waitcnt vmcnt(0) lgkmcnt(0)
	v_fmac_f64_e32 v[84:85], v[90:91], v[86:87]
	buffer_load_dword v87, off, s[0:3], 0 offset:316
	buffer_load_dword v86, off, s[0:3], 0 offset:312
	s_waitcnt vmcnt(0)
	v_fmac_f64_e32 v[84:85], v[86:87], v[88:89]
	v_add_f64 v[82:83], v[82:83], -v[84:85]
	buffer_store_dword v83, off, s[0:3], 0 offset:156
	buffer_store_dword v82, off, s[0:3], 0 offset:152
	s_and_saveexec_b64 s[4:5], vcc
	s_cbranch_execz .LBB103_211
; %bb.210:
	buffer_load_dword v82, off, s[0:3], 0 offset:144
	buffer_load_dword v83, off, s[0:3], 0 offset:148
	v_mov_b32_e32 v84, 0
	buffer_store_dword v84, off, s[0:3], 0 offset:144
	buffer_store_dword v84, off, s[0:3], 0 offset:148
	s_waitcnt vmcnt(2)
	ds_write_b64 v1, v[82:83]
.LBB103_211:
	s_or_b64 exec, exec, s[4:5]
	s_waitcnt lgkmcnt(0)
	; wave barrier
	s_waitcnt lgkmcnt(0)
	buffer_load_dword v82, off, s[0:3], 0 offset:144
	buffer_load_dword v83, off, s[0:3], 0 offset:148
	;; [unrolled: 1-line block ×16, first 2 shown]
	v_mov_b32_e32 v86, 0
	ds_read2_b64 v[88:91], v86 offset0:59 offset1:60
	v_cmp_lt_u32_e32 vcc, 17, v0
	s_waitcnt vmcnt(12) lgkmcnt(0)
	v_fma_f64 v[84:85], v[84:85], v[88:89], 0
	s_waitcnt vmcnt(10)
	v_fmac_f64_e32 v[84:85], v[92:93], v[90:91]
	ds_read2_b64 v[88:91], v86 offset0:61 offset1:62
	s_waitcnt vmcnt(8) lgkmcnt(0)
	v_fmac_f64_e32 v[84:85], v[94:95], v[88:89]
	s_waitcnt vmcnt(6)
	v_fmac_f64_e32 v[84:85], v[96:97], v[90:91]
	ds_read2_b64 v[88:91], v86 offset0:63 offset1:64
	s_waitcnt vmcnt(4) lgkmcnt(0)
	v_fmac_f64_e32 v[84:85], v[98:99], v[88:89]
	;; [unrolled: 5-line block ×3, first 2 shown]
	buffer_load_dword v89, off, s[0:3], 0 offset:212
	buffer_load_dword v88, off, s[0:3], 0 offset:208
	buffer_load_dword v93, off, s[0:3], 0 offset:220
	buffer_load_dword v92, off, s[0:3], 0 offset:216
	s_waitcnt vmcnt(2)
	v_fmac_f64_e32 v[84:85], v[88:89], v[90:91]
	ds_read2_b64 v[88:91], v86 offset0:67 offset1:68
	s_waitcnt vmcnt(0) lgkmcnt(0)
	v_fmac_f64_e32 v[84:85], v[92:93], v[88:89]
	buffer_load_dword v89, off, s[0:3], 0 offset:228
	buffer_load_dword v88, off, s[0:3], 0 offset:224
	buffer_load_dword v93, off, s[0:3], 0 offset:236
	buffer_load_dword v92, off, s[0:3], 0 offset:232
	s_waitcnt vmcnt(2)
	v_fmac_f64_e32 v[84:85], v[88:89], v[90:91]
	ds_read2_b64 v[88:91], v86 offset0:69 offset1:70
	s_waitcnt vmcnt(0) lgkmcnt(0)
	v_fmac_f64_e32 v[84:85], v[92:93], v[88:89]
	;; [unrolled: 9-line block ×6, first 2 shown]
	buffer_load_dword v89, off, s[0:3], 0 offset:308
	buffer_load_dword v88, off, s[0:3], 0 offset:304
	s_waitcnt vmcnt(0)
	v_fmac_f64_e32 v[84:85], v[88:89], v[90:91]
	buffer_load_dword v89, off, s[0:3], 0 offset:316
	buffer_load_dword v88, off, s[0:3], 0 offset:312
	ds_read_b64 v[90:91], v86 offset:632
	s_waitcnt vmcnt(0) lgkmcnt(0)
	v_fmac_f64_e32 v[84:85], v[88:89], v[90:91]
	v_add_f64 v[82:83], v[82:83], -v[84:85]
	buffer_store_dword v83, off, s[0:3], 0 offset:148
	buffer_store_dword v82, off, s[0:3], 0 offset:144
	s_and_saveexec_b64 s[4:5], vcc
	s_cbranch_execz .LBB103_213
; %bb.212:
	buffer_load_dword v82, off, s[0:3], 0 offset:136
	buffer_load_dword v83, off, s[0:3], 0 offset:140
	s_waitcnt vmcnt(0)
	ds_write_b64 v1, v[82:83]
	buffer_store_dword v86, off, s[0:3], 0 offset:136
	buffer_store_dword v86, off, s[0:3], 0 offset:140
.LBB103_213:
	s_or_b64 exec, exec, s[4:5]
	s_waitcnt lgkmcnt(0)
	; wave barrier
	s_waitcnt lgkmcnt(0)
	buffer_load_dword v82, off, s[0:3], 0 offset:136
	buffer_load_dword v83, off, s[0:3], 0 offset:140
	;; [unrolled: 1-line block ×16, first 2 shown]
	ds_read_b128 v[88:91], v86 offset:464
	ds_read_b128 v[92:95], v86 offset:480
	;; [unrolled: 1-line block ×4, first 2 shown]
	v_cmp_lt_u32_e32 vcc, 16, v0
	s_waitcnt vmcnt(12) lgkmcnt(3)
	v_fma_f64 v[84:85], v[84:85], v[88:89], 0
	buffer_load_dword v89, off, s[0:3], 0 offset:204
	buffer_load_dword v88, off, s[0:3], 0 offset:200
	s_waitcnt vmcnt(12)
	v_fmac_f64_e32 v[84:85], v[104:105], v[90:91]
	s_waitcnt vmcnt(10) lgkmcnt(2)
	v_fmac_f64_e32 v[84:85], v[106:107], v[92:93]
	buffer_load_dword v93, off, s[0:3], 0 offset:212
	buffer_load_dword v92, off, s[0:3], 0 offset:208
	s_waitcnt vmcnt(10)
	v_fmac_f64_e32 v[84:85], v[108:109], v[94:95]
	s_waitcnt vmcnt(8) lgkmcnt(1)
	v_fmac_f64_e32 v[84:85], v[110:111], v[96:97]
	s_waitcnt vmcnt(6)
	v_fmac_f64_e32 v[84:85], v[112:113], v[98:99]
	s_waitcnt vmcnt(4) lgkmcnt(0)
	v_fmac_f64_e32 v[84:85], v[114:115], v[100:101]
	s_waitcnt vmcnt(2)
	v_fmac_f64_e32 v[84:85], v[88:89], v[102:103]
	ds_read_b128 v[88:91], v86 offset:528
	s_waitcnt vmcnt(0) lgkmcnt(0)
	v_fmac_f64_e32 v[84:85], v[92:93], v[88:89]
	buffer_load_dword v89, off, s[0:3], 0 offset:220
	buffer_load_dword v88, off, s[0:3], 0 offset:216
	buffer_load_dword v93, off, s[0:3], 0 offset:228
	buffer_load_dword v92, off, s[0:3], 0 offset:224
	s_waitcnt vmcnt(2)
	v_fmac_f64_e32 v[84:85], v[88:89], v[90:91]
	ds_read_b128 v[88:91], v86 offset:544
	s_waitcnt vmcnt(0) lgkmcnt(0)
	v_fmac_f64_e32 v[84:85], v[92:93], v[88:89]
	buffer_load_dword v89, off, s[0:3], 0 offset:236
	buffer_load_dword v88, off, s[0:3], 0 offset:232
	buffer_load_dword v93, off, s[0:3], 0 offset:244
	buffer_load_dword v92, off, s[0:3], 0 offset:240
	;; [unrolled: 9-line block ×5, first 2 shown]
	s_waitcnt vmcnt(2)
	v_fmac_f64_e32 v[84:85], v[88:89], v[90:91]
	ds_read_b128 v[88:91], v86 offset:608
	s_waitcnt vmcnt(0) lgkmcnt(0)
	v_fmac_f64_e32 v[84:85], v[92:93], v[88:89]
	buffer_load_dword v89, off, s[0:3], 0 offset:300
	buffer_load_dword v88, off, s[0:3], 0 offset:296
	s_waitcnt vmcnt(0)
	v_fmac_f64_e32 v[84:85], v[88:89], v[90:91]
	buffer_load_dword v91, off, s[0:3], 0 offset:308
	buffer_load_dword v90, off, s[0:3], 0 offset:304
	ds_read_b128 v[86:89], v86 offset:624
	s_waitcnt vmcnt(0) lgkmcnt(0)
	v_fmac_f64_e32 v[84:85], v[90:91], v[86:87]
	buffer_load_dword v87, off, s[0:3], 0 offset:316
	buffer_load_dword v86, off, s[0:3], 0 offset:312
	s_waitcnt vmcnt(0)
	v_fmac_f64_e32 v[84:85], v[86:87], v[88:89]
	v_add_f64 v[82:83], v[82:83], -v[84:85]
	buffer_store_dword v83, off, s[0:3], 0 offset:140
	buffer_store_dword v82, off, s[0:3], 0 offset:136
	s_and_saveexec_b64 s[4:5], vcc
	s_cbranch_execz .LBB103_215
; %bb.214:
	buffer_load_dword v82, off, s[0:3], 0 offset:128
	buffer_load_dword v83, off, s[0:3], 0 offset:132
	v_mov_b32_e32 v84, 0
	buffer_store_dword v84, off, s[0:3], 0 offset:128
	buffer_store_dword v84, off, s[0:3], 0 offset:132
	s_waitcnt vmcnt(2)
	ds_write_b64 v1, v[82:83]
.LBB103_215:
	s_or_b64 exec, exec, s[4:5]
	s_waitcnt lgkmcnt(0)
	; wave barrier
	s_waitcnt lgkmcnt(0)
	buffer_load_dword v82, off, s[0:3], 0 offset:128
	buffer_load_dword v83, off, s[0:3], 0 offset:132
	buffer_load_dword v84, off, s[0:3], 0 offset:136
	buffer_load_dword v85, off, s[0:3], 0 offset:140
	buffer_load_dword v92, off, s[0:3], 0 offset:144
	buffer_load_dword v93, off, s[0:3], 0 offset:148
	buffer_load_dword v94, off, s[0:3], 0 offset:152
	buffer_load_dword v95, off, s[0:3], 0 offset:156
	buffer_load_dword v96, off, s[0:3], 0 offset:160
	buffer_load_dword v97, off, s[0:3], 0 offset:164
	buffer_load_dword v98, off, s[0:3], 0 offset:168
	buffer_load_dword v99, off, s[0:3], 0 offset:172
	buffer_load_dword v100, off, s[0:3], 0 offset:176
	buffer_load_dword v101, off, s[0:3], 0 offset:180
	buffer_load_dword v102, off, s[0:3], 0 offset:184
	buffer_load_dword v103, off, s[0:3], 0 offset:188
	v_mov_b32_e32 v86, 0
	ds_read2_b64 v[88:91], v86 offset0:57 offset1:58
	v_cmp_lt_u32_e32 vcc, 15, v0
	s_waitcnt vmcnt(12) lgkmcnt(0)
	v_fma_f64 v[84:85], v[84:85], v[88:89], 0
	s_waitcnt vmcnt(10)
	v_fmac_f64_e32 v[84:85], v[92:93], v[90:91]
	ds_read2_b64 v[88:91], v86 offset0:59 offset1:60
	s_waitcnt vmcnt(8) lgkmcnt(0)
	v_fmac_f64_e32 v[84:85], v[94:95], v[88:89]
	s_waitcnt vmcnt(6)
	v_fmac_f64_e32 v[84:85], v[96:97], v[90:91]
	ds_read2_b64 v[88:91], v86 offset0:61 offset1:62
	s_waitcnt vmcnt(4) lgkmcnt(0)
	v_fmac_f64_e32 v[84:85], v[98:99], v[88:89]
	;; [unrolled: 5-line block ×3, first 2 shown]
	buffer_load_dword v89, off, s[0:3], 0 offset:196
	buffer_load_dword v88, off, s[0:3], 0 offset:192
	buffer_load_dword v93, off, s[0:3], 0 offset:204
	buffer_load_dword v92, off, s[0:3], 0 offset:200
	s_waitcnt vmcnt(2)
	v_fmac_f64_e32 v[84:85], v[88:89], v[90:91]
	ds_read2_b64 v[88:91], v86 offset0:65 offset1:66
	s_waitcnt vmcnt(0) lgkmcnt(0)
	v_fmac_f64_e32 v[84:85], v[92:93], v[88:89]
	buffer_load_dword v89, off, s[0:3], 0 offset:212
	buffer_load_dword v88, off, s[0:3], 0 offset:208
	buffer_load_dword v93, off, s[0:3], 0 offset:220
	buffer_load_dword v92, off, s[0:3], 0 offset:216
	s_waitcnt vmcnt(2)
	v_fmac_f64_e32 v[84:85], v[88:89], v[90:91]
	ds_read2_b64 v[88:91], v86 offset0:67 offset1:68
	s_waitcnt vmcnt(0) lgkmcnt(0)
	v_fmac_f64_e32 v[84:85], v[92:93], v[88:89]
	;; [unrolled: 9-line block ×7, first 2 shown]
	buffer_load_dword v89, off, s[0:3], 0 offset:308
	buffer_load_dword v88, off, s[0:3], 0 offset:304
	s_waitcnt vmcnt(0)
	v_fmac_f64_e32 v[84:85], v[88:89], v[90:91]
	buffer_load_dword v89, off, s[0:3], 0 offset:316
	buffer_load_dword v88, off, s[0:3], 0 offset:312
	ds_read_b64 v[90:91], v86 offset:632
	s_waitcnt vmcnt(0) lgkmcnt(0)
	v_fmac_f64_e32 v[84:85], v[88:89], v[90:91]
	v_add_f64 v[82:83], v[82:83], -v[84:85]
	buffer_store_dword v83, off, s[0:3], 0 offset:132
	buffer_store_dword v82, off, s[0:3], 0 offset:128
	s_and_saveexec_b64 s[4:5], vcc
	s_cbranch_execz .LBB103_217
; %bb.216:
	buffer_load_dword v82, off, s[0:3], 0 offset:120
	buffer_load_dword v83, off, s[0:3], 0 offset:124
	s_waitcnt vmcnt(0)
	ds_write_b64 v1, v[82:83]
	buffer_store_dword v86, off, s[0:3], 0 offset:120
	buffer_store_dword v86, off, s[0:3], 0 offset:124
.LBB103_217:
	s_or_b64 exec, exec, s[4:5]
	s_waitcnt lgkmcnt(0)
	; wave barrier
	s_waitcnt lgkmcnt(0)
	buffer_load_dword v82, off, s[0:3], 0 offset:120
	buffer_load_dword v83, off, s[0:3], 0 offset:124
	;; [unrolled: 1-line block ×16, first 2 shown]
	ds_read_b128 v[88:91], v86 offset:448
	ds_read_b128 v[92:95], v86 offset:464
	ds_read_b128 v[96:99], v86 offset:480
	ds_read_b128 v[100:103], v86 offset:496
	v_cmp_lt_u32_e32 vcc, 14, v0
	s_waitcnt vmcnt(12) lgkmcnt(3)
	v_fma_f64 v[84:85], v[84:85], v[88:89], 0
	buffer_load_dword v89, off, s[0:3], 0 offset:188
	buffer_load_dword v88, off, s[0:3], 0 offset:184
	s_waitcnt vmcnt(12)
	v_fmac_f64_e32 v[84:85], v[104:105], v[90:91]
	s_waitcnt vmcnt(10) lgkmcnt(2)
	v_fmac_f64_e32 v[84:85], v[106:107], v[92:93]
	buffer_load_dword v93, off, s[0:3], 0 offset:196
	buffer_load_dword v92, off, s[0:3], 0 offset:192
	s_waitcnt vmcnt(10)
	v_fmac_f64_e32 v[84:85], v[108:109], v[94:95]
	s_waitcnt vmcnt(8) lgkmcnt(1)
	v_fmac_f64_e32 v[84:85], v[110:111], v[96:97]
	s_waitcnt vmcnt(6)
	v_fmac_f64_e32 v[84:85], v[112:113], v[98:99]
	s_waitcnt vmcnt(4) lgkmcnt(0)
	v_fmac_f64_e32 v[84:85], v[114:115], v[100:101]
	s_waitcnt vmcnt(2)
	v_fmac_f64_e32 v[84:85], v[88:89], v[102:103]
	ds_read_b128 v[88:91], v86 offset:512
	s_waitcnt vmcnt(0) lgkmcnt(0)
	v_fmac_f64_e32 v[84:85], v[92:93], v[88:89]
	buffer_load_dword v89, off, s[0:3], 0 offset:204
	buffer_load_dword v88, off, s[0:3], 0 offset:200
	buffer_load_dword v93, off, s[0:3], 0 offset:212
	buffer_load_dword v92, off, s[0:3], 0 offset:208
	s_waitcnt vmcnt(2)
	v_fmac_f64_e32 v[84:85], v[88:89], v[90:91]
	ds_read_b128 v[88:91], v86 offset:528
	s_waitcnt vmcnt(0) lgkmcnt(0)
	v_fmac_f64_e32 v[84:85], v[92:93], v[88:89]
	buffer_load_dword v89, off, s[0:3], 0 offset:220
	buffer_load_dword v88, off, s[0:3], 0 offset:216
	buffer_load_dword v93, off, s[0:3], 0 offset:228
	buffer_load_dword v92, off, s[0:3], 0 offset:224
	;; [unrolled: 9-line block ×6, first 2 shown]
	s_waitcnt vmcnt(2)
	v_fmac_f64_e32 v[84:85], v[88:89], v[90:91]
	ds_read_b128 v[88:91], v86 offset:608
	s_waitcnt vmcnt(0) lgkmcnt(0)
	v_fmac_f64_e32 v[84:85], v[92:93], v[88:89]
	buffer_load_dword v89, off, s[0:3], 0 offset:300
	buffer_load_dword v88, off, s[0:3], 0 offset:296
	s_waitcnt vmcnt(0)
	v_fmac_f64_e32 v[84:85], v[88:89], v[90:91]
	buffer_load_dword v91, off, s[0:3], 0 offset:308
	buffer_load_dword v90, off, s[0:3], 0 offset:304
	ds_read_b128 v[86:89], v86 offset:624
	s_waitcnt vmcnt(0) lgkmcnt(0)
	v_fmac_f64_e32 v[84:85], v[90:91], v[86:87]
	buffer_load_dword v87, off, s[0:3], 0 offset:316
	buffer_load_dword v86, off, s[0:3], 0 offset:312
	s_waitcnt vmcnt(0)
	v_fmac_f64_e32 v[84:85], v[86:87], v[88:89]
	v_add_f64 v[82:83], v[82:83], -v[84:85]
	buffer_store_dword v83, off, s[0:3], 0 offset:124
	buffer_store_dword v82, off, s[0:3], 0 offset:120
	s_and_saveexec_b64 s[4:5], vcc
	s_cbranch_execz .LBB103_219
; %bb.218:
	buffer_load_dword v82, off, s[0:3], 0 offset:112
	buffer_load_dword v83, off, s[0:3], 0 offset:116
	v_mov_b32_e32 v84, 0
	buffer_store_dword v84, off, s[0:3], 0 offset:112
	buffer_store_dword v84, off, s[0:3], 0 offset:116
	s_waitcnt vmcnt(2)
	ds_write_b64 v1, v[82:83]
.LBB103_219:
	s_or_b64 exec, exec, s[4:5]
	s_waitcnt lgkmcnt(0)
	; wave barrier
	s_waitcnt lgkmcnt(0)
	buffer_load_dword v82, off, s[0:3], 0 offset:112
	buffer_load_dword v83, off, s[0:3], 0 offset:116
	;; [unrolled: 1-line block ×16, first 2 shown]
	v_mov_b32_e32 v86, 0
	ds_read2_b64 v[88:91], v86 offset0:55 offset1:56
	v_cmp_lt_u32_e32 vcc, 13, v0
	s_waitcnt vmcnt(12) lgkmcnt(0)
	v_fma_f64 v[84:85], v[84:85], v[88:89], 0
	s_waitcnt vmcnt(10)
	v_fmac_f64_e32 v[84:85], v[92:93], v[90:91]
	ds_read2_b64 v[88:91], v86 offset0:57 offset1:58
	s_waitcnt vmcnt(8) lgkmcnt(0)
	v_fmac_f64_e32 v[84:85], v[94:95], v[88:89]
	s_waitcnt vmcnt(6)
	v_fmac_f64_e32 v[84:85], v[96:97], v[90:91]
	ds_read2_b64 v[88:91], v86 offset0:59 offset1:60
	s_waitcnt vmcnt(4) lgkmcnt(0)
	v_fmac_f64_e32 v[84:85], v[98:99], v[88:89]
	s_waitcnt vmcnt(2)
	v_fmac_f64_e32 v[84:85], v[100:101], v[90:91]
	ds_read2_b64 v[88:91], v86 offset0:61 offset1:62
	s_waitcnt vmcnt(0) lgkmcnt(0)
	v_fmac_f64_e32 v[84:85], v[102:103], v[88:89]
	buffer_load_dword v89, off, s[0:3], 0 offset:180
	buffer_load_dword v88, off, s[0:3], 0 offset:176
	buffer_load_dword v93, off, s[0:3], 0 offset:188
	buffer_load_dword v92, off, s[0:3], 0 offset:184
	s_waitcnt vmcnt(2)
	v_fmac_f64_e32 v[84:85], v[88:89], v[90:91]
	ds_read2_b64 v[88:91], v86 offset0:63 offset1:64
	s_waitcnt vmcnt(0) lgkmcnt(0)
	v_fmac_f64_e32 v[84:85], v[92:93], v[88:89]
	buffer_load_dword v89, off, s[0:3], 0 offset:196
	buffer_load_dword v88, off, s[0:3], 0 offset:192
	buffer_load_dword v93, off, s[0:3], 0 offset:204
	buffer_load_dword v92, off, s[0:3], 0 offset:200
	s_waitcnt vmcnt(2)
	v_fmac_f64_e32 v[84:85], v[88:89], v[90:91]
	ds_read2_b64 v[88:91], v86 offset0:65 offset1:66
	s_waitcnt vmcnt(0) lgkmcnt(0)
	v_fmac_f64_e32 v[84:85], v[92:93], v[88:89]
	;; [unrolled: 9-line block ×8, first 2 shown]
	buffer_load_dword v89, off, s[0:3], 0 offset:308
	buffer_load_dword v88, off, s[0:3], 0 offset:304
	s_waitcnt vmcnt(0)
	v_fmac_f64_e32 v[84:85], v[88:89], v[90:91]
	buffer_load_dword v89, off, s[0:3], 0 offset:316
	buffer_load_dword v88, off, s[0:3], 0 offset:312
	ds_read_b64 v[90:91], v86 offset:632
	s_waitcnt vmcnt(0) lgkmcnt(0)
	v_fmac_f64_e32 v[84:85], v[88:89], v[90:91]
	v_add_f64 v[82:83], v[82:83], -v[84:85]
	buffer_store_dword v83, off, s[0:3], 0 offset:116
	buffer_store_dword v82, off, s[0:3], 0 offset:112
	s_and_saveexec_b64 s[4:5], vcc
	s_cbranch_execz .LBB103_221
; %bb.220:
	buffer_load_dword v82, off, s[0:3], 0 offset:104
	buffer_load_dword v83, off, s[0:3], 0 offset:108
	s_waitcnt vmcnt(0)
	ds_write_b64 v1, v[82:83]
	buffer_store_dword v86, off, s[0:3], 0 offset:104
	buffer_store_dword v86, off, s[0:3], 0 offset:108
.LBB103_221:
	s_or_b64 exec, exec, s[4:5]
	s_waitcnt lgkmcnt(0)
	; wave barrier
	s_waitcnt lgkmcnt(0)
	buffer_load_dword v82, off, s[0:3], 0 offset:104
	buffer_load_dword v83, off, s[0:3], 0 offset:108
	;; [unrolled: 1-line block ×16, first 2 shown]
	ds_read_b128 v[88:91], v86 offset:432
	ds_read_b128 v[92:95], v86 offset:448
	;; [unrolled: 1-line block ×4, first 2 shown]
	v_cmp_lt_u32_e32 vcc, 12, v0
	s_waitcnt vmcnt(12) lgkmcnt(3)
	v_fma_f64 v[84:85], v[84:85], v[88:89], 0
	buffer_load_dword v89, off, s[0:3], 0 offset:172
	buffer_load_dword v88, off, s[0:3], 0 offset:168
	s_waitcnt vmcnt(12)
	v_fmac_f64_e32 v[84:85], v[104:105], v[90:91]
	s_waitcnt vmcnt(10) lgkmcnt(2)
	v_fmac_f64_e32 v[84:85], v[106:107], v[92:93]
	buffer_load_dword v93, off, s[0:3], 0 offset:180
	buffer_load_dword v92, off, s[0:3], 0 offset:176
	s_waitcnt vmcnt(10)
	v_fmac_f64_e32 v[84:85], v[108:109], v[94:95]
	s_waitcnt vmcnt(8) lgkmcnt(1)
	v_fmac_f64_e32 v[84:85], v[110:111], v[96:97]
	s_waitcnt vmcnt(6)
	v_fmac_f64_e32 v[84:85], v[112:113], v[98:99]
	s_waitcnt vmcnt(4) lgkmcnt(0)
	v_fmac_f64_e32 v[84:85], v[114:115], v[100:101]
	s_waitcnt vmcnt(2)
	v_fmac_f64_e32 v[84:85], v[88:89], v[102:103]
	ds_read_b128 v[88:91], v86 offset:496
	s_waitcnt vmcnt(0) lgkmcnt(0)
	v_fmac_f64_e32 v[84:85], v[92:93], v[88:89]
	buffer_load_dword v89, off, s[0:3], 0 offset:188
	buffer_load_dword v88, off, s[0:3], 0 offset:184
	buffer_load_dword v93, off, s[0:3], 0 offset:196
	buffer_load_dword v92, off, s[0:3], 0 offset:192
	s_waitcnt vmcnt(2)
	v_fmac_f64_e32 v[84:85], v[88:89], v[90:91]
	ds_read_b128 v[88:91], v86 offset:512
	s_waitcnt vmcnt(0) lgkmcnt(0)
	v_fmac_f64_e32 v[84:85], v[92:93], v[88:89]
	buffer_load_dword v89, off, s[0:3], 0 offset:204
	buffer_load_dword v88, off, s[0:3], 0 offset:200
	buffer_load_dword v93, off, s[0:3], 0 offset:212
	buffer_load_dword v92, off, s[0:3], 0 offset:208
	;; [unrolled: 9-line block ×7, first 2 shown]
	s_waitcnt vmcnt(2)
	v_fmac_f64_e32 v[84:85], v[88:89], v[90:91]
	ds_read_b128 v[88:91], v86 offset:608
	s_waitcnt vmcnt(0) lgkmcnt(0)
	v_fmac_f64_e32 v[84:85], v[92:93], v[88:89]
	buffer_load_dword v89, off, s[0:3], 0 offset:300
	buffer_load_dword v88, off, s[0:3], 0 offset:296
	s_waitcnt vmcnt(0)
	v_fmac_f64_e32 v[84:85], v[88:89], v[90:91]
	buffer_load_dword v91, off, s[0:3], 0 offset:308
	buffer_load_dword v90, off, s[0:3], 0 offset:304
	ds_read_b128 v[86:89], v86 offset:624
	s_waitcnt vmcnt(0) lgkmcnt(0)
	v_fmac_f64_e32 v[84:85], v[90:91], v[86:87]
	buffer_load_dword v87, off, s[0:3], 0 offset:316
	buffer_load_dword v86, off, s[0:3], 0 offset:312
	s_waitcnt vmcnt(0)
	v_fmac_f64_e32 v[84:85], v[86:87], v[88:89]
	v_add_f64 v[82:83], v[82:83], -v[84:85]
	buffer_store_dword v83, off, s[0:3], 0 offset:108
	buffer_store_dword v82, off, s[0:3], 0 offset:104
	s_and_saveexec_b64 s[4:5], vcc
	s_cbranch_execz .LBB103_223
; %bb.222:
	buffer_load_dword v82, off, s[0:3], 0 offset:96
	buffer_load_dword v83, off, s[0:3], 0 offset:100
	v_mov_b32_e32 v84, 0
	buffer_store_dword v84, off, s[0:3], 0 offset:96
	buffer_store_dword v84, off, s[0:3], 0 offset:100
	s_waitcnt vmcnt(2)
	ds_write_b64 v1, v[82:83]
.LBB103_223:
	s_or_b64 exec, exec, s[4:5]
	s_waitcnt lgkmcnt(0)
	; wave barrier
	s_waitcnt lgkmcnt(0)
	buffer_load_dword v82, off, s[0:3], 0 offset:96
	buffer_load_dword v83, off, s[0:3], 0 offset:100
	;; [unrolled: 1-line block ×16, first 2 shown]
	v_mov_b32_e32 v86, 0
	ds_read2_b64 v[88:91], v86 offset0:53 offset1:54
	v_cmp_lt_u32_e32 vcc, 11, v0
	s_waitcnt vmcnt(12) lgkmcnt(0)
	v_fma_f64 v[84:85], v[84:85], v[88:89], 0
	s_waitcnt vmcnt(10)
	v_fmac_f64_e32 v[84:85], v[92:93], v[90:91]
	ds_read2_b64 v[88:91], v86 offset0:55 offset1:56
	s_waitcnt vmcnt(8) lgkmcnt(0)
	v_fmac_f64_e32 v[84:85], v[94:95], v[88:89]
	s_waitcnt vmcnt(6)
	v_fmac_f64_e32 v[84:85], v[96:97], v[90:91]
	ds_read2_b64 v[88:91], v86 offset0:57 offset1:58
	s_waitcnt vmcnt(4) lgkmcnt(0)
	v_fmac_f64_e32 v[84:85], v[98:99], v[88:89]
	s_waitcnt vmcnt(2)
	v_fmac_f64_e32 v[84:85], v[100:101], v[90:91]
	ds_read2_b64 v[88:91], v86 offset0:59 offset1:60
	s_waitcnt vmcnt(0) lgkmcnt(0)
	v_fmac_f64_e32 v[84:85], v[102:103], v[88:89]
	buffer_load_dword v89, off, s[0:3], 0 offset:164
	buffer_load_dword v88, off, s[0:3], 0 offset:160
	buffer_load_dword v93, off, s[0:3], 0 offset:172
	buffer_load_dword v92, off, s[0:3], 0 offset:168
	s_waitcnt vmcnt(2)
	v_fmac_f64_e32 v[84:85], v[88:89], v[90:91]
	ds_read2_b64 v[88:91], v86 offset0:61 offset1:62
	s_waitcnt vmcnt(0) lgkmcnt(0)
	v_fmac_f64_e32 v[84:85], v[92:93], v[88:89]
	buffer_load_dword v89, off, s[0:3], 0 offset:180
	buffer_load_dword v88, off, s[0:3], 0 offset:176
	buffer_load_dword v93, off, s[0:3], 0 offset:188
	buffer_load_dword v92, off, s[0:3], 0 offset:184
	s_waitcnt vmcnt(2)
	v_fmac_f64_e32 v[84:85], v[88:89], v[90:91]
	ds_read2_b64 v[88:91], v86 offset0:63 offset1:64
	s_waitcnt vmcnt(0) lgkmcnt(0)
	v_fmac_f64_e32 v[84:85], v[92:93], v[88:89]
	;; [unrolled: 9-line block ×9, first 2 shown]
	buffer_load_dword v89, off, s[0:3], 0 offset:308
	buffer_load_dword v88, off, s[0:3], 0 offset:304
	s_waitcnt vmcnt(0)
	v_fmac_f64_e32 v[84:85], v[88:89], v[90:91]
	buffer_load_dword v89, off, s[0:3], 0 offset:316
	buffer_load_dword v88, off, s[0:3], 0 offset:312
	ds_read_b64 v[90:91], v86 offset:632
	s_waitcnt vmcnt(0) lgkmcnt(0)
	v_fmac_f64_e32 v[84:85], v[88:89], v[90:91]
	v_add_f64 v[82:83], v[82:83], -v[84:85]
	buffer_store_dword v83, off, s[0:3], 0 offset:100
	buffer_store_dword v82, off, s[0:3], 0 offset:96
	s_and_saveexec_b64 s[4:5], vcc
	s_cbranch_execz .LBB103_225
; %bb.224:
	buffer_load_dword v82, off, s[0:3], 0 offset:88
	buffer_load_dword v83, off, s[0:3], 0 offset:92
	s_waitcnt vmcnt(0)
	ds_write_b64 v1, v[82:83]
	buffer_store_dword v86, off, s[0:3], 0 offset:88
	buffer_store_dword v86, off, s[0:3], 0 offset:92
.LBB103_225:
	s_or_b64 exec, exec, s[4:5]
	s_waitcnt lgkmcnt(0)
	; wave barrier
	s_waitcnt lgkmcnt(0)
	buffer_load_dword v82, off, s[0:3], 0 offset:88
	buffer_load_dword v83, off, s[0:3], 0 offset:92
	;; [unrolled: 1-line block ×16, first 2 shown]
	ds_read_b128 v[88:91], v86 offset:416
	ds_read_b128 v[92:95], v86 offset:432
	;; [unrolled: 1-line block ×4, first 2 shown]
	v_cmp_lt_u32_e32 vcc, 10, v0
	s_waitcnt vmcnt(12) lgkmcnt(3)
	v_fma_f64 v[84:85], v[84:85], v[88:89], 0
	buffer_load_dword v89, off, s[0:3], 0 offset:156
	buffer_load_dword v88, off, s[0:3], 0 offset:152
	s_waitcnt vmcnt(12)
	v_fmac_f64_e32 v[84:85], v[104:105], v[90:91]
	s_waitcnt vmcnt(10) lgkmcnt(2)
	v_fmac_f64_e32 v[84:85], v[106:107], v[92:93]
	buffer_load_dword v93, off, s[0:3], 0 offset:164
	buffer_load_dword v92, off, s[0:3], 0 offset:160
	s_waitcnt vmcnt(10)
	v_fmac_f64_e32 v[84:85], v[108:109], v[94:95]
	s_waitcnt vmcnt(8) lgkmcnt(1)
	v_fmac_f64_e32 v[84:85], v[110:111], v[96:97]
	s_waitcnt vmcnt(6)
	v_fmac_f64_e32 v[84:85], v[112:113], v[98:99]
	s_waitcnt vmcnt(4) lgkmcnt(0)
	v_fmac_f64_e32 v[84:85], v[114:115], v[100:101]
	s_waitcnt vmcnt(2)
	v_fmac_f64_e32 v[84:85], v[88:89], v[102:103]
	ds_read_b128 v[88:91], v86 offset:480
	s_waitcnt vmcnt(0) lgkmcnt(0)
	v_fmac_f64_e32 v[84:85], v[92:93], v[88:89]
	buffer_load_dword v89, off, s[0:3], 0 offset:172
	buffer_load_dword v88, off, s[0:3], 0 offset:168
	buffer_load_dword v93, off, s[0:3], 0 offset:180
	buffer_load_dword v92, off, s[0:3], 0 offset:176
	s_waitcnt vmcnt(2)
	v_fmac_f64_e32 v[84:85], v[88:89], v[90:91]
	ds_read_b128 v[88:91], v86 offset:496
	s_waitcnt vmcnt(0) lgkmcnt(0)
	v_fmac_f64_e32 v[84:85], v[92:93], v[88:89]
	buffer_load_dword v89, off, s[0:3], 0 offset:188
	buffer_load_dword v88, off, s[0:3], 0 offset:184
	buffer_load_dword v93, off, s[0:3], 0 offset:196
	buffer_load_dword v92, off, s[0:3], 0 offset:192
	;; [unrolled: 9-line block ×8, first 2 shown]
	s_waitcnt vmcnt(2)
	v_fmac_f64_e32 v[84:85], v[88:89], v[90:91]
	ds_read_b128 v[88:91], v86 offset:608
	s_waitcnt vmcnt(0) lgkmcnt(0)
	v_fmac_f64_e32 v[84:85], v[92:93], v[88:89]
	buffer_load_dword v89, off, s[0:3], 0 offset:300
	buffer_load_dword v88, off, s[0:3], 0 offset:296
	s_waitcnt vmcnt(0)
	v_fmac_f64_e32 v[84:85], v[88:89], v[90:91]
	buffer_load_dword v91, off, s[0:3], 0 offset:308
	buffer_load_dword v90, off, s[0:3], 0 offset:304
	ds_read_b128 v[86:89], v86 offset:624
	s_waitcnt vmcnt(0) lgkmcnt(0)
	v_fmac_f64_e32 v[84:85], v[90:91], v[86:87]
	buffer_load_dword v87, off, s[0:3], 0 offset:316
	buffer_load_dword v86, off, s[0:3], 0 offset:312
	s_waitcnt vmcnt(0)
	v_fmac_f64_e32 v[84:85], v[86:87], v[88:89]
	v_add_f64 v[82:83], v[82:83], -v[84:85]
	buffer_store_dword v83, off, s[0:3], 0 offset:92
	buffer_store_dword v82, off, s[0:3], 0 offset:88
	s_and_saveexec_b64 s[4:5], vcc
	s_cbranch_execz .LBB103_227
; %bb.226:
	buffer_load_dword v82, off, s[0:3], 0 offset:80
	buffer_load_dword v83, off, s[0:3], 0 offset:84
	v_mov_b32_e32 v84, 0
	buffer_store_dword v84, off, s[0:3], 0 offset:80
	buffer_store_dword v84, off, s[0:3], 0 offset:84
	s_waitcnt vmcnt(2)
	ds_write_b64 v1, v[82:83]
.LBB103_227:
	s_or_b64 exec, exec, s[4:5]
	s_waitcnt lgkmcnt(0)
	; wave barrier
	s_waitcnt lgkmcnt(0)
	buffer_load_dword v82, off, s[0:3], 0 offset:80
	buffer_load_dword v83, off, s[0:3], 0 offset:84
	;; [unrolled: 1-line block ×16, first 2 shown]
	v_mov_b32_e32 v86, 0
	ds_read2_b64 v[88:91], v86 offset0:51 offset1:52
	v_cmp_lt_u32_e32 vcc, 9, v0
	s_waitcnt vmcnt(12) lgkmcnt(0)
	v_fma_f64 v[84:85], v[84:85], v[88:89], 0
	s_waitcnt vmcnt(10)
	v_fmac_f64_e32 v[84:85], v[92:93], v[90:91]
	ds_read2_b64 v[88:91], v86 offset0:53 offset1:54
	s_waitcnt vmcnt(8) lgkmcnt(0)
	v_fmac_f64_e32 v[84:85], v[94:95], v[88:89]
	s_waitcnt vmcnt(6)
	v_fmac_f64_e32 v[84:85], v[96:97], v[90:91]
	ds_read2_b64 v[88:91], v86 offset0:55 offset1:56
	s_waitcnt vmcnt(4) lgkmcnt(0)
	v_fmac_f64_e32 v[84:85], v[98:99], v[88:89]
	;; [unrolled: 5-line block ×3, first 2 shown]
	buffer_load_dword v89, off, s[0:3], 0 offset:148
	buffer_load_dword v88, off, s[0:3], 0 offset:144
	buffer_load_dword v93, off, s[0:3], 0 offset:156
	buffer_load_dword v92, off, s[0:3], 0 offset:152
	s_waitcnt vmcnt(2)
	v_fmac_f64_e32 v[84:85], v[88:89], v[90:91]
	ds_read2_b64 v[88:91], v86 offset0:59 offset1:60
	s_waitcnt vmcnt(0) lgkmcnt(0)
	v_fmac_f64_e32 v[84:85], v[92:93], v[88:89]
	buffer_load_dword v89, off, s[0:3], 0 offset:164
	buffer_load_dword v88, off, s[0:3], 0 offset:160
	buffer_load_dword v93, off, s[0:3], 0 offset:172
	buffer_load_dword v92, off, s[0:3], 0 offset:168
	s_waitcnt vmcnt(2)
	v_fmac_f64_e32 v[84:85], v[88:89], v[90:91]
	ds_read2_b64 v[88:91], v86 offset0:61 offset1:62
	s_waitcnt vmcnt(0) lgkmcnt(0)
	v_fmac_f64_e32 v[84:85], v[92:93], v[88:89]
	;; [unrolled: 9-line block ×10, first 2 shown]
	buffer_load_dword v89, off, s[0:3], 0 offset:308
	buffer_load_dword v88, off, s[0:3], 0 offset:304
	s_waitcnt vmcnt(0)
	v_fmac_f64_e32 v[84:85], v[88:89], v[90:91]
	buffer_load_dword v89, off, s[0:3], 0 offset:316
	buffer_load_dword v88, off, s[0:3], 0 offset:312
	ds_read_b64 v[90:91], v86 offset:632
	s_waitcnt vmcnt(0) lgkmcnt(0)
	v_fmac_f64_e32 v[84:85], v[88:89], v[90:91]
	v_add_f64 v[82:83], v[82:83], -v[84:85]
	buffer_store_dword v83, off, s[0:3], 0 offset:84
	buffer_store_dword v82, off, s[0:3], 0 offset:80
	s_and_saveexec_b64 s[4:5], vcc
	s_cbranch_execz .LBB103_229
; %bb.228:
	buffer_load_dword v82, off, s[0:3], 0 offset:72
	buffer_load_dword v83, off, s[0:3], 0 offset:76
	s_waitcnt vmcnt(0)
	ds_write_b64 v1, v[82:83]
	buffer_store_dword v86, off, s[0:3], 0 offset:72
	buffer_store_dword v86, off, s[0:3], 0 offset:76
.LBB103_229:
	s_or_b64 exec, exec, s[4:5]
	s_waitcnt lgkmcnt(0)
	; wave barrier
	s_waitcnt lgkmcnt(0)
	buffer_load_dword v82, off, s[0:3], 0 offset:72
	buffer_load_dword v83, off, s[0:3], 0 offset:76
	;; [unrolled: 1-line block ×16, first 2 shown]
	ds_read_b128 v[88:91], v86 offset:400
	ds_read_b128 v[92:95], v86 offset:416
	;; [unrolled: 1-line block ×4, first 2 shown]
	v_cmp_lt_u32_e32 vcc, 8, v0
	s_waitcnt vmcnt(12) lgkmcnt(3)
	v_fma_f64 v[84:85], v[84:85], v[88:89], 0
	buffer_load_dword v89, off, s[0:3], 0 offset:140
	buffer_load_dword v88, off, s[0:3], 0 offset:136
	s_waitcnt vmcnt(12)
	v_fmac_f64_e32 v[84:85], v[104:105], v[90:91]
	s_waitcnt vmcnt(10) lgkmcnt(2)
	v_fmac_f64_e32 v[84:85], v[106:107], v[92:93]
	buffer_load_dword v93, off, s[0:3], 0 offset:148
	buffer_load_dword v92, off, s[0:3], 0 offset:144
	s_waitcnt vmcnt(10)
	v_fmac_f64_e32 v[84:85], v[108:109], v[94:95]
	s_waitcnt vmcnt(8) lgkmcnt(1)
	v_fmac_f64_e32 v[84:85], v[110:111], v[96:97]
	s_waitcnt vmcnt(6)
	v_fmac_f64_e32 v[84:85], v[112:113], v[98:99]
	s_waitcnt vmcnt(4) lgkmcnt(0)
	v_fmac_f64_e32 v[84:85], v[114:115], v[100:101]
	s_waitcnt vmcnt(2)
	v_fmac_f64_e32 v[84:85], v[88:89], v[102:103]
	ds_read_b128 v[88:91], v86 offset:464
	s_waitcnt vmcnt(0) lgkmcnt(0)
	v_fmac_f64_e32 v[84:85], v[92:93], v[88:89]
	buffer_load_dword v89, off, s[0:3], 0 offset:156
	buffer_load_dword v88, off, s[0:3], 0 offset:152
	buffer_load_dword v93, off, s[0:3], 0 offset:164
	buffer_load_dword v92, off, s[0:3], 0 offset:160
	s_waitcnt vmcnt(2)
	v_fmac_f64_e32 v[84:85], v[88:89], v[90:91]
	ds_read_b128 v[88:91], v86 offset:480
	s_waitcnt vmcnt(0) lgkmcnt(0)
	v_fmac_f64_e32 v[84:85], v[92:93], v[88:89]
	buffer_load_dword v89, off, s[0:3], 0 offset:172
	buffer_load_dword v88, off, s[0:3], 0 offset:168
	buffer_load_dword v93, off, s[0:3], 0 offset:180
	buffer_load_dword v92, off, s[0:3], 0 offset:176
	;; [unrolled: 9-line block ×9, first 2 shown]
	s_waitcnt vmcnt(2)
	v_fmac_f64_e32 v[84:85], v[88:89], v[90:91]
	ds_read_b128 v[88:91], v86 offset:608
	s_waitcnt vmcnt(0) lgkmcnt(0)
	v_fmac_f64_e32 v[84:85], v[92:93], v[88:89]
	buffer_load_dword v89, off, s[0:3], 0 offset:300
	buffer_load_dword v88, off, s[0:3], 0 offset:296
	s_waitcnt vmcnt(0)
	v_fmac_f64_e32 v[84:85], v[88:89], v[90:91]
	buffer_load_dword v91, off, s[0:3], 0 offset:308
	buffer_load_dword v90, off, s[0:3], 0 offset:304
	ds_read_b128 v[86:89], v86 offset:624
	s_waitcnt vmcnt(0) lgkmcnt(0)
	v_fmac_f64_e32 v[84:85], v[90:91], v[86:87]
	buffer_load_dword v87, off, s[0:3], 0 offset:316
	buffer_load_dword v86, off, s[0:3], 0 offset:312
	s_waitcnt vmcnt(0)
	v_fmac_f64_e32 v[84:85], v[86:87], v[88:89]
	v_add_f64 v[82:83], v[82:83], -v[84:85]
	buffer_store_dword v83, off, s[0:3], 0 offset:76
	buffer_store_dword v82, off, s[0:3], 0 offset:72
	s_and_saveexec_b64 s[4:5], vcc
	s_cbranch_execz .LBB103_231
; %bb.230:
	buffer_load_dword v82, off, s[0:3], 0 offset:64
	buffer_load_dword v83, off, s[0:3], 0 offset:68
	v_mov_b32_e32 v84, 0
	buffer_store_dword v84, off, s[0:3], 0 offset:64
	buffer_store_dword v84, off, s[0:3], 0 offset:68
	s_waitcnt vmcnt(2)
	ds_write_b64 v1, v[82:83]
.LBB103_231:
	s_or_b64 exec, exec, s[4:5]
	s_waitcnt lgkmcnt(0)
	; wave barrier
	s_waitcnt lgkmcnt(0)
	buffer_load_dword v82, off, s[0:3], 0 offset:64
	buffer_load_dword v83, off, s[0:3], 0 offset:68
	;; [unrolled: 1-line block ×16, first 2 shown]
	v_mov_b32_e32 v86, 0
	ds_read2_b64 v[88:91], v86 offset0:49 offset1:50
	v_cmp_lt_u32_e32 vcc, 7, v0
	s_waitcnt vmcnt(12) lgkmcnt(0)
	v_fma_f64 v[84:85], v[84:85], v[88:89], 0
	s_waitcnt vmcnt(10)
	v_fmac_f64_e32 v[84:85], v[92:93], v[90:91]
	ds_read2_b64 v[88:91], v86 offset0:51 offset1:52
	s_waitcnt vmcnt(8) lgkmcnt(0)
	v_fmac_f64_e32 v[84:85], v[94:95], v[88:89]
	s_waitcnt vmcnt(6)
	v_fmac_f64_e32 v[84:85], v[96:97], v[90:91]
	ds_read2_b64 v[88:91], v86 offset0:53 offset1:54
	s_waitcnt vmcnt(4) lgkmcnt(0)
	v_fmac_f64_e32 v[84:85], v[98:99], v[88:89]
	;; [unrolled: 5-line block ×3, first 2 shown]
	buffer_load_dword v89, off, s[0:3], 0 offset:132
	buffer_load_dword v88, off, s[0:3], 0 offset:128
	buffer_load_dword v93, off, s[0:3], 0 offset:140
	buffer_load_dword v92, off, s[0:3], 0 offset:136
	s_waitcnt vmcnt(2)
	v_fmac_f64_e32 v[84:85], v[88:89], v[90:91]
	ds_read2_b64 v[88:91], v86 offset0:57 offset1:58
	s_waitcnt vmcnt(0) lgkmcnt(0)
	v_fmac_f64_e32 v[84:85], v[92:93], v[88:89]
	buffer_load_dword v89, off, s[0:3], 0 offset:148
	buffer_load_dword v88, off, s[0:3], 0 offset:144
	buffer_load_dword v93, off, s[0:3], 0 offset:156
	buffer_load_dword v92, off, s[0:3], 0 offset:152
	s_waitcnt vmcnt(2)
	v_fmac_f64_e32 v[84:85], v[88:89], v[90:91]
	ds_read2_b64 v[88:91], v86 offset0:59 offset1:60
	s_waitcnt vmcnt(0) lgkmcnt(0)
	v_fmac_f64_e32 v[84:85], v[92:93], v[88:89]
	;; [unrolled: 9-line block ×11, first 2 shown]
	buffer_load_dword v89, off, s[0:3], 0 offset:308
	buffer_load_dword v88, off, s[0:3], 0 offset:304
	s_waitcnt vmcnt(0)
	v_fmac_f64_e32 v[84:85], v[88:89], v[90:91]
	buffer_load_dword v89, off, s[0:3], 0 offset:316
	buffer_load_dword v88, off, s[0:3], 0 offset:312
	ds_read_b64 v[90:91], v86 offset:632
	s_waitcnt vmcnt(0) lgkmcnt(0)
	v_fmac_f64_e32 v[84:85], v[88:89], v[90:91]
	v_add_f64 v[82:83], v[82:83], -v[84:85]
	buffer_store_dword v83, off, s[0:3], 0 offset:68
	buffer_store_dword v82, off, s[0:3], 0 offset:64
	s_and_saveexec_b64 s[4:5], vcc
	s_cbranch_execz .LBB103_233
; %bb.232:
	buffer_load_dword v82, off, s[0:3], 0 offset:56
	buffer_load_dword v83, off, s[0:3], 0 offset:60
	s_waitcnt vmcnt(0)
	ds_write_b64 v1, v[82:83]
	buffer_store_dword v86, off, s[0:3], 0 offset:56
	buffer_store_dword v86, off, s[0:3], 0 offset:60
.LBB103_233:
	s_or_b64 exec, exec, s[4:5]
	s_waitcnt lgkmcnt(0)
	; wave barrier
	s_waitcnt lgkmcnt(0)
	buffer_load_dword v82, off, s[0:3], 0 offset:56
	buffer_load_dword v83, off, s[0:3], 0 offset:60
	;; [unrolled: 1-line block ×16, first 2 shown]
	ds_read_b128 v[88:91], v86 offset:384
	ds_read_b128 v[92:95], v86 offset:400
	;; [unrolled: 1-line block ×4, first 2 shown]
	v_cmp_lt_u32_e32 vcc, 6, v0
	s_waitcnt vmcnt(12) lgkmcnt(3)
	v_fma_f64 v[84:85], v[84:85], v[88:89], 0
	buffer_load_dword v89, off, s[0:3], 0 offset:124
	buffer_load_dword v88, off, s[0:3], 0 offset:120
	s_waitcnt vmcnt(12)
	v_fmac_f64_e32 v[84:85], v[104:105], v[90:91]
	s_waitcnt vmcnt(10) lgkmcnt(2)
	v_fmac_f64_e32 v[84:85], v[106:107], v[92:93]
	buffer_load_dword v93, off, s[0:3], 0 offset:132
	buffer_load_dword v92, off, s[0:3], 0 offset:128
	s_waitcnt vmcnt(10)
	v_fmac_f64_e32 v[84:85], v[108:109], v[94:95]
	s_waitcnt vmcnt(8) lgkmcnt(1)
	v_fmac_f64_e32 v[84:85], v[110:111], v[96:97]
	s_waitcnt vmcnt(6)
	v_fmac_f64_e32 v[84:85], v[112:113], v[98:99]
	s_waitcnt vmcnt(4) lgkmcnt(0)
	v_fmac_f64_e32 v[84:85], v[114:115], v[100:101]
	s_waitcnt vmcnt(2)
	v_fmac_f64_e32 v[84:85], v[88:89], v[102:103]
	ds_read_b128 v[88:91], v86 offset:448
	s_waitcnt vmcnt(0) lgkmcnt(0)
	v_fmac_f64_e32 v[84:85], v[92:93], v[88:89]
	buffer_load_dword v89, off, s[0:3], 0 offset:140
	buffer_load_dword v88, off, s[0:3], 0 offset:136
	buffer_load_dword v93, off, s[0:3], 0 offset:148
	buffer_load_dword v92, off, s[0:3], 0 offset:144
	s_waitcnt vmcnt(2)
	v_fmac_f64_e32 v[84:85], v[88:89], v[90:91]
	ds_read_b128 v[88:91], v86 offset:464
	s_waitcnt vmcnt(0) lgkmcnt(0)
	v_fmac_f64_e32 v[84:85], v[92:93], v[88:89]
	buffer_load_dword v89, off, s[0:3], 0 offset:156
	buffer_load_dword v88, off, s[0:3], 0 offset:152
	buffer_load_dword v93, off, s[0:3], 0 offset:164
	buffer_load_dword v92, off, s[0:3], 0 offset:160
	;; [unrolled: 9-line block ×10, first 2 shown]
	s_waitcnt vmcnt(2)
	v_fmac_f64_e32 v[84:85], v[88:89], v[90:91]
	ds_read_b128 v[88:91], v86 offset:608
	s_waitcnt vmcnt(0) lgkmcnt(0)
	v_fmac_f64_e32 v[84:85], v[92:93], v[88:89]
	buffer_load_dword v89, off, s[0:3], 0 offset:300
	buffer_load_dword v88, off, s[0:3], 0 offset:296
	s_waitcnt vmcnt(0)
	v_fmac_f64_e32 v[84:85], v[88:89], v[90:91]
	buffer_load_dword v91, off, s[0:3], 0 offset:308
	buffer_load_dword v90, off, s[0:3], 0 offset:304
	ds_read_b128 v[86:89], v86 offset:624
	s_waitcnt vmcnt(0) lgkmcnt(0)
	v_fmac_f64_e32 v[84:85], v[90:91], v[86:87]
	buffer_load_dword v87, off, s[0:3], 0 offset:316
	buffer_load_dword v86, off, s[0:3], 0 offset:312
	s_waitcnt vmcnt(0)
	v_fmac_f64_e32 v[84:85], v[86:87], v[88:89]
	v_add_f64 v[82:83], v[82:83], -v[84:85]
	buffer_store_dword v83, off, s[0:3], 0 offset:60
	buffer_store_dword v82, off, s[0:3], 0 offset:56
	s_and_saveexec_b64 s[4:5], vcc
	s_cbranch_execz .LBB103_235
; %bb.234:
	buffer_load_dword v82, off, s[0:3], 0 offset:48
	buffer_load_dword v83, off, s[0:3], 0 offset:52
	v_mov_b32_e32 v84, 0
	buffer_store_dword v84, off, s[0:3], 0 offset:48
	buffer_store_dword v84, off, s[0:3], 0 offset:52
	s_waitcnt vmcnt(2)
	ds_write_b64 v1, v[82:83]
.LBB103_235:
	s_or_b64 exec, exec, s[4:5]
	s_waitcnt lgkmcnt(0)
	; wave barrier
	s_waitcnt lgkmcnt(0)
	buffer_load_dword v82, off, s[0:3], 0 offset:48
	buffer_load_dword v83, off, s[0:3], 0 offset:52
	;; [unrolled: 1-line block ×16, first 2 shown]
	v_mov_b32_e32 v86, 0
	ds_read2_b64 v[88:91], v86 offset0:47 offset1:48
	v_cmp_lt_u32_e32 vcc, 5, v0
	s_waitcnt vmcnt(12) lgkmcnt(0)
	v_fma_f64 v[84:85], v[84:85], v[88:89], 0
	s_waitcnt vmcnt(10)
	v_fmac_f64_e32 v[84:85], v[92:93], v[90:91]
	ds_read2_b64 v[88:91], v86 offset0:49 offset1:50
	s_waitcnt vmcnt(8) lgkmcnt(0)
	v_fmac_f64_e32 v[84:85], v[94:95], v[88:89]
	s_waitcnt vmcnt(6)
	v_fmac_f64_e32 v[84:85], v[96:97], v[90:91]
	ds_read2_b64 v[88:91], v86 offset0:51 offset1:52
	s_waitcnt vmcnt(4) lgkmcnt(0)
	v_fmac_f64_e32 v[84:85], v[98:99], v[88:89]
	;; [unrolled: 5-line block ×3, first 2 shown]
	buffer_load_dword v89, off, s[0:3], 0 offset:116
	buffer_load_dword v88, off, s[0:3], 0 offset:112
	buffer_load_dword v93, off, s[0:3], 0 offset:124
	buffer_load_dword v92, off, s[0:3], 0 offset:120
	s_waitcnt vmcnt(2)
	v_fmac_f64_e32 v[84:85], v[88:89], v[90:91]
	ds_read2_b64 v[88:91], v86 offset0:55 offset1:56
	s_waitcnt vmcnt(0) lgkmcnt(0)
	v_fmac_f64_e32 v[84:85], v[92:93], v[88:89]
	buffer_load_dword v89, off, s[0:3], 0 offset:132
	buffer_load_dword v88, off, s[0:3], 0 offset:128
	buffer_load_dword v93, off, s[0:3], 0 offset:140
	buffer_load_dword v92, off, s[0:3], 0 offset:136
	s_waitcnt vmcnt(2)
	v_fmac_f64_e32 v[84:85], v[88:89], v[90:91]
	ds_read2_b64 v[88:91], v86 offset0:57 offset1:58
	s_waitcnt vmcnt(0) lgkmcnt(0)
	v_fmac_f64_e32 v[84:85], v[92:93], v[88:89]
	;; [unrolled: 9-line block ×12, first 2 shown]
	buffer_load_dword v89, off, s[0:3], 0 offset:308
	buffer_load_dword v88, off, s[0:3], 0 offset:304
	s_waitcnt vmcnt(0)
	v_fmac_f64_e32 v[84:85], v[88:89], v[90:91]
	buffer_load_dword v89, off, s[0:3], 0 offset:316
	buffer_load_dword v88, off, s[0:3], 0 offset:312
	ds_read_b64 v[90:91], v86 offset:632
	s_waitcnt vmcnt(0) lgkmcnt(0)
	v_fmac_f64_e32 v[84:85], v[88:89], v[90:91]
	v_add_f64 v[82:83], v[82:83], -v[84:85]
	buffer_store_dword v83, off, s[0:3], 0 offset:52
	buffer_store_dword v82, off, s[0:3], 0 offset:48
	s_and_saveexec_b64 s[4:5], vcc
	s_cbranch_execz .LBB103_237
; %bb.236:
	buffer_load_dword v82, off, s[0:3], 0 offset:40
	buffer_load_dword v83, off, s[0:3], 0 offset:44
	s_waitcnt vmcnt(0)
	ds_write_b64 v1, v[82:83]
	buffer_store_dword v86, off, s[0:3], 0 offset:40
	buffer_store_dword v86, off, s[0:3], 0 offset:44
.LBB103_237:
	s_or_b64 exec, exec, s[4:5]
	s_waitcnt lgkmcnt(0)
	; wave barrier
	s_waitcnt lgkmcnt(0)
	buffer_load_dword v82, off, s[0:3], 0 offset:40
	buffer_load_dword v83, off, s[0:3], 0 offset:44
	;; [unrolled: 1-line block ×16, first 2 shown]
	ds_read_b128 v[88:91], v86 offset:368
	ds_read_b128 v[92:95], v86 offset:384
	;; [unrolled: 1-line block ×4, first 2 shown]
	v_cmp_lt_u32_e32 vcc, 4, v0
	s_waitcnt vmcnt(12) lgkmcnt(3)
	v_fma_f64 v[84:85], v[84:85], v[88:89], 0
	buffer_load_dword v89, off, s[0:3], 0 offset:108
	buffer_load_dword v88, off, s[0:3], 0 offset:104
	s_waitcnt vmcnt(12)
	v_fmac_f64_e32 v[84:85], v[104:105], v[90:91]
	s_waitcnt vmcnt(10) lgkmcnt(2)
	v_fmac_f64_e32 v[84:85], v[106:107], v[92:93]
	buffer_load_dword v93, off, s[0:3], 0 offset:116
	buffer_load_dword v92, off, s[0:3], 0 offset:112
	s_waitcnt vmcnt(10)
	v_fmac_f64_e32 v[84:85], v[108:109], v[94:95]
	s_waitcnt vmcnt(8) lgkmcnt(1)
	v_fmac_f64_e32 v[84:85], v[110:111], v[96:97]
	s_waitcnt vmcnt(6)
	v_fmac_f64_e32 v[84:85], v[112:113], v[98:99]
	s_waitcnt vmcnt(4) lgkmcnt(0)
	v_fmac_f64_e32 v[84:85], v[114:115], v[100:101]
	s_waitcnt vmcnt(2)
	v_fmac_f64_e32 v[84:85], v[88:89], v[102:103]
	ds_read_b128 v[88:91], v86 offset:432
	s_waitcnt vmcnt(0) lgkmcnt(0)
	v_fmac_f64_e32 v[84:85], v[92:93], v[88:89]
	buffer_load_dword v89, off, s[0:3], 0 offset:124
	buffer_load_dword v88, off, s[0:3], 0 offset:120
	buffer_load_dword v93, off, s[0:3], 0 offset:132
	buffer_load_dword v92, off, s[0:3], 0 offset:128
	s_waitcnt vmcnt(2)
	v_fmac_f64_e32 v[84:85], v[88:89], v[90:91]
	ds_read_b128 v[88:91], v86 offset:448
	s_waitcnt vmcnt(0) lgkmcnt(0)
	v_fmac_f64_e32 v[84:85], v[92:93], v[88:89]
	buffer_load_dword v89, off, s[0:3], 0 offset:140
	buffer_load_dword v88, off, s[0:3], 0 offset:136
	buffer_load_dword v93, off, s[0:3], 0 offset:148
	buffer_load_dword v92, off, s[0:3], 0 offset:144
	;; [unrolled: 9-line block ×11, first 2 shown]
	s_waitcnt vmcnt(2)
	v_fmac_f64_e32 v[84:85], v[88:89], v[90:91]
	ds_read_b128 v[88:91], v86 offset:608
	s_waitcnt vmcnt(0) lgkmcnt(0)
	v_fmac_f64_e32 v[84:85], v[92:93], v[88:89]
	buffer_load_dword v89, off, s[0:3], 0 offset:300
	buffer_load_dword v88, off, s[0:3], 0 offset:296
	s_waitcnt vmcnt(0)
	v_fmac_f64_e32 v[84:85], v[88:89], v[90:91]
	buffer_load_dword v91, off, s[0:3], 0 offset:308
	buffer_load_dword v90, off, s[0:3], 0 offset:304
	ds_read_b128 v[86:89], v86 offset:624
	s_waitcnt vmcnt(0) lgkmcnt(0)
	v_fmac_f64_e32 v[84:85], v[90:91], v[86:87]
	buffer_load_dword v87, off, s[0:3], 0 offset:316
	buffer_load_dword v86, off, s[0:3], 0 offset:312
	s_waitcnt vmcnt(0)
	v_fmac_f64_e32 v[84:85], v[86:87], v[88:89]
	v_add_f64 v[82:83], v[82:83], -v[84:85]
	buffer_store_dword v83, off, s[0:3], 0 offset:44
	buffer_store_dword v82, off, s[0:3], 0 offset:40
	s_and_saveexec_b64 s[4:5], vcc
	s_cbranch_execz .LBB103_239
; %bb.238:
	buffer_load_dword v82, off, s[0:3], 0 offset:32
	buffer_load_dword v83, off, s[0:3], 0 offset:36
	v_mov_b32_e32 v84, 0
	buffer_store_dword v84, off, s[0:3], 0 offset:32
	buffer_store_dword v84, off, s[0:3], 0 offset:36
	s_waitcnt vmcnt(2)
	ds_write_b64 v1, v[82:83]
.LBB103_239:
	s_or_b64 exec, exec, s[4:5]
	s_waitcnt lgkmcnt(0)
	; wave barrier
	s_waitcnt lgkmcnt(0)
	buffer_load_dword v82, off, s[0:3], 0 offset:32
	buffer_load_dword v83, off, s[0:3], 0 offset:36
	;; [unrolled: 1-line block ×16, first 2 shown]
	v_mov_b32_e32 v86, 0
	ds_read2_b64 v[88:91], v86 offset0:45 offset1:46
	v_cmp_lt_u32_e32 vcc, 3, v0
	s_waitcnt vmcnt(12) lgkmcnt(0)
	v_fma_f64 v[84:85], v[84:85], v[88:89], 0
	s_waitcnt vmcnt(10)
	v_fmac_f64_e32 v[84:85], v[92:93], v[90:91]
	ds_read2_b64 v[88:91], v86 offset0:47 offset1:48
	s_waitcnt vmcnt(8) lgkmcnt(0)
	v_fmac_f64_e32 v[84:85], v[94:95], v[88:89]
	s_waitcnt vmcnt(6)
	v_fmac_f64_e32 v[84:85], v[96:97], v[90:91]
	ds_read2_b64 v[88:91], v86 offset0:49 offset1:50
	s_waitcnt vmcnt(4) lgkmcnt(0)
	v_fmac_f64_e32 v[84:85], v[98:99], v[88:89]
	s_waitcnt vmcnt(2)
	v_fmac_f64_e32 v[84:85], v[100:101], v[90:91]
	ds_read2_b64 v[88:91], v86 offset0:51 offset1:52
	s_waitcnt vmcnt(0) lgkmcnt(0)
	v_fmac_f64_e32 v[84:85], v[102:103], v[88:89]
	buffer_load_dword v89, off, s[0:3], 0 offset:100
	buffer_load_dword v88, off, s[0:3], 0 offset:96
	buffer_load_dword v93, off, s[0:3], 0 offset:108
	buffer_load_dword v92, off, s[0:3], 0 offset:104
	s_waitcnt vmcnt(2)
	v_fmac_f64_e32 v[84:85], v[88:89], v[90:91]
	ds_read2_b64 v[88:91], v86 offset0:53 offset1:54
	s_waitcnt vmcnt(0) lgkmcnt(0)
	v_fmac_f64_e32 v[84:85], v[92:93], v[88:89]
	buffer_load_dword v89, off, s[0:3], 0 offset:116
	buffer_load_dword v88, off, s[0:3], 0 offset:112
	buffer_load_dword v93, off, s[0:3], 0 offset:124
	buffer_load_dword v92, off, s[0:3], 0 offset:120
	s_waitcnt vmcnt(2)
	v_fmac_f64_e32 v[84:85], v[88:89], v[90:91]
	ds_read2_b64 v[88:91], v86 offset0:55 offset1:56
	s_waitcnt vmcnt(0) lgkmcnt(0)
	v_fmac_f64_e32 v[84:85], v[92:93], v[88:89]
	;; [unrolled: 9-line block ×13, first 2 shown]
	buffer_load_dword v89, off, s[0:3], 0 offset:308
	buffer_load_dword v88, off, s[0:3], 0 offset:304
	s_waitcnt vmcnt(0)
	v_fmac_f64_e32 v[84:85], v[88:89], v[90:91]
	buffer_load_dword v89, off, s[0:3], 0 offset:316
	buffer_load_dword v88, off, s[0:3], 0 offset:312
	ds_read_b64 v[90:91], v86 offset:632
	s_waitcnt vmcnt(0) lgkmcnt(0)
	v_fmac_f64_e32 v[84:85], v[88:89], v[90:91]
	v_add_f64 v[82:83], v[82:83], -v[84:85]
	buffer_store_dword v83, off, s[0:3], 0 offset:36
	buffer_store_dword v82, off, s[0:3], 0 offset:32
	s_and_saveexec_b64 s[4:5], vcc
	s_cbranch_execz .LBB103_241
; %bb.240:
	buffer_load_dword v82, off, s[0:3], 0 offset:24
	buffer_load_dword v83, off, s[0:3], 0 offset:28
	s_waitcnt vmcnt(0)
	ds_write_b64 v1, v[82:83]
	buffer_store_dword v86, off, s[0:3], 0 offset:24
	buffer_store_dword v86, off, s[0:3], 0 offset:28
.LBB103_241:
	s_or_b64 exec, exec, s[4:5]
	s_waitcnt lgkmcnt(0)
	; wave barrier
	s_waitcnt lgkmcnt(0)
	buffer_load_dword v82, off, s[0:3], 0 offset:24
	buffer_load_dword v83, off, s[0:3], 0 offset:28
	;; [unrolled: 1-line block ×16, first 2 shown]
	ds_read_b128 v[88:91], v86 offset:352
	ds_read_b128 v[92:95], v86 offset:368
	;; [unrolled: 1-line block ×4, first 2 shown]
	v_cmp_lt_u32_e32 vcc, 2, v0
	s_waitcnt vmcnt(12) lgkmcnt(3)
	v_fma_f64 v[84:85], v[84:85], v[88:89], 0
	buffer_load_dword v89, off, s[0:3], 0 offset:92
	buffer_load_dword v88, off, s[0:3], 0 offset:88
	s_waitcnt vmcnt(12)
	v_fmac_f64_e32 v[84:85], v[104:105], v[90:91]
	s_waitcnt vmcnt(10) lgkmcnt(2)
	v_fmac_f64_e32 v[84:85], v[106:107], v[92:93]
	buffer_load_dword v93, off, s[0:3], 0 offset:100
	buffer_load_dword v92, off, s[0:3], 0 offset:96
	s_waitcnt vmcnt(10)
	v_fmac_f64_e32 v[84:85], v[108:109], v[94:95]
	s_waitcnt vmcnt(8) lgkmcnt(1)
	v_fmac_f64_e32 v[84:85], v[110:111], v[96:97]
	s_waitcnt vmcnt(6)
	v_fmac_f64_e32 v[84:85], v[112:113], v[98:99]
	s_waitcnt vmcnt(4) lgkmcnt(0)
	v_fmac_f64_e32 v[84:85], v[114:115], v[100:101]
	s_waitcnt vmcnt(2)
	v_fmac_f64_e32 v[84:85], v[88:89], v[102:103]
	ds_read_b128 v[88:91], v86 offset:416
	s_waitcnt vmcnt(0) lgkmcnt(0)
	v_fmac_f64_e32 v[84:85], v[92:93], v[88:89]
	buffer_load_dword v89, off, s[0:3], 0 offset:108
	buffer_load_dword v88, off, s[0:3], 0 offset:104
	buffer_load_dword v93, off, s[0:3], 0 offset:116
	buffer_load_dword v92, off, s[0:3], 0 offset:112
	s_waitcnt vmcnt(2)
	v_fmac_f64_e32 v[84:85], v[88:89], v[90:91]
	ds_read_b128 v[88:91], v86 offset:432
	s_waitcnt vmcnt(0) lgkmcnt(0)
	v_fmac_f64_e32 v[84:85], v[92:93], v[88:89]
	buffer_load_dword v89, off, s[0:3], 0 offset:124
	buffer_load_dword v88, off, s[0:3], 0 offset:120
	buffer_load_dword v93, off, s[0:3], 0 offset:132
	buffer_load_dword v92, off, s[0:3], 0 offset:128
	;; [unrolled: 9-line block ×12, first 2 shown]
	s_waitcnt vmcnt(2)
	v_fmac_f64_e32 v[84:85], v[88:89], v[90:91]
	ds_read_b128 v[88:91], v86 offset:608
	s_waitcnt vmcnt(0) lgkmcnt(0)
	v_fmac_f64_e32 v[84:85], v[92:93], v[88:89]
	buffer_load_dword v89, off, s[0:3], 0 offset:300
	buffer_load_dword v88, off, s[0:3], 0 offset:296
	s_waitcnt vmcnt(0)
	v_fmac_f64_e32 v[84:85], v[88:89], v[90:91]
	buffer_load_dword v91, off, s[0:3], 0 offset:308
	buffer_load_dword v90, off, s[0:3], 0 offset:304
	ds_read_b128 v[86:89], v86 offset:624
	s_waitcnt vmcnt(0) lgkmcnt(0)
	v_fmac_f64_e32 v[84:85], v[90:91], v[86:87]
	buffer_load_dword v87, off, s[0:3], 0 offset:316
	buffer_load_dword v86, off, s[0:3], 0 offset:312
	s_waitcnt vmcnt(0)
	v_fmac_f64_e32 v[84:85], v[86:87], v[88:89]
	v_add_f64 v[82:83], v[82:83], -v[84:85]
	buffer_store_dword v83, off, s[0:3], 0 offset:28
	buffer_store_dword v82, off, s[0:3], 0 offset:24
	s_and_saveexec_b64 s[4:5], vcc
	s_cbranch_execz .LBB103_243
; %bb.242:
	buffer_load_dword v82, off, s[0:3], 0 offset:16
	buffer_load_dword v83, off, s[0:3], 0 offset:20
	v_mov_b32_e32 v84, 0
	buffer_store_dword v84, off, s[0:3], 0 offset:16
	buffer_store_dword v84, off, s[0:3], 0 offset:20
	s_waitcnt vmcnt(2)
	ds_write_b64 v1, v[82:83]
.LBB103_243:
	s_or_b64 exec, exec, s[4:5]
	s_waitcnt lgkmcnt(0)
	; wave barrier
	s_waitcnt lgkmcnt(0)
	buffer_load_dword v82, off, s[0:3], 0 offset:16
	buffer_load_dword v83, off, s[0:3], 0 offset:20
	;; [unrolled: 1-line block ×16, first 2 shown]
	v_mov_b32_e32 v86, 0
	ds_read2_b64 v[88:91], v86 offset0:43 offset1:44
	v_cmp_lt_u32_e32 vcc, 1, v0
	s_waitcnt vmcnt(12) lgkmcnt(0)
	v_fma_f64 v[84:85], v[84:85], v[88:89], 0
	s_waitcnt vmcnt(10)
	v_fmac_f64_e32 v[84:85], v[92:93], v[90:91]
	ds_read2_b64 v[88:91], v86 offset0:45 offset1:46
	s_waitcnt vmcnt(8) lgkmcnt(0)
	v_fmac_f64_e32 v[84:85], v[94:95], v[88:89]
	s_waitcnt vmcnt(6)
	v_fmac_f64_e32 v[84:85], v[96:97], v[90:91]
	ds_read2_b64 v[88:91], v86 offset0:47 offset1:48
	s_waitcnt vmcnt(4) lgkmcnt(0)
	v_fmac_f64_e32 v[84:85], v[98:99], v[88:89]
	;; [unrolled: 5-line block ×3, first 2 shown]
	buffer_load_dword v89, off, s[0:3], 0 offset:84
	buffer_load_dword v88, off, s[0:3], 0 offset:80
	buffer_load_dword v93, off, s[0:3], 0 offset:92
	buffer_load_dword v92, off, s[0:3], 0 offset:88
	s_waitcnt vmcnt(2)
	v_fmac_f64_e32 v[84:85], v[88:89], v[90:91]
	ds_read2_b64 v[88:91], v86 offset0:51 offset1:52
	s_waitcnt vmcnt(0) lgkmcnt(0)
	v_fmac_f64_e32 v[84:85], v[92:93], v[88:89]
	buffer_load_dword v89, off, s[0:3], 0 offset:100
	buffer_load_dword v88, off, s[0:3], 0 offset:96
	buffer_load_dword v93, off, s[0:3], 0 offset:108
	buffer_load_dword v92, off, s[0:3], 0 offset:104
	s_waitcnt vmcnt(2)
	v_fmac_f64_e32 v[84:85], v[88:89], v[90:91]
	ds_read2_b64 v[88:91], v86 offset0:53 offset1:54
	s_waitcnt vmcnt(0) lgkmcnt(0)
	v_fmac_f64_e32 v[84:85], v[92:93], v[88:89]
	;; [unrolled: 9-line block ×14, first 2 shown]
	buffer_load_dword v89, off, s[0:3], 0 offset:308
	buffer_load_dword v88, off, s[0:3], 0 offset:304
	s_waitcnt vmcnt(0)
	v_fmac_f64_e32 v[84:85], v[88:89], v[90:91]
	buffer_load_dword v89, off, s[0:3], 0 offset:316
	buffer_load_dword v88, off, s[0:3], 0 offset:312
	ds_read_b64 v[90:91], v86 offset:632
	s_waitcnt vmcnt(0) lgkmcnt(0)
	v_fmac_f64_e32 v[84:85], v[88:89], v[90:91]
	v_add_f64 v[82:83], v[82:83], -v[84:85]
	buffer_store_dword v83, off, s[0:3], 0 offset:20
	buffer_store_dword v82, off, s[0:3], 0 offset:16
	s_and_saveexec_b64 s[4:5], vcc
	s_cbranch_execz .LBB103_245
; %bb.244:
	buffer_load_dword v82, off, s[0:3], 0 offset:8
	buffer_load_dword v83, off, s[0:3], 0 offset:12
	s_waitcnt vmcnt(0)
	ds_write_b64 v1, v[82:83]
	buffer_store_dword v86, off, s[0:3], 0 offset:8
	buffer_store_dword v86, off, s[0:3], 0 offset:12
.LBB103_245:
	s_or_b64 exec, exec, s[4:5]
	s_waitcnt lgkmcnt(0)
	; wave barrier
	s_waitcnt lgkmcnt(0)
	buffer_load_dword v82, off, s[0:3], 0 offset:8
	buffer_load_dword v83, off, s[0:3], 0 offset:12
	;; [unrolled: 1-line block ×16, first 2 shown]
	ds_read_b128 v[88:91], v86 offset:336
	ds_read_b128 v[92:95], v86 offset:352
	;; [unrolled: 1-line block ×4, first 2 shown]
	v_cmp_ne_u32_e32 vcc, 0, v0
	s_waitcnt vmcnt(12) lgkmcnt(3)
	v_fma_f64 v[84:85], v[84:85], v[88:89], 0
	buffer_load_dword v89, off, s[0:3], 0 offset:76
	buffer_load_dword v88, off, s[0:3], 0 offset:72
	s_waitcnt vmcnt(12)
	v_fmac_f64_e32 v[84:85], v[104:105], v[90:91]
	s_waitcnt vmcnt(10) lgkmcnt(2)
	v_fmac_f64_e32 v[84:85], v[106:107], v[92:93]
	buffer_load_dword v93, off, s[0:3], 0 offset:84
	buffer_load_dword v92, off, s[0:3], 0 offset:80
	s_waitcnt vmcnt(10)
	v_fmac_f64_e32 v[84:85], v[108:109], v[94:95]
	s_waitcnt vmcnt(8) lgkmcnt(1)
	v_fmac_f64_e32 v[84:85], v[110:111], v[96:97]
	s_waitcnt vmcnt(6)
	v_fmac_f64_e32 v[84:85], v[112:113], v[98:99]
	s_waitcnt vmcnt(4) lgkmcnt(0)
	v_fmac_f64_e32 v[84:85], v[114:115], v[100:101]
	s_waitcnt vmcnt(2)
	v_fmac_f64_e32 v[84:85], v[88:89], v[102:103]
	ds_read_b128 v[88:91], v86 offset:400
	s_waitcnt vmcnt(0) lgkmcnt(0)
	v_fmac_f64_e32 v[84:85], v[92:93], v[88:89]
	buffer_load_dword v89, off, s[0:3], 0 offset:92
	buffer_load_dword v88, off, s[0:3], 0 offset:88
	buffer_load_dword v93, off, s[0:3], 0 offset:100
	buffer_load_dword v92, off, s[0:3], 0 offset:96
	s_waitcnt vmcnt(2)
	v_fmac_f64_e32 v[84:85], v[88:89], v[90:91]
	ds_read_b128 v[88:91], v86 offset:416
	s_waitcnt vmcnt(0) lgkmcnt(0)
	v_fmac_f64_e32 v[84:85], v[92:93], v[88:89]
	buffer_load_dword v89, off, s[0:3], 0 offset:108
	buffer_load_dword v88, off, s[0:3], 0 offset:104
	buffer_load_dword v93, off, s[0:3], 0 offset:116
	buffer_load_dword v92, off, s[0:3], 0 offset:112
	;; [unrolled: 9-line block ×13, first 2 shown]
	s_waitcnt vmcnt(2)
	v_fmac_f64_e32 v[84:85], v[88:89], v[90:91]
	ds_read_b128 v[88:91], v86 offset:608
	s_waitcnt vmcnt(0) lgkmcnt(0)
	v_fmac_f64_e32 v[84:85], v[92:93], v[88:89]
	buffer_load_dword v89, off, s[0:3], 0 offset:300
	buffer_load_dword v88, off, s[0:3], 0 offset:296
	s_waitcnt vmcnt(0)
	v_fmac_f64_e32 v[84:85], v[88:89], v[90:91]
	buffer_load_dword v91, off, s[0:3], 0 offset:308
	buffer_load_dword v90, off, s[0:3], 0 offset:304
	ds_read_b128 v[86:89], v86 offset:624
	s_waitcnt vmcnt(0) lgkmcnt(0)
	v_fmac_f64_e32 v[84:85], v[90:91], v[86:87]
	buffer_load_dword v87, off, s[0:3], 0 offset:316
	buffer_load_dword v86, off, s[0:3], 0 offset:312
	s_waitcnt vmcnt(0)
	v_fmac_f64_e32 v[84:85], v[86:87], v[88:89]
	v_add_f64 v[82:83], v[82:83], -v[84:85]
	buffer_store_dword v83, off, s[0:3], 0 offset:12
	buffer_store_dword v82, off, s[0:3], 0 offset:8
	s_and_saveexec_b64 s[4:5], vcc
	s_cbranch_execz .LBB103_247
; %bb.246:
	buffer_load_dword v82, off, s[0:3], 0
	buffer_load_dword v83, off, s[0:3], 0 offset:4
	v_mov_b32_e32 v0, 0
	buffer_store_dword v0, off, s[0:3], 0
	buffer_store_dword v0, off, s[0:3], 0 offset:4
	s_waitcnt vmcnt(2)
	ds_write_b64 v1, v[82:83]
.LBB103_247:
	s_or_b64 exec, exec, s[4:5]
	s_waitcnt lgkmcnt(0)
	; wave barrier
	s_waitcnt lgkmcnt(0)
	buffer_load_dword v0, off, s[0:3], 0
	buffer_load_dword v1, off, s[0:3], 0 offset:4
	buffer_load_dword v88, off, s[0:3], 0 offset:8
	;; [unrolled: 1-line block ×15, first 2 shown]
	v_mov_b32_e32 v86, 0
	ds_read2_b64 v[82:85], v86 offset0:41 offset1:42
	s_and_b64 vcc, exec, s[16:17]
	s_waitcnt vmcnt(12) lgkmcnt(0)
	v_fma_f64 v[82:83], v[88:89], v[82:83], 0
	s_waitcnt vmcnt(10)
	v_fmac_f64_e32 v[82:83], v[90:91], v[84:85]
	ds_read2_b64 v[88:91], v86 offset0:43 offset1:44
	s_waitcnt vmcnt(8) lgkmcnt(0)
	v_fmac_f64_e32 v[82:83], v[92:93], v[88:89]
	s_waitcnt vmcnt(6)
	v_fmac_f64_e32 v[82:83], v[94:95], v[90:91]
	ds_read2_b64 v[88:91], v86 offset0:45 offset1:46
	s_waitcnt vmcnt(4) lgkmcnt(0)
	v_fmac_f64_e32 v[82:83], v[96:97], v[88:89]
	s_waitcnt vmcnt(2)
	v_fmac_f64_e32 v[82:83], v[98:99], v[90:91]
	ds_read2_b64 v[88:91], v86 offset0:47 offset1:48
	buffer_load_dword v85, off, s[0:3], 0 offset:68
	buffer_load_dword v84, off, s[0:3], 0 offset:64
	s_waitcnt vmcnt(2) lgkmcnt(0)
	v_fmac_f64_e32 v[82:83], v[100:101], v[88:89]
	s_waitcnt vmcnt(0)
	v_fmac_f64_e32 v[82:83], v[84:85], v[90:91]
	buffer_load_dword v85, off, s[0:3], 0 offset:76
	buffer_load_dword v84, off, s[0:3], 0 offset:72
	ds_read2_b64 v[88:91], v86 offset0:49 offset1:50
	s_waitcnt vmcnt(0) lgkmcnt(0)
	v_fmac_f64_e32 v[82:83], v[84:85], v[88:89]
	buffer_load_dword v85, off, s[0:3], 0 offset:84
	buffer_load_dword v84, off, s[0:3], 0 offset:80
	s_waitcnt vmcnt(0)
	v_fmac_f64_e32 v[82:83], v[84:85], v[90:91]
	buffer_load_dword v85, off, s[0:3], 0 offset:92
	buffer_load_dword v84, off, s[0:3], 0 offset:88
	ds_read2_b64 v[88:91], v86 offset0:51 offset1:52
	s_waitcnt vmcnt(0) lgkmcnt(0)
	v_fmac_f64_e32 v[82:83], v[84:85], v[88:89]
	buffer_load_dword v85, off, s[0:3], 0 offset:100
	buffer_load_dword v84, off, s[0:3], 0 offset:96
	;; [unrolled: 9-line block ×15, first 2 shown]
	buffer_load_dword v89, off, s[0:3], 0 offset:316
	buffer_load_dword v88, off, s[0:3], 0 offset:312
	ds_read_b64 v[86:87], v86 offset:632
	s_waitcnt vmcnt(2)
	v_fmac_f64_e32 v[82:83], v[84:85], v[90:91]
	s_waitcnt vmcnt(0) lgkmcnt(0)
	v_fmac_f64_e32 v[82:83], v[88:89], v[86:87]
	v_add_f64 v[0:1], v[0:1], -v[82:83]
	buffer_store_dword v1, off, s[0:3], 0 offset:4
	buffer_store_dword v0, off, s[0:3], 0
	s_cbranch_vccz .LBB103_327
; %bb.248:
	v_pk_mov_b32 v[0:1], s[10:11], s[10:11] op_sel:[0,1]
	flat_load_dword v0, v[0:1] offset:152
	s_waitcnt vmcnt(0) lgkmcnt(0)
	v_add_u32_e32 v0, -1, v0
	v_cmp_ne_u32_e32 vcc, 38, v0
	s_and_saveexec_b64 s[4:5], vcc
	s_cbranch_execz .LBB103_250
; %bb.249:
	v_mov_b32_e32 v1, 0
	v_lshl_add_u32 v0, v0, 3, v1
	buffer_load_dword v1, v0, s[0:3], 0 offen offset:4
	buffer_load_dword v82, v0, s[0:3], 0 offen
	s_waitcnt vmcnt(1)
	buffer_store_dword v1, off, s[0:3], 0 offset:308
	s_waitcnt vmcnt(1)
	buffer_store_dword v82, off, s[0:3], 0 offset:304
	buffer_store_dword v85, v0, s[0:3], 0 offen offset:4
	buffer_store_dword v84, v0, s[0:3], 0 offen
.LBB103_250:
	s_or_b64 exec, exec, s[4:5]
	v_pk_mov_b32 v[0:1], s[10:11], s[10:11] op_sel:[0,1]
	flat_load_dword v0, v[0:1] offset:148
	s_waitcnt vmcnt(0) lgkmcnt(0)
	v_add_u32_e32 v0, -1, v0
	v_cmp_ne_u32_e32 vcc, 37, v0
	s_and_saveexec_b64 s[4:5], vcc
	s_cbranch_execz .LBB103_252
; %bb.251:
	v_mov_b32_e32 v1, 0
	v_lshl_add_u32 v0, v0, 3, v1
	buffer_load_dword v1, v0, s[0:3], 0 offen
	buffer_load_dword v82, v0, s[0:3], 0 offen offset:4
	buffer_load_dword v83, off, s[0:3], 0 offset:296
	buffer_load_dword v84, off, s[0:3], 0 offset:300
	s_waitcnt vmcnt(3)
	buffer_store_dword v1, off, s[0:3], 0 offset:296
	s_waitcnt vmcnt(3)
	buffer_store_dword v82, off, s[0:3], 0 offset:300
	s_waitcnt vmcnt(3)
	buffer_store_dword v83, v0, s[0:3], 0 offen
	s_waitcnt vmcnt(3)
	buffer_store_dword v84, v0, s[0:3], 0 offen offset:4
.LBB103_252:
	s_or_b64 exec, exec, s[4:5]
	v_pk_mov_b32 v[0:1], s[10:11], s[10:11] op_sel:[0,1]
	flat_load_dword v0, v[0:1] offset:144
	s_waitcnt vmcnt(0) lgkmcnt(0)
	v_add_u32_e32 v0, -1, v0
	v_cmp_ne_u32_e32 vcc, 36, v0
	s_and_saveexec_b64 s[4:5], vcc
	s_cbranch_execz .LBB103_254
; %bb.253:
	v_mov_b32_e32 v1, 0
	v_lshl_add_u32 v0, v0, 3, v1
	buffer_load_dword v1, v0, s[0:3], 0 offen
	buffer_load_dword v82, v0, s[0:3], 0 offen offset:4
	buffer_load_dword v83, off, s[0:3], 0 offset:292
	buffer_load_dword v84, off, s[0:3], 0 offset:288
	s_waitcnt vmcnt(3)
	buffer_store_dword v1, off, s[0:3], 0 offset:288
	s_waitcnt vmcnt(3)
	buffer_store_dword v82, off, s[0:3], 0 offset:292
	s_waitcnt vmcnt(3)
	buffer_store_dword v83, v0, s[0:3], 0 offen offset:4
	s_waitcnt vmcnt(3)
	buffer_store_dword v84, v0, s[0:3], 0 offen
.LBB103_254:
	s_or_b64 exec, exec, s[4:5]
	v_pk_mov_b32 v[0:1], s[10:11], s[10:11] op_sel:[0,1]
	flat_load_dword v0, v[0:1] offset:140
	s_waitcnt vmcnt(0) lgkmcnt(0)
	v_add_u32_e32 v0, -1, v0
	v_cmp_ne_u32_e32 vcc, 35, v0
	s_and_saveexec_b64 s[4:5], vcc
	s_cbranch_execz .LBB103_256
; %bb.255:
	v_mov_b32_e32 v1, 0
	v_lshl_add_u32 v0, v0, 3, v1
	buffer_load_dword v1, v0, s[0:3], 0 offen
	buffer_load_dword v82, v0, s[0:3], 0 offen offset:4
	buffer_load_dword v83, off, s[0:3], 0 offset:280
	buffer_load_dword v84, off, s[0:3], 0 offset:284
	s_waitcnt vmcnt(3)
	buffer_store_dword v1, off, s[0:3], 0 offset:280
	s_waitcnt vmcnt(3)
	buffer_store_dword v82, off, s[0:3], 0 offset:284
	s_waitcnt vmcnt(3)
	buffer_store_dword v83, v0, s[0:3], 0 offen
	s_waitcnt vmcnt(3)
	buffer_store_dword v84, v0, s[0:3], 0 offen offset:4
.LBB103_256:
	s_or_b64 exec, exec, s[4:5]
	v_pk_mov_b32 v[0:1], s[10:11], s[10:11] op_sel:[0,1]
	flat_load_dword v0, v[0:1] offset:136
	s_waitcnt vmcnt(0) lgkmcnt(0)
	v_add_u32_e32 v0, -1, v0
	v_cmp_ne_u32_e32 vcc, 34, v0
	s_and_saveexec_b64 s[4:5], vcc
	s_cbranch_execz .LBB103_258
; %bb.257:
	v_mov_b32_e32 v1, 0
	v_lshl_add_u32 v0, v0, 3, v1
	buffer_load_dword v1, v0, s[0:3], 0 offen
	buffer_load_dword v82, v0, s[0:3], 0 offen offset:4
	buffer_load_dword v83, off, s[0:3], 0 offset:276
	buffer_load_dword v84, off, s[0:3], 0 offset:272
	s_waitcnt vmcnt(3)
	buffer_store_dword v1, off, s[0:3], 0 offset:272
	s_waitcnt vmcnt(3)
	buffer_store_dword v82, off, s[0:3], 0 offset:276
	s_waitcnt vmcnt(3)
	buffer_store_dword v83, v0, s[0:3], 0 offen offset:4
	s_waitcnt vmcnt(3)
	buffer_store_dword v84, v0, s[0:3], 0 offen
.LBB103_258:
	;; [unrolled: 48-line block ×18, first 2 shown]
	s_or_b64 exec, exec, s[4:5]
	v_pk_mov_b32 v[0:1], s[10:11], s[10:11] op_sel:[0,1]
	flat_load_dword v0, v[0:1] offset:4
	s_waitcnt vmcnt(0) lgkmcnt(0)
	v_add_u32_e32 v0, -1, v0
	v_cmp_ne_u32_e32 vcc, 1, v0
	s_and_saveexec_b64 s[4:5], vcc
	s_cbranch_execz .LBB103_324
; %bb.323:
	v_mov_b32_e32 v1, 0
	v_lshl_add_u32 v0, v0, 3, v1
	buffer_load_dword v1, v0, s[0:3], 0 offen
	buffer_load_dword v82, v0, s[0:3], 0 offen offset:4
	buffer_load_dword v83, off, s[0:3], 0 offset:8
	buffer_load_dword v84, off, s[0:3], 0 offset:12
	s_waitcnt vmcnt(3)
	buffer_store_dword v1, off, s[0:3], 0 offset:8
	s_waitcnt vmcnt(3)
	buffer_store_dword v82, off, s[0:3], 0 offset:12
	s_waitcnt vmcnt(3)
	buffer_store_dword v83, v0, s[0:3], 0 offen
	s_waitcnt vmcnt(3)
	buffer_store_dword v84, v0, s[0:3], 0 offen offset:4
.LBB103_324:
	s_or_b64 exec, exec, s[4:5]
	v_pk_mov_b32 v[0:1], s[10:11], s[10:11] op_sel:[0,1]
	flat_load_dword v82, v[0:1]
	s_nop 0
	buffer_load_dword v0, off, s[0:3], 0
	buffer_load_dword v1, off, s[0:3], 0 offset:4
	s_waitcnt vmcnt(0) lgkmcnt(0)
	v_add_u32_e32 v82, -1, v82
	v_cmp_ne_u32_e32 vcc, 0, v82
	s_and_saveexec_b64 s[4:5], vcc
	s_cbranch_execz .LBB103_326
; %bb.325:
	v_mov_b32_e32 v83, 0
	v_lshl_add_u32 v82, v82, 3, v83
	buffer_load_dword v83, v82, s[0:3], 0 offen offset:4
	buffer_load_dword v84, v82, s[0:3], 0 offen
	s_waitcnt vmcnt(1)
	buffer_store_dword v83, off, s[0:3], 0 offset:4
	s_waitcnt vmcnt(1)
	buffer_store_dword v84, off, s[0:3], 0
	buffer_store_dword v1, v82, s[0:3], 0 offen offset:4
	buffer_store_dword v0, v82, s[0:3], 0 offen
	buffer_load_dword v0, off, s[0:3], 0
	s_nop 0
	buffer_load_dword v1, off, s[0:3], 0 offset:4
.LBB103_326:
	s_or_b64 exec, exec, s[4:5]
.LBB103_327:
	s_waitcnt vmcnt(0)
	global_store_dwordx2 v[80:81], v[0:1], off
	buffer_load_dword v0, off, s[0:3], 0 offset:8
	s_nop 0
	buffer_load_dword v1, off, s[0:3], 0 offset:12
	buffer_load_dword v80, off, s[0:3], 0 offset:16
	;; [unrolled: 1-line block ×15, first 2 shown]
	s_waitcnt vmcnt(14)
	global_store_dwordx2 v[78:79], v[0:1], off
	s_waitcnt vmcnt(13)
	global_store_dwordx2 v[2:3], v[80:81], off
	;; [unrolled: 2-line block ×8, first 2 shown]
	buffer_load_dword v0, off, s[0:3], 0 offset:72
	buffer_load_dword v1, off, s[0:3], 0 offset:76
	s_waitcnt vmcnt(0)
	global_store_dwordx2 v[14:15], v[0:1], off
	buffer_load_dword v0, off, s[0:3], 0 offset:80
	s_nop 0
	buffer_load_dword v1, off, s[0:3], 0 offset:84
	s_waitcnt vmcnt(0)
	global_store_dwordx2 v[16:17], v[0:1], off
	buffer_load_dword v0, off, s[0:3], 0 offset:88
	s_nop 0
	;; [unrolled: 5-line block ×30, first 2 shown]
	buffer_load_dword v1, off, s[0:3], 0 offset:316
	s_waitcnt vmcnt(0)
	global_store_dwordx2 v[64:65], v[0:1], off
	s_endpgm
	.section	.rodata,"a",@progbits
	.p2align	6, 0x0
	.amdhsa_kernel _ZN9rocsolver6v33100L18getri_kernel_smallILi40EdPKPdEEvT1_iilPiilS6_bb
		.amdhsa_group_segment_fixed_size 648
		.amdhsa_private_segment_fixed_size 336
		.amdhsa_kernarg_size 60
		.amdhsa_user_sgpr_count 8
		.amdhsa_user_sgpr_private_segment_buffer 1
		.amdhsa_user_sgpr_dispatch_ptr 0
		.amdhsa_user_sgpr_queue_ptr 0
		.amdhsa_user_sgpr_kernarg_segment_ptr 1
		.amdhsa_user_sgpr_dispatch_id 0
		.amdhsa_user_sgpr_flat_scratch_init 1
		.amdhsa_user_sgpr_kernarg_preload_length 0
		.amdhsa_user_sgpr_kernarg_preload_offset 0
		.amdhsa_user_sgpr_private_segment_size 0
		.amdhsa_uses_dynamic_stack 0
		.amdhsa_system_sgpr_private_segment_wavefront_offset 1
		.amdhsa_system_sgpr_workgroup_id_x 1
		.amdhsa_system_sgpr_workgroup_id_y 0
		.amdhsa_system_sgpr_workgroup_id_z 0
		.amdhsa_system_sgpr_workgroup_info 0
		.amdhsa_system_vgpr_workitem_id 0
		.amdhsa_next_free_vgpr 126
		.amdhsa_next_free_sgpr 22
		.amdhsa_accum_offset 128
		.amdhsa_reserve_vcc 1
		.amdhsa_reserve_flat_scratch 1
		.amdhsa_float_round_mode_32 0
		.amdhsa_float_round_mode_16_64 0
		.amdhsa_float_denorm_mode_32 3
		.amdhsa_float_denorm_mode_16_64 3
		.amdhsa_dx10_clamp 1
		.amdhsa_ieee_mode 1
		.amdhsa_fp16_overflow 0
		.amdhsa_tg_split 0
		.amdhsa_exception_fp_ieee_invalid_op 0
		.amdhsa_exception_fp_denorm_src 0
		.amdhsa_exception_fp_ieee_div_zero 0
		.amdhsa_exception_fp_ieee_overflow 0
		.amdhsa_exception_fp_ieee_underflow 0
		.amdhsa_exception_fp_ieee_inexact 0
		.amdhsa_exception_int_div_zero 0
	.end_amdhsa_kernel
	.section	.text._ZN9rocsolver6v33100L18getri_kernel_smallILi40EdPKPdEEvT1_iilPiilS6_bb,"axG",@progbits,_ZN9rocsolver6v33100L18getri_kernel_smallILi40EdPKPdEEvT1_iilPiilS6_bb,comdat
.Lfunc_end103:
	.size	_ZN9rocsolver6v33100L18getri_kernel_smallILi40EdPKPdEEvT1_iilPiilS6_bb, .Lfunc_end103-_ZN9rocsolver6v33100L18getri_kernel_smallILi40EdPKPdEEvT1_iilPiilS6_bb
                                        ; -- End function
	.section	.AMDGPU.csdata,"",@progbits
; Kernel info:
; codeLenInByte = 42904
; NumSgprs: 28
; NumVgprs: 126
; NumAgprs: 0
; TotalNumVgprs: 126
; ScratchSize: 336
; MemoryBound: 0
; FloatMode: 240
; IeeeMode: 1
; LDSByteSize: 648 bytes/workgroup (compile time only)
; SGPRBlocks: 3
; VGPRBlocks: 15
; NumSGPRsForWavesPerEU: 28
; NumVGPRsForWavesPerEU: 126
; AccumOffset: 128
; Occupancy: 4
; WaveLimiterHint : 1
; COMPUTE_PGM_RSRC2:SCRATCH_EN: 1
; COMPUTE_PGM_RSRC2:USER_SGPR: 8
; COMPUTE_PGM_RSRC2:TRAP_HANDLER: 0
; COMPUTE_PGM_RSRC2:TGID_X_EN: 1
; COMPUTE_PGM_RSRC2:TGID_Y_EN: 0
; COMPUTE_PGM_RSRC2:TGID_Z_EN: 0
; COMPUTE_PGM_RSRC2:TIDIG_COMP_CNT: 0
; COMPUTE_PGM_RSRC3_GFX90A:ACCUM_OFFSET: 31
; COMPUTE_PGM_RSRC3_GFX90A:TG_SPLIT: 0
	.section	.text._ZN9rocsolver6v33100L18getri_kernel_smallILi41EdPKPdEEvT1_iilPiilS6_bb,"axG",@progbits,_ZN9rocsolver6v33100L18getri_kernel_smallILi41EdPKPdEEvT1_iilPiilS6_bb,comdat
	.globl	_ZN9rocsolver6v33100L18getri_kernel_smallILi41EdPKPdEEvT1_iilPiilS6_bb ; -- Begin function _ZN9rocsolver6v33100L18getri_kernel_smallILi41EdPKPdEEvT1_iilPiilS6_bb
	.p2align	8
	.type	_ZN9rocsolver6v33100L18getri_kernel_smallILi41EdPKPdEEvT1_iilPiilS6_bb,@function
_ZN9rocsolver6v33100L18getri_kernel_smallILi41EdPKPdEEvT1_iilPiilS6_bb: ; @_ZN9rocsolver6v33100L18getri_kernel_smallILi41EdPKPdEEvT1_iilPiilS6_bb
; %bb.0:
	s_add_u32 flat_scratch_lo, s6, s9
	s_addc_u32 flat_scratch_hi, s7, 0
	s_add_u32 s0, s0, s9
	s_addc_u32 s1, s1, 0
	v_cmp_gt_u32_e32 vcc, 41, v0
	s_and_saveexec_b64 s[6:7], vcc
	s_cbranch_execz .LBB104_172
; %bb.1:
	s_load_dword s20, s[4:5], 0x38
	s_load_dwordx2 s[6:7], s[4:5], 0x0
	s_load_dwordx4 s[12:15], s[4:5], 0x28
	s_waitcnt lgkmcnt(0)
	s_bitcmp1_b32 s20, 8
	s_cselect_b64 s[16:17], -1, 0
	s_ashr_i32 s9, s8, 31
	s_lshl_b64 s[10:11], s[8:9], 3
	s_add_u32 s6, s6, s10
	s_addc_u32 s7, s7, s11
	s_load_dwordx2 s[18:19], s[6:7], 0x0
	s_bfe_u32 s6, s20, 0x10008
	s_cmp_eq_u32 s6, 0
                                        ; implicit-def: $sgpr10_sgpr11
	s_cbranch_scc1 .LBB104_3
; %bb.2:
	s_load_dword s6, s[4:5], 0x20
	s_load_dwordx2 s[10:11], s[4:5], 0x18
	s_mul_i32 s7, s8, s13
	s_mul_hi_u32 s13, s8, s12
	s_add_i32 s13, s13, s7
	s_mul_i32 s21, s9, s12
	s_add_i32 s13, s13, s21
	s_mul_i32 s12, s8, s12
	s_waitcnt lgkmcnt(0)
	s_ashr_i32 s7, s6, 31
	s_lshl_b64 s[12:13], s[12:13], 2
	s_add_u32 s10, s10, s12
	s_addc_u32 s11, s11, s13
	s_lshl_b64 s[6:7], s[6:7], 2
	s_add_u32 s10, s10, s6
	s_addc_u32 s11, s11, s7
.LBB104_3:
	s_load_dwordx2 s[6:7], s[4:5], 0x8
	s_waitcnt lgkmcnt(0)
	s_ashr_i32 s5, s6, 31
	s_mov_b32 s4, s6
	s_lshl_b64 s[4:5], s[4:5], 3
	s_add_u32 s4, s18, s4
	s_addc_u32 s5, s19, s5
	s_add_i32 s6, s7, s7
	v_add_u32_e32 v4, s6, v0
	v_ashrrev_i32_e32 v5, 31, v4
	v_lshlrev_b64 v[2:3], 3, v[4:5]
	v_add_u32_e32 v6, s7, v4
	v_mov_b32_e32 v1, s5
	v_add_co_u32_e32 v2, vcc, s4, v2
	v_ashrrev_i32_e32 v7, 31, v6
	v_addc_co_u32_e32 v3, vcc, v1, v3, vcc
	v_lshlrev_b64 v[4:5], 3, v[6:7]
	v_add_u32_e32 v8, s7, v6
	v_add_co_u32_e32 v4, vcc, s4, v4
	v_ashrrev_i32_e32 v9, 31, v8
	v_addc_co_u32_e32 v5, vcc, v1, v5, vcc
	v_lshlrev_b64 v[6:7], 3, v[8:9]
	v_add_u32_e32 v10, s7, v8
	;; [unrolled: 5-line block ×5, first 2 shown]
	v_add_co_u32_e32 v12, vcc, s4, v12
	v_ashrrev_i32_e32 v15, 31, v14
	v_addc_co_u32_e32 v13, vcc, v1, v13, vcc
	v_lshlrev_b64 v[16:17], 3, v[14:15]
	v_add_co_u32_e32 v18, vcc, s4, v16
	v_add_u32_e32 v16, s7, v14
	v_addc_co_u32_e32 v19, vcc, v1, v17, vcc
	v_ashrrev_i32_e32 v17, 31, v16
	v_lshlrev_b64 v[14:15], 3, v[16:17]
	v_add_u32_e32 v20, s7, v16
	v_add_co_u32_e32 v14, vcc, s4, v14
	v_ashrrev_i32_e32 v21, 31, v20
	v_addc_co_u32_e32 v15, vcc, v1, v15, vcc
	v_lshlrev_b64 v[16:17], 3, v[20:21]
	v_add_u32_e32 v22, s7, v20
	v_add_co_u32_e32 v16, vcc, s4, v16
	v_ashrrev_i32_e32 v23, 31, v22
	v_addc_co_u32_e32 v17, vcc, v1, v17, vcc
	;; [unrolled: 5-line block ×25, first 2 shown]
	v_lshlrev_b64 v[66:67], 3, v[68:69]
	v_add_co_u32_e32 v66, vcc, s4, v66
	v_addc_co_u32_e32 v67, vcc, v1, v67, vcc
	v_lshlrev_b32_e32 v1, 3, v0
	global_load_dwordx2 v[84:85], v1, s[4:5]
	global_load_dwordx2 v[88:89], v[2:3], off
	global_load_dwordx2 v[90:91], v[4:5], off
	v_add_u32_e32 v70, s7, v68
	v_ashrrev_i32_e32 v71, 31, v70
	v_lshlrev_b64 v[68:69], 3, v[70:71]
	v_mov_b32_e32 v72, s5
	v_add_co_u32_e32 v68, vcc, s4, v68
	v_addc_co_u32_e32 v69, vcc, v72, v69, vcc
	v_add_u32_e32 v72, s7, v70
	v_ashrrev_i32_e32 v73, 31, v72
	v_lshlrev_b64 v[70:71], 3, v[72:73]
	v_mov_b32_e32 v74, s5
	v_add_co_u32_e32 v70, vcc, s4, v70
	v_addc_co_u32_e32 v71, vcc, v74, v71, vcc
	v_mov_b32_e32 v73, s5
	v_add_co_u32_e32 v82, vcc, s4, v1
	s_ashr_i32 s13, s7, 31
	s_mov_b32 s12, s7
	v_addc_co_u32_e32 v83, vcc, 0, v73, vcc
	s_lshl_b64 s[12:13], s[12:13], 3
	v_mov_b32_e32 v73, s13
	v_add_co_u32_e32 v80, vcc, s12, v82
	v_addc_co_u32_e32 v81, vcc, v83, v73, vcc
	global_load_dwordx2 v[86:87], v[80:81], off
	global_load_dwordx2 v[92:93], v[6:7], off
	;; [unrolled: 1-line block ×9, first 2 shown]
	v_add_u32_e32 v72, s7, v72
	global_load_dwordx2 v[108:109], v[22:23], off
	global_load_dwordx2 v[110:111], v[24:25], off
	v_ashrrev_i32_e32 v73, 31, v72
	v_lshlrev_b64 v[74:75], 3, v[72:73]
	v_add_u32_e32 v72, s7, v72
	v_mov_b32_e32 v76, s5
	v_add_co_u32_e32 v74, vcc, s4, v74
	v_ashrrev_i32_e32 v73, 31, v72
	v_addc_co_u32_e32 v75, vcc, v76, v75, vcc
	v_lshlrev_b64 v[76:77], 3, v[72:73]
	v_add_u32_e32 v72, s7, v72
	v_mov_b32_e32 v78, s5
	v_add_co_u32_e32 v76, vcc, s4, v76
	v_ashrrev_i32_e32 v73, 31, v72
	global_load_dwordx2 v[112:113], v[26:27], off
	global_load_dwordx2 v[114:115], v[28:29], off
	v_addc_co_u32_e32 v77, vcc, v78, v77, vcc
	v_lshlrev_b64 v[78:79], 3, v[72:73]
	v_mov_b32_e32 v116, s5
	v_add_co_u32_e32 v78, vcc, s4, v78
	v_addc_co_u32_e32 v79, vcc, v116, v79, vcc
	global_load_dwordx2 v[116:117], v[30:31], off
	global_load_dwordx2 v[118:119], v[32:33], off
	v_add_u32_e32 v72, s7, v72
	v_ashrrev_i32_e32 v73, 31, v72
	v_lshlrev_b64 v[72:73], 3, v[72:73]
	v_mov_b32_e32 v120, s5
	v_add_co_u32_e32 v72, vcc, s4, v72
	v_addc_co_u32_e32 v73, vcc, v120, v73, vcc
	global_load_dwordx2 v[120:121], v[34:35], off
	global_load_dwordx2 v[122:123], v[36:37], off
	s_waitcnt vmcnt(19)
	buffer_store_dword v85, off, s[0:3], 0 offset:4
	buffer_store_dword v84, off, s[0:3], 0
	global_load_dwordx2 v[84:85], v[38:39], off
	s_waitcnt vmcnt(19)
	buffer_store_dword v87, off, s[0:3], 0 offset:12
	buffer_store_dword v86, off, s[0:3], 0 offset:8
	;; [unrolled: 1-line block ×6, first 2 shown]
	s_waitcnt vmcnt(24)
	buffer_store_dword v93, off, s[0:3], 0 offset:36
	buffer_store_dword v92, off, s[0:3], 0 offset:32
	s_waitcnt vmcnt(25)
	buffer_store_dword v95, off, s[0:3], 0 offset:44
	buffer_store_dword v94, off, s[0:3], 0 offset:40
	;; [unrolled: 3-line block ×7, first 2 shown]
	buffer_store_dword v106, off, s[0:3], 0 offset:88
	global_load_dwordx2 v[86:87], v[40:41], off
	global_load_dwordx2 v[88:89], v[42:43], off
	;; [unrolled: 1-line block ×10, first 2 shown]
	s_bitcmp0_b32 s20, 0
	buffer_store_dword v107, off, s[0:3], 0 offset:92
	global_load_dwordx2 v[106:107], v[60:61], off
	s_mov_b64 s[6:7], -1
	s_waitcnt vmcnt(43)
	buffer_store_dword v108, off, s[0:3], 0 offset:96
	buffer_store_dword v109, off, s[0:3], 0 offset:100
	global_load_dwordx2 v[108:109], v[62:63], off
	s_waitcnt vmcnt(45)
	buffer_store_dword v110, off, s[0:3], 0 offset:104
	buffer_store_dword v111, off, s[0:3], 0 offset:108
	global_load_dwordx2 v[110:111], v[64:65], off
	;; [unrolled: 4-line block ×9, first 2 shown]
	s_waitcnt vmcnt(38)
	buffer_store_dword v86, off, s[0:3], 0 offset:168
	buffer_store_dword v87, off, s[0:3], 0 offset:172
	s_waitcnt vmcnt(39)
	buffer_store_dword v88, off, s[0:3], 0 offset:176
	buffer_store_dword v89, off, s[0:3], 0 offset:180
	;; [unrolled: 3-line block ×20, first 2 shown]
	s_cbranch_scc1 .LBB104_170
; %bb.4:
	v_cmp_eq_u32_e64 s[4:5], 0, v0
	s_and_saveexec_b64 s[6:7], s[4:5]
	s_cbranch_execz .LBB104_6
; %bb.5:
	v_mov_b32_e32 v84, 0
	ds_write_b32 v84, v84 offset:328
.LBB104_6:
	s_or_b64 exec, exec, s[6:7]
	v_mov_b32_e32 v84, 0
	v_lshl_add_u32 v84, v0, 3, v84
	s_waitcnt lgkmcnt(0)
	; wave barrier
	s_waitcnt lgkmcnt(0)
	buffer_load_dword v86, v84, s[0:3], 0 offen
	buffer_load_dword v87, v84, s[0:3], 0 offen offset:4
	s_waitcnt vmcnt(0)
	v_cmp_eq_f64_e32 vcc, 0, v[86:87]
	s_and_saveexec_b64 s[12:13], vcc
	s_cbranch_execz .LBB104_10
; %bb.7:
	v_mov_b32_e32 v85, 0
	ds_read_b32 v87, v85 offset:328
	v_add_u32_e32 v86, 1, v0
	s_waitcnt lgkmcnt(0)
	v_readfirstlane_b32 s6, v87
	s_cmp_eq_u32 s6, 0
	s_cselect_b64 s[18:19], -1, 0
	v_cmp_gt_i32_e32 vcc, s6, v86
	s_or_b64 s[18:19], s[18:19], vcc
	s_and_b64 exec, exec, s[18:19]
	s_cbranch_execz .LBB104_10
; %bb.8:
	s_mov_b64 s[18:19], 0
	v_mov_b32_e32 v87, s6
.LBB104_9:                              ; =>This Inner Loop Header: Depth=1
	ds_cmpst_rtn_b32 v87, v85, v87, v86 offset:328
	s_waitcnt lgkmcnt(0)
	v_cmp_ne_u32_e32 vcc, 0, v87
	v_cmp_le_i32_e64 s[6:7], v87, v86
	s_and_b64 s[6:7], vcc, s[6:7]
	s_and_b64 s[6:7], exec, s[6:7]
	s_or_b64 s[18:19], s[6:7], s[18:19]
	s_andn2_b64 exec, exec, s[18:19]
	s_cbranch_execnz .LBB104_9
.LBB104_10:
	s_or_b64 exec, exec, s[12:13]
	v_mov_b32_e32 v86, 0
	s_waitcnt lgkmcnt(0)
	; wave barrier
	ds_read_b32 v85, v86 offset:328
	s_and_saveexec_b64 s[6:7], s[4:5]
	s_cbranch_execz .LBB104_12
; %bb.11:
	s_lshl_b64 s[12:13], s[8:9], 2
	s_add_u32 s12, s14, s12
	s_addc_u32 s13, s15, s13
	s_waitcnt lgkmcnt(0)
	global_store_dword v86, v85, s[12:13]
.LBB104_12:
	s_or_b64 exec, exec, s[6:7]
	s_waitcnt lgkmcnt(0)
	v_cmp_ne_u32_e32 vcc, 0, v85
	s_mov_b64 s[6:7], 0
	s_cbranch_vccnz .LBB104_170
; %bb.13:
	buffer_load_dword v86, v84, s[0:3], 0 offen
	buffer_load_dword v87, v84, s[0:3], 0 offen offset:4
	s_waitcnt vmcnt(0)
	v_div_scale_f64 v[88:89], s[6:7], v[86:87], v[86:87], 1.0
	v_rcp_f64_e32 v[90:91], v[88:89]
	v_div_scale_f64 v[92:93], vcc, 1.0, v[86:87], 1.0
	v_fma_f64 v[94:95], -v[88:89], v[90:91], 1.0
	v_fmac_f64_e32 v[90:91], v[90:91], v[94:95]
	v_fma_f64 v[94:95], -v[88:89], v[90:91], 1.0
	v_fmac_f64_e32 v[90:91], v[90:91], v[94:95]
	v_mul_f64 v[94:95], v[92:93], v[90:91]
	v_fma_f64 v[88:89], -v[88:89], v[94:95], v[92:93]
	v_div_fmas_f64 v[88:89], v[88:89], v[90:91], v[94:95]
	v_div_fixup_f64 v[88:89], v[88:89], v[86:87], 1.0
	buffer_store_dword v89, v84, s[0:3], 0 offen offset:4
	buffer_store_dword v88, v84, s[0:3], 0 offen
	buffer_load_dword v91, off, s[0:3], 0 offset:12
	buffer_load_dword v90, off, s[0:3], 0 offset:8
	v_add_u32_e32 v86, 0x150, v1
	v_xor_b32_e32 v89, 0x80000000, v89
	s_waitcnt vmcnt(0)
	ds_write2_b64 v1, v[88:89], v[90:91] offset1:42
	s_waitcnt lgkmcnt(0)
	; wave barrier
	s_waitcnt lgkmcnt(0)
	s_and_saveexec_b64 s[6:7], s[4:5]
	s_cbranch_execz .LBB104_15
; %bb.14:
	buffer_load_dword v88, v84, s[0:3], 0 offen
	buffer_load_dword v89, v84, s[0:3], 0 offen offset:4
	v_mov_b32_e32 v85, 0
	ds_read_b64 v[90:91], v86
	ds_read_b64 v[92:93], v85 offset:8
	s_waitcnt vmcnt(0) lgkmcnt(1)
	v_fma_f64 v[88:89], v[88:89], v[90:91], 0
	s_waitcnt lgkmcnt(0)
	v_mul_f64 v[88:89], v[88:89], v[92:93]
	buffer_store_dword v88, off, s[0:3], 0 offset:8
	buffer_store_dword v89, off, s[0:3], 0 offset:12
.LBB104_15:
	s_or_b64 exec, exec, s[6:7]
	s_waitcnt lgkmcnt(0)
	; wave barrier
	buffer_load_dword v88, off, s[0:3], 0 offset:16
	buffer_load_dword v89, off, s[0:3], 0 offset:20
	v_cmp_gt_u32_e32 vcc, 2, v0
	s_waitcnt vmcnt(0)
	ds_write_b64 v86, v[88:89]
	s_waitcnt lgkmcnt(0)
	; wave barrier
	s_waitcnt lgkmcnt(0)
	s_and_saveexec_b64 s[6:7], vcc
	s_cbranch_execz .LBB104_17
; %bb.16:
	buffer_load_dword v85, v84, s[0:3], 0 offen offset:4
	buffer_load_dword v92, off, s[0:3], 0 offset:8
	s_nop 0
	buffer_load_dword v84, v84, s[0:3], 0 offen
	s_nop 0
	buffer_load_dword v93, off, s[0:3], 0 offset:12
	ds_read_b64 v[94:95], v86
	v_mov_b32_e32 v87, 0
	ds_read2_b64 v[88:91], v87 offset0:2 offset1:43
	s_waitcnt vmcnt(1) lgkmcnt(1)
	v_fma_f64 v[84:85], v[84:85], v[94:95], 0
	s_waitcnt vmcnt(0) lgkmcnt(0)
	v_fma_f64 v[90:91], v[92:93], v[90:91], v[84:85]
	v_cndmask_b32_e64 v85, v85, v91, s[4:5]
	v_cndmask_b32_e64 v84, v84, v90, s[4:5]
	v_mul_f64 v[84:85], v[84:85], v[88:89]
	buffer_store_dword v85, off, s[0:3], 0 offset:20
	buffer_store_dword v84, off, s[0:3], 0 offset:16
.LBB104_17:
	s_or_b64 exec, exec, s[6:7]
	s_waitcnt lgkmcnt(0)
	; wave barrier
	buffer_load_dword v84, off, s[0:3], 0 offset:24
	buffer_load_dword v85, off, s[0:3], 0 offset:28
	v_cmp_gt_u32_e32 vcc, 3, v0
	v_add_u32_e32 v87, -1, v0
	s_waitcnt vmcnt(0)
	ds_write_b64 v86, v[84:85]
	s_waitcnt lgkmcnt(0)
	; wave barrier
	s_waitcnt lgkmcnt(0)
	s_and_saveexec_b64 s[4:5], vcc
	s_cbranch_execz .LBB104_21
; %bb.18:
	v_add_u32_e32 v88, -1, v0
	v_add_u32_e32 v89, 0x150, v1
	v_add_u32_e32 v90, 0, v1
	s_mov_b64 s[6:7], 0
	v_pk_mov_b32 v[84:85], 0, 0
.LBB104_19:                             ; =>This Inner Loop Header: Depth=1
	buffer_load_dword v92, v90, s[0:3], 0 offen
	buffer_load_dword v93, v90, s[0:3], 0 offen offset:4
	ds_read_b64 v[94:95], v89
	v_add_u32_e32 v88, 1, v88
	v_cmp_lt_u32_e32 vcc, 1, v88
	v_add_u32_e32 v89, 8, v89
	v_add_u32_e32 v90, 8, v90
	s_or_b64 s[6:7], vcc, s[6:7]
	s_waitcnt vmcnt(0) lgkmcnt(0)
	v_fmac_f64_e32 v[84:85], v[92:93], v[94:95]
	s_andn2_b64 exec, exec, s[6:7]
	s_cbranch_execnz .LBB104_19
; %bb.20:
	s_or_b64 exec, exec, s[6:7]
	v_mov_b32_e32 v88, 0
	ds_read_b64 v[88:89], v88 offset:24
	s_waitcnt lgkmcnt(0)
	v_mul_f64 v[84:85], v[84:85], v[88:89]
	buffer_store_dword v85, off, s[0:3], 0 offset:28
	buffer_store_dword v84, off, s[0:3], 0 offset:24
.LBB104_21:
	s_or_b64 exec, exec, s[4:5]
	s_waitcnt lgkmcnt(0)
	; wave barrier
	buffer_load_dword v84, off, s[0:3], 0 offset:32
	buffer_load_dword v85, off, s[0:3], 0 offset:36
	v_cmp_gt_u32_e32 vcc, 4, v0
	s_waitcnt vmcnt(0)
	ds_write_b64 v86, v[84:85]
	s_waitcnt lgkmcnt(0)
	; wave barrier
	s_waitcnt lgkmcnt(0)
	s_and_saveexec_b64 s[4:5], vcc
	s_cbranch_execz .LBB104_25
; %bb.22:
	v_add_u32_e32 v88, -1, v0
	v_add_u32_e32 v89, 0x150, v1
	v_add_u32_e32 v90, 0, v1
	s_mov_b64 s[6:7], 0
	v_pk_mov_b32 v[84:85], 0, 0
.LBB104_23:                             ; =>This Inner Loop Header: Depth=1
	buffer_load_dword v92, v90, s[0:3], 0 offen
	buffer_load_dword v93, v90, s[0:3], 0 offen offset:4
	ds_read_b64 v[94:95], v89
	v_add_u32_e32 v88, 1, v88
	v_cmp_lt_u32_e32 vcc, 2, v88
	v_add_u32_e32 v89, 8, v89
	v_add_u32_e32 v90, 8, v90
	s_or_b64 s[6:7], vcc, s[6:7]
	s_waitcnt vmcnt(0) lgkmcnt(0)
	v_fmac_f64_e32 v[84:85], v[92:93], v[94:95]
	s_andn2_b64 exec, exec, s[6:7]
	s_cbranch_execnz .LBB104_23
; %bb.24:
	s_or_b64 exec, exec, s[6:7]
	v_mov_b32_e32 v88, 0
	ds_read_b64 v[88:89], v88 offset:32
	s_waitcnt lgkmcnt(0)
	v_mul_f64 v[84:85], v[84:85], v[88:89]
	buffer_store_dword v85, off, s[0:3], 0 offset:36
	buffer_store_dword v84, off, s[0:3], 0 offset:32
.LBB104_25:
	s_or_b64 exec, exec, s[4:5]
	s_waitcnt lgkmcnt(0)
	; wave barrier
	buffer_load_dword v84, off, s[0:3], 0 offset:40
	buffer_load_dword v85, off, s[0:3], 0 offset:44
	v_cmp_gt_u32_e32 vcc, 5, v0
	;; [unrolled: 41-line block ×21, first 2 shown]
	s_waitcnt vmcnt(0)
	ds_write_b64 v86, v[84:85]
	s_waitcnt lgkmcnt(0)
	; wave barrier
	s_waitcnt lgkmcnt(0)
	s_and_saveexec_b64 s[4:5], vcc
	s_cbranch_execz .LBB104_105
; %bb.102:
	v_add_u32_e32 v88, -1, v0
	v_add_u32_e32 v89, 0x150, v1
	v_add_u32_e32 v90, 0, v1
	s_mov_b64 s[6:7], 0
	v_pk_mov_b32 v[84:85], 0, 0
.LBB104_103:                            ; =>This Inner Loop Header: Depth=1
	buffer_load_dword v92, v90, s[0:3], 0 offen
	buffer_load_dword v93, v90, s[0:3], 0 offen offset:4
	ds_read_b64 v[94:95], v89
	v_add_u32_e32 v88, 1, v88
	v_cmp_lt_u32_e32 vcc, 22, v88
	v_add_u32_e32 v89, 8, v89
	v_add_u32_e32 v90, 8, v90
	s_or_b64 s[6:7], vcc, s[6:7]
	s_waitcnt vmcnt(0) lgkmcnt(0)
	v_fmac_f64_e32 v[84:85], v[92:93], v[94:95]
	s_andn2_b64 exec, exec, s[6:7]
	s_cbranch_execnz .LBB104_103
; %bb.104:
	s_or_b64 exec, exec, s[6:7]
	v_mov_b32_e32 v88, 0
	ds_read_b64 v[88:89], v88 offset:192
	s_waitcnt lgkmcnt(0)
	v_mul_f64 v[84:85], v[84:85], v[88:89]
	buffer_store_dword v85, off, s[0:3], 0 offset:196
	buffer_store_dword v84, off, s[0:3], 0 offset:192
.LBB104_105:
	s_or_b64 exec, exec, s[4:5]
	s_waitcnt lgkmcnt(0)
	; wave barrier
	buffer_load_dword v84, off, s[0:3], 0 offset:200
	buffer_load_dword v85, off, s[0:3], 0 offset:204
	v_cmp_gt_u32_e32 vcc, 25, v0
	s_waitcnt vmcnt(0)
	ds_write_b64 v86, v[84:85]
	s_waitcnt lgkmcnt(0)
	; wave barrier
	s_waitcnt lgkmcnt(0)
	s_and_saveexec_b64 s[4:5], vcc
	s_cbranch_execz .LBB104_109
; %bb.106:
	v_add_u32_e32 v88, -1, v0
	v_add_u32_e32 v89, 0x150, v1
	v_add_u32_e32 v90, 0, v1
	s_mov_b64 s[6:7], 0
	v_pk_mov_b32 v[84:85], 0, 0
.LBB104_107:                            ; =>This Inner Loop Header: Depth=1
	buffer_load_dword v92, v90, s[0:3], 0 offen
	buffer_load_dword v93, v90, s[0:3], 0 offen offset:4
	ds_read_b64 v[94:95], v89
	v_add_u32_e32 v88, 1, v88
	v_cmp_lt_u32_e32 vcc, 23, v88
	v_add_u32_e32 v89, 8, v89
	v_add_u32_e32 v90, 8, v90
	s_or_b64 s[6:7], vcc, s[6:7]
	s_waitcnt vmcnt(0) lgkmcnt(0)
	v_fmac_f64_e32 v[84:85], v[92:93], v[94:95]
	s_andn2_b64 exec, exec, s[6:7]
	s_cbranch_execnz .LBB104_107
; %bb.108:
	s_or_b64 exec, exec, s[6:7]
	v_mov_b32_e32 v88, 0
	ds_read_b64 v[88:89], v88 offset:200
	s_waitcnt lgkmcnt(0)
	v_mul_f64 v[84:85], v[84:85], v[88:89]
	buffer_store_dword v85, off, s[0:3], 0 offset:204
	buffer_store_dword v84, off, s[0:3], 0 offset:200
.LBB104_109:
	s_or_b64 exec, exec, s[4:5]
	s_waitcnt lgkmcnt(0)
	; wave barrier
	buffer_load_dword v84, off, s[0:3], 0 offset:208
	buffer_load_dword v85, off, s[0:3], 0 offset:212
	v_cmp_gt_u32_e32 vcc, 26, v0
	;; [unrolled: 41-line block ×15, first 2 shown]
	s_waitcnt vmcnt(0)
	ds_write_b64 v86, v[84:85]
	s_waitcnt lgkmcnt(0)
	; wave barrier
	s_waitcnt lgkmcnt(0)
	s_and_saveexec_b64 s[4:5], vcc
	s_cbranch_execz .LBB104_165
; %bb.162:
	v_add_u32_e32 v88, -1, v0
	v_add_u32_e32 v89, 0x150, v1
	v_add_u32_e32 v90, 0, v1
	s_mov_b64 s[6:7], 0
	v_pk_mov_b32 v[84:85], 0, 0
.LBB104_163:                            ; =>This Inner Loop Header: Depth=1
	buffer_load_dword v92, v90, s[0:3], 0 offen
	buffer_load_dword v93, v90, s[0:3], 0 offen offset:4
	ds_read_b64 v[94:95], v89
	v_add_u32_e32 v88, 1, v88
	v_cmp_lt_u32_e32 vcc, 37, v88
	v_add_u32_e32 v89, 8, v89
	v_add_u32_e32 v90, 8, v90
	s_or_b64 s[6:7], vcc, s[6:7]
	s_waitcnt vmcnt(0) lgkmcnt(0)
	v_fmac_f64_e32 v[84:85], v[92:93], v[94:95]
	s_andn2_b64 exec, exec, s[6:7]
	s_cbranch_execnz .LBB104_163
; %bb.164:
	s_or_b64 exec, exec, s[6:7]
	v_mov_b32_e32 v88, 0
	ds_read_b64 v[88:89], v88 offset:312
	s_waitcnt lgkmcnt(0)
	v_mul_f64 v[84:85], v[84:85], v[88:89]
	buffer_store_dword v85, off, s[0:3], 0 offset:316
	buffer_store_dword v84, off, s[0:3], 0 offset:312
.LBB104_165:
	s_or_b64 exec, exec, s[4:5]
	s_waitcnt lgkmcnt(0)
	; wave barrier
	buffer_load_dword v84, off, s[0:3], 0 offset:320
	buffer_load_dword v85, off, s[0:3], 0 offset:324
	v_cmp_ne_u32_e32 vcc, 40, v0
	s_waitcnt vmcnt(0)
	ds_write_b64 v86, v[84:85]
	s_waitcnt lgkmcnt(0)
	; wave barrier
	s_waitcnt lgkmcnt(0)
	s_and_saveexec_b64 s[4:5], vcc
	s_cbranch_execz .LBB104_169
; %bb.166:
	v_add_u32_e32 v86, 0x150, v1
	v_add_u32_e32 v1, 0, v1
	s_mov_b64 s[6:7], 0
	v_pk_mov_b32 v[84:85], 0, 0
.LBB104_167:                            ; =>This Inner Loop Header: Depth=1
	buffer_load_dword v88, v1, s[0:3], 0 offen
	buffer_load_dword v89, v1, s[0:3], 0 offen offset:4
	ds_read_b64 v[90:91], v86
	v_add_u32_e32 v87, 1, v87
	v_cmp_lt_u32_e32 vcc, 38, v87
	v_add_u32_e32 v86, 8, v86
	v_add_u32_e32 v1, 8, v1
	s_or_b64 s[6:7], vcc, s[6:7]
	s_waitcnt vmcnt(0) lgkmcnt(0)
	v_fmac_f64_e32 v[84:85], v[88:89], v[90:91]
	s_andn2_b64 exec, exec, s[6:7]
	s_cbranch_execnz .LBB104_167
; %bb.168:
	s_or_b64 exec, exec, s[6:7]
	v_mov_b32_e32 v1, 0
	ds_read_b64 v[86:87], v1 offset:320
	s_waitcnt lgkmcnt(0)
	v_mul_f64 v[84:85], v[84:85], v[86:87]
	buffer_store_dword v85, off, s[0:3], 0 offset:324
	buffer_store_dword v84, off, s[0:3], 0 offset:320
.LBB104_169:
	s_or_b64 exec, exec, s[4:5]
	s_mov_b64 s[6:7], -1
	s_waitcnt lgkmcnt(0)
	; wave barrier
.LBB104_170:
	s_and_b64 vcc, exec, s[6:7]
	s_cbranch_vccz .LBB104_172
; %bb.171:
	s_lshl_b64 s[4:5], s[8:9], 2
	s_add_u32 s4, s14, s4
	s_addc_u32 s5, s15, s5
	v_mov_b32_e32 v1, 0
	global_load_dword v1, v1, s[4:5]
	s_waitcnt vmcnt(0)
	v_cmp_ne_u32_e32 vcc, 0, v1
	s_cbranch_vccz .LBB104_173
.LBB104_172:
	s_endpgm
.LBB104_173:
	v_mov_b32_e32 v1, 0x150
	v_lshl_add_u32 v1, v0, 3, v1
	v_cmp_eq_u32_e32 vcc, 40, v0
	s_and_saveexec_b64 s[4:5], vcc
	s_cbranch_execz .LBB104_175
; %bb.174:
	buffer_load_dword v84, off, s[0:3], 0 offset:312
	buffer_load_dword v85, off, s[0:3], 0 offset:316
	v_mov_b32_e32 v86, 0
	buffer_store_dword v86, off, s[0:3], 0 offset:312
	buffer_store_dword v86, off, s[0:3], 0 offset:316
	s_waitcnt vmcnt(2)
	ds_write_b64 v1, v[84:85]
.LBB104_175:
	s_or_b64 exec, exec, s[4:5]
	s_waitcnt lgkmcnt(0)
	; wave barrier
	s_waitcnt lgkmcnt(0)
	buffer_load_dword v86, off, s[0:3], 0 offset:320
	buffer_load_dword v87, off, s[0:3], 0 offset:324
	buffer_load_dword v88, off, s[0:3], 0 offset:312
	buffer_load_dword v89, off, s[0:3], 0 offset:316
	v_mov_b32_e32 v84, 0
	ds_read_b64 v[90:91], v84 offset:656
	v_cmp_lt_u32_e32 vcc, 38, v0
	s_waitcnt vmcnt(2) lgkmcnt(0)
	v_fma_f64 v[86:87], v[86:87], v[90:91], 0
	s_waitcnt vmcnt(0)
	v_add_f64 v[86:87], v[88:89], -v[86:87]
	buffer_store_dword v86, off, s[0:3], 0 offset:312
	buffer_store_dword v87, off, s[0:3], 0 offset:316
	s_and_saveexec_b64 s[4:5], vcc
	s_cbranch_execz .LBB104_177
; %bb.176:
	buffer_load_dword v86, off, s[0:3], 0 offset:304
	buffer_load_dword v87, off, s[0:3], 0 offset:308
	s_waitcnt vmcnt(0)
	ds_write_b64 v1, v[86:87]
	buffer_store_dword v84, off, s[0:3], 0 offset:304
	buffer_store_dword v84, off, s[0:3], 0 offset:308
.LBB104_177:
	s_or_b64 exec, exec, s[4:5]
	s_waitcnt lgkmcnt(0)
	; wave barrier
	s_waitcnt lgkmcnt(0)
	buffer_load_dword v88, off, s[0:3], 0 offset:312
	buffer_load_dword v89, off, s[0:3], 0 offset:316
	;; [unrolled: 1-line block ×6, first 2 shown]
	ds_read2_b64 v[84:87], v84 offset0:81 offset1:82
	v_cmp_lt_u32_e32 vcc, 37, v0
	s_waitcnt vmcnt(4) lgkmcnt(0)
	v_fma_f64 v[84:85], v[88:89], v[84:85], 0
	s_waitcnt vmcnt(2)
	v_fmac_f64_e32 v[84:85], v[90:91], v[86:87]
	s_waitcnt vmcnt(0)
	v_add_f64 v[84:85], v[92:93], -v[84:85]
	buffer_store_dword v84, off, s[0:3], 0 offset:304
	buffer_store_dword v85, off, s[0:3], 0 offset:308
	s_and_saveexec_b64 s[4:5], vcc
	s_cbranch_execz .LBB104_179
; %bb.178:
	buffer_load_dword v84, off, s[0:3], 0 offset:296
	buffer_load_dword v85, off, s[0:3], 0 offset:300
	v_mov_b32_e32 v86, 0
	buffer_store_dword v86, off, s[0:3], 0 offset:296
	buffer_store_dword v86, off, s[0:3], 0 offset:300
	s_waitcnt vmcnt(2)
	ds_write_b64 v1, v[84:85]
.LBB104_179:
	s_or_b64 exec, exec, s[4:5]
	s_waitcnt lgkmcnt(0)
	; wave barrier
	s_waitcnt lgkmcnt(0)
	buffer_load_dword v90, off, s[0:3], 0 offset:304
	buffer_load_dword v91, off, s[0:3], 0 offset:308
	;; [unrolled: 1-line block ×8, first 2 shown]
	v_mov_b32_e32 v84, 0
	ds_read_b128 v[86:89], v84 offset:640
	ds_read_b64 v[98:99], v84 offset:656
	v_cmp_lt_u32_e32 vcc, 36, v0
	s_waitcnt vmcnt(6) lgkmcnt(1)
	v_fma_f64 v[86:87], v[90:91], v[86:87], 0
	s_waitcnt vmcnt(4)
	v_fmac_f64_e32 v[86:87], v[92:93], v[88:89]
	s_waitcnt vmcnt(2) lgkmcnt(0)
	v_fmac_f64_e32 v[86:87], v[94:95], v[98:99]
	s_waitcnt vmcnt(0)
	v_add_f64 v[86:87], v[96:97], -v[86:87]
	buffer_store_dword v86, off, s[0:3], 0 offset:296
	buffer_store_dword v87, off, s[0:3], 0 offset:300
	s_and_saveexec_b64 s[4:5], vcc
	s_cbranch_execz .LBB104_181
; %bb.180:
	buffer_load_dword v86, off, s[0:3], 0 offset:288
	buffer_load_dword v87, off, s[0:3], 0 offset:292
	s_waitcnt vmcnt(0)
	ds_write_b64 v1, v[86:87]
	buffer_store_dword v84, off, s[0:3], 0 offset:288
	buffer_store_dword v84, off, s[0:3], 0 offset:292
.LBB104_181:
	s_or_b64 exec, exec, s[4:5]
	s_waitcnt lgkmcnt(0)
	; wave barrier
	s_waitcnt lgkmcnt(0)
	buffer_load_dword v94, off, s[0:3], 0 offset:296
	buffer_load_dword v95, off, s[0:3], 0 offset:300
	;; [unrolled: 1-line block ×10, first 2 shown]
	ds_read2_b64 v[86:89], v84 offset0:79 offset1:80
	ds_read2_b64 v[90:93], v84 offset0:81 offset1:82
	v_cmp_lt_u32_e32 vcc, 35, v0
	s_waitcnt vmcnt(8) lgkmcnt(1)
	v_fma_f64 v[84:85], v[94:95], v[86:87], 0
	s_waitcnt vmcnt(6)
	v_fmac_f64_e32 v[84:85], v[96:97], v[88:89]
	s_waitcnt vmcnt(4) lgkmcnt(0)
	v_fmac_f64_e32 v[84:85], v[98:99], v[90:91]
	s_waitcnt vmcnt(2)
	v_fmac_f64_e32 v[84:85], v[100:101], v[92:93]
	s_waitcnt vmcnt(0)
	v_add_f64 v[84:85], v[102:103], -v[84:85]
	buffer_store_dword v84, off, s[0:3], 0 offset:288
	buffer_store_dword v85, off, s[0:3], 0 offset:292
	s_and_saveexec_b64 s[4:5], vcc
	s_cbranch_execz .LBB104_183
; %bb.182:
	buffer_load_dword v84, off, s[0:3], 0 offset:280
	buffer_load_dword v85, off, s[0:3], 0 offset:284
	v_mov_b32_e32 v86, 0
	buffer_store_dword v86, off, s[0:3], 0 offset:280
	buffer_store_dword v86, off, s[0:3], 0 offset:284
	s_waitcnt vmcnt(2)
	ds_write_b64 v1, v[84:85]
.LBB104_183:
	s_or_b64 exec, exec, s[4:5]
	s_waitcnt lgkmcnt(0)
	; wave barrier
	s_waitcnt lgkmcnt(0)
	buffer_load_dword v94, off, s[0:3], 0 offset:288
	buffer_load_dword v95, off, s[0:3], 0 offset:292
	buffer_load_dword v96, off, s[0:3], 0 offset:296
	buffer_load_dword v97, off, s[0:3], 0 offset:300
	buffer_load_dword v98, off, s[0:3], 0 offset:304
	buffer_load_dword v99, off, s[0:3], 0 offset:308
	buffer_load_dword v100, off, s[0:3], 0 offset:312
	buffer_load_dword v101, off, s[0:3], 0 offset:316
	buffer_load_dword v102, off, s[0:3], 0 offset:320
	buffer_load_dword v103, off, s[0:3], 0 offset:324
	buffer_load_dword v104, off, s[0:3], 0 offset:280
	buffer_load_dword v105, off, s[0:3], 0 offset:284
	v_mov_b32_e32 v84, 0
	ds_read_b128 v[86:89], v84 offset:624
	ds_read_b128 v[90:93], v84 offset:640
	ds_read_b64 v[106:107], v84 offset:656
	v_cmp_lt_u32_e32 vcc, 34, v0
	s_waitcnt vmcnt(10) lgkmcnt(2)
	v_fma_f64 v[86:87], v[94:95], v[86:87], 0
	s_waitcnt vmcnt(8)
	v_fmac_f64_e32 v[86:87], v[96:97], v[88:89]
	s_waitcnt vmcnt(6) lgkmcnt(1)
	v_fmac_f64_e32 v[86:87], v[98:99], v[90:91]
	s_waitcnt vmcnt(4)
	v_fmac_f64_e32 v[86:87], v[100:101], v[92:93]
	s_waitcnt vmcnt(2) lgkmcnt(0)
	v_fmac_f64_e32 v[86:87], v[102:103], v[106:107]
	s_waitcnt vmcnt(0)
	v_add_f64 v[86:87], v[104:105], -v[86:87]
	buffer_store_dword v86, off, s[0:3], 0 offset:280
	buffer_store_dword v87, off, s[0:3], 0 offset:284
	s_and_saveexec_b64 s[4:5], vcc
	s_cbranch_execz .LBB104_185
; %bb.184:
	buffer_load_dword v86, off, s[0:3], 0 offset:272
	buffer_load_dword v87, off, s[0:3], 0 offset:276
	s_waitcnt vmcnt(0)
	ds_write_b64 v1, v[86:87]
	buffer_store_dword v84, off, s[0:3], 0 offset:272
	buffer_store_dword v84, off, s[0:3], 0 offset:276
.LBB104_185:
	s_or_b64 exec, exec, s[4:5]
	s_waitcnt lgkmcnt(0)
	; wave barrier
	s_waitcnt lgkmcnt(0)
	buffer_load_dword v98, off, s[0:3], 0 offset:280
	buffer_load_dword v99, off, s[0:3], 0 offset:284
	;; [unrolled: 1-line block ×14, first 2 shown]
	ds_read2_b64 v[86:89], v84 offset0:77 offset1:78
	ds_read2_b64 v[90:93], v84 offset0:79 offset1:80
	;; [unrolled: 1-line block ×3, first 2 shown]
	v_cmp_lt_u32_e32 vcc, 33, v0
	s_waitcnt vmcnt(12) lgkmcnt(2)
	v_fma_f64 v[84:85], v[98:99], v[86:87], 0
	s_waitcnt vmcnt(10)
	v_fmac_f64_e32 v[84:85], v[100:101], v[88:89]
	s_waitcnt vmcnt(8) lgkmcnt(1)
	v_fmac_f64_e32 v[84:85], v[102:103], v[90:91]
	s_waitcnt vmcnt(6)
	v_fmac_f64_e32 v[84:85], v[104:105], v[92:93]
	s_waitcnt vmcnt(4) lgkmcnt(0)
	v_fmac_f64_e32 v[84:85], v[106:107], v[94:95]
	s_waitcnt vmcnt(2)
	v_fmac_f64_e32 v[84:85], v[108:109], v[96:97]
	s_waitcnt vmcnt(0)
	v_add_f64 v[84:85], v[110:111], -v[84:85]
	buffer_store_dword v84, off, s[0:3], 0 offset:272
	buffer_store_dword v85, off, s[0:3], 0 offset:276
	s_and_saveexec_b64 s[4:5], vcc
	s_cbranch_execz .LBB104_187
; %bb.186:
	buffer_load_dword v84, off, s[0:3], 0 offset:264
	buffer_load_dword v85, off, s[0:3], 0 offset:268
	v_mov_b32_e32 v86, 0
	buffer_store_dword v86, off, s[0:3], 0 offset:264
	buffer_store_dword v86, off, s[0:3], 0 offset:268
	s_waitcnt vmcnt(2)
	ds_write_b64 v1, v[84:85]
.LBB104_187:
	s_or_b64 exec, exec, s[4:5]
	s_waitcnt lgkmcnt(0)
	; wave barrier
	s_waitcnt lgkmcnt(0)
	buffer_load_dword v98, off, s[0:3], 0 offset:272
	buffer_load_dword v99, off, s[0:3], 0 offset:276
	;; [unrolled: 1-line block ×16, first 2 shown]
	v_mov_b32_e32 v84, 0
	ds_read_b128 v[86:89], v84 offset:608
	ds_read_b128 v[90:93], v84 offset:624
	ds_read_b128 v[94:97], v84 offset:640
	ds_read_b64 v[114:115], v84 offset:656
	v_cmp_lt_u32_e32 vcc, 32, v0
	s_waitcnt vmcnt(14) lgkmcnt(3)
	v_fma_f64 v[86:87], v[98:99], v[86:87], 0
	s_waitcnt vmcnt(12)
	v_fmac_f64_e32 v[86:87], v[100:101], v[88:89]
	s_waitcnt vmcnt(10) lgkmcnt(2)
	v_fmac_f64_e32 v[86:87], v[102:103], v[90:91]
	s_waitcnt vmcnt(8)
	v_fmac_f64_e32 v[86:87], v[104:105], v[92:93]
	s_waitcnt vmcnt(6) lgkmcnt(1)
	v_fmac_f64_e32 v[86:87], v[106:107], v[94:95]
	;; [unrolled: 4-line block ×3, first 2 shown]
	s_waitcnt vmcnt(0)
	v_add_f64 v[86:87], v[112:113], -v[86:87]
	buffer_store_dword v86, off, s[0:3], 0 offset:264
	buffer_store_dword v87, off, s[0:3], 0 offset:268
	s_and_saveexec_b64 s[4:5], vcc
	s_cbranch_execz .LBB104_189
; %bb.188:
	buffer_load_dword v86, off, s[0:3], 0 offset:256
	buffer_load_dword v87, off, s[0:3], 0 offset:260
	s_waitcnt vmcnt(0)
	ds_write_b64 v1, v[86:87]
	buffer_store_dword v84, off, s[0:3], 0 offset:256
	buffer_store_dword v84, off, s[0:3], 0 offset:260
.LBB104_189:
	s_or_b64 exec, exec, s[4:5]
	s_waitcnt lgkmcnt(0)
	; wave barrier
	s_waitcnt lgkmcnt(0)
	buffer_load_dword v102, off, s[0:3], 0 offset:264
	buffer_load_dword v103, off, s[0:3], 0 offset:268
	;; [unrolled: 1-line block ×18, first 2 shown]
	ds_read2_b64 v[86:89], v84 offset0:75 offset1:76
	ds_read2_b64 v[90:93], v84 offset0:77 offset1:78
	ds_read2_b64 v[94:97], v84 offset0:79 offset1:80
	ds_read2_b64 v[98:101], v84 offset0:81 offset1:82
	v_cmp_lt_u32_e32 vcc, 31, v0
	s_waitcnt vmcnt(16) lgkmcnt(3)
	v_fma_f64 v[84:85], v[102:103], v[86:87], 0
	s_waitcnt vmcnt(14)
	v_fmac_f64_e32 v[84:85], v[104:105], v[88:89]
	s_waitcnt vmcnt(12) lgkmcnt(2)
	v_fmac_f64_e32 v[84:85], v[106:107], v[90:91]
	s_waitcnt vmcnt(10)
	v_fmac_f64_e32 v[84:85], v[108:109], v[92:93]
	s_waitcnt vmcnt(8) lgkmcnt(1)
	v_fmac_f64_e32 v[84:85], v[110:111], v[94:95]
	;; [unrolled: 4-line block ×3, first 2 shown]
	s_waitcnt vmcnt(2)
	v_fmac_f64_e32 v[84:85], v[116:117], v[100:101]
	s_waitcnt vmcnt(0)
	v_add_f64 v[84:85], v[118:119], -v[84:85]
	buffer_store_dword v84, off, s[0:3], 0 offset:256
	buffer_store_dword v85, off, s[0:3], 0 offset:260
	s_and_saveexec_b64 s[4:5], vcc
	s_cbranch_execz .LBB104_191
; %bb.190:
	buffer_load_dword v84, off, s[0:3], 0 offset:248
	buffer_load_dword v85, off, s[0:3], 0 offset:252
	v_mov_b32_e32 v86, 0
	buffer_store_dword v86, off, s[0:3], 0 offset:248
	buffer_store_dword v86, off, s[0:3], 0 offset:252
	s_waitcnt vmcnt(2)
	ds_write_b64 v1, v[84:85]
.LBB104_191:
	s_or_b64 exec, exec, s[4:5]
	s_waitcnt lgkmcnt(0)
	; wave barrier
	s_waitcnt lgkmcnt(0)
	buffer_load_dword v102, off, s[0:3], 0 offset:256
	buffer_load_dword v103, off, s[0:3], 0 offset:260
	;; [unrolled: 1-line block ×20, first 2 shown]
	v_mov_b32_e32 v84, 0
	ds_read_b128 v[86:89], v84 offset:592
	ds_read_b128 v[90:93], v84 offset:608
	;; [unrolled: 1-line block ×4, first 2 shown]
	ds_read_b64 v[122:123], v84 offset:656
	v_cmp_lt_u32_e32 vcc, 30, v0
	s_waitcnt vmcnt(18) lgkmcnt(4)
	v_fma_f64 v[86:87], v[102:103], v[86:87], 0
	s_waitcnt vmcnt(16)
	v_fmac_f64_e32 v[86:87], v[104:105], v[88:89]
	s_waitcnt vmcnt(14) lgkmcnt(3)
	v_fmac_f64_e32 v[86:87], v[106:107], v[90:91]
	s_waitcnt vmcnt(12)
	v_fmac_f64_e32 v[86:87], v[108:109], v[92:93]
	s_waitcnt vmcnt(10) lgkmcnt(2)
	v_fmac_f64_e32 v[86:87], v[110:111], v[94:95]
	;; [unrolled: 4-line block ×3, first 2 shown]
	s_waitcnt vmcnt(2)
	v_fmac_f64_e32 v[86:87], v[118:119], v[100:101]
	s_waitcnt lgkmcnt(0)
	v_fmac_f64_e32 v[86:87], v[116:117], v[122:123]
	s_waitcnt vmcnt(0)
	v_add_f64 v[86:87], v[120:121], -v[86:87]
	buffer_store_dword v86, off, s[0:3], 0 offset:248
	buffer_store_dword v87, off, s[0:3], 0 offset:252
	s_and_saveexec_b64 s[4:5], vcc
	s_cbranch_execz .LBB104_193
; %bb.192:
	buffer_load_dword v86, off, s[0:3], 0 offset:240
	buffer_load_dword v87, off, s[0:3], 0 offset:244
	s_waitcnt vmcnt(0)
	ds_write_b64 v1, v[86:87]
	buffer_store_dword v84, off, s[0:3], 0 offset:240
	buffer_store_dword v84, off, s[0:3], 0 offset:244
.LBB104_193:
	s_or_b64 exec, exec, s[4:5]
	s_waitcnt lgkmcnt(0)
	; wave barrier
	s_waitcnt lgkmcnt(0)
	buffer_load_dword v106, off, s[0:3], 0 offset:248
	buffer_load_dword v107, off, s[0:3], 0 offset:252
	;; [unrolled: 1-line block ×22, first 2 shown]
	ds_read2_b64 v[86:89], v84 offset0:73 offset1:74
	ds_read2_b64 v[90:93], v84 offset0:75 offset1:76
	;; [unrolled: 1-line block ×5, first 2 shown]
	v_cmp_lt_u32_e32 vcc, 29, v0
	s_waitcnt vmcnt(20) lgkmcnt(4)
	v_fma_f64 v[84:85], v[106:107], v[86:87], 0
	s_waitcnt vmcnt(18)
	v_fmac_f64_e32 v[84:85], v[108:109], v[88:89]
	s_waitcnt vmcnt(16) lgkmcnt(3)
	v_fmac_f64_e32 v[84:85], v[110:111], v[90:91]
	s_waitcnt vmcnt(14)
	v_fmac_f64_e32 v[84:85], v[112:113], v[92:93]
	s_waitcnt vmcnt(12) lgkmcnt(2)
	v_fmac_f64_e32 v[84:85], v[114:115], v[94:95]
	;; [unrolled: 4-line block ×3, first 2 shown]
	s_waitcnt vmcnt(3)
	v_fmac_f64_e32 v[84:85], v[124:125], v[100:101]
	s_waitcnt lgkmcnt(0)
	v_fmac_f64_e32 v[84:85], v[122:123], v[102:103]
	s_waitcnt vmcnt(2)
	v_fmac_f64_e32 v[84:85], v[120:121], v[104:105]
	s_waitcnt vmcnt(0)
	v_add_f64 v[84:85], v[126:127], -v[84:85]
	buffer_store_dword v84, off, s[0:3], 0 offset:240
	buffer_store_dword v85, off, s[0:3], 0 offset:244
	s_and_saveexec_b64 s[4:5], vcc
	s_cbranch_execz .LBB104_195
; %bb.194:
	buffer_load_dword v84, off, s[0:3], 0 offset:232
	buffer_load_dword v85, off, s[0:3], 0 offset:236
	v_mov_b32_e32 v86, 0
	buffer_store_dword v86, off, s[0:3], 0 offset:232
	buffer_store_dword v86, off, s[0:3], 0 offset:236
	s_waitcnt vmcnt(2)
	ds_write_b64 v1, v[84:85]
.LBB104_195:
	s_or_b64 exec, exec, s[4:5]
	s_waitcnt lgkmcnt(0)
	; wave barrier
	s_waitcnt lgkmcnt(0)
	buffer_load_dword v102, off, s[0:3], 0 offset:232
	buffer_load_dword v103, off, s[0:3], 0 offset:236
	;; [unrolled: 1-line block ×16, first 2 shown]
	v_mov_b32_e32 v84, 0
	ds_read_b128 v[86:89], v84 offset:576
	ds_read_b128 v[90:93], v84 offset:592
	;; [unrolled: 1-line block ×4, first 2 shown]
	v_cmp_lt_u32_e32 vcc, 28, v0
	s_waitcnt vmcnt(12) lgkmcnt(3)
	v_fma_f64 v[104:105], v[104:105], v[86:87], 0
	buffer_load_dword v87, off, s[0:3], 0 offset:300
	buffer_load_dword v86, off, s[0:3], 0 offset:296
	s_waitcnt vmcnt(12)
	v_fmac_f64_e32 v[104:105], v[106:107], v[88:89]
	s_waitcnt vmcnt(10) lgkmcnt(2)
	v_fmac_f64_e32 v[104:105], v[108:109], v[90:91]
	buffer_load_dword v91, off, s[0:3], 0 offset:308
	buffer_load_dword v90, off, s[0:3], 0 offset:304
	s_waitcnt vmcnt(10)
	v_fmac_f64_e32 v[104:105], v[110:111], v[92:93]
	s_waitcnt vmcnt(8) lgkmcnt(1)
	v_fmac_f64_e32 v[104:105], v[112:113], v[94:95]
	s_waitcnt vmcnt(6)
	v_fmac_f64_e32 v[104:105], v[114:115], v[96:97]
	s_waitcnt vmcnt(4) lgkmcnt(0)
	v_fmac_f64_e32 v[104:105], v[116:117], v[98:99]
	s_waitcnt vmcnt(2)
	v_fmac_f64_e32 v[104:105], v[86:87], v[100:101]
	ds_read_b128 v[86:89], v84 offset:640
	s_waitcnt vmcnt(0) lgkmcnt(0)
	v_fmac_f64_e32 v[104:105], v[90:91], v[86:87]
	buffer_load_dword v87, off, s[0:3], 0 offset:316
	buffer_load_dword v86, off, s[0:3], 0 offset:312
	s_waitcnt vmcnt(0)
	v_fmac_f64_e32 v[104:105], v[86:87], v[88:89]
	buffer_load_dword v87, off, s[0:3], 0 offset:324
	buffer_load_dword v86, off, s[0:3], 0 offset:320
	ds_read_b64 v[88:89], v84 offset:656
	s_waitcnt vmcnt(0) lgkmcnt(0)
	v_fmac_f64_e32 v[104:105], v[86:87], v[88:89]
	v_add_f64 v[86:87], v[102:103], -v[104:105]
	buffer_store_dword v87, off, s[0:3], 0 offset:236
	buffer_store_dword v86, off, s[0:3], 0 offset:232
	s_and_saveexec_b64 s[4:5], vcc
	s_cbranch_execz .LBB104_197
; %bb.196:
	buffer_load_dword v86, off, s[0:3], 0 offset:224
	buffer_load_dword v87, off, s[0:3], 0 offset:228
	s_waitcnt vmcnt(0)
	ds_write_b64 v1, v[86:87]
	buffer_store_dword v84, off, s[0:3], 0 offset:224
	buffer_store_dword v84, off, s[0:3], 0 offset:228
.LBB104_197:
	s_or_b64 exec, exec, s[4:5]
	s_waitcnt lgkmcnt(0)
	; wave barrier
	s_waitcnt lgkmcnt(0)
	buffer_load_dword v90, off, s[0:3], 0 offset:224
	buffer_load_dword v91, off, s[0:3], 0 offset:228
	buffer_load_dword v92, off, s[0:3], 0 offset:232
	buffer_load_dword v93, off, s[0:3], 0 offset:236
	buffer_load_dword v94, off, s[0:3], 0 offset:240
	buffer_load_dword v95, off, s[0:3], 0 offset:244
	buffer_load_dword v96, off, s[0:3], 0 offset:248
	buffer_load_dword v97, off, s[0:3], 0 offset:252
	buffer_load_dword v98, off, s[0:3], 0 offset:256
	buffer_load_dword v99, off, s[0:3], 0 offset:260
	buffer_load_dword v100, off, s[0:3], 0 offset:264
	buffer_load_dword v101, off, s[0:3], 0 offset:268
	buffer_load_dword v102, off, s[0:3], 0 offset:272
	buffer_load_dword v103, off, s[0:3], 0 offset:276
	buffer_load_dword v104, off, s[0:3], 0 offset:280
	buffer_load_dword v105, off, s[0:3], 0 offset:284
	ds_read2_b64 v[86:89], v84 offset0:71 offset1:72
	v_cmp_lt_u32_e32 vcc, 27, v0
	s_waitcnt vmcnt(12) lgkmcnt(0)
	v_fma_f64 v[92:93], v[92:93], v[86:87], 0
	s_waitcnt vmcnt(10)
	v_fmac_f64_e32 v[92:93], v[94:95], v[88:89]
	ds_read2_b64 v[86:89], v84 offset0:73 offset1:74
	s_waitcnt vmcnt(8) lgkmcnt(0)
	v_fmac_f64_e32 v[92:93], v[96:97], v[86:87]
	s_waitcnt vmcnt(6)
	v_fmac_f64_e32 v[92:93], v[98:99], v[88:89]
	ds_read2_b64 v[86:89], v84 offset0:75 offset1:76
	s_waitcnt vmcnt(4) lgkmcnt(0)
	v_fmac_f64_e32 v[92:93], v[100:101], v[86:87]
	;; [unrolled: 5-line block ×3, first 2 shown]
	buffer_load_dword v87, off, s[0:3], 0 offset:292
	buffer_load_dword v86, off, s[0:3], 0 offset:288
	;; [unrolled: 1-line block ×4, first 2 shown]
	s_waitcnt vmcnt(2)
	v_fmac_f64_e32 v[92:93], v[86:87], v[88:89]
	ds_read2_b64 v[86:89], v84 offset0:79 offset1:80
	s_waitcnt vmcnt(0) lgkmcnt(0)
	v_fmac_f64_e32 v[92:93], v[94:95], v[86:87]
	buffer_load_dword v87, off, s[0:3], 0 offset:308
	buffer_load_dword v86, off, s[0:3], 0 offset:304
	s_waitcnt vmcnt(0)
	v_fmac_f64_e32 v[92:93], v[86:87], v[88:89]
	buffer_load_dword v89, off, s[0:3], 0 offset:316
	buffer_load_dword v88, off, s[0:3], 0 offset:312
	ds_read2_b64 v[84:87], v84 offset0:81 offset1:82
	s_waitcnt vmcnt(0) lgkmcnt(0)
	v_fmac_f64_e32 v[92:93], v[88:89], v[84:85]
	buffer_load_dword v85, off, s[0:3], 0 offset:324
	buffer_load_dword v84, off, s[0:3], 0 offset:320
	s_waitcnt vmcnt(0)
	v_fmac_f64_e32 v[92:93], v[84:85], v[86:87]
	v_add_f64 v[84:85], v[90:91], -v[92:93]
	buffer_store_dword v85, off, s[0:3], 0 offset:228
	buffer_store_dword v84, off, s[0:3], 0 offset:224
	s_and_saveexec_b64 s[4:5], vcc
	s_cbranch_execz .LBB104_199
; %bb.198:
	buffer_load_dword v84, off, s[0:3], 0 offset:216
	buffer_load_dword v85, off, s[0:3], 0 offset:220
	v_mov_b32_e32 v86, 0
	buffer_store_dword v86, off, s[0:3], 0 offset:216
	buffer_store_dword v86, off, s[0:3], 0 offset:220
	s_waitcnt vmcnt(2)
	ds_write_b64 v1, v[84:85]
.LBB104_199:
	s_or_b64 exec, exec, s[4:5]
	s_waitcnt lgkmcnt(0)
	; wave barrier
	s_waitcnt lgkmcnt(0)
	buffer_load_dword v102, off, s[0:3], 0 offset:216
	buffer_load_dword v103, off, s[0:3], 0 offset:220
	;; [unrolled: 1-line block ×16, first 2 shown]
	v_mov_b32_e32 v84, 0
	ds_read_b128 v[86:89], v84 offset:560
	ds_read_b128 v[90:93], v84 offset:576
	;; [unrolled: 1-line block ×4, first 2 shown]
	v_cmp_lt_u32_e32 vcc, 26, v0
	s_waitcnt vmcnt(12) lgkmcnt(3)
	v_fma_f64 v[104:105], v[104:105], v[86:87], 0
	buffer_load_dword v87, off, s[0:3], 0 offset:284
	buffer_load_dword v86, off, s[0:3], 0 offset:280
	s_waitcnt vmcnt(12)
	v_fmac_f64_e32 v[104:105], v[106:107], v[88:89]
	s_waitcnt vmcnt(10) lgkmcnt(2)
	v_fmac_f64_e32 v[104:105], v[108:109], v[90:91]
	buffer_load_dword v91, off, s[0:3], 0 offset:292
	buffer_load_dword v90, off, s[0:3], 0 offset:288
	s_waitcnt vmcnt(10)
	v_fmac_f64_e32 v[104:105], v[110:111], v[92:93]
	s_waitcnt vmcnt(8) lgkmcnt(1)
	v_fmac_f64_e32 v[104:105], v[112:113], v[94:95]
	s_waitcnt vmcnt(6)
	v_fmac_f64_e32 v[104:105], v[114:115], v[96:97]
	s_waitcnt vmcnt(4) lgkmcnt(0)
	v_fmac_f64_e32 v[104:105], v[116:117], v[98:99]
	s_waitcnt vmcnt(2)
	v_fmac_f64_e32 v[104:105], v[86:87], v[100:101]
	ds_read_b128 v[86:89], v84 offset:624
	s_waitcnt vmcnt(0) lgkmcnt(0)
	v_fmac_f64_e32 v[104:105], v[90:91], v[86:87]
	buffer_load_dword v87, off, s[0:3], 0 offset:300
	buffer_load_dword v86, off, s[0:3], 0 offset:296
	;; [unrolled: 1-line block ×4, first 2 shown]
	s_waitcnt vmcnt(2)
	v_fmac_f64_e32 v[104:105], v[86:87], v[88:89]
	ds_read_b128 v[86:89], v84 offset:640
	s_waitcnt vmcnt(0) lgkmcnt(0)
	v_fmac_f64_e32 v[104:105], v[90:91], v[86:87]
	buffer_load_dword v87, off, s[0:3], 0 offset:316
	buffer_load_dword v86, off, s[0:3], 0 offset:312
	s_waitcnt vmcnt(0)
	v_fmac_f64_e32 v[104:105], v[86:87], v[88:89]
	buffer_load_dword v87, off, s[0:3], 0 offset:324
	buffer_load_dword v86, off, s[0:3], 0 offset:320
	ds_read_b64 v[88:89], v84 offset:656
	s_waitcnt vmcnt(0) lgkmcnt(0)
	v_fmac_f64_e32 v[104:105], v[86:87], v[88:89]
	v_add_f64 v[86:87], v[102:103], -v[104:105]
	buffer_store_dword v87, off, s[0:3], 0 offset:220
	buffer_store_dword v86, off, s[0:3], 0 offset:216
	s_and_saveexec_b64 s[4:5], vcc
	s_cbranch_execz .LBB104_201
; %bb.200:
	buffer_load_dword v86, off, s[0:3], 0 offset:208
	buffer_load_dword v87, off, s[0:3], 0 offset:212
	s_waitcnt vmcnt(0)
	ds_write_b64 v1, v[86:87]
	buffer_store_dword v84, off, s[0:3], 0 offset:208
	buffer_store_dword v84, off, s[0:3], 0 offset:212
.LBB104_201:
	s_or_b64 exec, exec, s[4:5]
	s_waitcnt lgkmcnt(0)
	; wave barrier
	s_waitcnt lgkmcnt(0)
	buffer_load_dword v90, off, s[0:3], 0 offset:208
	buffer_load_dword v91, off, s[0:3], 0 offset:212
	;; [unrolled: 1-line block ×16, first 2 shown]
	ds_read2_b64 v[86:89], v84 offset0:69 offset1:70
	v_cmp_lt_u32_e32 vcc, 25, v0
	s_waitcnt vmcnt(12) lgkmcnt(0)
	v_fma_f64 v[92:93], v[92:93], v[86:87], 0
	s_waitcnt vmcnt(10)
	v_fmac_f64_e32 v[92:93], v[94:95], v[88:89]
	ds_read2_b64 v[86:89], v84 offset0:71 offset1:72
	s_waitcnt vmcnt(8) lgkmcnt(0)
	v_fmac_f64_e32 v[92:93], v[96:97], v[86:87]
	s_waitcnt vmcnt(6)
	v_fmac_f64_e32 v[92:93], v[98:99], v[88:89]
	ds_read2_b64 v[86:89], v84 offset0:73 offset1:74
	s_waitcnt vmcnt(4) lgkmcnt(0)
	v_fmac_f64_e32 v[92:93], v[100:101], v[86:87]
	;; [unrolled: 5-line block ×3, first 2 shown]
	buffer_load_dword v87, off, s[0:3], 0 offset:276
	buffer_load_dword v86, off, s[0:3], 0 offset:272
	;; [unrolled: 1-line block ×4, first 2 shown]
	s_waitcnt vmcnt(2)
	v_fmac_f64_e32 v[92:93], v[86:87], v[88:89]
	ds_read2_b64 v[86:89], v84 offset0:77 offset1:78
	s_waitcnt vmcnt(0) lgkmcnt(0)
	v_fmac_f64_e32 v[92:93], v[94:95], v[86:87]
	buffer_load_dword v87, off, s[0:3], 0 offset:292
	buffer_load_dword v86, off, s[0:3], 0 offset:288
	;; [unrolled: 1-line block ×4, first 2 shown]
	s_waitcnt vmcnt(2)
	v_fmac_f64_e32 v[92:93], v[86:87], v[88:89]
	ds_read2_b64 v[86:89], v84 offset0:79 offset1:80
	s_waitcnt vmcnt(0) lgkmcnt(0)
	v_fmac_f64_e32 v[92:93], v[94:95], v[86:87]
	buffer_load_dword v87, off, s[0:3], 0 offset:308
	buffer_load_dword v86, off, s[0:3], 0 offset:304
	s_waitcnt vmcnt(0)
	v_fmac_f64_e32 v[92:93], v[86:87], v[88:89]
	buffer_load_dword v89, off, s[0:3], 0 offset:316
	buffer_load_dword v88, off, s[0:3], 0 offset:312
	ds_read2_b64 v[84:87], v84 offset0:81 offset1:82
	s_waitcnt vmcnt(0) lgkmcnt(0)
	v_fmac_f64_e32 v[92:93], v[88:89], v[84:85]
	buffer_load_dword v85, off, s[0:3], 0 offset:324
	buffer_load_dword v84, off, s[0:3], 0 offset:320
	s_waitcnt vmcnt(0)
	v_fmac_f64_e32 v[92:93], v[84:85], v[86:87]
	v_add_f64 v[84:85], v[90:91], -v[92:93]
	buffer_store_dword v85, off, s[0:3], 0 offset:212
	buffer_store_dword v84, off, s[0:3], 0 offset:208
	s_and_saveexec_b64 s[4:5], vcc
	s_cbranch_execz .LBB104_203
; %bb.202:
	buffer_load_dword v84, off, s[0:3], 0 offset:200
	buffer_load_dword v85, off, s[0:3], 0 offset:204
	v_mov_b32_e32 v86, 0
	buffer_store_dword v86, off, s[0:3], 0 offset:200
	buffer_store_dword v86, off, s[0:3], 0 offset:204
	s_waitcnt vmcnt(2)
	ds_write_b64 v1, v[84:85]
.LBB104_203:
	s_or_b64 exec, exec, s[4:5]
	s_waitcnt lgkmcnt(0)
	; wave barrier
	s_waitcnt lgkmcnt(0)
	buffer_load_dword v102, off, s[0:3], 0 offset:200
	buffer_load_dword v103, off, s[0:3], 0 offset:204
	;; [unrolled: 1-line block ×16, first 2 shown]
	v_mov_b32_e32 v84, 0
	ds_read_b128 v[86:89], v84 offset:544
	ds_read_b128 v[90:93], v84 offset:560
	ds_read_b128 v[94:97], v84 offset:576
	ds_read_b128 v[98:101], v84 offset:592
	v_cmp_lt_u32_e32 vcc, 24, v0
	s_waitcnt vmcnt(12) lgkmcnt(3)
	v_fma_f64 v[104:105], v[104:105], v[86:87], 0
	buffer_load_dword v87, off, s[0:3], 0 offset:268
	buffer_load_dword v86, off, s[0:3], 0 offset:264
	s_waitcnt vmcnt(12)
	v_fmac_f64_e32 v[104:105], v[106:107], v[88:89]
	s_waitcnt vmcnt(10) lgkmcnt(2)
	v_fmac_f64_e32 v[104:105], v[108:109], v[90:91]
	buffer_load_dword v91, off, s[0:3], 0 offset:276
	buffer_load_dword v90, off, s[0:3], 0 offset:272
	s_waitcnt vmcnt(10)
	v_fmac_f64_e32 v[104:105], v[110:111], v[92:93]
	s_waitcnt vmcnt(8) lgkmcnt(1)
	v_fmac_f64_e32 v[104:105], v[112:113], v[94:95]
	s_waitcnt vmcnt(6)
	v_fmac_f64_e32 v[104:105], v[114:115], v[96:97]
	s_waitcnt vmcnt(4) lgkmcnt(0)
	v_fmac_f64_e32 v[104:105], v[116:117], v[98:99]
	s_waitcnt vmcnt(2)
	v_fmac_f64_e32 v[104:105], v[86:87], v[100:101]
	ds_read_b128 v[86:89], v84 offset:608
	s_waitcnt vmcnt(0) lgkmcnt(0)
	v_fmac_f64_e32 v[104:105], v[90:91], v[86:87]
	buffer_load_dword v87, off, s[0:3], 0 offset:284
	buffer_load_dword v86, off, s[0:3], 0 offset:280
	;; [unrolled: 1-line block ×4, first 2 shown]
	s_waitcnt vmcnt(2)
	v_fmac_f64_e32 v[104:105], v[86:87], v[88:89]
	ds_read_b128 v[86:89], v84 offset:624
	s_waitcnt vmcnt(0) lgkmcnt(0)
	v_fmac_f64_e32 v[104:105], v[90:91], v[86:87]
	buffer_load_dword v87, off, s[0:3], 0 offset:300
	buffer_load_dword v86, off, s[0:3], 0 offset:296
	;; [unrolled: 1-line block ×4, first 2 shown]
	s_waitcnt vmcnt(2)
	v_fmac_f64_e32 v[104:105], v[86:87], v[88:89]
	ds_read_b128 v[86:89], v84 offset:640
	s_waitcnt vmcnt(0) lgkmcnt(0)
	v_fmac_f64_e32 v[104:105], v[90:91], v[86:87]
	buffer_load_dword v87, off, s[0:3], 0 offset:316
	buffer_load_dword v86, off, s[0:3], 0 offset:312
	s_waitcnt vmcnt(0)
	v_fmac_f64_e32 v[104:105], v[86:87], v[88:89]
	buffer_load_dword v87, off, s[0:3], 0 offset:324
	buffer_load_dword v86, off, s[0:3], 0 offset:320
	ds_read_b64 v[88:89], v84 offset:656
	s_waitcnt vmcnt(0) lgkmcnt(0)
	v_fmac_f64_e32 v[104:105], v[86:87], v[88:89]
	v_add_f64 v[86:87], v[102:103], -v[104:105]
	buffer_store_dword v87, off, s[0:3], 0 offset:204
	buffer_store_dword v86, off, s[0:3], 0 offset:200
	s_and_saveexec_b64 s[4:5], vcc
	s_cbranch_execz .LBB104_205
; %bb.204:
	buffer_load_dword v86, off, s[0:3], 0 offset:192
	buffer_load_dword v87, off, s[0:3], 0 offset:196
	s_waitcnt vmcnt(0)
	ds_write_b64 v1, v[86:87]
	buffer_store_dword v84, off, s[0:3], 0 offset:192
	buffer_store_dword v84, off, s[0:3], 0 offset:196
.LBB104_205:
	s_or_b64 exec, exec, s[4:5]
	s_waitcnt lgkmcnt(0)
	; wave barrier
	s_waitcnt lgkmcnt(0)
	buffer_load_dword v90, off, s[0:3], 0 offset:192
	buffer_load_dword v91, off, s[0:3], 0 offset:196
	;; [unrolled: 1-line block ×16, first 2 shown]
	ds_read2_b64 v[86:89], v84 offset0:67 offset1:68
	v_cmp_lt_u32_e32 vcc, 23, v0
	s_waitcnt vmcnt(12) lgkmcnt(0)
	v_fma_f64 v[92:93], v[92:93], v[86:87], 0
	s_waitcnt vmcnt(10)
	v_fmac_f64_e32 v[92:93], v[94:95], v[88:89]
	ds_read2_b64 v[86:89], v84 offset0:69 offset1:70
	s_waitcnt vmcnt(8) lgkmcnt(0)
	v_fmac_f64_e32 v[92:93], v[96:97], v[86:87]
	s_waitcnt vmcnt(6)
	v_fmac_f64_e32 v[92:93], v[98:99], v[88:89]
	ds_read2_b64 v[86:89], v84 offset0:71 offset1:72
	s_waitcnt vmcnt(4) lgkmcnt(0)
	v_fmac_f64_e32 v[92:93], v[100:101], v[86:87]
	;; [unrolled: 5-line block ×3, first 2 shown]
	buffer_load_dword v87, off, s[0:3], 0 offset:260
	buffer_load_dword v86, off, s[0:3], 0 offset:256
	buffer_load_dword v95, off, s[0:3], 0 offset:268
	buffer_load_dword v94, off, s[0:3], 0 offset:264
	s_waitcnt vmcnt(2)
	v_fmac_f64_e32 v[92:93], v[86:87], v[88:89]
	ds_read2_b64 v[86:89], v84 offset0:75 offset1:76
	s_waitcnt vmcnt(0) lgkmcnt(0)
	v_fmac_f64_e32 v[92:93], v[94:95], v[86:87]
	buffer_load_dword v87, off, s[0:3], 0 offset:276
	buffer_load_dword v86, off, s[0:3], 0 offset:272
	buffer_load_dword v95, off, s[0:3], 0 offset:284
	buffer_load_dword v94, off, s[0:3], 0 offset:280
	s_waitcnt vmcnt(2)
	v_fmac_f64_e32 v[92:93], v[86:87], v[88:89]
	ds_read2_b64 v[86:89], v84 offset0:77 offset1:78
	s_waitcnt vmcnt(0) lgkmcnt(0)
	v_fmac_f64_e32 v[92:93], v[94:95], v[86:87]
	;; [unrolled: 9-line block ×3, first 2 shown]
	buffer_load_dword v87, off, s[0:3], 0 offset:308
	buffer_load_dword v86, off, s[0:3], 0 offset:304
	s_waitcnt vmcnt(0)
	v_fmac_f64_e32 v[92:93], v[86:87], v[88:89]
	buffer_load_dword v89, off, s[0:3], 0 offset:316
	buffer_load_dword v88, off, s[0:3], 0 offset:312
	ds_read2_b64 v[84:87], v84 offset0:81 offset1:82
	s_waitcnt vmcnt(0) lgkmcnt(0)
	v_fmac_f64_e32 v[92:93], v[88:89], v[84:85]
	buffer_load_dword v85, off, s[0:3], 0 offset:324
	buffer_load_dword v84, off, s[0:3], 0 offset:320
	s_waitcnt vmcnt(0)
	v_fmac_f64_e32 v[92:93], v[84:85], v[86:87]
	v_add_f64 v[84:85], v[90:91], -v[92:93]
	buffer_store_dword v85, off, s[0:3], 0 offset:196
	buffer_store_dword v84, off, s[0:3], 0 offset:192
	s_and_saveexec_b64 s[4:5], vcc
	s_cbranch_execz .LBB104_207
; %bb.206:
	buffer_load_dword v84, off, s[0:3], 0 offset:184
	buffer_load_dword v85, off, s[0:3], 0 offset:188
	v_mov_b32_e32 v86, 0
	buffer_store_dword v86, off, s[0:3], 0 offset:184
	buffer_store_dword v86, off, s[0:3], 0 offset:188
	s_waitcnt vmcnt(2)
	ds_write_b64 v1, v[84:85]
.LBB104_207:
	s_or_b64 exec, exec, s[4:5]
	s_waitcnt lgkmcnt(0)
	; wave barrier
	s_waitcnt lgkmcnt(0)
	buffer_load_dword v84, off, s[0:3], 0 offset:184
	buffer_load_dword v85, off, s[0:3], 0 offset:188
	;; [unrolled: 1-line block ×16, first 2 shown]
	v_mov_b32_e32 v88, 0
	ds_read_b128 v[90:93], v88 offset:528
	ds_read_b128 v[94:97], v88 offset:544
	;; [unrolled: 1-line block ×4, first 2 shown]
	v_cmp_lt_u32_e32 vcc, 22, v0
	s_waitcnt vmcnt(12) lgkmcnt(3)
	v_fma_f64 v[86:87], v[86:87], v[90:91], 0
	buffer_load_dword v91, off, s[0:3], 0 offset:252
	buffer_load_dword v90, off, s[0:3], 0 offset:248
	s_waitcnt vmcnt(12)
	v_fmac_f64_e32 v[86:87], v[106:107], v[92:93]
	s_waitcnt vmcnt(10) lgkmcnt(2)
	v_fmac_f64_e32 v[86:87], v[108:109], v[94:95]
	buffer_load_dword v95, off, s[0:3], 0 offset:260
	buffer_load_dword v94, off, s[0:3], 0 offset:256
	s_waitcnt vmcnt(10)
	v_fmac_f64_e32 v[86:87], v[110:111], v[96:97]
	s_waitcnt vmcnt(8) lgkmcnt(1)
	v_fmac_f64_e32 v[86:87], v[112:113], v[98:99]
	s_waitcnt vmcnt(6)
	v_fmac_f64_e32 v[86:87], v[114:115], v[100:101]
	s_waitcnt vmcnt(4) lgkmcnt(0)
	v_fmac_f64_e32 v[86:87], v[116:117], v[102:103]
	s_waitcnt vmcnt(2)
	v_fmac_f64_e32 v[86:87], v[90:91], v[104:105]
	ds_read_b128 v[90:93], v88 offset:592
	s_waitcnt vmcnt(0) lgkmcnt(0)
	v_fmac_f64_e32 v[86:87], v[94:95], v[90:91]
	buffer_load_dword v91, off, s[0:3], 0 offset:268
	buffer_load_dword v90, off, s[0:3], 0 offset:264
	buffer_load_dword v95, off, s[0:3], 0 offset:276
	buffer_load_dword v94, off, s[0:3], 0 offset:272
	s_waitcnt vmcnt(2)
	v_fmac_f64_e32 v[86:87], v[90:91], v[92:93]
	ds_read_b128 v[90:93], v88 offset:608
	s_waitcnt vmcnt(0) lgkmcnt(0)
	v_fmac_f64_e32 v[86:87], v[94:95], v[90:91]
	buffer_load_dword v91, off, s[0:3], 0 offset:284
	buffer_load_dword v90, off, s[0:3], 0 offset:280
	buffer_load_dword v95, off, s[0:3], 0 offset:292
	buffer_load_dword v94, off, s[0:3], 0 offset:288
	;; [unrolled: 9-line block ×3, first 2 shown]
	s_waitcnt vmcnt(2)
	v_fmac_f64_e32 v[86:87], v[90:91], v[92:93]
	ds_read_b128 v[90:93], v88 offset:640
	s_waitcnt vmcnt(0) lgkmcnt(0)
	v_fmac_f64_e32 v[86:87], v[94:95], v[90:91]
	buffer_load_dword v91, off, s[0:3], 0 offset:316
	buffer_load_dword v90, off, s[0:3], 0 offset:312
	s_waitcnt vmcnt(0)
	v_fmac_f64_e32 v[86:87], v[90:91], v[92:93]
	buffer_load_dword v91, off, s[0:3], 0 offset:324
	buffer_load_dword v90, off, s[0:3], 0 offset:320
	ds_read_b64 v[92:93], v88 offset:656
	s_waitcnt vmcnt(0) lgkmcnt(0)
	v_fmac_f64_e32 v[86:87], v[90:91], v[92:93]
	v_add_f64 v[84:85], v[84:85], -v[86:87]
	buffer_store_dword v85, off, s[0:3], 0 offset:188
	buffer_store_dword v84, off, s[0:3], 0 offset:184
	s_and_saveexec_b64 s[4:5], vcc
	s_cbranch_execz .LBB104_209
; %bb.208:
	buffer_load_dword v84, off, s[0:3], 0 offset:176
	buffer_load_dword v85, off, s[0:3], 0 offset:180
	s_waitcnt vmcnt(0)
	ds_write_b64 v1, v[84:85]
	buffer_store_dword v88, off, s[0:3], 0 offset:176
	buffer_store_dword v88, off, s[0:3], 0 offset:180
.LBB104_209:
	s_or_b64 exec, exec, s[4:5]
	s_waitcnt lgkmcnt(0)
	; wave barrier
	s_waitcnt lgkmcnt(0)
	buffer_load_dword v84, off, s[0:3], 0 offset:176
	buffer_load_dword v85, off, s[0:3], 0 offset:180
	;; [unrolled: 1-line block ×16, first 2 shown]
	ds_read2_b64 v[90:93], v88 offset0:65 offset1:66
	v_cmp_lt_u32_e32 vcc, 21, v0
	s_waitcnt vmcnt(12) lgkmcnt(0)
	v_fma_f64 v[86:87], v[86:87], v[90:91], 0
	s_waitcnt vmcnt(10)
	v_fmac_f64_e32 v[86:87], v[94:95], v[92:93]
	ds_read2_b64 v[90:93], v88 offset0:67 offset1:68
	s_waitcnt vmcnt(8) lgkmcnt(0)
	v_fmac_f64_e32 v[86:87], v[96:97], v[90:91]
	s_waitcnt vmcnt(6)
	v_fmac_f64_e32 v[86:87], v[98:99], v[92:93]
	ds_read2_b64 v[90:93], v88 offset0:69 offset1:70
	s_waitcnt vmcnt(4) lgkmcnt(0)
	v_fmac_f64_e32 v[86:87], v[100:101], v[90:91]
	;; [unrolled: 5-line block ×3, first 2 shown]
	buffer_load_dword v91, off, s[0:3], 0 offset:244
	buffer_load_dword v90, off, s[0:3], 0 offset:240
	buffer_load_dword v95, off, s[0:3], 0 offset:252
	buffer_load_dword v94, off, s[0:3], 0 offset:248
	s_waitcnt vmcnt(2)
	v_fmac_f64_e32 v[86:87], v[90:91], v[92:93]
	ds_read2_b64 v[90:93], v88 offset0:73 offset1:74
	s_waitcnt vmcnt(0) lgkmcnt(0)
	v_fmac_f64_e32 v[86:87], v[94:95], v[90:91]
	buffer_load_dword v91, off, s[0:3], 0 offset:260
	buffer_load_dword v90, off, s[0:3], 0 offset:256
	buffer_load_dword v95, off, s[0:3], 0 offset:268
	buffer_load_dword v94, off, s[0:3], 0 offset:264
	s_waitcnt vmcnt(2)
	v_fmac_f64_e32 v[86:87], v[90:91], v[92:93]
	ds_read2_b64 v[90:93], v88 offset0:75 offset1:76
	s_waitcnt vmcnt(0) lgkmcnt(0)
	v_fmac_f64_e32 v[86:87], v[94:95], v[90:91]
	;; [unrolled: 9-line block ×4, first 2 shown]
	buffer_load_dword v91, off, s[0:3], 0 offset:308
	buffer_load_dword v90, off, s[0:3], 0 offset:304
	s_waitcnt vmcnt(0)
	v_fmac_f64_e32 v[86:87], v[90:91], v[92:93]
	buffer_load_dword v93, off, s[0:3], 0 offset:316
	buffer_load_dword v92, off, s[0:3], 0 offset:312
	ds_read2_b64 v[88:91], v88 offset0:81 offset1:82
	s_waitcnt vmcnt(0) lgkmcnt(0)
	v_fmac_f64_e32 v[86:87], v[92:93], v[88:89]
	buffer_load_dword v89, off, s[0:3], 0 offset:324
	buffer_load_dword v88, off, s[0:3], 0 offset:320
	s_waitcnt vmcnt(0)
	v_fmac_f64_e32 v[86:87], v[88:89], v[90:91]
	v_add_f64 v[84:85], v[84:85], -v[86:87]
	buffer_store_dword v85, off, s[0:3], 0 offset:180
	buffer_store_dword v84, off, s[0:3], 0 offset:176
	s_and_saveexec_b64 s[4:5], vcc
	s_cbranch_execz .LBB104_211
; %bb.210:
	buffer_load_dword v84, off, s[0:3], 0 offset:168
	buffer_load_dword v85, off, s[0:3], 0 offset:172
	v_mov_b32_e32 v86, 0
	buffer_store_dword v86, off, s[0:3], 0 offset:168
	buffer_store_dword v86, off, s[0:3], 0 offset:172
	s_waitcnt vmcnt(2)
	ds_write_b64 v1, v[84:85]
.LBB104_211:
	s_or_b64 exec, exec, s[4:5]
	s_waitcnt lgkmcnt(0)
	; wave barrier
	s_waitcnt lgkmcnt(0)
	buffer_load_dword v84, off, s[0:3], 0 offset:168
	buffer_load_dword v85, off, s[0:3], 0 offset:172
	;; [unrolled: 1-line block ×16, first 2 shown]
	v_mov_b32_e32 v88, 0
	ds_read_b128 v[90:93], v88 offset:512
	ds_read_b128 v[94:97], v88 offset:528
	ds_read_b128 v[98:101], v88 offset:544
	ds_read_b128 v[102:105], v88 offset:560
	v_cmp_lt_u32_e32 vcc, 20, v0
	s_waitcnt vmcnt(12) lgkmcnt(3)
	v_fma_f64 v[86:87], v[86:87], v[90:91], 0
	buffer_load_dword v91, off, s[0:3], 0 offset:236
	buffer_load_dword v90, off, s[0:3], 0 offset:232
	s_waitcnt vmcnt(12)
	v_fmac_f64_e32 v[86:87], v[106:107], v[92:93]
	s_waitcnt vmcnt(10) lgkmcnt(2)
	v_fmac_f64_e32 v[86:87], v[108:109], v[94:95]
	buffer_load_dword v95, off, s[0:3], 0 offset:244
	buffer_load_dword v94, off, s[0:3], 0 offset:240
	s_waitcnt vmcnt(10)
	v_fmac_f64_e32 v[86:87], v[110:111], v[96:97]
	s_waitcnt vmcnt(8) lgkmcnt(1)
	v_fmac_f64_e32 v[86:87], v[112:113], v[98:99]
	s_waitcnt vmcnt(6)
	v_fmac_f64_e32 v[86:87], v[114:115], v[100:101]
	s_waitcnt vmcnt(4) lgkmcnt(0)
	v_fmac_f64_e32 v[86:87], v[116:117], v[102:103]
	s_waitcnt vmcnt(2)
	v_fmac_f64_e32 v[86:87], v[90:91], v[104:105]
	ds_read_b128 v[90:93], v88 offset:576
	s_waitcnt vmcnt(0) lgkmcnt(0)
	v_fmac_f64_e32 v[86:87], v[94:95], v[90:91]
	buffer_load_dword v91, off, s[0:3], 0 offset:252
	buffer_load_dword v90, off, s[0:3], 0 offset:248
	buffer_load_dword v95, off, s[0:3], 0 offset:260
	buffer_load_dword v94, off, s[0:3], 0 offset:256
	s_waitcnt vmcnt(2)
	v_fmac_f64_e32 v[86:87], v[90:91], v[92:93]
	ds_read_b128 v[90:93], v88 offset:592
	s_waitcnt vmcnt(0) lgkmcnt(0)
	v_fmac_f64_e32 v[86:87], v[94:95], v[90:91]
	buffer_load_dword v91, off, s[0:3], 0 offset:268
	buffer_load_dword v90, off, s[0:3], 0 offset:264
	buffer_load_dword v95, off, s[0:3], 0 offset:276
	buffer_load_dword v94, off, s[0:3], 0 offset:272
	;; [unrolled: 9-line block ×4, first 2 shown]
	s_waitcnt vmcnt(2)
	v_fmac_f64_e32 v[86:87], v[90:91], v[92:93]
	ds_read_b128 v[90:93], v88 offset:640
	s_waitcnt vmcnt(0) lgkmcnt(0)
	v_fmac_f64_e32 v[86:87], v[94:95], v[90:91]
	buffer_load_dword v91, off, s[0:3], 0 offset:316
	buffer_load_dword v90, off, s[0:3], 0 offset:312
	s_waitcnt vmcnt(0)
	v_fmac_f64_e32 v[86:87], v[90:91], v[92:93]
	buffer_load_dword v91, off, s[0:3], 0 offset:324
	buffer_load_dword v90, off, s[0:3], 0 offset:320
	ds_read_b64 v[92:93], v88 offset:656
	s_waitcnt vmcnt(0) lgkmcnt(0)
	v_fmac_f64_e32 v[86:87], v[90:91], v[92:93]
	v_add_f64 v[84:85], v[84:85], -v[86:87]
	buffer_store_dword v85, off, s[0:3], 0 offset:172
	buffer_store_dword v84, off, s[0:3], 0 offset:168
	s_and_saveexec_b64 s[4:5], vcc
	s_cbranch_execz .LBB104_213
; %bb.212:
	buffer_load_dword v84, off, s[0:3], 0 offset:160
	buffer_load_dword v85, off, s[0:3], 0 offset:164
	s_waitcnt vmcnt(0)
	ds_write_b64 v1, v[84:85]
	buffer_store_dword v88, off, s[0:3], 0 offset:160
	buffer_store_dword v88, off, s[0:3], 0 offset:164
.LBB104_213:
	s_or_b64 exec, exec, s[4:5]
	s_waitcnt lgkmcnt(0)
	; wave barrier
	s_waitcnt lgkmcnt(0)
	buffer_load_dword v84, off, s[0:3], 0 offset:160
	buffer_load_dword v85, off, s[0:3], 0 offset:164
	;; [unrolled: 1-line block ×16, first 2 shown]
	ds_read2_b64 v[90:93], v88 offset0:63 offset1:64
	v_cmp_lt_u32_e32 vcc, 19, v0
	s_waitcnt vmcnt(12) lgkmcnt(0)
	v_fma_f64 v[86:87], v[86:87], v[90:91], 0
	s_waitcnt vmcnt(10)
	v_fmac_f64_e32 v[86:87], v[94:95], v[92:93]
	ds_read2_b64 v[90:93], v88 offset0:65 offset1:66
	s_waitcnt vmcnt(8) lgkmcnt(0)
	v_fmac_f64_e32 v[86:87], v[96:97], v[90:91]
	s_waitcnt vmcnt(6)
	v_fmac_f64_e32 v[86:87], v[98:99], v[92:93]
	ds_read2_b64 v[90:93], v88 offset0:67 offset1:68
	s_waitcnt vmcnt(4) lgkmcnt(0)
	v_fmac_f64_e32 v[86:87], v[100:101], v[90:91]
	;; [unrolled: 5-line block ×3, first 2 shown]
	buffer_load_dword v91, off, s[0:3], 0 offset:228
	buffer_load_dword v90, off, s[0:3], 0 offset:224
	buffer_load_dword v95, off, s[0:3], 0 offset:236
	buffer_load_dword v94, off, s[0:3], 0 offset:232
	s_waitcnt vmcnt(2)
	v_fmac_f64_e32 v[86:87], v[90:91], v[92:93]
	ds_read2_b64 v[90:93], v88 offset0:71 offset1:72
	s_waitcnt vmcnt(0) lgkmcnt(0)
	v_fmac_f64_e32 v[86:87], v[94:95], v[90:91]
	buffer_load_dword v91, off, s[0:3], 0 offset:244
	buffer_load_dword v90, off, s[0:3], 0 offset:240
	buffer_load_dword v95, off, s[0:3], 0 offset:252
	buffer_load_dword v94, off, s[0:3], 0 offset:248
	s_waitcnt vmcnt(2)
	v_fmac_f64_e32 v[86:87], v[90:91], v[92:93]
	ds_read2_b64 v[90:93], v88 offset0:73 offset1:74
	s_waitcnt vmcnt(0) lgkmcnt(0)
	v_fmac_f64_e32 v[86:87], v[94:95], v[90:91]
	;; [unrolled: 9-line block ×5, first 2 shown]
	buffer_load_dword v91, off, s[0:3], 0 offset:308
	buffer_load_dword v90, off, s[0:3], 0 offset:304
	s_waitcnt vmcnt(0)
	v_fmac_f64_e32 v[86:87], v[90:91], v[92:93]
	buffer_load_dword v93, off, s[0:3], 0 offset:316
	buffer_load_dword v92, off, s[0:3], 0 offset:312
	ds_read2_b64 v[88:91], v88 offset0:81 offset1:82
	s_waitcnt vmcnt(0) lgkmcnt(0)
	v_fmac_f64_e32 v[86:87], v[92:93], v[88:89]
	buffer_load_dword v89, off, s[0:3], 0 offset:324
	buffer_load_dword v88, off, s[0:3], 0 offset:320
	s_waitcnt vmcnt(0)
	v_fmac_f64_e32 v[86:87], v[88:89], v[90:91]
	v_add_f64 v[84:85], v[84:85], -v[86:87]
	buffer_store_dword v85, off, s[0:3], 0 offset:164
	buffer_store_dword v84, off, s[0:3], 0 offset:160
	s_and_saveexec_b64 s[4:5], vcc
	s_cbranch_execz .LBB104_215
; %bb.214:
	buffer_load_dword v84, off, s[0:3], 0 offset:152
	buffer_load_dword v85, off, s[0:3], 0 offset:156
	v_mov_b32_e32 v86, 0
	buffer_store_dword v86, off, s[0:3], 0 offset:152
	buffer_store_dword v86, off, s[0:3], 0 offset:156
	s_waitcnt vmcnt(2)
	ds_write_b64 v1, v[84:85]
.LBB104_215:
	s_or_b64 exec, exec, s[4:5]
	s_waitcnt lgkmcnt(0)
	; wave barrier
	s_waitcnt lgkmcnt(0)
	buffer_load_dword v84, off, s[0:3], 0 offset:152
	buffer_load_dword v85, off, s[0:3], 0 offset:156
	;; [unrolled: 1-line block ×16, first 2 shown]
	v_mov_b32_e32 v88, 0
	ds_read_b128 v[90:93], v88 offset:496
	ds_read_b128 v[94:97], v88 offset:512
	;; [unrolled: 1-line block ×4, first 2 shown]
	v_cmp_lt_u32_e32 vcc, 18, v0
	s_waitcnt vmcnt(12) lgkmcnt(3)
	v_fma_f64 v[86:87], v[86:87], v[90:91], 0
	buffer_load_dword v91, off, s[0:3], 0 offset:220
	buffer_load_dword v90, off, s[0:3], 0 offset:216
	s_waitcnt vmcnt(12)
	v_fmac_f64_e32 v[86:87], v[106:107], v[92:93]
	s_waitcnt vmcnt(10) lgkmcnt(2)
	v_fmac_f64_e32 v[86:87], v[108:109], v[94:95]
	buffer_load_dword v95, off, s[0:3], 0 offset:228
	buffer_load_dword v94, off, s[0:3], 0 offset:224
	s_waitcnt vmcnt(10)
	v_fmac_f64_e32 v[86:87], v[110:111], v[96:97]
	s_waitcnt vmcnt(8) lgkmcnt(1)
	v_fmac_f64_e32 v[86:87], v[112:113], v[98:99]
	s_waitcnt vmcnt(6)
	v_fmac_f64_e32 v[86:87], v[114:115], v[100:101]
	s_waitcnt vmcnt(4) lgkmcnt(0)
	v_fmac_f64_e32 v[86:87], v[116:117], v[102:103]
	s_waitcnt vmcnt(2)
	v_fmac_f64_e32 v[86:87], v[90:91], v[104:105]
	ds_read_b128 v[90:93], v88 offset:560
	s_waitcnt vmcnt(0) lgkmcnt(0)
	v_fmac_f64_e32 v[86:87], v[94:95], v[90:91]
	buffer_load_dword v91, off, s[0:3], 0 offset:236
	buffer_load_dword v90, off, s[0:3], 0 offset:232
	buffer_load_dword v95, off, s[0:3], 0 offset:244
	buffer_load_dword v94, off, s[0:3], 0 offset:240
	s_waitcnt vmcnt(2)
	v_fmac_f64_e32 v[86:87], v[90:91], v[92:93]
	ds_read_b128 v[90:93], v88 offset:576
	s_waitcnt vmcnt(0) lgkmcnt(0)
	v_fmac_f64_e32 v[86:87], v[94:95], v[90:91]
	buffer_load_dword v91, off, s[0:3], 0 offset:252
	buffer_load_dword v90, off, s[0:3], 0 offset:248
	buffer_load_dword v95, off, s[0:3], 0 offset:260
	buffer_load_dword v94, off, s[0:3], 0 offset:256
	;; [unrolled: 9-line block ×5, first 2 shown]
	s_waitcnt vmcnt(2)
	v_fmac_f64_e32 v[86:87], v[90:91], v[92:93]
	ds_read_b128 v[90:93], v88 offset:640
	s_waitcnt vmcnt(0) lgkmcnt(0)
	v_fmac_f64_e32 v[86:87], v[94:95], v[90:91]
	buffer_load_dword v91, off, s[0:3], 0 offset:316
	buffer_load_dword v90, off, s[0:3], 0 offset:312
	s_waitcnt vmcnt(0)
	v_fmac_f64_e32 v[86:87], v[90:91], v[92:93]
	buffer_load_dword v91, off, s[0:3], 0 offset:324
	buffer_load_dword v90, off, s[0:3], 0 offset:320
	ds_read_b64 v[92:93], v88 offset:656
	s_waitcnt vmcnt(0) lgkmcnt(0)
	v_fmac_f64_e32 v[86:87], v[90:91], v[92:93]
	v_add_f64 v[84:85], v[84:85], -v[86:87]
	buffer_store_dword v85, off, s[0:3], 0 offset:156
	buffer_store_dword v84, off, s[0:3], 0 offset:152
	s_and_saveexec_b64 s[4:5], vcc
	s_cbranch_execz .LBB104_217
; %bb.216:
	buffer_load_dword v84, off, s[0:3], 0 offset:144
	buffer_load_dword v85, off, s[0:3], 0 offset:148
	s_waitcnt vmcnt(0)
	ds_write_b64 v1, v[84:85]
	buffer_store_dword v88, off, s[0:3], 0 offset:144
	buffer_store_dword v88, off, s[0:3], 0 offset:148
.LBB104_217:
	s_or_b64 exec, exec, s[4:5]
	s_waitcnt lgkmcnt(0)
	; wave barrier
	s_waitcnt lgkmcnt(0)
	buffer_load_dword v84, off, s[0:3], 0 offset:144
	buffer_load_dword v85, off, s[0:3], 0 offset:148
	buffer_load_dword v86, off, s[0:3], 0 offset:152
	buffer_load_dword v87, off, s[0:3], 0 offset:156
	buffer_load_dword v94, off, s[0:3], 0 offset:160
	buffer_load_dword v95, off, s[0:3], 0 offset:164
	buffer_load_dword v96, off, s[0:3], 0 offset:168
	buffer_load_dword v97, off, s[0:3], 0 offset:172
	buffer_load_dword v98, off, s[0:3], 0 offset:176
	buffer_load_dword v99, off, s[0:3], 0 offset:180
	buffer_load_dword v100, off, s[0:3], 0 offset:184
	buffer_load_dword v101, off, s[0:3], 0 offset:188
	buffer_load_dword v102, off, s[0:3], 0 offset:192
	buffer_load_dword v103, off, s[0:3], 0 offset:196
	buffer_load_dword v104, off, s[0:3], 0 offset:200
	buffer_load_dword v105, off, s[0:3], 0 offset:204
	ds_read2_b64 v[90:93], v88 offset0:61 offset1:62
	v_cmp_lt_u32_e32 vcc, 17, v0
	s_waitcnt vmcnt(12) lgkmcnt(0)
	v_fma_f64 v[86:87], v[86:87], v[90:91], 0
	s_waitcnt vmcnt(10)
	v_fmac_f64_e32 v[86:87], v[94:95], v[92:93]
	ds_read2_b64 v[90:93], v88 offset0:63 offset1:64
	s_waitcnt vmcnt(8) lgkmcnt(0)
	v_fmac_f64_e32 v[86:87], v[96:97], v[90:91]
	s_waitcnt vmcnt(6)
	v_fmac_f64_e32 v[86:87], v[98:99], v[92:93]
	ds_read2_b64 v[90:93], v88 offset0:65 offset1:66
	s_waitcnt vmcnt(4) lgkmcnt(0)
	v_fmac_f64_e32 v[86:87], v[100:101], v[90:91]
	;; [unrolled: 5-line block ×3, first 2 shown]
	buffer_load_dword v91, off, s[0:3], 0 offset:212
	buffer_load_dword v90, off, s[0:3], 0 offset:208
	buffer_load_dword v95, off, s[0:3], 0 offset:220
	buffer_load_dword v94, off, s[0:3], 0 offset:216
	s_waitcnt vmcnt(2)
	v_fmac_f64_e32 v[86:87], v[90:91], v[92:93]
	ds_read2_b64 v[90:93], v88 offset0:69 offset1:70
	s_waitcnt vmcnt(0) lgkmcnt(0)
	v_fmac_f64_e32 v[86:87], v[94:95], v[90:91]
	buffer_load_dword v91, off, s[0:3], 0 offset:228
	buffer_load_dword v90, off, s[0:3], 0 offset:224
	buffer_load_dword v95, off, s[0:3], 0 offset:236
	buffer_load_dword v94, off, s[0:3], 0 offset:232
	s_waitcnt vmcnt(2)
	v_fmac_f64_e32 v[86:87], v[90:91], v[92:93]
	ds_read2_b64 v[90:93], v88 offset0:71 offset1:72
	s_waitcnt vmcnt(0) lgkmcnt(0)
	v_fmac_f64_e32 v[86:87], v[94:95], v[90:91]
	;; [unrolled: 9-line block ×6, first 2 shown]
	buffer_load_dword v91, off, s[0:3], 0 offset:308
	buffer_load_dword v90, off, s[0:3], 0 offset:304
	s_waitcnt vmcnt(0)
	v_fmac_f64_e32 v[86:87], v[90:91], v[92:93]
	buffer_load_dword v93, off, s[0:3], 0 offset:316
	buffer_load_dword v92, off, s[0:3], 0 offset:312
	ds_read2_b64 v[88:91], v88 offset0:81 offset1:82
	s_waitcnt vmcnt(0) lgkmcnt(0)
	v_fmac_f64_e32 v[86:87], v[92:93], v[88:89]
	buffer_load_dword v89, off, s[0:3], 0 offset:324
	buffer_load_dword v88, off, s[0:3], 0 offset:320
	s_waitcnt vmcnt(0)
	v_fmac_f64_e32 v[86:87], v[88:89], v[90:91]
	v_add_f64 v[84:85], v[84:85], -v[86:87]
	buffer_store_dword v85, off, s[0:3], 0 offset:148
	buffer_store_dword v84, off, s[0:3], 0 offset:144
	s_and_saveexec_b64 s[4:5], vcc
	s_cbranch_execz .LBB104_219
; %bb.218:
	buffer_load_dword v84, off, s[0:3], 0 offset:136
	buffer_load_dword v85, off, s[0:3], 0 offset:140
	v_mov_b32_e32 v86, 0
	buffer_store_dword v86, off, s[0:3], 0 offset:136
	buffer_store_dword v86, off, s[0:3], 0 offset:140
	s_waitcnt vmcnt(2)
	ds_write_b64 v1, v[84:85]
.LBB104_219:
	s_or_b64 exec, exec, s[4:5]
	s_waitcnt lgkmcnt(0)
	; wave barrier
	s_waitcnt lgkmcnt(0)
	buffer_load_dword v84, off, s[0:3], 0 offset:136
	buffer_load_dword v85, off, s[0:3], 0 offset:140
	;; [unrolled: 1-line block ×16, first 2 shown]
	v_mov_b32_e32 v88, 0
	ds_read_b128 v[90:93], v88 offset:480
	ds_read_b128 v[94:97], v88 offset:496
	;; [unrolled: 1-line block ×4, first 2 shown]
	v_cmp_lt_u32_e32 vcc, 16, v0
	s_waitcnt vmcnt(12) lgkmcnt(3)
	v_fma_f64 v[86:87], v[86:87], v[90:91], 0
	buffer_load_dword v91, off, s[0:3], 0 offset:204
	buffer_load_dword v90, off, s[0:3], 0 offset:200
	s_waitcnt vmcnt(12)
	v_fmac_f64_e32 v[86:87], v[106:107], v[92:93]
	s_waitcnt vmcnt(10) lgkmcnt(2)
	v_fmac_f64_e32 v[86:87], v[108:109], v[94:95]
	buffer_load_dword v95, off, s[0:3], 0 offset:212
	buffer_load_dword v94, off, s[0:3], 0 offset:208
	s_waitcnt vmcnt(10)
	v_fmac_f64_e32 v[86:87], v[110:111], v[96:97]
	s_waitcnt vmcnt(8) lgkmcnt(1)
	v_fmac_f64_e32 v[86:87], v[112:113], v[98:99]
	s_waitcnt vmcnt(6)
	v_fmac_f64_e32 v[86:87], v[114:115], v[100:101]
	s_waitcnt vmcnt(4) lgkmcnt(0)
	v_fmac_f64_e32 v[86:87], v[116:117], v[102:103]
	s_waitcnt vmcnt(2)
	v_fmac_f64_e32 v[86:87], v[90:91], v[104:105]
	ds_read_b128 v[90:93], v88 offset:544
	s_waitcnt vmcnt(0) lgkmcnt(0)
	v_fmac_f64_e32 v[86:87], v[94:95], v[90:91]
	buffer_load_dword v91, off, s[0:3], 0 offset:220
	buffer_load_dword v90, off, s[0:3], 0 offset:216
	buffer_load_dword v95, off, s[0:3], 0 offset:228
	buffer_load_dword v94, off, s[0:3], 0 offset:224
	s_waitcnt vmcnt(2)
	v_fmac_f64_e32 v[86:87], v[90:91], v[92:93]
	ds_read_b128 v[90:93], v88 offset:560
	s_waitcnt vmcnt(0) lgkmcnt(0)
	v_fmac_f64_e32 v[86:87], v[94:95], v[90:91]
	buffer_load_dword v91, off, s[0:3], 0 offset:236
	buffer_load_dword v90, off, s[0:3], 0 offset:232
	buffer_load_dword v95, off, s[0:3], 0 offset:244
	buffer_load_dword v94, off, s[0:3], 0 offset:240
	;; [unrolled: 9-line block ×6, first 2 shown]
	s_waitcnt vmcnt(2)
	v_fmac_f64_e32 v[86:87], v[90:91], v[92:93]
	ds_read_b128 v[90:93], v88 offset:640
	s_waitcnt vmcnt(0) lgkmcnt(0)
	v_fmac_f64_e32 v[86:87], v[94:95], v[90:91]
	buffer_load_dword v91, off, s[0:3], 0 offset:316
	buffer_load_dword v90, off, s[0:3], 0 offset:312
	s_waitcnt vmcnt(0)
	v_fmac_f64_e32 v[86:87], v[90:91], v[92:93]
	buffer_load_dword v91, off, s[0:3], 0 offset:324
	buffer_load_dword v90, off, s[0:3], 0 offset:320
	ds_read_b64 v[92:93], v88 offset:656
	s_waitcnt vmcnt(0) lgkmcnt(0)
	v_fmac_f64_e32 v[86:87], v[90:91], v[92:93]
	v_add_f64 v[84:85], v[84:85], -v[86:87]
	buffer_store_dword v85, off, s[0:3], 0 offset:140
	buffer_store_dword v84, off, s[0:3], 0 offset:136
	s_and_saveexec_b64 s[4:5], vcc
	s_cbranch_execz .LBB104_221
; %bb.220:
	buffer_load_dword v84, off, s[0:3], 0 offset:128
	buffer_load_dword v85, off, s[0:3], 0 offset:132
	s_waitcnt vmcnt(0)
	ds_write_b64 v1, v[84:85]
	buffer_store_dword v88, off, s[0:3], 0 offset:128
	buffer_store_dword v88, off, s[0:3], 0 offset:132
.LBB104_221:
	s_or_b64 exec, exec, s[4:5]
	s_waitcnt lgkmcnt(0)
	; wave barrier
	s_waitcnt lgkmcnt(0)
	buffer_load_dword v84, off, s[0:3], 0 offset:128
	buffer_load_dword v85, off, s[0:3], 0 offset:132
	buffer_load_dword v86, off, s[0:3], 0 offset:136
	buffer_load_dword v87, off, s[0:3], 0 offset:140
	buffer_load_dword v94, off, s[0:3], 0 offset:144
	buffer_load_dword v95, off, s[0:3], 0 offset:148
	buffer_load_dword v96, off, s[0:3], 0 offset:152
	buffer_load_dword v97, off, s[0:3], 0 offset:156
	buffer_load_dword v98, off, s[0:3], 0 offset:160
	buffer_load_dword v99, off, s[0:3], 0 offset:164
	buffer_load_dword v100, off, s[0:3], 0 offset:168
	buffer_load_dword v101, off, s[0:3], 0 offset:172
	buffer_load_dword v102, off, s[0:3], 0 offset:176
	buffer_load_dword v103, off, s[0:3], 0 offset:180
	buffer_load_dword v104, off, s[0:3], 0 offset:184
	buffer_load_dword v105, off, s[0:3], 0 offset:188
	ds_read2_b64 v[90:93], v88 offset0:59 offset1:60
	v_cmp_lt_u32_e32 vcc, 15, v0
	s_waitcnt vmcnt(12) lgkmcnt(0)
	v_fma_f64 v[86:87], v[86:87], v[90:91], 0
	s_waitcnt vmcnt(10)
	v_fmac_f64_e32 v[86:87], v[94:95], v[92:93]
	ds_read2_b64 v[90:93], v88 offset0:61 offset1:62
	s_waitcnt vmcnt(8) lgkmcnt(0)
	v_fmac_f64_e32 v[86:87], v[96:97], v[90:91]
	s_waitcnt vmcnt(6)
	v_fmac_f64_e32 v[86:87], v[98:99], v[92:93]
	ds_read2_b64 v[90:93], v88 offset0:63 offset1:64
	s_waitcnt vmcnt(4) lgkmcnt(0)
	v_fmac_f64_e32 v[86:87], v[100:101], v[90:91]
	;; [unrolled: 5-line block ×3, first 2 shown]
	buffer_load_dword v91, off, s[0:3], 0 offset:196
	buffer_load_dword v90, off, s[0:3], 0 offset:192
	buffer_load_dword v95, off, s[0:3], 0 offset:204
	buffer_load_dword v94, off, s[0:3], 0 offset:200
	s_waitcnt vmcnt(2)
	v_fmac_f64_e32 v[86:87], v[90:91], v[92:93]
	ds_read2_b64 v[90:93], v88 offset0:67 offset1:68
	s_waitcnt vmcnt(0) lgkmcnt(0)
	v_fmac_f64_e32 v[86:87], v[94:95], v[90:91]
	buffer_load_dword v91, off, s[0:3], 0 offset:212
	buffer_load_dword v90, off, s[0:3], 0 offset:208
	buffer_load_dword v95, off, s[0:3], 0 offset:220
	buffer_load_dword v94, off, s[0:3], 0 offset:216
	s_waitcnt vmcnt(2)
	v_fmac_f64_e32 v[86:87], v[90:91], v[92:93]
	ds_read2_b64 v[90:93], v88 offset0:69 offset1:70
	s_waitcnt vmcnt(0) lgkmcnt(0)
	v_fmac_f64_e32 v[86:87], v[94:95], v[90:91]
	;; [unrolled: 9-line block ×7, first 2 shown]
	buffer_load_dword v91, off, s[0:3], 0 offset:308
	buffer_load_dword v90, off, s[0:3], 0 offset:304
	s_waitcnt vmcnt(0)
	v_fmac_f64_e32 v[86:87], v[90:91], v[92:93]
	buffer_load_dword v93, off, s[0:3], 0 offset:316
	buffer_load_dword v92, off, s[0:3], 0 offset:312
	ds_read2_b64 v[88:91], v88 offset0:81 offset1:82
	s_waitcnt vmcnt(0) lgkmcnt(0)
	v_fmac_f64_e32 v[86:87], v[92:93], v[88:89]
	buffer_load_dword v89, off, s[0:3], 0 offset:324
	buffer_load_dword v88, off, s[0:3], 0 offset:320
	s_waitcnt vmcnt(0)
	v_fmac_f64_e32 v[86:87], v[88:89], v[90:91]
	v_add_f64 v[84:85], v[84:85], -v[86:87]
	buffer_store_dword v85, off, s[0:3], 0 offset:132
	buffer_store_dword v84, off, s[0:3], 0 offset:128
	s_and_saveexec_b64 s[4:5], vcc
	s_cbranch_execz .LBB104_223
; %bb.222:
	buffer_load_dword v84, off, s[0:3], 0 offset:120
	buffer_load_dword v85, off, s[0:3], 0 offset:124
	v_mov_b32_e32 v86, 0
	buffer_store_dword v86, off, s[0:3], 0 offset:120
	buffer_store_dword v86, off, s[0:3], 0 offset:124
	s_waitcnt vmcnt(2)
	ds_write_b64 v1, v[84:85]
.LBB104_223:
	s_or_b64 exec, exec, s[4:5]
	s_waitcnt lgkmcnt(0)
	; wave barrier
	s_waitcnt lgkmcnt(0)
	buffer_load_dword v84, off, s[0:3], 0 offset:120
	buffer_load_dword v85, off, s[0:3], 0 offset:124
	;; [unrolled: 1-line block ×16, first 2 shown]
	v_mov_b32_e32 v88, 0
	ds_read_b128 v[90:93], v88 offset:464
	ds_read_b128 v[94:97], v88 offset:480
	;; [unrolled: 1-line block ×4, first 2 shown]
	v_cmp_lt_u32_e32 vcc, 14, v0
	s_waitcnt vmcnt(12) lgkmcnt(3)
	v_fma_f64 v[86:87], v[86:87], v[90:91], 0
	buffer_load_dword v91, off, s[0:3], 0 offset:188
	buffer_load_dword v90, off, s[0:3], 0 offset:184
	s_waitcnt vmcnt(12)
	v_fmac_f64_e32 v[86:87], v[106:107], v[92:93]
	s_waitcnt vmcnt(10) lgkmcnt(2)
	v_fmac_f64_e32 v[86:87], v[108:109], v[94:95]
	buffer_load_dword v95, off, s[0:3], 0 offset:196
	buffer_load_dword v94, off, s[0:3], 0 offset:192
	s_waitcnt vmcnt(10)
	v_fmac_f64_e32 v[86:87], v[110:111], v[96:97]
	s_waitcnt vmcnt(8) lgkmcnt(1)
	v_fmac_f64_e32 v[86:87], v[112:113], v[98:99]
	s_waitcnt vmcnt(6)
	v_fmac_f64_e32 v[86:87], v[114:115], v[100:101]
	s_waitcnt vmcnt(4) lgkmcnt(0)
	v_fmac_f64_e32 v[86:87], v[116:117], v[102:103]
	s_waitcnt vmcnt(2)
	v_fmac_f64_e32 v[86:87], v[90:91], v[104:105]
	ds_read_b128 v[90:93], v88 offset:528
	s_waitcnt vmcnt(0) lgkmcnt(0)
	v_fmac_f64_e32 v[86:87], v[94:95], v[90:91]
	buffer_load_dword v91, off, s[0:3], 0 offset:204
	buffer_load_dword v90, off, s[0:3], 0 offset:200
	buffer_load_dword v95, off, s[0:3], 0 offset:212
	buffer_load_dword v94, off, s[0:3], 0 offset:208
	s_waitcnt vmcnt(2)
	v_fmac_f64_e32 v[86:87], v[90:91], v[92:93]
	ds_read_b128 v[90:93], v88 offset:544
	s_waitcnt vmcnt(0) lgkmcnt(0)
	v_fmac_f64_e32 v[86:87], v[94:95], v[90:91]
	buffer_load_dword v91, off, s[0:3], 0 offset:220
	buffer_load_dword v90, off, s[0:3], 0 offset:216
	buffer_load_dword v95, off, s[0:3], 0 offset:228
	buffer_load_dword v94, off, s[0:3], 0 offset:224
	;; [unrolled: 9-line block ×7, first 2 shown]
	s_waitcnt vmcnt(2)
	v_fmac_f64_e32 v[86:87], v[90:91], v[92:93]
	ds_read_b128 v[90:93], v88 offset:640
	s_waitcnt vmcnt(0) lgkmcnt(0)
	v_fmac_f64_e32 v[86:87], v[94:95], v[90:91]
	buffer_load_dword v91, off, s[0:3], 0 offset:316
	buffer_load_dword v90, off, s[0:3], 0 offset:312
	s_waitcnt vmcnt(0)
	v_fmac_f64_e32 v[86:87], v[90:91], v[92:93]
	buffer_load_dword v91, off, s[0:3], 0 offset:324
	buffer_load_dword v90, off, s[0:3], 0 offset:320
	ds_read_b64 v[92:93], v88 offset:656
	s_waitcnt vmcnt(0) lgkmcnt(0)
	v_fmac_f64_e32 v[86:87], v[90:91], v[92:93]
	v_add_f64 v[84:85], v[84:85], -v[86:87]
	buffer_store_dword v85, off, s[0:3], 0 offset:124
	buffer_store_dword v84, off, s[0:3], 0 offset:120
	s_and_saveexec_b64 s[4:5], vcc
	s_cbranch_execz .LBB104_225
; %bb.224:
	buffer_load_dword v84, off, s[0:3], 0 offset:112
	buffer_load_dword v85, off, s[0:3], 0 offset:116
	s_waitcnt vmcnt(0)
	ds_write_b64 v1, v[84:85]
	buffer_store_dword v88, off, s[0:3], 0 offset:112
	buffer_store_dword v88, off, s[0:3], 0 offset:116
.LBB104_225:
	s_or_b64 exec, exec, s[4:5]
	s_waitcnt lgkmcnt(0)
	; wave barrier
	s_waitcnt lgkmcnt(0)
	buffer_load_dword v84, off, s[0:3], 0 offset:112
	buffer_load_dword v85, off, s[0:3], 0 offset:116
	;; [unrolled: 1-line block ×16, first 2 shown]
	ds_read2_b64 v[90:93], v88 offset0:57 offset1:58
	v_cmp_lt_u32_e32 vcc, 13, v0
	s_waitcnt vmcnt(12) lgkmcnt(0)
	v_fma_f64 v[86:87], v[86:87], v[90:91], 0
	s_waitcnt vmcnt(10)
	v_fmac_f64_e32 v[86:87], v[94:95], v[92:93]
	ds_read2_b64 v[90:93], v88 offset0:59 offset1:60
	s_waitcnt vmcnt(8) lgkmcnt(0)
	v_fmac_f64_e32 v[86:87], v[96:97], v[90:91]
	s_waitcnt vmcnt(6)
	v_fmac_f64_e32 v[86:87], v[98:99], v[92:93]
	ds_read2_b64 v[90:93], v88 offset0:61 offset1:62
	s_waitcnt vmcnt(4) lgkmcnt(0)
	v_fmac_f64_e32 v[86:87], v[100:101], v[90:91]
	;; [unrolled: 5-line block ×3, first 2 shown]
	buffer_load_dword v91, off, s[0:3], 0 offset:180
	buffer_load_dword v90, off, s[0:3], 0 offset:176
	buffer_load_dword v95, off, s[0:3], 0 offset:188
	buffer_load_dword v94, off, s[0:3], 0 offset:184
	s_waitcnt vmcnt(2)
	v_fmac_f64_e32 v[86:87], v[90:91], v[92:93]
	ds_read2_b64 v[90:93], v88 offset0:65 offset1:66
	s_waitcnt vmcnt(0) lgkmcnt(0)
	v_fmac_f64_e32 v[86:87], v[94:95], v[90:91]
	buffer_load_dword v91, off, s[0:3], 0 offset:196
	buffer_load_dword v90, off, s[0:3], 0 offset:192
	buffer_load_dword v95, off, s[0:3], 0 offset:204
	buffer_load_dword v94, off, s[0:3], 0 offset:200
	s_waitcnt vmcnt(2)
	v_fmac_f64_e32 v[86:87], v[90:91], v[92:93]
	ds_read2_b64 v[90:93], v88 offset0:67 offset1:68
	s_waitcnt vmcnt(0) lgkmcnt(0)
	v_fmac_f64_e32 v[86:87], v[94:95], v[90:91]
	buffer_load_dword v91, off, s[0:3], 0 offset:212
	buffer_load_dword v90, off, s[0:3], 0 offset:208
	buffer_load_dword v95, off, s[0:3], 0 offset:220
	buffer_load_dword v94, off, s[0:3], 0 offset:216
	s_waitcnt vmcnt(2)
	v_fmac_f64_e32 v[86:87], v[90:91], v[92:93]
	ds_read2_b64 v[90:93], v88 offset0:69 offset1:70
	s_waitcnt vmcnt(0) lgkmcnt(0)
	v_fmac_f64_e32 v[86:87], v[94:95], v[90:91]
	buffer_load_dword v91, off, s[0:3], 0 offset:228
	buffer_load_dword v90, off, s[0:3], 0 offset:224
	buffer_load_dword v95, off, s[0:3], 0 offset:236
	buffer_load_dword v94, off, s[0:3], 0 offset:232
	s_waitcnt vmcnt(2)
	v_fmac_f64_e32 v[86:87], v[90:91], v[92:93]
	ds_read2_b64 v[90:93], v88 offset0:71 offset1:72
	s_waitcnt vmcnt(0) lgkmcnt(0)
	v_fmac_f64_e32 v[86:87], v[94:95], v[90:91]
	buffer_load_dword v91, off, s[0:3], 0 offset:244
	buffer_load_dword v90, off, s[0:3], 0 offset:240
	buffer_load_dword v95, off, s[0:3], 0 offset:252
	buffer_load_dword v94, off, s[0:3], 0 offset:248
	s_waitcnt vmcnt(2)
	v_fmac_f64_e32 v[86:87], v[90:91], v[92:93]
	ds_read2_b64 v[90:93], v88 offset0:73 offset1:74
	s_waitcnt vmcnt(0) lgkmcnt(0)
	v_fmac_f64_e32 v[86:87], v[94:95], v[90:91]
	buffer_load_dword v91, off, s[0:3], 0 offset:260
	buffer_load_dword v90, off, s[0:3], 0 offset:256
	buffer_load_dword v95, off, s[0:3], 0 offset:268
	buffer_load_dword v94, off, s[0:3], 0 offset:264
	s_waitcnt vmcnt(2)
	v_fmac_f64_e32 v[86:87], v[90:91], v[92:93]
	ds_read2_b64 v[90:93], v88 offset0:75 offset1:76
	s_waitcnt vmcnt(0) lgkmcnt(0)
	v_fmac_f64_e32 v[86:87], v[94:95], v[90:91]
	buffer_load_dword v91, off, s[0:3], 0 offset:276
	buffer_load_dword v90, off, s[0:3], 0 offset:272
	buffer_load_dword v95, off, s[0:3], 0 offset:284
	buffer_load_dword v94, off, s[0:3], 0 offset:280
	s_waitcnt vmcnt(2)
	v_fmac_f64_e32 v[86:87], v[90:91], v[92:93]
	ds_read2_b64 v[90:93], v88 offset0:77 offset1:78
	s_waitcnt vmcnt(0) lgkmcnt(0)
	v_fmac_f64_e32 v[86:87], v[94:95], v[90:91]
	buffer_load_dword v91, off, s[0:3], 0 offset:292
	buffer_load_dword v90, off, s[0:3], 0 offset:288
	buffer_load_dword v95, off, s[0:3], 0 offset:300
	buffer_load_dword v94, off, s[0:3], 0 offset:296
	s_waitcnt vmcnt(2)
	v_fmac_f64_e32 v[86:87], v[90:91], v[92:93]
	ds_read2_b64 v[90:93], v88 offset0:79 offset1:80
	s_waitcnt vmcnt(0) lgkmcnt(0)
	v_fmac_f64_e32 v[86:87], v[94:95], v[90:91]
	buffer_load_dword v91, off, s[0:3], 0 offset:308
	buffer_load_dword v90, off, s[0:3], 0 offset:304
	s_waitcnt vmcnt(0)
	v_fmac_f64_e32 v[86:87], v[90:91], v[92:93]
	buffer_load_dword v93, off, s[0:3], 0 offset:316
	buffer_load_dword v92, off, s[0:3], 0 offset:312
	ds_read2_b64 v[88:91], v88 offset0:81 offset1:82
	s_waitcnt vmcnt(0) lgkmcnt(0)
	v_fmac_f64_e32 v[86:87], v[92:93], v[88:89]
	buffer_load_dword v89, off, s[0:3], 0 offset:324
	buffer_load_dword v88, off, s[0:3], 0 offset:320
	s_waitcnt vmcnt(0)
	v_fmac_f64_e32 v[86:87], v[88:89], v[90:91]
	v_add_f64 v[84:85], v[84:85], -v[86:87]
	buffer_store_dword v85, off, s[0:3], 0 offset:116
	buffer_store_dword v84, off, s[0:3], 0 offset:112
	s_and_saveexec_b64 s[4:5], vcc
	s_cbranch_execz .LBB104_227
; %bb.226:
	buffer_load_dword v84, off, s[0:3], 0 offset:104
	buffer_load_dword v85, off, s[0:3], 0 offset:108
	v_mov_b32_e32 v86, 0
	buffer_store_dword v86, off, s[0:3], 0 offset:104
	buffer_store_dword v86, off, s[0:3], 0 offset:108
	s_waitcnt vmcnt(2)
	ds_write_b64 v1, v[84:85]
.LBB104_227:
	s_or_b64 exec, exec, s[4:5]
	s_waitcnt lgkmcnt(0)
	; wave barrier
	s_waitcnt lgkmcnt(0)
	buffer_load_dword v84, off, s[0:3], 0 offset:104
	buffer_load_dword v85, off, s[0:3], 0 offset:108
	buffer_load_dword v86, off, s[0:3], 0 offset:112
	buffer_load_dword v87, off, s[0:3], 0 offset:116
	buffer_load_dword v106, off, s[0:3], 0 offset:120
	buffer_load_dword v107, off, s[0:3], 0 offset:124
	buffer_load_dword v108, off, s[0:3], 0 offset:128
	buffer_load_dword v109, off, s[0:3], 0 offset:132
	buffer_load_dword v110, off, s[0:3], 0 offset:136
	buffer_load_dword v111, off, s[0:3], 0 offset:140
	buffer_load_dword v112, off, s[0:3], 0 offset:144
	buffer_load_dword v113, off, s[0:3], 0 offset:148
	buffer_load_dword v114, off, s[0:3], 0 offset:152
	buffer_load_dword v115, off, s[0:3], 0 offset:156
	buffer_load_dword v116, off, s[0:3], 0 offset:160
	buffer_load_dword v117, off, s[0:3], 0 offset:164
	v_mov_b32_e32 v88, 0
	ds_read_b128 v[90:93], v88 offset:448
	ds_read_b128 v[94:97], v88 offset:464
	;; [unrolled: 1-line block ×4, first 2 shown]
	v_cmp_lt_u32_e32 vcc, 12, v0
	s_waitcnt vmcnt(12) lgkmcnt(3)
	v_fma_f64 v[86:87], v[86:87], v[90:91], 0
	buffer_load_dword v91, off, s[0:3], 0 offset:172
	buffer_load_dword v90, off, s[0:3], 0 offset:168
	s_waitcnt vmcnt(12)
	v_fmac_f64_e32 v[86:87], v[106:107], v[92:93]
	s_waitcnt vmcnt(10) lgkmcnt(2)
	v_fmac_f64_e32 v[86:87], v[108:109], v[94:95]
	buffer_load_dword v95, off, s[0:3], 0 offset:180
	buffer_load_dword v94, off, s[0:3], 0 offset:176
	s_waitcnt vmcnt(10)
	v_fmac_f64_e32 v[86:87], v[110:111], v[96:97]
	s_waitcnt vmcnt(8) lgkmcnt(1)
	v_fmac_f64_e32 v[86:87], v[112:113], v[98:99]
	s_waitcnt vmcnt(6)
	v_fmac_f64_e32 v[86:87], v[114:115], v[100:101]
	s_waitcnt vmcnt(4) lgkmcnt(0)
	v_fmac_f64_e32 v[86:87], v[116:117], v[102:103]
	s_waitcnt vmcnt(2)
	v_fmac_f64_e32 v[86:87], v[90:91], v[104:105]
	ds_read_b128 v[90:93], v88 offset:512
	s_waitcnt vmcnt(0) lgkmcnt(0)
	v_fmac_f64_e32 v[86:87], v[94:95], v[90:91]
	buffer_load_dword v91, off, s[0:3], 0 offset:188
	buffer_load_dword v90, off, s[0:3], 0 offset:184
	buffer_load_dword v95, off, s[0:3], 0 offset:196
	buffer_load_dword v94, off, s[0:3], 0 offset:192
	s_waitcnt vmcnt(2)
	v_fmac_f64_e32 v[86:87], v[90:91], v[92:93]
	ds_read_b128 v[90:93], v88 offset:528
	s_waitcnt vmcnt(0) lgkmcnt(0)
	v_fmac_f64_e32 v[86:87], v[94:95], v[90:91]
	buffer_load_dword v91, off, s[0:3], 0 offset:204
	buffer_load_dword v90, off, s[0:3], 0 offset:200
	buffer_load_dword v95, off, s[0:3], 0 offset:212
	buffer_load_dword v94, off, s[0:3], 0 offset:208
	;; [unrolled: 9-line block ×8, first 2 shown]
	s_waitcnt vmcnt(2)
	v_fmac_f64_e32 v[86:87], v[90:91], v[92:93]
	ds_read_b128 v[90:93], v88 offset:640
	s_waitcnt vmcnt(0) lgkmcnt(0)
	v_fmac_f64_e32 v[86:87], v[94:95], v[90:91]
	buffer_load_dword v91, off, s[0:3], 0 offset:316
	buffer_load_dword v90, off, s[0:3], 0 offset:312
	s_waitcnt vmcnt(0)
	v_fmac_f64_e32 v[86:87], v[90:91], v[92:93]
	buffer_load_dword v91, off, s[0:3], 0 offset:324
	buffer_load_dword v90, off, s[0:3], 0 offset:320
	ds_read_b64 v[92:93], v88 offset:656
	s_waitcnt vmcnt(0) lgkmcnt(0)
	v_fmac_f64_e32 v[86:87], v[90:91], v[92:93]
	v_add_f64 v[84:85], v[84:85], -v[86:87]
	buffer_store_dword v85, off, s[0:3], 0 offset:108
	buffer_store_dword v84, off, s[0:3], 0 offset:104
	s_and_saveexec_b64 s[4:5], vcc
	s_cbranch_execz .LBB104_229
; %bb.228:
	buffer_load_dword v84, off, s[0:3], 0 offset:96
	buffer_load_dword v85, off, s[0:3], 0 offset:100
	s_waitcnt vmcnt(0)
	ds_write_b64 v1, v[84:85]
	buffer_store_dword v88, off, s[0:3], 0 offset:96
	buffer_store_dword v88, off, s[0:3], 0 offset:100
.LBB104_229:
	s_or_b64 exec, exec, s[4:5]
	s_waitcnt lgkmcnt(0)
	; wave barrier
	s_waitcnt lgkmcnt(0)
	buffer_load_dword v84, off, s[0:3], 0 offset:96
	buffer_load_dword v85, off, s[0:3], 0 offset:100
	;; [unrolled: 1-line block ×16, first 2 shown]
	ds_read2_b64 v[90:93], v88 offset0:55 offset1:56
	v_cmp_lt_u32_e32 vcc, 11, v0
	s_waitcnt vmcnt(12) lgkmcnt(0)
	v_fma_f64 v[86:87], v[86:87], v[90:91], 0
	s_waitcnt vmcnt(10)
	v_fmac_f64_e32 v[86:87], v[94:95], v[92:93]
	ds_read2_b64 v[90:93], v88 offset0:57 offset1:58
	s_waitcnt vmcnt(8) lgkmcnt(0)
	v_fmac_f64_e32 v[86:87], v[96:97], v[90:91]
	s_waitcnt vmcnt(6)
	v_fmac_f64_e32 v[86:87], v[98:99], v[92:93]
	ds_read2_b64 v[90:93], v88 offset0:59 offset1:60
	s_waitcnt vmcnt(4) lgkmcnt(0)
	v_fmac_f64_e32 v[86:87], v[100:101], v[90:91]
	;; [unrolled: 5-line block ×3, first 2 shown]
	buffer_load_dword v91, off, s[0:3], 0 offset:164
	buffer_load_dword v90, off, s[0:3], 0 offset:160
	buffer_load_dword v95, off, s[0:3], 0 offset:172
	buffer_load_dword v94, off, s[0:3], 0 offset:168
	s_waitcnt vmcnt(2)
	v_fmac_f64_e32 v[86:87], v[90:91], v[92:93]
	ds_read2_b64 v[90:93], v88 offset0:63 offset1:64
	s_waitcnt vmcnt(0) lgkmcnt(0)
	v_fmac_f64_e32 v[86:87], v[94:95], v[90:91]
	buffer_load_dword v91, off, s[0:3], 0 offset:180
	buffer_load_dword v90, off, s[0:3], 0 offset:176
	buffer_load_dword v95, off, s[0:3], 0 offset:188
	buffer_load_dword v94, off, s[0:3], 0 offset:184
	s_waitcnt vmcnt(2)
	v_fmac_f64_e32 v[86:87], v[90:91], v[92:93]
	ds_read2_b64 v[90:93], v88 offset0:65 offset1:66
	s_waitcnt vmcnt(0) lgkmcnt(0)
	v_fmac_f64_e32 v[86:87], v[94:95], v[90:91]
	;; [unrolled: 9-line block ×9, first 2 shown]
	buffer_load_dword v91, off, s[0:3], 0 offset:308
	buffer_load_dword v90, off, s[0:3], 0 offset:304
	s_waitcnt vmcnt(0)
	v_fmac_f64_e32 v[86:87], v[90:91], v[92:93]
	buffer_load_dword v93, off, s[0:3], 0 offset:316
	buffer_load_dword v92, off, s[0:3], 0 offset:312
	ds_read2_b64 v[88:91], v88 offset0:81 offset1:82
	s_waitcnt vmcnt(0) lgkmcnt(0)
	v_fmac_f64_e32 v[86:87], v[92:93], v[88:89]
	buffer_load_dword v89, off, s[0:3], 0 offset:324
	buffer_load_dword v88, off, s[0:3], 0 offset:320
	s_waitcnt vmcnt(0)
	v_fmac_f64_e32 v[86:87], v[88:89], v[90:91]
	v_add_f64 v[84:85], v[84:85], -v[86:87]
	buffer_store_dword v85, off, s[0:3], 0 offset:100
	buffer_store_dword v84, off, s[0:3], 0 offset:96
	s_and_saveexec_b64 s[4:5], vcc
	s_cbranch_execz .LBB104_231
; %bb.230:
	buffer_load_dword v84, off, s[0:3], 0 offset:88
	buffer_load_dword v85, off, s[0:3], 0 offset:92
	v_mov_b32_e32 v86, 0
	buffer_store_dword v86, off, s[0:3], 0 offset:88
	buffer_store_dword v86, off, s[0:3], 0 offset:92
	s_waitcnt vmcnt(2)
	ds_write_b64 v1, v[84:85]
.LBB104_231:
	s_or_b64 exec, exec, s[4:5]
	s_waitcnt lgkmcnt(0)
	; wave barrier
	s_waitcnt lgkmcnt(0)
	buffer_load_dword v84, off, s[0:3], 0 offset:88
	buffer_load_dword v85, off, s[0:3], 0 offset:92
	;; [unrolled: 1-line block ×16, first 2 shown]
	v_mov_b32_e32 v88, 0
	ds_read_b128 v[90:93], v88 offset:432
	ds_read_b128 v[94:97], v88 offset:448
	;; [unrolled: 1-line block ×4, first 2 shown]
	v_cmp_lt_u32_e32 vcc, 10, v0
	s_waitcnt vmcnt(12) lgkmcnt(3)
	v_fma_f64 v[86:87], v[86:87], v[90:91], 0
	buffer_load_dword v91, off, s[0:3], 0 offset:156
	buffer_load_dword v90, off, s[0:3], 0 offset:152
	s_waitcnt vmcnt(12)
	v_fmac_f64_e32 v[86:87], v[106:107], v[92:93]
	s_waitcnt vmcnt(10) lgkmcnt(2)
	v_fmac_f64_e32 v[86:87], v[108:109], v[94:95]
	buffer_load_dword v95, off, s[0:3], 0 offset:164
	buffer_load_dword v94, off, s[0:3], 0 offset:160
	s_waitcnt vmcnt(10)
	v_fmac_f64_e32 v[86:87], v[110:111], v[96:97]
	s_waitcnt vmcnt(8) lgkmcnt(1)
	v_fmac_f64_e32 v[86:87], v[112:113], v[98:99]
	s_waitcnt vmcnt(6)
	v_fmac_f64_e32 v[86:87], v[114:115], v[100:101]
	s_waitcnt vmcnt(4) lgkmcnt(0)
	v_fmac_f64_e32 v[86:87], v[116:117], v[102:103]
	s_waitcnt vmcnt(2)
	v_fmac_f64_e32 v[86:87], v[90:91], v[104:105]
	ds_read_b128 v[90:93], v88 offset:496
	s_waitcnt vmcnt(0) lgkmcnt(0)
	v_fmac_f64_e32 v[86:87], v[94:95], v[90:91]
	buffer_load_dword v91, off, s[0:3], 0 offset:172
	buffer_load_dword v90, off, s[0:3], 0 offset:168
	buffer_load_dword v95, off, s[0:3], 0 offset:180
	buffer_load_dword v94, off, s[0:3], 0 offset:176
	s_waitcnt vmcnt(2)
	v_fmac_f64_e32 v[86:87], v[90:91], v[92:93]
	ds_read_b128 v[90:93], v88 offset:512
	s_waitcnt vmcnt(0) lgkmcnt(0)
	v_fmac_f64_e32 v[86:87], v[94:95], v[90:91]
	buffer_load_dword v91, off, s[0:3], 0 offset:188
	buffer_load_dword v90, off, s[0:3], 0 offset:184
	buffer_load_dword v95, off, s[0:3], 0 offset:196
	buffer_load_dword v94, off, s[0:3], 0 offset:192
	;; [unrolled: 9-line block ×9, first 2 shown]
	s_waitcnt vmcnt(2)
	v_fmac_f64_e32 v[86:87], v[90:91], v[92:93]
	ds_read_b128 v[90:93], v88 offset:640
	s_waitcnt vmcnt(0) lgkmcnt(0)
	v_fmac_f64_e32 v[86:87], v[94:95], v[90:91]
	buffer_load_dword v91, off, s[0:3], 0 offset:316
	buffer_load_dword v90, off, s[0:3], 0 offset:312
	s_waitcnt vmcnt(0)
	v_fmac_f64_e32 v[86:87], v[90:91], v[92:93]
	buffer_load_dword v91, off, s[0:3], 0 offset:324
	buffer_load_dword v90, off, s[0:3], 0 offset:320
	ds_read_b64 v[92:93], v88 offset:656
	s_waitcnt vmcnt(0) lgkmcnt(0)
	v_fmac_f64_e32 v[86:87], v[90:91], v[92:93]
	v_add_f64 v[84:85], v[84:85], -v[86:87]
	buffer_store_dword v85, off, s[0:3], 0 offset:92
	buffer_store_dword v84, off, s[0:3], 0 offset:88
	s_and_saveexec_b64 s[4:5], vcc
	s_cbranch_execz .LBB104_233
; %bb.232:
	buffer_load_dword v84, off, s[0:3], 0 offset:80
	buffer_load_dword v85, off, s[0:3], 0 offset:84
	s_waitcnt vmcnt(0)
	ds_write_b64 v1, v[84:85]
	buffer_store_dword v88, off, s[0:3], 0 offset:80
	buffer_store_dword v88, off, s[0:3], 0 offset:84
.LBB104_233:
	s_or_b64 exec, exec, s[4:5]
	s_waitcnt lgkmcnt(0)
	; wave barrier
	s_waitcnt lgkmcnt(0)
	buffer_load_dword v84, off, s[0:3], 0 offset:80
	buffer_load_dword v85, off, s[0:3], 0 offset:84
	;; [unrolled: 1-line block ×16, first 2 shown]
	ds_read2_b64 v[90:93], v88 offset0:53 offset1:54
	v_cmp_lt_u32_e32 vcc, 9, v0
	s_waitcnt vmcnt(12) lgkmcnt(0)
	v_fma_f64 v[86:87], v[86:87], v[90:91], 0
	s_waitcnt vmcnt(10)
	v_fmac_f64_e32 v[86:87], v[94:95], v[92:93]
	ds_read2_b64 v[90:93], v88 offset0:55 offset1:56
	s_waitcnt vmcnt(8) lgkmcnt(0)
	v_fmac_f64_e32 v[86:87], v[96:97], v[90:91]
	s_waitcnt vmcnt(6)
	v_fmac_f64_e32 v[86:87], v[98:99], v[92:93]
	ds_read2_b64 v[90:93], v88 offset0:57 offset1:58
	s_waitcnt vmcnt(4) lgkmcnt(0)
	v_fmac_f64_e32 v[86:87], v[100:101], v[90:91]
	;; [unrolled: 5-line block ×3, first 2 shown]
	buffer_load_dword v91, off, s[0:3], 0 offset:148
	buffer_load_dword v90, off, s[0:3], 0 offset:144
	buffer_load_dword v95, off, s[0:3], 0 offset:156
	buffer_load_dword v94, off, s[0:3], 0 offset:152
	s_waitcnt vmcnt(2)
	v_fmac_f64_e32 v[86:87], v[90:91], v[92:93]
	ds_read2_b64 v[90:93], v88 offset0:61 offset1:62
	s_waitcnt vmcnt(0) lgkmcnt(0)
	v_fmac_f64_e32 v[86:87], v[94:95], v[90:91]
	buffer_load_dword v91, off, s[0:3], 0 offset:164
	buffer_load_dword v90, off, s[0:3], 0 offset:160
	buffer_load_dword v95, off, s[0:3], 0 offset:172
	buffer_load_dword v94, off, s[0:3], 0 offset:168
	s_waitcnt vmcnt(2)
	v_fmac_f64_e32 v[86:87], v[90:91], v[92:93]
	ds_read2_b64 v[90:93], v88 offset0:63 offset1:64
	s_waitcnt vmcnt(0) lgkmcnt(0)
	v_fmac_f64_e32 v[86:87], v[94:95], v[90:91]
	;; [unrolled: 9-line block ×10, first 2 shown]
	buffer_load_dword v91, off, s[0:3], 0 offset:308
	buffer_load_dword v90, off, s[0:3], 0 offset:304
	s_waitcnt vmcnt(0)
	v_fmac_f64_e32 v[86:87], v[90:91], v[92:93]
	buffer_load_dword v93, off, s[0:3], 0 offset:316
	buffer_load_dword v92, off, s[0:3], 0 offset:312
	ds_read2_b64 v[88:91], v88 offset0:81 offset1:82
	s_waitcnt vmcnt(0) lgkmcnt(0)
	v_fmac_f64_e32 v[86:87], v[92:93], v[88:89]
	buffer_load_dword v89, off, s[0:3], 0 offset:324
	buffer_load_dword v88, off, s[0:3], 0 offset:320
	s_waitcnt vmcnt(0)
	v_fmac_f64_e32 v[86:87], v[88:89], v[90:91]
	v_add_f64 v[84:85], v[84:85], -v[86:87]
	buffer_store_dword v85, off, s[0:3], 0 offset:84
	buffer_store_dword v84, off, s[0:3], 0 offset:80
	s_and_saveexec_b64 s[4:5], vcc
	s_cbranch_execz .LBB104_235
; %bb.234:
	buffer_load_dword v84, off, s[0:3], 0 offset:72
	buffer_load_dword v85, off, s[0:3], 0 offset:76
	v_mov_b32_e32 v86, 0
	buffer_store_dword v86, off, s[0:3], 0 offset:72
	buffer_store_dword v86, off, s[0:3], 0 offset:76
	s_waitcnt vmcnt(2)
	ds_write_b64 v1, v[84:85]
.LBB104_235:
	s_or_b64 exec, exec, s[4:5]
	s_waitcnt lgkmcnt(0)
	; wave barrier
	s_waitcnt lgkmcnt(0)
	buffer_load_dword v84, off, s[0:3], 0 offset:72
	buffer_load_dword v85, off, s[0:3], 0 offset:76
	buffer_load_dword v86, off, s[0:3], 0 offset:80
	buffer_load_dword v87, off, s[0:3], 0 offset:84
	buffer_load_dword v106, off, s[0:3], 0 offset:88
	buffer_load_dword v107, off, s[0:3], 0 offset:92
	buffer_load_dword v108, off, s[0:3], 0 offset:96
	buffer_load_dword v109, off, s[0:3], 0 offset:100
	buffer_load_dword v110, off, s[0:3], 0 offset:104
	buffer_load_dword v111, off, s[0:3], 0 offset:108
	buffer_load_dword v112, off, s[0:3], 0 offset:112
	buffer_load_dword v113, off, s[0:3], 0 offset:116
	buffer_load_dword v114, off, s[0:3], 0 offset:120
	buffer_load_dword v115, off, s[0:3], 0 offset:124
	buffer_load_dword v116, off, s[0:3], 0 offset:128
	buffer_load_dword v117, off, s[0:3], 0 offset:132
	v_mov_b32_e32 v88, 0
	ds_read_b128 v[90:93], v88 offset:416
	ds_read_b128 v[94:97], v88 offset:432
	;; [unrolled: 1-line block ×4, first 2 shown]
	v_cmp_lt_u32_e32 vcc, 8, v0
	s_waitcnt vmcnt(12) lgkmcnt(3)
	v_fma_f64 v[86:87], v[86:87], v[90:91], 0
	buffer_load_dword v91, off, s[0:3], 0 offset:140
	buffer_load_dword v90, off, s[0:3], 0 offset:136
	s_waitcnt vmcnt(12)
	v_fmac_f64_e32 v[86:87], v[106:107], v[92:93]
	s_waitcnt vmcnt(10) lgkmcnt(2)
	v_fmac_f64_e32 v[86:87], v[108:109], v[94:95]
	buffer_load_dword v95, off, s[0:3], 0 offset:148
	buffer_load_dword v94, off, s[0:3], 0 offset:144
	s_waitcnt vmcnt(10)
	v_fmac_f64_e32 v[86:87], v[110:111], v[96:97]
	s_waitcnt vmcnt(8) lgkmcnt(1)
	v_fmac_f64_e32 v[86:87], v[112:113], v[98:99]
	s_waitcnt vmcnt(6)
	v_fmac_f64_e32 v[86:87], v[114:115], v[100:101]
	s_waitcnt vmcnt(4) lgkmcnt(0)
	v_fmac_f64_e32 v[86:87], v[116:117], v[102:103]
	s_waitcnt vmcnt(2)
	v_fmac_f64_e32 v[86:87], v[90:91], v[104:105]
	ds_read_b128 v[90:93], v88 offset:480
	s_waitcnt vmcnt(0) lgkmcnt(0)
	v_fmac_f64_e32 v[86:87], v[94:95], v[90:91]
	buffer_load_dword v91, off, s[0:3], 0 offset:156
	buffer_load_dword v90, off, s[0:3], 0 offset:152
	buffer_load_dword v95, off, s[0:3], 0 offset:164
	buffer_load_dword v94, off, s[0:3], 0 offset:160
	s_waitcnt vmcnt(2)
	v_fmac_f64_e32 v[86:87], v[90:91], v[92:93]
	ds_read_b128 v[90:93], v88 offset:496
	s_waitcnt vmcnt(0) lgkmcnt(0)
	v_fmac_f64_e32 v[86:87], v[94:95], v[90:91]
	buffer_load_dword v91, off, s[0:3], 0 offset:172
	buffer_load_dword v90, off, s[0:3], 0 offset:168
	buffer_load_dword v95, off, s[0:3], 0 offset:180
	buffer_load_dword v94, off, s[0:3], 0 offset:176
	;; [unrolled: 9-line block ×10, first 2 shown]
	s_waitcnt vmcnt(2)
	v_fmac_f64_e32 v[86:87], v[90:91], v[92:93]
	ds_read_b128 v[90:93], v88 offset:640
	s_waitcnt vmcnt(0) lgkmcnt(0)
	v_fmac_f64_e32 v[86:87], v[94:95], v[90:91]
	buffer_load_dword v91, off, s[0:3], 0 offset:316
	buffer_load_dword v90, off, s[0:3], 0 offset:312
	s_waitcnt vmcnt(0)
	v_fmac_f64_e32 v[86:87], v[90:91], v[92:93]
	buffer_load_dword v91, off, s[0:3], 0 offset:324
	buffer_load_dword v90, off, s[0:3], 0 offset:320
	ds_read_b64 v[92:93], v88 offset:656
	s_waitcnt vmcnt(0) lgkmcnt(0)
	v_fmac_f64_e32 v[86:87], v[90:91], v[92:93]
	v_add_f64 v[84:85], v[84:85], -v[86:87]
	buffer_store_dword v85, off, s[0:3], 0 offset:76
	buffer_store_dword v84, off, s[0:3], 0 offset:72
	s_and_saveexec_b64 s[4:5], vcc
	s_cbranch_execz .LBB104_237
; %bb.236:
	buffer_load_dword v84, off, s[0:3], 0 offset:64
	buffer_load_dword v85, off, s[0:3], 0 offset:68
	s_waitcnt vmcnt(0)
	ds_write_b64 v1, v[84:85]
	buffer_store_dword v88, off, s[0:3], 0 offset:64
	buffer_store_dword v88, off, s[0:3], 0 offset:68
.LBB104_237:
	s_or_b64 exec, exec, s[4:5]
	s_waitcnt lgkmcnt(0)
	; wave barrier
	s_waitcnt lgkmcnt(0)
	buffer_load_dword v84, off, s[0:3], 0 offset:64
	buffer_load_dword v85, off, s[0:3], 0 offset:68
	;; [unrolled: 1-line block ×16, first 2 shown]
	ds_read2_b64 v[90:93], v88 offset0:51 offset1:52
	v_cmp_lt_u32_e32 vcc, 7, v0
	s_waitcnt vmcnt(12) lgkmcnt(0)
	v_fma_f64 v[86:87], v[86:87], v[90:91], 0
	s_waitcnt vmcnt(10)
	v_fmac_f64_e32 v[86:87], v[94:95], v[92:93]
	ds_read2_b64 v[90:93], v88 offset0:53 offset1:54
	s_waitcnt vmcnt(8) lgkmcnt(0)
	v_fmac_f64_e32 v[86:87], v[96:97], v[90:91]
	s_waitcnt vmcnt(6)
	v_fmac_f64_e32 v[86:87], v[98:99], v[92:93]
	ds_read2_b64 v[90:93], v88 offset0:55 offset1:56
	s_waitcnt vmcnt(4) lgkmcnt(0)
	v_fmac_f64_e32 v[86:87], v[100:101], v[90:91]
	;; [unrolled: 5-line block ×3, first 2 shown]
	buffer_load_dword v91, off, s[0:3], 0 offset:132
	buffer_load_dword v90, off, s[0:3], 0 offset:128
	buffer_load_dword v95, off, s[0:3], 0 offset:140
	buffer_load_dword v94, off, s[0:3], 0 offset:136
	s_waitcnt vmcnt(2)
	v_fmac_f64_e32 v[86:87], v[90:91], v[92:93]
	ds_read2_b64 v[90:93], v88 offset0:59 offset1:60
	s_waitcnt vmcnt(0) lgkmcnt(0)
	v_fmac_f64_e32 v[86:87], v[94:95], v[90:91]
	buffer_load_dword v91, off, s[0:3], 0 offset:148
	buffer_load_dword v90, off, s[0:3], 0 offset:144
	buffer_load_dword v95, off, s[0:3], 0 offset:156
	buffer_load_dword v94, off, s[0:3], 0 offset:152
	s_waitcnt vmcnt(2)
	v_fmac_f64_e32 v[86:87], v[90:91], v[92:93]
	ds_read2_b64 v[90:93], v88 offset0:61 offset1:62
	s_waitcnt vmcnt(0) lgkmcnt(0)
	v_fmac_f64_e32 v[86:87], v[94:95], v[90:91]
	;; [unrolled: 9-line block ×11, first 2 shown]
	buffer_load_dword v91, off, s[0:3], 0 offset:308
	buffer_load_dword v90, off, s[0:3], 0 offset:304
	s_waitcnt vmcnt(0)
	v_fmac_f64_e32 v[86:87], v[90:91], v[92:93]
	buffer_load_dword v93, off, s[0:3], 0 offset:316
	buffer_load_dword v92, off, s[0:3], 0 offset:312
	ds_read2_b64 v[88:91], v88 offset0:81 offset1:82
	s_waitcnt vmcnt(0) lgkmcnt(0)
	v_fmac_f64_e32 v[86:87], v[92:93], v[88:89]
	buffer_load_dword v89, off, s[0:3], 0 offset:324
	buffer_load_dword v88, off, s[0:3], 0 offset:320
	s_waitcnt vmcnt(0)
	v_fmac_f64_e32 v[86:87], v[88:89], v[90:91]
	v_add_f64 v[84:85], v[84:85], -v[86:87]
	buffer_store_dword v85, off, s[0:3], 0 offset:68
	buffer_store_dword v84, off, s[0:3], 0 offset:64
	s_and_saveexec_b64 s[4:5], vcc
	s_cbranch_execz .LBB104_239
; %bb.238:
	buffer_load_dword v84, off, s[0:3], 0 offset:56
	buffer_load_dword v85, off, s[0:3], 0 offset:60
	v_mov_b32_e32 v86, 0
	buffer_store_dword v86, off, s[0:3], 0 offset:56
	buffer_store_dword v86, off, s[0:3], 0 offset:60
	s_waitcnt vmcnt(2)
	ds_write_b64 v1, v[84:85]
.LBB104_239:
	s_or_b64 exec, exec, s[4:5]
	s_waitcnt lgkmcnt(0)
	; wave barrier
	s_waitcnt lgkmcnt(0)
	buffer_load_dword v84, off, s[0:3], 0 offset:56
	buffer_load_dword v85, off, s[0:3], 0 offset:60
	;; [unrolled: 1-line block ×16, first 2 shown]
	v_mov_b32_e32 v88, 0
	ds_read_b128 v[90:93], v88 offset:400
	ds_read_b128 v[94:97], v88 offset:416
	;; [unrolled: 1-line block ×4, first 2 shown]
	v_cmp_lt_u32_e32 vcc, 6, v0
	s_waitcnt vmcnt(12) lgkmcnt(3)
	v_fma_f64 v[86:87], v[86:87], v[90:91], 0
	buffer_load_dword v91, off, s[0:3], 0 offset:124
	buffer_load_dword v90, off, s[0:3], 0 offset:120
	s_waitcnt vmcnt(12)
	v_fmac_f64_e32 v[86:87], v[106:107], v[92:93]
	s_waitcnt vmcnt(10) lgkmcnt(2)
	v_fmac_f64_e32 v[86:87], v[108:109], v[94:95]
	buffer_load_dword v95, off, s[0:3], 0 offset:132
	buffer_load_dword v94, off, s[0:3], 0 offset:128
	s_waitcnt vmcnt(10)
	v_fmac_f64_e32 v[86:87], v[110:111], v[96:97]
	s_waitcnt vmcnt(8) lgkmcnt(1)
	v_fmac_f64_e32 v[86:87], v[112:113], v[98:99]
	s_waitcnt vmcnt(6)
	v_fmac_f64_e32 v[86:87], v[114:115], v[100:101]
	s_waitcnt vmcnt(4) lgkmcnt(0)
	v_fmac_f64_e32 v[86:87], v[116:117], v[102:103]
	s_waitcnt vmcnt(2)
	v_fmac_f64_e32 v[86:87], v[90:91], v[104:105]
	ds_read_b128 v[90:93], v88 offset:464
	s_waitcnt vmcnt(0) lgkmcnt(0)
	v_fmac_f64_e32 v[86:87], v[94:95], v[90:91]
	buffer_load_dword v91, off, s[0:3], 0 offset:140
	buffer_load_dword v90, off, s[0:3], 0 offset:136
	buffer_load_dword v95, off, s[0:3], 0 offset:148
	buffer_load_dword v94, off, s[0:3], 0 offset:144
	s_waitcnt vmcnt(2)
	v_fmac_f64_e32 v[86:87], v[90:91], v[92:93]
	ds_read_b128 v[90:93], v88 offset:480
	s_waitcnt vmcnt(0) lgkmcnt(0)
	v_fmac_f64_e32 v[86:87], v[94:95], v[90:91]
	buffer_load_dword v91, off, s[0:3], 0 offset:156
	buffer_load_dword v90, off, s[0:3], 0 offset:152
	buffer_load_dword v95, off, s[0:3], 0 offset:164
	buffer_load_dword v94, off, s[0:3], 0 offset:160
	;; [unrolled: 9-line block ×11, first 2 shown]
	s_waitcnt vmcnt(2)
	v_fmac_f64_e32 v[86:87], v[90:91], v[92:93]
	ds_read_b128 v[90:93], v88 offset:640
	s_waitcnt vmcnt(0) lgkmcnt(0)
	v_fmac_f64_e32 v[86:87], v[94:95], v[90:91]
	buffer_load_dword v91, off, s[0:3], 0 offset:316
	buffer_load_dword v90, off, s[0:3], 0 offset:312
	s_waitcnt vmcnt(0)
	v_fmac_f64_e32 v[86:87], v[90:91], v[92:93]
	buffer_load_dword v91, off, s[0:3], 0 offset:324
	buffer_load_dword v90, off, s[0:3], 0 offset:320
	ds_read_b64 v[92:93], v88 offset:656
	s_waitcnt vmcnt(0) lgkmcnt(0)
	v_fmac_f64_e32 v[86:87], v[90:91], v[92:93]
	v_add_f64 v[84:85], v[84:85], -v[86:87]
	buffer_store_dword v85, off, s[0:3], 0 offset:60
	buffer_store_dword v84, off, s[0:3], 0 offset:56
	s_and_saveexec_b64 s[4:5], vcc
	s_cbranch_execz .LBB104_241
; %bb.240:
	buffer_load_dword v84, off, s[0:3], 0 offset:48
	buffer_load_dword v85, off, s[0:3], 0 offset:52
	s_waitcnt vmcnt(0)
	ds_write_b64 v1, v[84:85]
	buffer_store_dword v88, off, s[0:3], 0 offset:48
	buffer_store_dword v88, off, s[0:3], 0 offset:52
.LBB104_241:
	s_or_b64 exec, exec, s[4:5]
	s_waitcnt lgkmcnt(0)
	; wave barrier
	s_waitcnt lgkmcnt(0)
	buffer_load_dword v84, off, s[0:3], 0 offset:48
	buffer_load_dword v85, off, s[0:3], 0 offset:52
	;; [unrolled: 1-line block ×16, first 2 shown]
	ds_read2_b64 v[90:93], v88 offset0:49 offset1:50
	v_cmp_lt_u32_e32 vcc, 5, v0
	s_waitcnt vmcnt(12) lgkmcnt(0)
	v_fma_f64 v[86:87], v[86:87], v[90:91], 0
	s_waitcnt vmcnt(10)
	v_fmac_f64_e32 v[86:87], v[94:95], v[92:93]
	ds_read2_b64 v[90:93], v88 offset0:51 offset1:52
	s_waitcnt vmcnt(8) lgkmcnt(0)
	v_fmac_f64_e32 v[86:87], v[96:97], v[90:91]
	s_waitcnt vmcnt(6)
	v_fmac_f64_e32 v[86:87], v[98:99], v[92:93]
	ds_read2_b64 v[90:93], v88 offset0:53 offset1:54
	s_waitcnt vmcnt(4) lgkmcnt(0)
	v_fmac_f64_e32 v[86:87], v[100:101], v[90:91]
	;; [unrolled: 5-line block ×3, first 2 shown]
	buffer_load_dword v91, off, s[0:3], 0 offset:116
	buffer_load_dword v90, off, s[0:3], 0 offset:112
	buffer_load_dword v95, off, s[0:3], 0 offset:124
	buffer_load_dword v94, off, s[0:3], 0 offset:120
	s_waitcnt vmcnt(2)
	v_fmac_f64_e32 v[86:87], v[90:91], v[92:93]
	ds_read2_b64 v[90:93], v88 offset0:57 offset1:58
	s_waitcnt vmcnt(0) lgkmcnt(0)
	v_fmac_f64_e32 v[86:87], v[94:95], v[90:91]
	buffer_load_dword v91, off, s[0:3], 0 offset:132
	buffer_load_dword v90, off, s[0:3], 0 offset:128
	buffer_load_dword v95, off, s[0:3], 0 offset:140
	buffer_load_dword v94, off, s[0:3], 0 offset:136
	s_waitcnt vmcnt(2)
	v_fmac_f64_e32 v[86:87], v[90:91], v[92:93]
	ds_read2_b64 v[90:93], v88 offset0:59 offset1:60
	s_waitcnt vmcnt(0) lgkmcnt(0)
	v_fmac_f64_e32 v[86:87], v[94:95], v[90:91]
	;; [unrolled: 9-line block ×12, first 2 shown]
	buffer_load_dword v91, off, s[0:3], 0 offset:308
	buffer_load_dword v90, off, s[0:3], 0 offset:304
	s_waitcnt vmcnt(0)
	v_fmac_f64_e32 v[86:87], v[90:91], v[92:93]
	buffer_load_dword v93, off, s[0:3], 0 offset:316
	buffer_load_dword v92, off, s[0:3], 0 offset:312
	ds_read2_b64 v[88:91], v88 offset0:81 offset1:82
	s_waitcnt vmcnt(0) lgkmcnt(0)
	v_fmac_f64_e32 v[86:87], v[92:93], v[88:89]
	buffer_load_dword v89, off, s[0:3], 0 offset:324
	buffer_load_dword v88, off, s[0:3], 0 offset:320
	s_waitcnt vmcnt(0)
	v_fmac_f64_e32 v[86:87], v[88:89], v[90:91]
	v_add_f64 v[84:85], v[84:85], -v[86:87]
	buffer_store_dword v85, off, s[0:3], 0 offset:52
	buffer_store_dword v84, off, s[0:3], 0 offset:48
	s_and_saveexec_b64 s[4:5], vcc
	s_cbranch_execz .LBB104_243
; %bb.242:
	buffer_load_dword v84, off, s[0:3], 0 offset:40
	buffer_load_dword v85, off, s[0:3], 0 offset:44
	v_mov_b32_e32 v86, 0
	buffer_store_dword v86, off, s[0:3], 0 offset:40
	buffer_store_dword v86, off, s[0:3], 0 offset:44
	s_waitcnt vmcnt(2)
	ds_write_b64 v1, v[84:85]
.LBB104_243:
	s_or_b64 exec, exec, s[4:5]
	s_waitcnt lgkmcnt(0)
	; wave barrier
	s_waitcnt lgkmcnt(0)
	buffer_load_dword v84, off, s[0:3], 0 offset:40
	buffer_load_dword v85, off, s[0:3], 0 offset:44
	;; [unrolled: 1-line block ×16, first 2 shown]
	v_mov_b32_e32 v88, 0
	ds_read_b128 v[90:93], v88 offset:384
	ds_read_b128 v[94:97], v88 offset:400
	;; [unrolled: 1-line block ×4, first 2 shown]
	v_cmp_lt_u32_e32 vcc, 4, v0
	s_waitcnt vmcnt(12) lgkmcnt(3)
	v_fma_f64 v[86:87], v[86:87], v[90:91], 0
	buffer_load_dword v91, off, s[0:3], 0 offset:108
	buffer_load_dword v90, off, s[0:3], 0 offset:104
	s_waitcnt vmcnt(12)
	v_fmac_f64_e32 v[86:87], v[106:107], v[92:93]
	s_waitcnt vmcnt(10) lgkmcnt(2)
	v_fmac_f64_e32 v[86:87], v[108:109], v[94:95]
	buffer_load_dword v95, off, s[0:3], 0 offset:116
	buffer_load_dword v94, off, s[0:3], 0 offset:112
	s_waitcnt vmcnt(10)
	v_fmac_f64_e32 v[86:87], v[110:111], v[96:97]
	s_waitcnt vmcnt(8) lgkmcnt(1)
	v_fmac_f64_e32 v[86:87], v[112:113], v[98:99]
	s_waitcnt vmcnt(6)
	v_fmac_f64_e32 v[86:87], v[114:115], v[100:101]
	s_waitcnt vmcnt(4) lgkmcnt(0)
	v_fmac_f64_e32 v[86:87], v[116:117], v[102:103]
	s_waitcnt vmcnt(2)
	v_fmac_f64_e32 v[86:87], v[90:91], v[104:105]
	ds_read_b128 v[90:93], v88 offset:448
	s_waitcnt vmcnt(0) lgkmcnt(0)
	v_fmac_f64_e32 v[86:87], v[94:95], v[90:91]
	buffer_load_dword v91, off, s[0:3], 0 offset:124
	buffer_load_dword v90, off, s[0:3], 0 offset:120
	buffer_load_dword v95, off, s[0:3], 0 offset:132
	buffer_load_dword v94, off, s[0:3], 0 offset:128
	s_waitcnt vmcnt(2)
	v_fmac_f64_e32 v[86:87], v[90:91], v[92:93]
	ds_read_b128 v[90:93], v88 offset:464
	s_waitcnt vmcnt(0) lgkmcnt(0)
	v_fmac_f64_e32 v[86:87], v[94:95], v[90:91]
	buffer_load_dword v91, off, s[0:3], 0 offset:140
	buffer_load_dword v90, off, s[0:3], 0 offset:136
	buffer_load_dword v95, off, s[0:3], 0 offset:148
	buffer_load_dword v94, off, s[0:3], 0 offset:144
	;; [unrolled: 9-line block ×12, first 2 shown]
	s_waitcnt vmcnt(2)
	v_fmac_f64_e32 v[86:87], v[90:91], v[92:93]
	ds_read_b128 v[90:93], v88 offset:640
	s_waitcnt vmcnt(0) lgkmcnt(0)
	v_fmac_f64_e32 v[86:87], v[94:95], v[90:91]
	buffer_load_dword v91, off, s[0:3], 0 offset:316
	buffer_load_dword v90, off, s[0:3], 0 offset:312
	s_waitcnt vmcnt(0)
	v_fmac_f64_e32 v[86:87], v[90:91], v[92:93]
	buffer_load_dword v91, off, s[0:3], 0 offset:324
	buffer_load_dword v90, off, s[0:3], 0 offset:320
	ds_read_b64 v[92:93], v88 offset:656
	s_waitcnt vmcnt(0) lgkmcnt(0)
	v_fmac_f64_e32 v[86:87], v[90:91], v[92:93]
	v_add_f64 v[84:85], v[84:85], -v[86:87]
	buffer_store_dword v85, off, s[0:3], 0 offset:44
	buffer_store_dword v84, off, s[0:3], 0 offset:40
	s_and_saveexec_b64 s[4:5], vcc
	s_cbranch_execz .LBB104_245
; %bb.244:
	buffer_load_dword v84, off, s[0:3], 0 offset:32
	buffer_load_dword v85, off, s[0:3], 0 offset:36
	s_waitcnt vmcnt(0)
	ds_write_b64 v1, v[84:85]
	buffer_store_dword v88, off, s[0:3], 0 offset:32
	buffer_store_dword v88, off, s[0:3], 0 offset:36
.LBB104_245:
	s_or_b64 exec, exec, s[4:5]
	s_waitcnt lgkmcnt(0)
	; wave barrier
	s_waitcnt lgkmcnt(0)
	buffer_load_dword v84, off, s[0:3], 0 offset:32
	buffer_load_dword v85, off, s[0:3], 0 offset:36
	;; [unrolled: 1-line block ×16, first 2 shown]
	ds_read2_b64 v[90:93], v88 offset0:47 offset1:48
	v_cmp_lt_u32_e32 vcc, 3, v0
	s_waitcnt vmcnt(12) lgkmcnt(0)
	v_fma_f64 v[86:87], v[86:87], v[90:91], 0
	s_waitcnt vmcnt(10)
	v_fmac_f64_e32 v[86:87], v[94:95], v[92:93]
	ds_read2_b64 v[90:93], v88 offset0:49 offset1:50
	s_waitcnt vmcnt(8) lgkmcnt(0)
	v_fmac_f64_e32 v[86:87], v[96:97], v[90:91]
	s_waitcnt vmcnt(6)
	v_fmac_f64_e32 v[86:87], v[98:99], v[92:93]
	ds_read2_b64 v[90:93], v88 offset0:51 offset1:52
	s_waitcnt vmcnt(4) lgkmcnt(0)
	v_fmac_f64_e32 v[86:87], v[100:101], v[90:91]
	;; [unrolled: 5-line block ×3, first 2 shown]
	buffer_load_dword v91, off, s[0:3], 0 offset:100
	buffer_load_dword v90, off, s[0:3], 0 offset:96
	buffer_load_dword v95, off, s[0:3], 0 offset:108
	buffer_load_dword v94, off, s[0:3], 0 offset:104
	s_waitcnt vmcnt(2)
	v_fmac_f64_e32 v[86:87], v[90:91], v[92:93]
	ds_read2_b64 v[90:93], v88 offset0:55 offset1:56
	s_waitcnt vmcnt(0) lgkmcnt(0)
	v_fmac_f64_e32 v[86:87], v[94:95], v[90:91]
	buffer_load_dword v91, off, s[0:3], 0 offset:116
	buffer_load_dword v90, off, s[0:3], 0 offset:112
	buffer_load_dword v95, off, s[0:3], 0 offset:124
	buffer_load_dword v94, off, s[0:3], 0 offset:120
	s_waitcnt vmcnt(2)
	v_fmac_f64_e32 v[86:87], v[90:91], v[92:93]
	ds_read2_b64 v[90:93], v88 offset0:57 offset1:58
	s_waitcnt vmcnt(0) lgkmcnt(0)
	v_fmac_f64_e32 v[86:87], v[94:95], v[90:91]
	buffer_load_dword v91, off, s[0:3], 0 offset:132
	buffer_load_dword v90, off, s[0:3], 0 offset:128
	buffer_load_dword v95, off, s[0:3], 0 offset:140
	buffer_load_dword v94, off, s[0:3], 0 offset:136
	s_waitcnt vmcnt(2)
	v_fmac_f64_e32 v[86:87], v[90:91], v[92:93]
	ds_read2_b64 v[90:93], v88 offset0:59 offset1:60
	s_waitcnt vmcnt(0) lgkmcnt(0)
	v_fmac_f64_e32 v[86:87], v[94:95], v[90:91]
	buffer_load_dword v91, off, s[0:3], 0 offset:148
	buffer_load_dword v90, off, s[0:3], 0 offset:144
	buffer_load_dword v95, off, s[0:3], 0 offset:156
	buffer_load_dword v94, off, s[0:3], 0 offset:152
	s_waitcnt vmcnt(2)
	v_fmac_f64_e32 v[86:87], v[90:91], v[92:93]
	ds_read2_b64 v[90:93], v88 offset0:61 offset1:62
	s_waitcnt vmcnt(0) lgkmcnt(0)
	v_fmac_f64_e32 v[86:87], v[94:95], v[90:91]
	buffer_load_dword v91, off, s[0:3], 0 offset:164
	buffer_load_dword v90, off, s[0:3], 0 offset:160
	buffer_load_dword v95, off, s[0:3], 0 offset:172
	buffer_load_dword v94, off, s[0:3], 0 offset:168
	s_waitcnt vmcnt(2)
	v_fmac_f64_e32 v[86:87], v[90:91], v[92:93]
	ds_read2_b64 v[90:93], v88 offset0:63 offset1:64
	s_waitcnt vmcnt(0) lgkmcnt(0)
	v_fmac_f64_e32 v[86:87], v[94:95], v[90:91]
	buffer_load_dword v91, off, s[0:3], 0 offset:180
	buffer_load_dword v90, off, s[0:3], 0 offset:176
	buffer_load_dword v95, off, s[0:3], 0 offset:188
	buffer_load_dword v94, off, s[0:3], 0 offset:184
	s_waitcnt vmcnt(2)
	v_fmac_f64_e32 v[86:87], v[90:91], v[92:93]
	ds_read2_b64 v[90:93], v88 offset0:65 offset1:66
	s_waitcnt vmcnt(0) lgkmcnt(0)
	v_fmac_f64_e32 v[86:87], v[94:95], v[90:91]
	buffer_load_dword v91, off, s[0:3], 0 offset:196
	buffer_load_dword v90, off, s[0:3], 0 offset:192
	buffer_load_dword v95, off, s[0:3], 0 offset:204
	buffer_load_dword v94, off, s[0:3], 0 offset:200
	s_waitcnt vmcnt(2)
	v_fmac_f64_e32 v[86:87], v[90:91], v[92:93]
	ds_read2_b64 v[90:93], v88 offset0:67 offset1:68
	s_waitcnt vmcnt(0) lgkmcnt(0)
	v_fmac_f64_e32 v[86:87], v[94:95], v[90:91]
	buffer_load_dword v91, off, s[0:3], 0 offset:212
	buffer_load_dword v90, off, s[0:3], 0 offset:208
	buffer_load_dword v95, off, s[0:3], 0 offset:220
	buffer_load_dword v94, off, s[0:3], 0 offset:216
	s_waitcnt vmcnt(2)
	v_fmac_f64_e32 v[86:87], v[90:91], v[92:93]
	ds_read2_b64 v[90:93], v88 offset0:69 offset1:70
	s_waitcnt vmcnt(0) lgkmcnt(0)
	v_fmac_f64_e32 v[86:87], v[94:95], v[90:91]
	buffer_load_dword v91, off, s[0:3], 0 offset:228
	buffer_load_dword v90, off, s[0:3], 0 offset:224
	buffer_load_dword v95, off, s[0:3], 0 offset:236
	buffer_load_dword v94, off, s[0:3], 0 offset:232
	s_waitcnt vmcnt(2)
	v_fmac_f64_e32 v[86:87], v[90:91], v[92:93]
	ds_read2_b64 v[90:93], v88 offset0:71 offset1:72
	s_waitcnt vmcnt(0) lgkmcnt(0)
	v_fmac_f64_e32 v[86:87], v[94:95], v[90:91]
	buffer_load_dword v91, off, s[0:3], 0 offset:244
	buffer_load_dword v90, off, s[0:3], 0 offset:240
	buffer_load_dword v95, off, s[0:3], 0 offset:252
	buffer_load_dword v94, off, s[0:3], 0 offset:248
	s_waitcnt vmcnt(2)
	v_fmac_f64_e32 v[86:87], v[90:91], v[92:93]
	ds_read2_b64 v[90:93], v88 offset0:73 offset1:74
	s_waitcnt vmcnt(0) lgkmcnt(0)
	v_fmac_f64_e32 v[86:87], v[94:95], v[90:91]
	buffer_load_dword v91, off, s[0:3], 0 offset:260
	buffer_load_dword v90, off, s[0:3], 0 offset:256
	buffer_load_dword v95, off, s[0:3], 0 offset:268
	buffer_load_dword v94, off, s[0:3], 0 offset:264
	s_waitcnt vmcnt(2)
	v_fmac_f64_e32 v[86:87], v[90:91], v[92:93]
	ds_read2_b64 v[90:93], v88 offset0:75 offset1:76
	s_waitcnt vmcnt(0) lgkmcnt(0)
	v_fmac_f64_e32 v[86:87], v[94:95], v[90:91]
	buffer_load_dword v91, off, s[0:3], 0 offset:276
	buffer_load_dword v90, off, s[0:3], 0 offset:272
	buffer_load_dword v95, off, s[0:3], 0 offset:284
	buffer_load_dword v94, off, s[0:3], 0 offset:280
	s_waitcnt vmcnt(2)
	v_fmac_f64_e32 v[86:87], v[90:91], v[92:93]
	ds_read2_b64 v[90:93], v88 offset0:77 offset1:78
	s_waitcnt vmcnt(0) lgkmcnt(0)
	v_fmac_f64_e32 v[86:87], v[94:95], v[90:91]
	buffer_load_dword v91, off, s[0:3], 0 offset:292
	buffer_load_dword v90, off, s[0:3], 0 offset:288
	buffer_load_dword v95, off, s[0:3], 0 offset:300
	buffer_load_dword v94, off, s[0:3], 0 offset:296
	s_waitcnt vmcnt(2)
	v_fmac_f64_e32 v[86:87], v[90:91], v[92:93]
	ds_read2_b64 v[90:93], v88 offset0:79 offset1:80
	s_waitcnt vmcnt(0) lgkmcnt(0)
	v_fmac_f64_e32 v[86:87], v[94:95], v[90:91]
	buffer_load_dword v91, off, s[0:3], 0 offset:308
	buffer_load_dword v90, off, s[0:3], 0 offset:304
	s_waitcnt vmcnt(0)
	v_fmac_f64_e32 v[86:87], v[90:91], v[92:93]
	buffer_load_dword v93, off, s[0:3], 0 offset:316
	buffer_load_dword v92, off, s[0:3], 0 offset:312
	ds_read2_b64 v[88:91], v88 offset0:81 offset1:82
	s_waitcnt vmcnt(0) lgkmcnt(0)
	v_fmac_f64_e32 v[86:87], v[92:93], v[88:89]
	buffer_load_dword v89, off, s[0:3], 0 offset:324
	buffer_load_dword v88, off, s[0:3], 0 offset:320
	s_waitcnt vmcnt(0)
	v_fmac_f64_e32 v[86:87], v[88:89], v[90:91]
	v_add_f64 v[84:85], v[84:85], -v[86:87]
	buffer_store_dword v85, off, s[0:3], 0 offset:36
	buffer_store_dword v84, off, s[0:3], 0 offset:32
	s_and_saveexec_b64 s[4:5], vcc
	s_cbranch_execz .LBB104_247
; %bb.246:
	buffer_load_dword v84, off, s[0:3], 0 offset:24
	buffer_load_dword v85, off, s[0:3], 0 offset:28
	v_mov_b32_e32 v86, 0
	buffer_store_dword v86, off, s[0:3], 0 offset:24
	buffer_store_dword v86, off, s[0:3], 0 offset:28
	s_waitcnt vmcnt(2)
	ds_write_b64 v1, v[84:85]
.LBB104_247:
	s_or_b64 exec, exec, s[4:5]
	s_waitcnt lgkmcnt(0)
	; wave barrier
	s_waitcnt lgkmcnt(0)
	buffer_load_dword v84, off, s[0:3], 0 offset:24
	buffer_load_dword v85, off, s[0:3], 0 offset:28
	;; [unrolled: 1-line block ×16, first 2 shown]
	v_mov_b32_e32 v88, 0
	ds_read_b128 v[90:93], v88 offset:368
	ds_read_b128 v[94:97], v88 offset:384
	;; [unrolled: 1-line block ×4, first 2 shown]
	v_cmp_lt_u32_e32 vcc, 2, v0
	s_waitcnt vmcnt(12) lgkmcnt(3)
	v_fma_f64 v[86:87], v[86:87], v[90:91], 0
	buffer_load_dword v91, off, s[0:3], 0 offset:92
	buffer_load_dword v90, off, s[0:3], 0 offset:88
	s_waitcnt vmcnt(12)
	v_fmac_f64_e32 v[86:87], v[106:107], v[92:93]
	s_waitcnt vmcnt(10) lgkmcnt(2)
	v_fmac_f64_e32 v[86:87], v[108:109], v[94:95]
	buffer_load_dword v95, off, s[0:3], 0 offset:100
	buffer_load_dword v94, off, s[0:3], 0 offset:96
	s_waitcnt vmcnt(10)
	v_fmac_f64_e32 v[86:87], v[110:111], v[96:97]
	s_waitcnt vmcnt(8) lgkmcnt(1)
	v_fmac_f64_e32 v[86:87], v[112:113], v[98:99]
	s_waitcnt vmcnt(6)
	v_fmac_f64_e32 v[86:87], v[114:115], v[100:101]
	s_waitcnt vmcnt(4) lgkmcnt(0)
	v_fmac_f64_e32 v[86:87], v[116:117], v[102:103]
	s_waitcnt vmcnt(2)
	v_fmac_f64_e32 v[86:87], v[90:91], v[104:105]
	ds_read_b128 v[90:93], v88 offset:432
	s_waitcnt vmcnt(0) lgkmcnt(0)
	v_fmac_f64_e32 v[86:87], v[94:95], v[90:91]
	buffer_load_dword v91, off, s[0:3], 0 offset:108
	buffer_load_dword v90, off, s[0:3], 0 offset:104
	buffer_load_dword v95, off, s[0:3], 0 offset:116
	buffer_load_dword v94, off, s[0:3], 0 offset:112
	s_waitcnt vmcnt(2)
	v_fmac_f64_e32 v[86:87], v[90:91], v[92:93]
	ds_read_b128 v[90:93], v88 offset:448
	s_waitcnt vmcnt(0) lgkmcnt(0)
	v_fmac_f64_e32 v[86:87], v[94:95], v[90:91]
	buffer_load_dword v91, off, s[0:3], 0 offset:124
	buffer_load_dword v90, off, s[0:3], 0 offset:120
	buffer_load_dword v95, off, s[0:3], 0 offset:132
	buffer_load_dword v94, off, s[0:3], 0 offset:128
	;; [unrolled: 9-line block ×13, first 2 shown]
	s_waitcnt vmcnt(2)
	v_fmac_f64_e32 v[86:87], v[90:91], v[92:93]
	ds_read_b128 v[90:93], v88 offset:640
	s_waitcnt vmcnt(0) lgkmcnt(0)
	v_fmac_f64_e32 v[86:87], v[94:95], v[90:91]
	buffer_load_dword v91, off, s[0:3], 0 offset:316
	buffer_load_dword v90, off, s[0:3], 0 offset:312
	s_waitcnt vmcnt(0)
	v_fmac_f64_e32 v[86:87], v[90:91], v[92:93]
	buffer_load_dword v91, off, s[0:3], 0 offset:324
	buffer_load_dword v90, off, s[0:3], 0 offset:320
	ds_read_b64 v[92:93], v88 offset:656
	s_waitcnt vmcnt(0) lgkmcnt(0)
	v_fmac_f64_e32 v[86:87], v[90:91], v[92:93]
	v_add_f64 v[84:85], v[84:85], -v[86:87]
	buffer_store_dword v85, off, s[0:3], 0 offset:28
	buffer_store_dword v84, off, s[0:3], 0 offset:24
	s_and_saveexec_b64 s[4:5], vcc
	s_cbranch_execz .LBB104_249
; %bb.248:
	buffer_load_dword v84, off, s[0:3], 0 offset:16
	buffer_load_dword v85, off, s[0:3], 0 offset:20
	s_waitcnt vmcnt(0)
	ds_write_b64 v1, v[84:85]
	buffer_store_dword v88, off, s[0:3], 0 offset:16
	buffer_store_dword v88, off, s[0:3], 0 offset:20
.LBB104_249:
	s_or_b64 exec, exec, s[4:5]
	s_waitcnt lgkmcnt(0)
	; wave barrier
	s_waitcnt lgkmcnt(0)
	buffer_load_dword v84, off, s[0:3], 0 offset:16
	buffer_load_dword v85, off, s[0:3], 0 offset:20
	;; [unrolled: 1-line block ×16, first 2 shown]
	ds_read2_b64 v[90:93], v88 offset0:45 offset1:46
	v_cmp_lt_u32_e32 vcc, 1, v0
	s_waitcnt vmcnt(12) lgkmcnt(0)
	v_fma_f64 v[86:87], v[86:87], v[90:91], 0
	s_waitcnt vmcnt(10)
	v_fmac_f64_e32 v[86:87], v[94:95], v[92:93]
	ds_read2_b64 v[90:93], v88 offset0:47 offset1:48
	s_waitcnt vmcnt(8) lgkmcnt(0)
	v_fmac_f64_e32 v[86:87], v[96:97], v[90:91]
	s_waitcnt vmcnt(6)
	v_fmac_f64_e32 v[86:87], v[98:99], v[92:93]
	ds_read2_b64 v[90:93], v88 offset0:49 offset1:50
	s_waitcnt vmcnt(4) lgkmcnt(0)
	v_fmac_f64_e32 v[86:87], v[100:101], v[90:91]
	;; [unrolled: 5-line block ×3, first 2 shown]
	buffer_load_dword v91, off, s[0:3], 0 offset:84
	buffer_load_dword v90, off, s[0:3], 0 offset:80
	buffer_load_dword v95, off, s[0:3], 0 offset:92
	buffer_load_dword v94, off, s[0:3], 0 offset:88
	s_waitcnt vmcnt(2)
	v_fmac_f64_e32 v[86:87], v[90:91], v[92:93]
	ds_read2_b64 v[90:93], v88 offset0:53 offset1:54
	s_waitcnt vmcnt(0) lgkmcnt(0)
	v_fmac_f64_e32 v[86:87], v[94:95], v[90:91]
	buffer_load_dword v91, off, s[0:3], 0 offset:100
	buffer_load_dword v90, off, s[0:3], 0 offset:96
	buffer_load_dword v95, off, s[0:3], 0 offset:108
	buffer_load_dword v94, off, s[0:3], 0 offset:104
	s_waitcnt vmcnt(2)
	v_fmac_f64_e32 v[86:87], v[90:91], v[92:93]
	ds_read2_b64 v[90:93], v88 offset0:55 offset1:56
	s_waitcnt vmcnt(0) lgkmcnt(0)
	v_fmac_f64_e32 v[86:87], v[94:95], v[90:91]
	;; [unrolled: 9-line block ×14, first 2 shown]
	buffer_load_dword v91, off, s[0:3], 0 offset:308
	buffer_load_dword v90, off, s[0:3], 0 offset:304
	s_waitcnt vmcnt(0)
	v_fmac_f64_e32 v[86:87], v[90:91], v[92:93]
	buffer_load_dword v93, off, s[0:3], 0 offset:316
	buffer_load_dword v92, off, s[0:3], 0 offset:312
	ds_read2_b64 v[88:91], v88 offset0:81 offset1:82
	s_waitcnt vmcnt(0) lgkmcnt(0)
	v_fmac_f64_e32 v[86:87], v[92:93], v[88:89]
	buffer_load_dword v89, off, s[0:3], 0 offset:324
	buffer_load_dword v88, off, s[0:3], 0 offset:320
	s_waitcnt vmcnt(0)
	v_fmac_f64_e32 v[86:87], v[88:89], v[90:91]
	v_add_f64 v[84:85], v[84:85], -v[86:87]
	buffer_store_dword v85, off, s[0:3], 0 offset:20
	buffer_store_dword v84, off, s[0:3], 0 offset:16
	s_and_saveexec_b64 s[4:5], vcc
	s_cbranch_execz .LBB104_251
; %bb.250:
	buffer_load_dword v84, off, s[0:3], 0 offset:8
	buffer_load_dword v85, off, s[0:3], 0 offset:12
	v_mov_b32_e32 v86, 0
	buffer_store_dword v86, off, s[0:3], 0 offset:8
	buffer_store_dword v86, off, s[0:3], 0 offset:12
	s_waitcnt vmcnt(2)
	ds_write_b64 v1, v[84:85]
.LBB104_251:
	s_or_b64 exec, exec, s[4:5]
	s_waitcnt lgkmcnt(0)
	; wave barrier
	s_waitcnt lgkmcnt(0)
	buffer_load_dword v84, off, s[0:3], 0 offset:8
	buffer_load_dword v85, off, s[0:3], 0 offset:12
	;; [unrolled: 1-line block ×16, first 2 shown]
	v_mov_b32_e32 v88, 0
	ds_read_b128 v[90:93], v88 offset:352
	ds_read_b128 v[94:97], v88 offset:368
	;; [unrolled: 1-line block ×4, first 2 shown]
	v_cmp_ne_u32_e32 vcc, 0, v0
	s_waitcnt vmcnt(12) lgkmcnt(3)
	v_fma_f64 v[86:87], v[86:87], v[90:91], 0
	buffer_load_dword v91, off, s[0:3], 0 offset:76
	buffer_load_dword v90, off, s[0:3], 0 offset:72
	s_waitcnt vmcnt(12)
	v_fmac_f64_e32 v[86:87], v[106:107], v[92:93]
	s_waitcnt vmcnt(10) lgkmcnt(2)
	v_fmac_f64_e32 v[86:87], v[108:109], v[94:95]
	buffer_load_dword v95, off, s[0:3], 0 offset:84
	buffer_load_dword v94, off, s[0:3], 0 offset:80
	s_waitcnt vmcnt(10)
	v_fmac_f64_e32 v[86:87], v[110:111], v[96:97]
	s_waitcnt vmcnt(8) lgkmcnt(1)
	v_fmac_f64_e32 v[86:87], v[112:113], v[98:99]
	s_waitcnt vmcnt(6)
	v_fmac_f64_e32 v[86:87], v[114:115], v[100:101]
	s_waitcnt vmcnt(4) lgkmcnt(0)
	v_fmac_f64_e32 v[86:87], v[116:117], v[102:103]
	s_waitcnt vmcnt(2)
	v_fmac_f64_e32 v[86:87], v[90:91], v[104:105]
	ds_read_b128 v[90:93], v88 offset:416
	s_waitcnt vmcnt(0) lgkmcnt(0)
	v_fmac_f64_e32 v[86:87], v[94:95], v[90:91]
	buffer_load_dword v91, off, s[0:3], 0 offset:92
	buffer_load_dword v90, off, s[0:3], 0 offset:88
	buffer_load_dword v95, off, s[0:3], 0 offset:100
	buffer_load_dword v94, off, s[0:3], 0 offset:96
	s_waitcnt vmcnt(2)
	v_fmac_f64_e32 v[86:87], v[90:91], v[92:93]
	ds_read_b128 v[90:93], v88 offset:432
	s_waitcnt vmcnt(0) lgkmcnt(0)
	v_fmac_f64_e32 v[86:87], v[94:95], v[90:91]
	buffer_load_dword v91, off, s[0:3], 0 offset:108
	buffer_load_dword v90, off, s[0:3], 0 offset:104
	buffer_load_dword v95, off, s[0:3], 0 offset:116
	buffer_load_dword v94, off, s[0:3], 0 offset:112
	;; [unrolled: 9-line block ×14, first 2 shown]
	s_waitcnt vmcnt(2)
	v_fmac_f64_e32 v[86:87], v[90:91], v[92:93]
	ds_read_b128 v[90:93], v88 offset:640
	s_waitcnt vmcnt(0) lgkmcnt(0)
	v_fmac_f64_e32 v[86:87], v[94:95], v[90:91]
	buffer_load_dword v91, off, s[0:3], 0 offset:316
	buffer_load_dword v90, off, s[0:3], 0 offset:312
	s_waitcnt vmcnt(0)
	v_fmac_f64_e32 v[86:87], v[90:91], v[92:93]
	buffer_load_dword v91, off, s[0:3], 0 offset:324
	buffer_load_dword v90, off, s[0:3], 0 offset:320
	ds_read_b64 v[92:93], v88 offset:656
	s_waitcnt vmcnt(0) lgkmcnt(0)
	v_fmac_f64_e32 v[86:87], v[90:91], v[92:93]
	v_add_f64 v[84:85], v[84:85], -v[86:87]
	buffer_store_dword v85, off, s[0:3], 0 offset:12
	buffer_store_dword v84, off, s[0:3], 0 offset:8
	s_and_saveexec_b64 s[4:5], vcc
	s_cbranch_execz .LBB104_253
; %bb.252:
	buffer_load_dword v84, off, s[0:3], 0
	buffer_load_dword v85, off, s[0:3], 0 offset:4
	s_waitcnt vmcnt(0)
	ds_write_b64 v1, v[84:85]
	buffer_store_dword v88, off, s[0:3], 0
	buffer_store_dword v88, off, s[0:3], 0 offset:4
.LBB104_253:
	s_or_b64 exec, exec, s[4:5]
	s_waitcnt lgkmcnt(0)
	; wave barrier
	s_waitcnt lgkmcnt(0)
	buffer_load_dword v0, off, s[0:3], 0
	buffer_load_dword v1, off, s[0:3], 0 offset:4
	buffer_load_dword v90, off, s[0:3], 0 offset:8
	;; [unrolled: 1-line block ×15, first 2 shown]
	ds_read2_b64 v[84:87], v88 offset0:43 offset1:44
	s_and_b64 vcc, exec, s[16:17]
	s_waitcnt vmcnt(12) lgkmcnt(0)
	v_fma_f64 v[84:85], v[90:91], v[84:85], 0
	s_waitcnt vmcnt(10)
	v_fmac_f64_e32 v[84:85], v[92:93], v[86:87]
	ds_read2_b64 v[90:93], v88 offset0:45 offset1:46
	s_waitcnt vmcnt(8) lgkmcnt(0)
	v_fmac_f64_e32 v[84:85], v[94:95], v[90:91]
	s_waitcnt vmcnt(6)
	v_fmac_f64_e32 v[84:85], v[96:97], v[92:93]
	ds_read2_b64 v[90:93], v88 offset0:47 offset1:48
	s_waitcnt vmcnt(4) lgkmcnt(0)
	v_fmac_f64_e32 v[84:85], v[98:99], v[90:91]
	s_waitcnt vmcnt(2)
	v_fmac_f64_e32 v[84:85], v[100:101], v[92:93]
	ds_read2_b64 v[90:93], v88 offset0:49 offset1:50
	buffer_load_dword v87, off, s[0:3], 0 offset:68
	buffer_load_dword v86, off, s[0:3], 0 offset:64
	s_waitcnt vmcnt(2) lgkmcnt(0)
	v_fmac_f64_e32 v[84:85], v[102:103], v[90:91]
	s_waitcnt vmcnt(0)
	v_fmac_f64_e32 v[84:85], v[86:87], v[92:93]
	buffer_load_dword v87, off, s[0:3], 0 offset:76
	buffer_load_dword v86, off, s[0:3], 0 offset:72
	ds_read2_b64 v[90:93], v88 offset0:51 offset1:52
	s_waitcnt vmcnt(0) lgkmcnt(0)
	v_fmac_f64_e32 v[84:85], v[86:87], v[90:91]
	buffer_load_dword v87, off, s[0:3], 0 offset:84
	buffer_load_dword v86, off, s[0:3], 0 offset:80
	s_waitcnt vmcnt(0)
	v_fmac_f64_e32 v[84:85], v[86:87], v[92:93]
	buffer_load_dword v87, off, s[0:3], 0 offset:92
	buffer_load_dword v86, off, s[0:3], 0 offset:88
	ds_read2_b64 v[90:93], v88 offset0:53 offset1:54
	s_waitcnt vmcnt(0) lgkmcnt(0)
	v_fmac_f64_e32 v[84:85], v[86:87], v[90:91]
	buffer_load_dword v87, off, s[0:3], 0 offset:100
	buffer_load_dword v86, off, s[0:3], 0 offset:96
	;; [unrolled: 9-line block ×16, first 2 shown]
	s_waitcnt vmcnt(0)
	v_fmac_f64_e32 v[84:85], v[88:89], v[90:91]
	v_add_f64 v[0:1], v[0:1], -v[84:85]
	buffer_store_dword v1, off, s[0:3], 0 offset:4
	buffer_store_dword v0, off, s[0:3], 0
	s_cbranch_vccz .LBB104_335
; %bb.254:
	v_pk_mov_b32 v[0:1], s[10:11], s[10:11] op_sel:[0,1]
	flat_load_dword v0, v[0:1] offset:156
	s_waitcnt vmcnt(0) lgkmcnt(0)
	v_add_u32_e32 v0, -1, v0
	v_cmp_ne_u32_e32 vcc, 39, v0
	s_and_saveexec_b64 s[4:5], vcc
	s_cbranch_execz .LBB104_256
; %bb.255:
	v_mov_b32_e32 v1, 0
	v_lshl_add_u32 v0, v0, 3, v1
	buffer_load_dword v1, v0, s[0:3], 0 offen
	buffer_load_dword v84, v0, s[0:3], 0 offen offset:4
	s_waitcnt vmcnt(1)
	buffer_store_dword v1, off, s[0:3], 0 offset:312
	s_waitcnt vmcnt(1)
	buffer_store_dword v84, off, s[0:3], 0 offset:316
	buffer_store_dword v86, v0, s[0:3], 0 offen
	buffer_store_dword v87, v0, s[0:3], 0 offen offset:4
.LBB104_256:
	s_or_b64 exec, exec, s[4:5]
	v_pk_mov_b32 v[0:1], s[10:11], s[10:11] op_sel:[0,1]
	flat_load_dword v0, v[0:1] offset:152
	s_waitcnt vmcnt(0) lgkmcnt(0)
	v_add_u32_e32 v0, -1, v0
	v_cmp_ne_u32_e32 vcc, 38, v0
	s_and_saveexec_b64 s[4:5], vcc
	s_cbranch_execz .LBB104_258
; %bb.257:
	v_mov_b32_e32 v1, 0
	v_lshl_add_u32 v0, v0, 3, v1
	buffer_load_dword v1, v0, s[0:3], 0 offen
	buffer_load_dword v84, v0, s[0:3], 0 offen offset:4
	buffer_load_dword v85, off, s[0:3], 0 offset:308
	buffer_load_dword v86, off, s[0:3], 0 offset:304
	s_waitcnt vmcnt(3)
	buffer_store_dword v1, off, s[0:3], 0 offset:304
	s_waitcnt vmcnt(3)
	buffer_store_dword v84, off, s[0:3], 0 offset:308
	s_waitcnt vmcnt(3)
	buffer_store_dword v85, v0, s[0:3], 0 offen offset:4
	s_waitcnt vmcnt(3)
	buffer_store_dword v86, v0, s[0:3], 0 offen
.LBB104_258:
	s_or_b64 exec, exec, s[4:5]
	v_pk_mov_b32 v[0:1], s[10:11], s[10:11] op_sel:[0,1]
	flat_load_dword v0, v[0:1] offset:148
	s_waitcnt vmcnt(0) lgkmcnt(0)
	v_add_u32_e32 v0, -1, v0
	v_cmp_ne_u32_e32 vcc, 37, v0
	s_and_saveexec_b64 s[4:5], vcc
	s_cbranch_execz .LBB104_260
; %bb.259:
	v_mov_b32_e32 v1, 0
	v_lshl_add_u32 v0, v0, 3, v1
	buffer_load_dword v1, v0, s[0:3], 0 offen
	buffer_load_dword v84, v0, s[0:3], 0 offen offset:4
	buffer_load_dword v85, off, s[0:3], 0 offset:296
	buffer_load_dword v86, off, s[0:3], 0 offset:300
	s_waitcnt vmcnt(3)
	buffer_store_dword v1, off, s[0:3], 0 offset:296
	s_waitcnt vmcnt(3)
	buffer_store_dword v84, off, s[0:3], 0 offset:300
	s_waitcnt vmcnt(3)
	buffer_store_dword v85, v0, s[0:3], 0 offen
	s_waitcnt vmcnt(3)
	buffer_store_dword v86, v0, s[0:3], 0 offen offset:4
.LBB104_260:
	s_or_b64 exec, exec, s[4:5]
	v_pk_mov_b32 v[0:1], s[10:11], s[10:11] op_sel:[0,1]
	flat_load_dword v0, v[0:1] offset:144
	s_waitcnt vmcnt(0) lgkmcnt(0)
	v_add_u32_e32 v0, -1, v0
	v_cmp_ne_u32_e32 vcc, 36, v0
	s_and_saveexec_b64 s[4:5], vcc
	s_cbranch_execz .LBB104_262
; %bb.261:
	v_mov_b32_e32 v1, 0
	v_lshl_add_u32 v0, v0, 3, v1
	buffer_load_dword v1, v0, s[0:3], 0 offen
	buffer_load_dword v84, v0, s[0:3], 0 offen offset:4
	buffer_load_dword v85, off, s[0:3], 0 offset:292
	buffer_load_dword v86, off, s[0:3], 0 offset:288
	s_waitcnt vmcnt(3)
	buffer_store_dword v1, off, s[0:3], 0 offset:288
	s_waitcnt vmcnt(3)
	buffer_store_dword v84, off, s[0:3], 0 offset:292
	s_waitcnt vmcnt(3)
	buffer_store_dword v85, v0, s[0:3], 0 offen offset:4
	s_waitcnt vmcnt(3)
	buffer_store_dword v86, v0, s[0:3], 0 offen
.LBB104_262:
	s_or_b64 exec, exec, s[4:5]
	v_pk_mov_b32 v[0:1], s[10:11], s[10:11] op_sel:[0,1]
	flat_load_dword v0, v[0:1] offset:140
	s_waitcnt vmcnt(0) lgkmcnt(0)
	v_add_u32_e32 v0, -1, v0
	v_cmp_ne_u32_e32 vcc, 35, v0
	s_and_saveexec_b64 s[4:5], vcc
	s_cbranch_execz .LBB104_264
; %bb.263:
	v_mov_b32_e32 v1, 0
	v_lshl_add_u32 v0, v0, 3, v1
	buffer_load_dword v1, v0, s[0:3], 0 offen
	buffer_load_dword v84, v0, s[0:3], 0 offen offset:4
	buffer_load_dword v85, off, s[0:3], 0 offset:280
	buffer_load_dword v86, off, s[0:3], 0 offset:284
	s_waitcnt vmcnt(3)
	buffer_store_dword v1, off, s[0:3], 0 offset:280
	s_waitcnt vmcnt(3)
	buffer_store_dword v84, off, s[0:3], 0 offset:284
	s_waitcnt vmcnt(3)
	buffer_store_dword v85, v0, s[0:3], 0 offen
	s_waitcnt vmcnt(3)
	buffer_store_dword v86, v0, s[0:3], 0 offen offset:4
.LBB104_264:
	;; [unrolled: 48-line block ×19, first 2 shown]
	s_or_b64 exec, exec, s[4:5]
	v_pk_mov_b32 v[0:1], s[10:11], s[10:11] op_sel:[0,1]
	flat_load_dword v84, v[0:1]
	s_nop 0
	buffer_load_dword v0, off, s[0:3], 0
	buffer_load_dword v1, off, s[0:3], 0 offset:4
	s_waitcnt vmcnt(0) lgkmcnt(0)
	v_add_u32_e32 v84, -1, v84
	v_cmp_ne_u32_e32 vcc, 0, v84
	s_and_saveexec_b64 s[4:5], vcc
	s_cbranch_execz .LBB104_334
; %bb.333:
	v_mov_b32_e32 v85, 0
	v_lshl_add_u32 v84, v84, 3, v85
	buffer_load_dword v85, v84, s[0:3], 0 offen offset:4
	buffer_load_dword v86, v84, s[0:3], 0 offen
	s_waitcnt vmcnt(1)
	buffer_store_dword v85, off, s[0:3], 0 offset:4
	s_waitcnt vmcnt(1)
	buffer_store_dword v86, off, s[0:3], 0
	buffer_store_dword v1, v84, s[0:3], 0 offen offset:4
	buffer_store_dword v0, v84, s[0:3], 0 offen
	buffer_load_dword v0, off, s[0:3], 0
	s_nop 0
	buffer_load_dword v1, off, s[0:3], 0 offset:4
.LBB104_334:
	s_or_b64 exec, exec, s[4:5]
.LBB104_335:
	s_waitcnt vmcnt(0)
	global_store_dwordx2 v[82:83], v[0:1], off
	buffer_load_dword v0, off, s[0:3], 0 offset:8
	s_nop 0
	buffer_load_dword v1, off, s[0:3], 0 offset:12
	buffer_load_dword v82, off, s[0:3], 0 offset:16
	;; [unrolled: 1-line block ×15, first 2 shown]
	s_waitcnt vmcnt(14)
	global_store_dwordx2 v[80:81], v[0:1], off
	s_waitcnt vmcnt(13)
	global_store_dwordx2 v[2:3], v[82:83], off
	;; [unrolled: 2-line block ×8, first 2 shown]
	buffer_load_dword v0, off, s[0:3], 0 offset:72
	buffer_load_dword v1, off, s[0:3], 0 offset:76
	s_waitcnt vmcnt(0)
	global_store_dwordx2 v[14:15], v[0:1], off
	buffer_load_dword v0, off, s[0:3], 0 offset:80
	s_nop 0
	buffer_load_dword v1, off, s[0:3], 0 offset:84
	s_waitcnt vmcnt(0)
	global_store_dwordx2 v[16:17], v[0:1], off
	buffer_load_dword v0, off, s[0:3], 0 offset:88
	s_nop 0
	;; [unrolled: 5-line block ×31, first 2 shown]
	buffer_load_dword v1, off, s[0:3], 0 offset:324
	s_waitcnt vmcnt(0)
	global_store_dwordx2 v[72:73], v[0:1], off
	s_endpgm
	.section	.rodata,"a",@progbits
	.p2align	6, 0x0
	.amdhsa_kernel _ZN9rocsolver6v33100L18getri_kernel_smallILi41EdPKPdEEvT1_iilPiilS6_bb
		.amdhsa_group_segment_fixed_size 664
		.amdhsa_private_segment_fixed_size 336
		.amdhsa_kernarg_size 60
		.amdhsa_user_sgpr_count 8
		.amdhsa_user_sgpr_private_segment_buffer 1
		.amdhsa_user_sgpr_dispatch_ptr 0
		.amdhsa_user_sgpr_queue_ptr 0
		.amdhsa_user_sgpr_kernarg_segment_ptr 1
		.amdhsa_user_sgpr_dispatch_id 0
		.amdhsa_user_sgpr_flat_scratch_init 1
		.amdhsa_user_sgpr_kernarg_preload_length 0
		.amdhsa_user_sgpr_kernarg_preload_offset 0
		.amdhsa_user_sgpr_private_segment_size 0
		.amdhsa_uses_dynamic_stack 0
		.amdhsa_system_sgpr_private_segment_wavefront_offset 1
		.amdhsa_system_sgpr_workgroup_id_x 1
		.amdhsa_system_sgpr_workgroup_id_y 0
		.amdhsa_system_sgpr_workgroup_id_z 0
		.amdhsa_system_sgpr_workgroup_info 0
		.amdhsa_system_vgpr_workitem_id 0
		.amdhsa_next_free_vgpr 128
		.amdhsa_next_free_sgpr 22
		.amdhsa_accum_offset 128
		.amdhsa_reserve_vcc 1
		.amdhsa_reserve_flat_scratch 1
		.amdhsa_float_round_mode_32 0
		.amdhsa_float_round_mode_16_64 0
		.amdhsa_float_denorm_mode_32 3
		.amdhsa_float_denorm_mode_16_64 3
		.amdhsa_dx10_clamp 1
		.amdhsa_ieee_mode 1
		.amdhsa_fp16_overflow 0
		.amdhsa_tg_split 0
		.amdhsa_exception_fp_ieee_invalid_op 0
		.amdhsa_exception_fp_denorm_src 0
		.amdhsa_exception_fp_ieee_div_zero 0
		.amdhsa_exception_fp_ieee_overflow 0
		.amdhsa_exception_fp_ieee_underflow 0
		.amdhsa_exception_fp_ieee_inexact 0
		.amdhsa_exception_int_div_zero 0
	.end_amdhsa_kernel
	.section	.text._ZN9rocsolver6v33100L18getri_kernel_smallILi41EdPKPdEEvT1_iilPiilS6_bb,"axG",@progbits,_ZN9rocsolver6v33100L18getri_kernel_smallILi41EdPKPdEEvT1_iilPiilS6_bb,comdat
.Lfunc_end104:
	.size	_ZN9rocsolver6v33100L18getri_kernel_smallILi41EdPKPdEEvT1_iilPiilS6_bb, .Lfunc_end104-_ZN9rocsolver6v33100L18getri_kernel_smallILi41EdPKPdEEvT1_iilPiilS6_bb
                                        ; -- End function
	.section	.AMDGPU.csdata,"",@progbits
; Kernel info:
; codeLenInByte = 44532
; NumSgprs: 28
; NumVgprs: 128
; NumAgprs: 0
; TotalNumVgprs: 128
; ScratchSize: 336
; MemoryBound: 0
; FloatMode: 240
; IeeeMode: 1
; LDSByteSize: 664 bytes/workgroup (compile time only)
; SGPRBlocks: 3
; VGPRBlocks: 15
; NumSGPRsForWavesPerEU: 28
; NumVGPRsForWavesPerEU: 128
; AccumOffset: 128
; Occupancy: 4
; WaveLimiterHint : 1
; COMPUTE_PGM_RSRC2:SCRATCH_EN: 1
; COMPUTE_PGM_RSRC2:USER_SGPR: 8
; COMPUTE_PGM_RSRC2:TRAP_HANDLER: 0
; COMPUTE_PGM_RSRC2:TGID_X_EN: 1
; COMPUTE_PGM_RSRC2:TGID_Y_EN: 0
; COMPUTE_PGM_RSRC2:TGID_Z_EN: 0
; COMPUTE_PGM_RSRC2:TIDIG_COMP_CNT: 0
; COMPUTE_PGM_RSRC3_GFX90A:ACCUM_OFFSET: 31
; COMPUTE_PGM_RSRC3_GFX90A:TG_SPLIT: 0
	.section	.text._ZN9rocsolver6v33100L18getri_kernel_smallILi42EdPKPdEEvT1_iilPiilS6_bb,"axG",@progbits,_ZN9rocsolver6v33100L18getri_kernel_smallILi42EdPKPdEEvT1_iilPiilS6_bb,comdat
	.globl	_ZN9rocsolver6v33100L18getri_kernel_smallILi42EdPKPdEEvT1_iilPiilS6_bb ; -- Begin function _ZN9rocsolver6v33100L18getri_kernel_smallILi42EdPKPdEEvT1_iilPiilS6_bb
	.p2align	8
	.type	_ZN9rocsolver6v33100L18getri_kernel_smallILi42EdPKPdEEvT1_iilPiilS6_bb,@function
_ZN9rocsolver6v33100L18getri_kernel_smallILi42EdPKPdEEvT1_iilPiilS6_bb: ; @_ZN9rocsolver6v33100L18getri_kernel_smallILi42EdPKPdEEvT1_iilPiilS6_bb
; %bb.0:
	s_add_u32 flat_scratch_lo, s6, s9
	s_addc_u32 flat_scratch_hi, s7, 0
	s_add_u32 s0, s0, s9
	s_addc_u32 s1, s1, 0
	v_cmp_gt_u32_e32 vcc, 42, v0
	s_and_saveexec_b64 s[6:7], vcc
	s_cbranch_execz .LBB105_176
; %bb.1:
	s_load_dword s20, s[4:5], 0x38
	s_load_dwordx2 s[6:7], s[4:5], 0x0
	s_load_dwordx4 s[12:15], s[4:5], 0x28
	s_waitcnt lgkmcnt(0)
	s_bitcmp1_b32 s20, 8
	s_cselect_b64 s[16:17], -1, 0
	s_ashr_i32 s9, s8, 31
	s_lshl_b64 s[10:11], s[8:9], 3
	s_add_u32 s6, s6, s10
	s_addc_u32 s7, s7, s11
	s_load_dwordx2 s[18:19], s[6:7], 0x0
	s_bfe_u32 s6, s20, 0x10008
	s_cmp_eq_u32 s6, 0
                                        ; implicit-def: $sgpr10_sgpr11
	s_cbranch_scc1 .LBB105_3
; %bb.2:
	s_load_dword s6, s[4:5], 0x20
	s_load_dwordx2 s[10:11], s[4:5], 0x18
	s_mul_i32 s7, s8, s13
	s_mul_hi_u32 s13, s8, s12
	s_add_i32 s13, s13, s7
	s_mul_i32 s21, s9, s12
	s_add_i32 s13, s13, s21
	s_mul_i32 s12, s8, s12
	s_waitcnt lgkmcnt(0)
	s_ashr_i32 s7, s6, 31
	s_lshl_b64 s[12:13], s[12:13], 2
	s_add_u32 s10, s10, s12
	s_addc_u32 s11, s11, s13
	s_lshl_b64 s[6:7], s[6:7], 2
	s_add_u32 s10, s10, s6
	s_addc_u32 s11, s11, s7
.LBB105_3:
	s_load_dwordx2 s[6:7], s[4:5], 0x8
	s_waitcnt lgkmcnt(0)
	s_ashr_i32 s5, s6, 31
	s_mov_b32 s4, s6
	s_lshl_b64 s[4:5], s[4:5], 3
	s_add_u32 s4, s18, s4
	s_addc_u32 s5, s19, s5
	s_add_i32 s6, s7, s7
	v_add_u32_e32 v4, s6, v0
	v_ashrrev_i32_e32 v5, 31, v4
	v_lshlrev_b64 v[2:3], 3, v[4:5]
	v_add_u32_e32 v6, s7, v4
	v_mov_b32_e32 v1, s5
	v_add_co_u32_e32 v2, vcc, s4, v2
	v_ashrrev_i32_e32 v7, 31, v6
	v_addc_co_u32_e32 v3, vcc, v1, v3, vcc
	v_lshlrev_b64 v[4:5], 3, v[6:7]
	v_add_u32_e32 v8, s7, v6
	v_add_co_u32_e32 v4, vcc, s4, v4
	v_ashrrev_i32_e32 v9, 31, v8
	v_addc_co_u32_e32 v5, vcc, v1, v5, vcc
	v_lshlrev_b64 v[6:7], 3, v[8:9]
	v_add_u32_e32 v10, s7, v8
	;; [unrolled: 5-line block ×5, first 2 shown]
	v_add_co_u32_e32 v12, vcc, s4, v12
	v_ashrrev_i32_e32 v15, 31, v14
	v_addc_co_u32_e32 v13, vcc, v1, v13, vcc
	v_lshlrev_b64 v[16:17], 3, v[14:15]
	v_add_co_u32_e32 v18, vcc, s4, v16
	v_add_u32_e32 v16, s7, v14
	v_addc_co_u32_e32 v19, vcc, v1, v17, vcc
	v_ashrrev_i32_e32 v17, 31, v16
	v_lshlrev_b64 v[14:15], 3, v[16:17]
	v_add_u32_e32 v20, s7, v16
	v_add_co_u32_e32 v14, vcc, s4, v14
	v_ashrrev_i32_e32 v21, 31, v20
	v_addc_co_u32_e32 v15, vcc, v1, v15, vcc
	v_lshlrev_b64 v[16:17], 3, v[20:21]
	v_add_u32_e32 v22, s7, v20
	v_add_co_u32_e32 v16, vcc, s4, v16
	v_ashrrev_i32_e32 v23, 31, v22
	v_addc_co_u32_e32 v17, vcc, v1, v17, vcc
	;; [unrolled: 5-line block ×24, first 2 shown]
	v_lshlrev_b64 v[64:65], 3, v[66:67]
	v_add_co_u32_e32 v64, vcc, s4, v64
	v_add_u32_e32 v66, s7, v66
	v_addc_co_u32_e32 v65, vcc, v1, v65, vcc
	v_ashrrev_i32_e32 v67, 31, v66
	v_lshlrev_b32_e32 v1, 3, v0
	v_lshlrev_b64 v[68:69], 3, v[66:67]
	global_load_dwordx2 v[86:87], v1, s[4:5]
	global_load_dwordx2 v[90:91], v[2:3], off
	v_mov_b32_e32 v67, s5
	v_add_co_u32_e32 v84, vcc, s4, v1
	s_ashr_i32 s13, s7, 31
	s_mov_b32 s12, s7
	v_addc_co_u32_e32 v85, vcc, 0, v67, vcc
	s_lshl_b64 s[12:13], s[12:13], 3
	v_mov_b32_e32 v67, s13
	v_add_co_u32_e32 v82, vcc, s12, v84
	v_addc_co_u32_e32 v83, vcc, v85, v67, vcc
	global_load_dwordx2 v[88:89], v[82:83], off
	global_load_dwordx2 v[92:93], v[4:5], off
	;; [unrolled: 1-line block ×13, first 2 shown]
	v_add_u32_e32 v66, s7, v66
	v_mov_b32_e32 v70, s5
	v_add_co_u32_e32 v68, vcc, s4, v68
	v_ashrrev_i32_e32 v67, 31, v66
	v_addc_co_u32_e32 v69, vcc, v70, v69, vcc
	v_lshlrev_b64 v[70:71], 3, v[66:67]
	v_add_u32_e32 v66, s7, v66
	v_mov_b32_e32 v72, s5
	v_add_co_u32_e32 v70, vcc, s4, v70
	v_ashrrev_i32_e32 v67, 31, v66
	v_addc_co_u32_e32 v71, vcc, v72, v71, vcc
	v_lshlrev_b64 v[72:73], 3, v[66:67]
	v_add_u32_e32 v66, s7, v66
	v_mov_b32_e32 v74, s5
	v_add_co_u32_e32 v72, vcc, s4, v72
	v_ashrrev_i32_e32 v67, 31, v66
	v_addc_co_u32_e32 v73, vcc, v74, v73, vcc
	v_lshlrev_b64 v[74:75], 3, v[66:67]
	v_add_u32_e32 v66, s7, v66
	v_mov_b32_e32 v76, s5
	v_add_co_u32_e32 v74, vcc, s4, v74
	v_ashrrev_i32_e32 v67, 31, v66
	v_addc_co_u32_e32 v75, vcc, v76, v75, vcc
	v_lshlrev_b64 v[76:77], 3, v[66:67]
	v_add_u32_e32 v66, s7, v66
	v_mov_b32_e32 v78, s5
	v_add_co_u32_e32 v76, vcc, s4, v76
	v_ashrrev_i32_e32 v67, 31, v66
	v_addc_co_u32_e32 v77, vcc, v78, v77, vcc
	v_lshlrev_b64 v[78:79], 3, v[66:67]
	v_add_u32_e32 v66, s7, v66
	v_mov_b32_e32 v80, s5
	v_add_co_u32_e32 v78, vcc, s4, v78
	v_ashrrev_i32_e32 v67, 31, v66
	v_addc_co_u32_e32 v79, vcc, v80, v79, vcc
	v_lshlrev_b64 v[80:81], 3, v[66:67]
	v_add_u32_e32 v66, s7, v66
	v_mov_b32_e32 v116, s5
	v_add_co_u32_e32 v80, vcc, s4, v80
	v_ashrrev_i32_e32 v67, 31, v66
	v_addc_co_u32_e32 v81, vcc, v116, v81, vcc
	v_lshlrev_b64 v[66:67], 3, v[66:67]
	v_mov_b32_e32 v120, s5
	v_add_co_u32_e32 v66, vcc, s4, v66
	global_load_dwordx2 v[116:117], v[28:29], off
	global_load_dwordx2 v[118:119], v[30:31], off
	v_addc_co_u32_e32 v67, vcc, v120, v67, vcc
	global_load_dwordx2 v[120:121], v[32:33], off
	global_load_dwordx2 v[122:123], v[66:67], off
	s_waitcnt vmcnt(18)
	buffer_store_dword v87, off, s[0:3], 0 offset:4
	buffer_store_dword v86, off, s[0:3], 0
	global_load_dwordx2 v[86:87], v[34:35], off
	s_waitcnt vmcnt(19)
	buffer_store_dword v89, off, s[0:3], 0 offset:12
	buffer_store_dword v88, off, s[0:3], 0 offset:8
	global_load_dwordx2 v[88:89], v[36:37], off
	s_nop 0
	buffer_store_dword v91, off, s[0:3], 0 offset:20
	buffer_store_dword v90, off, s[0:3], 0 offset:16
	global_load_dwordx2 v[90:91], v[38:39], off
	s_waitcnt vmcnt(24)
	buffer_store_dword v93, off, s[0:3], 0 offset:28
	buffer_store_dword v92, off, s[0:3], 0 offset:24
	global_load_dwordx2 v[92:93], v[40:41], off
	s_waitcnt vmcnt(26)
	;; [unrolled: 4-line block ×3, first 2 shown]
	buffer_store_dword v97, off, s[0:3], 0 offset:44
	buffer_store_dword v96, off, s[0:3], 0 offset:40
	s_waitcnt vmcnt(29)
	buffer_store_dword v99, off, s[0:3], 0 offset:52
	buffer_store_dword v98, off, s[0:3], 0 offset:48
	s_waitcnt vmcnt(30)
	;; [unrolled: 3-line block ×3, first 2 shown]
	buffer_store_dword v103, off, s[0:3], 0 offset:68
	buffer_store_dword v102, off, s[0:3], 0 offset:64
	;; [unrolled: 1-line block ×6, first 2 shown]
	s_waitcnt vmcnt(34)
	buffer_store_dword v108, off, s[0:3], 0 offset:88
	buffer_store_dword v109, off, s[0:3], 0 offset:92
	s_waitcnt vmcnt(35)
	buffer_store_dword v110, off, s[0:3], 0 offset:96
	buffer_store_dword v111, off, s[0:3], 0 offset:100
	;; [unrolled: 3-line block ×3, first 2 shown]
	s_waitcnt vmcnt(37)
	buffer_store_dword v115, off, s[0:3], 0 offset:116
	global_load_dwordx2 v[96:97], v[44:45], off
	global_load_dwordx2 v[98:99], v[46:47], off
	global_load_dwordx2 v[100:101], v[48:49], off
	global_load_dwordx2 v[102:103], v[50:51], off
	global_load_dwordx2 v[104:105], v[52:53], off
	global_load_dwordx2 v[106:107], v[54:55], off
	global_load_dwordx2 v[108:109], v[56:57], off
	global_load_dwordx2 v[110:111], v[58:59], off
	global_load_dwordx2 v[112:113], v[60:61], off
	s_bitcmp0_b32 s20, 0
	buffer_store_dword v114, off, s[0:3], 0 offset:112
	global_load_dwordx2 v[114:115], v[64:65], off
	s_mov_b64 s[6:7], -1
	s_waitcnt vmcnt(48)
	buffer_store_dword v116, off, s[0:3], 0 offset:120
	buffer_store_dword v117, off, s[0:3], 0 offset:124
	global_load_dwordx2 v[116:117], v[70:71], off
	s_waitcnt vmcnt(50)
	buffer_store_dword v118, off, s[0:3], 0 offset:128
	buffer_store_dword v119, off, s[0:3], 0 offset:132
	s_waitcnt vmcnt(47)
	buffer_store_dword v86, off, s[0:3], 0 offset:144
	buffer_store_dword v87, off, s[0:3], 0 offset:148
	global_load_dwordx2 v[86:87], v[62:63], off
	s_nop 0
	global_load_dwordx2 v[118:119], v[74:75], off
	s_nop 0
	buffer_store_dword v120, off, s[0:3], 0 offset:136
	buffer_store_dword v121, off, s[0:3], 0 offset:140
	s_waitcnt vmcnt(50)
	buffer_store_dword v89, off, s[0:3], 0 offset:156
	buffer_store_dword v88, off, s[0:3], 0 offset:152
	global_load_dwordx2 v[88:89], v[68:69], off
	s_waitcnt vmcnt(50)
	buffer_store_dword v91, off, s[0:3], 0 offset:164
	buffer_store_dword v90, off, s[0:3], 0 offset:160
	global_load_dwordx2 v[90:91], v[72:73], off
	;; [unrolled: 4-line block ×3, first 2 shown]
	s_nop 0
	global_load_dwordx2 v[120:121], v[78:79], off
	s_waitcnt vmcnt(51)
	buffer_store_dword v94, off, s[0:3], 0 offset:176
	buffer_store_dword v95, off, s[0:3], 0 offset:180
	global_load_dwordx2 v[94:95], v[80:81], off
	s_waitcnt vmcnt(34)
	buffer_store_dword v96, off, s[0:3], 0 offset:184
	buffer_store_dword v97, off, s[0:3], 0 offset:188
	s_waitcnt vmcnt(35)
	buffer_store_dword v98, off, s[0:3], 0 offset:192
	buffer_store_dword v99, off, s[0:3], 0 offset:196
	;; [unrolled: 3-line block ×10, first 2 shown]
	buffer_store_dword v114, off, s[0:3], 0 offset:264
	buffer_store_dword v115, off, s[0:3], 0 offset:268
	s_waitcnt vmcnt(32)
	buffer_store_dword v88, off, s[0:3], 0 offset:272
	buffer_store_dword v89, off, s[0:3], 0 offset:276
	buffer_store_dword v116, off, s[0:3], 0 offset:280
	buffer_store_dword v117, off, s[0:3], 0 offset:284
	s_waitcnt vmcnt(33)
	buffer_store_dword v90, off, s[0:3], 0 offset:288
	buffer_store_dword v91, off, s[0:3], 0 offset:292
	buffer_store_dword v119, off, s[0:3], 0 offset:300
	buffer_store_dword v118, off, s[0:3], 0 offset:296
	s_waitcnt vmcnt(34)
	buffer_store_dword v93, off, s[0:3], 0 offset:308
	buffer_store_dword v92, off, s[0:3], 0 offset:304
	s_waitcnt vmcnt(35)
	buffer_store_dword v120, off, s[0:3], 0 offset:312
	buffer_store_dword v121, off, s[0:3], 0 offset:316
	s_waitcnt vmcnt(34)
	buffer_store_dword v94, off, s[0:3], 0 offset:320
	buffer_store_dword v95, off, s[0:3], 0 offset:324
	;; [unrolled: 1-line block ×4, first 2 shown]
	s_cbranch_scc1 .LBB105_174
; %bb.4:
	v_cmp_eq_u32_e64 s[4:5], 0, v0
	s_and_saveexec_b64 s[6:7], s[4:5]
	s_cbranch_execz .LBB105_6
; %bb.5:
	v_mov_b32_e32 v86, 0
	ds_write_b32 v86, v86 offset:672
.LBB105_6:
	s_or_b64 exec, exec, s[6:7]
	v_mov_b32_e32 v86, 0
	v_lshl_add_u32 v86, v0, 3, v86
	s_waitcnt lgkmcnt(0)
	; wave barrier
	s_waitcnt lgkmcnt(0)
	buffer_load_dword v88, v86, s[0:3], 0 offen
	buffer_load_dword v89, v86, s[0:3], 0 offen offset:4
	s_waitcnt vmcnt(0)
	v_cmp_eq_f64_e32 vcc, 0, v[88:89]
	s_and_saveexec_b64 s[12:13], vcc
	s_cbranch_execz .LBB105_10
; %bb.7:
	v_mov_b32_e32 v87, 0
	ds_read_b32 v89, v87 offset:672
	v_add_u32_e32 v88, 1, v0
	s_waitcnt lgkmcnt(0)
	v_readfirstlane_b32 s6, v89
	s_cmp_eq_u32 s6, 0
	s_cselect_b64 s[18:19], -1, 0
	v_cmp_gt_i32_e32 vcc, s6, v88
	s_or_b64 s[18:19], s[18:19], vcc
	s_and_b64 exec, exec, s[18:19]
	s_cbranch_execz .LBB105_10
; %bb.8:
	s_mov_b64 s[18:19], 0
	v_mov_b32_e32 v89, s6
.LBB105_9:                              ; =>This Inner Loop Header: Depth=1
	ds_cmpst_rtn_b32 v89, v87, v89, v88 offset:672
	s_waitcnt lgkmcnt(0)
	v_cmp_ne_u32_e32 vcc, 0, v89
	v_cmp_le_i32_e64 s[6:7], v89, v88
	s_and_b64 s[6:7], vcc, s[6:7]
	s_and_b64 s[6:7], exec, s[6:7]
	s_or_b64 s[18:19], s[6:7], s[18:19]
	s_andn2_b64 exec, exec, s[18:19]
	s_cbranch_execnz .LBB105_9
.LBB105_10:
	s_or_b64 exec, exec, s[12:13]
	v_mov_b32_e32 v88, 0
	s_waitcnt lgkmcnt(0)
	; wave barrier
	ds_read_b32 v87, v88 offset:672
	s_and_saveexec_b64 s[6:7], s[4:5]
	s_cbranch_execz .LBB105_12
; %bb.11:
	s_lshl_b64 s[12:13], s[8:9], 2
	s_add_u32 s12, s14, s12
	s_addc_u32 s13, s15, s13
	s_waitcnt lgkmcnt(0)
	global_store_dword v88, v87, s[12:13]
.LBB105_12:
	s_or_b64 exec, exec, s[6:7]
	s_waitcnt lgkmcnt(0)
	v_cmp_ne_u32_e32 vcc, 0, v87
	s_mov_b64 s[6:7], 0
	s_cbranch_vccnz .LBB105_174
; %bb.13:
	buffer_load_dword v88, v86, s[0:3], 0 offen
	buffer_load_dword v89, v86, s[0:3], 0 offen offset:4
	s_waitcnt vmcnt(0)
	v_div_scale_f64 v[90:91], s[6:7], v[88:89], v[88:89], 1.0
	v_rcp_f64_e32 v[92:93], v[90:91]
	v_div_scale_f64 v[94:95], vcc, 1.0, v[88:89], 1.0
	v_fma_f64 v[96:97], -v[90:91], v[92:93], 1.0
	v_fmac_f64_e32 v[92:93], v[92:93], v[96:97]
	v_fma_f64 v[96:97], -v[90:91], v[92:93], 1.0
	v_fmac_f64_e32 v[92:93], v[92:93], v[96:97]
	v_mul_f64 v[96:97], v[94:95], v[92:93]
	v_fma_f64 v[90:91], -v[90:91], v[96:97], v[94:95]
	v_div_fmas_f64 v[90:91], v[90:91], v[92:93], v[96:97]
	v_div_fixup_f64 v[90:91], v[90:91], v[88:89], 1.0
	buffer_store_dword v91, v86, s[0:3], 0 offen offset:4
	buffer_store_dword v90, v86, s[0:3], 0 offen
	buffer_load_dword v93, off, s[0:3], 0 offset:12
	buffer_load_dword v92, off, s[0:3], 0 offset:8
	v_add_u32_e32 v88, 0x150, v1
	v_xor_b32_e32 v91, 0x80000000, v91
	s_waitcnt vmcnt(0)
	ds_write2_b64 v1, v[90:91], v[92:93] offset1:42
	s_waitcnt lgkmcnt(0)
	; wave barrier
	s_waitcnt lgkmcnt(0)
	s_and_saveexec_b64 s[6:7], s[4:5]
	s_cbranch_execz .LBB105_15
; %bb.14:
	buffer_load_dword v90, v86, s[0:3], 0 offen
	buffer_load_dword v91, v86, s[0:3], 0 offen offset:4
	v_mov_b32_e32 v87, 0
	ds_read_b64 v[92:93], v88
	ds_read_b64 v[94:95], v87 offset:8
	s_waitcnt vmcnt(0) lgkmcnt(1)
	v_fma_f64 v[90:91], v[90:91], v[92:93], 0
	s_waitcnt lgkmcnt(0)
	v_mul_f64 v[90:91], v[90:91], v[94:95]
	buffer_store_dword v90, off, s[0:3], 0 offset:8
	buffer_store_dword v91, off, s[0:3], 0 offset:12
.LBB105_15:
	s_or_b64 exec, exec, s[6:7]
	s_waitcnt lgkmcnt(0)
	; wave barrier
	buffer_load_dword v90, off, s[0:3], 0 offset:16
	buffer_load_dword v91, off, s[0:3], 0 offset:20
	v_cmp_gt_u32_e32 vcc, 2, v0
	s_waitcnt vmcnt(0)
	ds_write_b64 v88, v[90:91]
	s_waitcnt lgkmcnt(0)
	; wave barrier
	s_waitcnt lgkmcnt(0)
	s_and_saveexec_b64 s[6:7], vcc
	s_cbranch_execz .LBB105_17
; %bb.16:
	buffer_load_dword v87, v86, s[0:3], 0 offen offset:4
	buffer_load_dword v94, off, s[0:3], 0 offset:8
	s_nop 0
	buffer_load_dword v86, v86, s[0:3], 0 offen
	s_nop 0
	buffer_load_dword v95, off, s[0:3], 0 offset:12
	ds_read_b64 v[96:97], v88
	v_mov_b32_e32 v89, 0
	ds_read2_b64 v[90:93], v89 offset0:2 offset1:43
	s_waitcnt vmcnt(1) lgkmcnt(1)
	v_fma_f64 v[86:87], v[86:87], v[96:97], 0
	s_waitcnt vmcnt(0) lgkmcnt(0)
	v_fma_f64 v[92:93], v[94:95], v[92:93], v[86:87]
	v_cndmask_b32_e64 v87, v87, v93, s[4:5]
	v_cndmask_b32_e64 v86, v86, v92, s[4:5]
	v_mul_f64 v[86:87], v[86:87], v[90:91]
	buffer_store_dword v87, off, s[0:3], 0 offset:20
	buffer_store_dword v86, off, s[0:3], 0 offset:16
.LBB105_17:
	s_or_b64 exec, exec, s[6:7]
	s_waitcnt lgkmcnt(0)
	; wave barrier
	buffer_load_dword v86, off, s[0:3], 0 offset:24
	buffer_load_dword v87, off, s[0:3], 0 offset:28
	v_cmp_gt_u32_e32 vcc, 3, v0
	v_add_u32_e32 v89, -1, v0
	s_waitcnt vmcnt(0)
	ds_write_b64 v88, v[86:87]
	s_waitcnt lgkmcnt(0)
	; wave barrier
	s_waitcnt lgkmcnt(0)
	s_and_saveexec_b64 s[4:5], vcc
	s_cbranch_execz .LBB105_21
; %bb.18:
	v_add_u32_e32 v90, -1, v0
	v_add_u32_e32 v91, 0x150, v1
	v_add_u32_e32 v92, 0, v1
	s_mov_b64 s[6:7], 0
	v_pk_mov_b32 v[86:87], 0, 0
.LBB105_19:                             ; =>This Inner Loop Header: Depth=1
	buffer_load_dword v94, v92, s[0:3], 0 offen
	buffer_load_dword v95, v92, s[0:3], 0 offen offset:4
	ds_read_b64 v[96:97], v91
	v_add_u32_e32 v90, 1, v90
	v_cmp_lt_u32_e32 vcc, 1, v90
	v_add_u32_e32 v91, 8, v91
	v_add_u32_e32 v92, 8, v92
	s_or_b64 s[6:7], vcc, s[6:7]
	s_waitcnt vmcnt(0) lgkmcnt(0)
	v_fmac_f64_e32 v[86:87], v[94:95], v[96:97]
	s_andn2_b64 exec, exec, s[6:7]
	s_cbranch_execnz .LBB105_19
; %bb.20:
	s_or_b64 exec, exec, s[6:7]
	v_mov_b32_e32 v90, 0
	ds_read_b64 v[90:91], v90 offset:24
	s_waitcnt lgkmcnt(0)
	v_mul_f64 v[86:87], v[86:87], v[90:91]
	buffer_store_dword v87, off, s[0:3], 0 offset:28
	buffer_store_dword v86, off, s[0:3], 0 offset:24
.LBB105_21:
	s_or_b64 exec, exec, s[4:5]
	s_waitcnt lgkmcnt(0)
	; wave barrier
	buffer_load_dword v86, off, s[0:3], 0 offset:32
	buffer_load_dword v87, off, s[0:3], 0 offset:36
	v_cmp_gt_u32_e32 vcc, 4, v0
	s_waitcnt vmcnt(0)
	ds_write_b64 v88, v[86:87]
	s_waitcnt lgkmcnt(0)
	; wave barrier
	s_waitcnt lgkmcnt(0)
	s_and_saveexec_b64 s[4:5], vcc
	s_cbranch_execz .LBB105_25
; %bb.22:
	v_add_u32_e32 v90, -1, v0
	v_add_u32_e32 v91, 0x150, v1
	v_add_u32_e32 v92, 0, v1
	s_mov_b64 s[6:7], 0
	v_pk_mov_b32 v[86:87], 0, 0
.LBB105_23:                             ; =>This Inner Loop Header: Depth=1
	buffer_load_dword v94, v92, s[0:3], 0 offen
	buffer_load_dword v95, v92, s[0:3], 0 offen offset:4
	ds_read_b64 v[96:97], v91
	v_add_u32_e32 v90, 1, v90
	v_cmp_lt_u32_e32 vcc, 2, v90
	v_add_u32_e32 v91, 8, v91
	v_add_u32_e32 v92, 8, v92
	s_or_b64 s[6:7], vcc, s[6:7]
	s_waitcnt vmcnt(0) lgkmcnt(0)
	v_fmac_f64_e32 v[86:87], v[94:95], v[96:97]
	s_andn2_b64 exec, exec, s[6:7]
	s_cbranch_execnz .LBB105_23
; %bb.24:
	s_or_b64 exec, exec, s[6:7]
	v_mov_b32_e32 v90, 0
	ds_read_b64 v[90:91], v90 offset:32
	s_waitcnt lgkmcnt(0)
	v_mul_f64 v[86:87], v[86:87], v[90:91]
	buffer_store_dword v87, off, s[0:3], 0 offset:36
	buffer_store_dword v86, off, s[0:3], 0 offset:32
.LBB105_25:
	s_or_b64 exec, exec, s[4:5]
	s_waitcnt lgkmcnt(0)
	; wave barrier
	buffer_load_dword v86, off, s[0:3], 0 offset:40
	buffer_load_dword v87, off, s[0:3], 0 offset:44
	v_cmp_gt_u32_e32 vcc, 5, v0
	;; [unrolled: 41-line block ×21, first 2 shown]
	s_waitcnt vmcnt(0)
	ds_write_b64 v88, v[86:87]
	s_waitcnt lgkmcnt(0)
	; wave barrier
	s_waitcnt lgkmcnt(0)
	s_and_saveexec_b64 s[4:5], vcc
	s_cbranch_execz .LBB105_105
; %bb.102:
	v_add_u32_e32 v90, -1, v0
	v_add_u32_e32 v91, 0x150, v1
	v_add_u32_e32 v92, 0, v1
	s_mov_b64 s[6:7], 0
	v_pk_mov_b32 v[86:87], 0, 0
.LBB105_103:                            ; =>This Inner Loop Header: Depth=1
	buffer_load_dword v94, v92, s[0:3], 0 offen
	buffer_load_dword v95, v92, s[0:3], 0 offen offset:4
	ds_read_b64 v[96:97], v91
	v_add_u32_e32 v90, 1, v90
	v_cmp_lt_u32_e32 vcc, 22, v90
	v_add_u32_e32 v91, 8, v91
	v_add_u32_e32 v92, 8, v92
	s_or_b64 s[6:7], vcc, s[6:7]
	s_waitcnt vmcnt(0) lgkmcnt(0)
	v_fmac_f64_e32 v[86:87], v[94:95], v[96:97]
	s_andn2_b64 exec, exec, s[6:7]
	s_cbranch_execnz .LBB105_103
; %bb.104:
	s_or_b64 exec, exec, s[6:7]
	v_mov_b32_e32 v90, 0
	ds_read_b64 v[90:91], v90 offset:192
	s_waitcnt lgkmcnt(0)
	v_mul_f64 v[86:87], v[86:87], v[90:91]
	buffer_store_dword v87, off, s[0:3], 0 offset:196
	buffer_store_dword v86, off, s[0:3], 0 offset:192
.LBB105_105:
	s_or_b64 exec, exec, s[4:5]
	s_waitcnt lgkmcnt(0)
	; wave barrier
	buffer_load_dword v86, off, s[0:3], 0 offset:200
	buffer_load_dword v87, off, s[0:3], 0 offset:204
	v_cmp_gt_u32_e32 vcc, 25, v0
	s_waitcnt vmcnt(0)
	ds_write_b64 v88, v[86:87]
	s_waitcnt lgkmcnt(0)
	; wave barrier
	s_waitcnt lgkmcnt(0)
	s_and_saveexec_b64 s[4:5], vcc
	s_cbranch_execz .LBB105_109
; %bb.106:
	v_add_u32_e32 v90, -1, v0
	v_add_u32_e32 v91, 0x150, v1
	v_add_u32_e32 v92, 0, v1
	s_mov_b64 s[6:7], 0
	v_pk_mov_b32 v[86:87], 0, 0
.LBB105_107:                            ; =>This Inner Loop Header: Depth=1
	buffer_load_dword v94, v92, s[0:3], 0 offen
	buffer_load_dword v95, v92, s[0:3], 0 offen offset:4
	ds_read_b64 v[96:97], v91
	v_add_u32_e32 v90, 1, v90
	v_cmp_lt_u32_e32 vcc, 23, v90
	v_add_u32_e32 v91, 8, v91
	v_add_u32_e32 v92, 8, v92
	s_or_b64 s[6:7], vcc, s[6:7]
	s_waitcnt vmcnt(0) lgkmcnt(0)
	v_fmac_f64_e32 v[86:87], v[94:95], v[96:97]
	s_andn2_b64 exec, exec, s[6:7]
	s_cbranch_execnz .LBB105_107
; %bb.108:
	s_or_b64 exec, exec, s[6:7]
	v_mov_b32_e32 v90, 0
	ds_read_b64 v[90:91], v90 offset:200
	s_waitcnt lgkmcnt(0)
	v_mul_f64 v[86:87], v[86:87], v[90:91]
	buffer_store_dword v87, off, s[0:3], 0 offset:204
	buffer_store_dword v86, off, s[0:3], 0 offset:200
.LBB105_109:
	s_or_b64 exec, exec, s[4:5]
	s_waitcnt lgkmcnt(0)
	; wave barrier
	buffer_load_dword v86, off, s[0:3], 0 offset:208
	buffer_load_dword v87, off, s[0:3], 0 offset:212
	v_cmp_gt_u32_e32 vcc, 26, v0
	s_waitcnt vmcnt(0)
	ds_write_b64 v88, v[86:87]
	s_waitcnt lgkmcnt(0)
	; wave barrier
	s_waitcnt lgkmcnt(0)
	s_and_saveexec_b64 s[4:5], vcc
	s_cbranch_execz .LBB105_113
; %bb.110:
	v_add_u32_e32 v90, -1, v0
	v_add_u32_e32 v91, 0x150, v1
	v_add_u32_e32 v92, 0, v1
	s_mov_b64 s[6:7], 0
	v_pk_mov_b32 v[86:87], 0, 0
.LBB105_111:                            ; =>This Inner Loop Header: Depth=1
	buffer_load_dword v94, v92, s[0:3], 0 offen
	buffer_load_dword v95, v92, s[0:3], 0 offen offset:4
	ds_read_b64 v[96:97], v91
	v_add_u32_e32 v90, 1, v90
	v_cmp_lt_u32_e32 vcc, 24, v90
	v_add_u32_e32 v91, 8, v91
	v_add_u32_e32 v92, 8, v92
	s_or_b64 s[6:7], vcc, s[6:7]
	s_waitcnt vmcnt(0) lgkmcnt(0)
	v_fmac_f64_e32 v[86:87], v[94:95], v[96:97]
	s_andn2_b64 exec, exec, s[6:7]
	s_cbranch_execnz .LBB105_111
; %bb.112:
	s_or_b64 exec, exec, s[6:7]
	v_mov_b32_e32 v90, 0
	ds_read_b64 v[90:91], v90 offset:208
	s_waitcnt lgkmcnt(0)
	v_mul_f64 v[86:87], v[86:87], v[90:91]
	buffer_store_dword v87, off, s[0:3], 0 offset:212
	buffer_store_dword v86, off, s[0:3], 0 offset:208
.LBB105_113:
	s_or_b64 exec, exec, s[4:5]
	s_waitcnt lgkmcnt(0)
	; wave barrier
	buffer_load_dword v86, off, s[0:3], 0 offset:216
	buffer_load_dword v87, off, s[0:3], 0 offset:220
	v_cmp_gt_u32_e32 vcc, 27, v0
	s_waitcnt vmcnt(0)
	ds_write_b64 v88, v[86:87]
	s_waitcnt lgkmcnt(0)
	; wave barrier
	s_waitcnt lgkmcnt(0)
	s_and_saveexec_b64 s[4:5], vcc
	s_cbranch_execz .LBB105_117
; %bb.114:
	v_add_u32_e32 v90, -1, v0
	v_add_u32_e32 v91, 0x150, v1
	v_add_u32_e32 v92, 0, v1
	s_mov_b64 s[6:7], 0
	v_pk_mov_b32 v[86:87], 0, 0
.LBB105_115:                            ; =>This Inner Loop Header: Depth=1
	buffer_load_dword v94, v92, s[0:3], 0 offen
	buffer_load_dword v95, v92, s[0:3], 0 offen offset:4
	ds_read_b64 v[96:97], v91
	v_add_u32_e32 v90, 1, v90
	v_cmp_lt_u32_e32 vcc, 25, v90
	v_add_u32_e32 v91, 8, v91
	v_add_u32_e32 v92, 8, v92
	s_or_b64 s[6:7], vcc, s[6:7]
	s_waitcnt vmcnt(0) lgkmcnt(0)
	v_fmac_f64_e32 v[86:87], v[94:95], v[96:97]
	s_andn2_b64 exec, exec, s[6:7]
	s_cbranch_execnz .LBB105_115
; %bb.116:
	s_or_b64 exec, exec, s[6:7]
	v_mov_b32_e32 v90, 0
	ds_read_b64 v[90:91], v90 offset:216
	s_waitcnt lgkmcnt(0)
	v_mul_f64 v[86:87], v[86:87], v[90:91]
	buffer_store_dword v87, off, s[0:3], 0 offset:220
	buffer_store_dword v86, off, s[0:3], 0 offset:216
.LBB105_117:
	s_or_b64 exec, exec, s[4:5]
	s_waitcnt lgkmcnt(0)
	; wave barrier
	buffer_load_dword v86, off, s[0:3], 0 offset:224
	buffer_load_dword v87, off, s[0:3], 0 offset:228
	v_cmp_gt_u32_e32 vcc, 28, v0
	s_waitcnt vmcnt(0)
	ds_write_b64 v88, v[86:87]
	s_waitcnt lgkmcnt(0)
	; wave barrier
	s_waitcnt lgkmcnt(0)
	s_and_saveexec_b64 s[4:5], vcc
	s_cbranch_execz .LBB105_121
; %bb.118:
	v_add_u32_e32 v90, -1, v0
	v_add_u32_e32 v91, 0x150, v1
	v_add_u32_e32 v92, 0, v1
	s_mov_b64 s[6:7], 0
	v_pk_mov_b32 v[86:87], 0, 0
.LBB105_119:                            ; =>This Inner Loop Header: Depth=1
	buffer_load_dword v94, v92, s[0:3], 0 offen
	buffer_load_dword v95, v92, s[0:3], 0 offen offset:4
	ds_read_b64 v[96:97], v91
	v_add_u32_e32 v90, 1, v90
	v_cmp_lt_u32_e32 vcc, 26, v90
	v_add_u32_e32 v91, 8, v91
	v_add_u32_e32 v92, 8, v92
	s_or_b64 s[6:7], vcc, s[6:7]
	s_waitcnt vmcnt(0) lgkmcnt(0)
	v_fmac_f64_e32 v[86:87], v[94:95], v[96:97]
	s_andn2_b64 exec, exec, s[6:7]
	s_cbranch_execnz .LBB105_119
; %bb.120:
	s_or_b64 exec, exec, s[6:7]
	v_mov_b32_e32 v90, 0
	ds_read_b64 v[90:91], v90 offset:224
	s_waitcnt lgkmcnt(0)
	v_mul_f64 v[86:87], v[86:87], v[90:91]
	buffer_store_dword v87, off, s[0:3], 0 offset:228
	buffer_store_dword v86, off, s[0:3], 0 offset:224
.LBB105_121:
	s_or_b64 exec, exec, s[4:5]
	s_waitcnt lgkmcnt(0)
	; wave barrier
	buffer_load_dword v86, off, s[0:3], 0 offset:232
	buffer_load_dword v87, off, s[0:3], 0 offset:236
	v_cmp_gt_u32_e32 vcc, 29, v0
	s_waitcnt vmcnt(0)
	ds_write_b64 v88, v[86:87]
	s_waitcnt lgkmcnt(0)
	; wave barrier
	s_waitcnt lgkmcnt(0)
	s_and_saveexec_b64 s[4:5], vcc
	s_cbranch_execz .LBB105_125
; %bb.122:
	v_add_u32_e32 v90, -1, v0
	v_add_u32_e32 v91, 0x150, v1
	v_add_u32_e32 v92, 0, v1
	s_mov_b64 s[6:7], 0
	v_pk_mov_b32 v[86:87], 0, 0
.LBB105_123:                            ; =>This Inner Loop Header: Depth=1
	buffer_load_dword v94, v92, s[0:3], 0 offen
	buffer_load_dword v95, v92, s[0:3], 0 offen offset:4
	ds_read_b64 v[96:97], v91
	v_add_u32_e32 v90, 1, v90
	v_cmp_lt_u32_e32 vcc, 27, v90
	v_add_u32_e32 v91, 8, v91
	v_add_u32_e32 v92, 8, v92
	s_or_b64 s[6:7], vcc, s[6:7]
	s_waitcnt vmcnt(0) lgkmcnt(0)
	v_fmac_f64_e32 v[86:87], v[94:95], v[96:97]
	s_andn2_b64 exec, exec, s[6:7]
	s_cbranch_execnz .LBB105_123
; %bb.124:
	s_or_b64 exec, exec, s[6:7]
	v_mov_b32_e32 v90, 0
	ds_read_b64 v[90:91], v90 offset:232
	s_waitcnt lgkmcnt(0)
	v_mul_f64 v[86:87], v[86:87], v[90:91]
	buffer_store_dword v87, off, s[0:3], 0 offset:236
	buffer_store_dword v86, off, s[0:3], 0 offset:232
.LBB105_125:
	s_or_b64 exec, exec, s[4:5]
	s_waitcnt lgkmcnt(0)
	; wave barrier
	buffer_load_dword v86, off, s[0:3], 0 offset:240
	buffer_load_dword v87, off, s[0:3], 0 offset:244
	v_cmp_gt_u32_e32 vcc, 30, v0
	s_waitcnt vmcnt(0)
	ds_write_b64 v88, v[86:87]
	s_waitcnt lgkmcnt(0)
	; wave barrier
	s_waitcnt lgkmcnt(0)
	s_and_saveexec_b64 s[4:5], vcc
	s_cbranch_execz .LBB105_129
; %bb.126:
	v_add_u32_e32 v90, -1, v0
	v_add_u32_e32 v91, 0x150, v1
	v_add_u32_e32 v92, 0, v1
	s_mov_b64 s[6:7], 0
	v_pk_mov_b32 v[86:87], 0, 0
.LBB105_127:                            ; =>This Inner Loop Header: Depth=1
	buffer_load_dword v94, v92, s[0:3], 0 offen
	buffer_load_dword v95, v92, s[0:3], 0 offen offset:4
	ds_read_b64 v[96:97], v91
	v_add_u32_e32 v90, 1, v90
	v_cmp_lt_u32_e32 vcc, 28, v90
	v_add_u32_e32 v91, 8, v91
	v_add_u32_e32 v92, 8, v92
	s_or_b64 s[6:7], vcc, s[6:7]
	s_waitcnt vmcnt(0) lgkmcnt(0)
	v_fmac_f64_e32 v[86:87], v[94:95], v[96:97]
	s_andn2_b64 exec, exec, s[6:7]
	s_cbranch_execnz .LBB105_127
; %bb.128:
	s_or_b64 exec, exec, s[6:7]
	v_mov_b32_e32 v90, 0
	ds_read_b64 v[90:91], v90 offset:240
	s_waitcnt lgkmcnt(0)
	v_mul_f64 v[86:87], v[86:87], v[90:91]
	buffer_store_dword v87, off, s[0:3], 0 offset:244
	buffer_store_dword v86, off, s[0:3], 0 offset:240
.LBB105_129:
	s_or_b64 exec, exec, s[4:5]
	s_waitcnt lgkmcnt(0)
	; wave barrier
	buffer_load_dword v86, off, s[0:3], 0 offset:248
	buffer_load_dword v87, off, s[0:3], 0 offset:252
	v_cmp_gt_u32_e32 vcc, 31, v0
	s_waitcnt vmcnt(0)
	ds_write_b64 v88, v[86:87]
	s_waitcnt lgkmcnt(0)
	; wave barrier
	s_waitcnt lgkmcnt(0)
	s_and_saveexec_b64 s[4:5], vcc
	s_cbranch_execz .LBB105_133
; %bb.130:
	v_add_u32_e32 v90, -1, v0
	v_add_u32_e32 v91, 0x150, v1
	v_add_u32_e32 v92, 0, v1
	s_mov_b64 s[6:7], 0
	v_pk_mov_b32 v[86:87], 0, 0
.LBB105_131:                            ; =>This Inner Loop Header: Depth=1
	buffer_load_dword v94, v92, s[0:3], 0 offen
	buffer_load_dword v95, v92, s[0:3], 0 offen offset:4
	ds_read_b64 v[96:97], v91
	v_add_u32_e32 v90, 1, v90
	v_cmp_lt_u32_e32 vcc, 29, v90
	v_add_u32_e32 v91, 8, v91
	v_add_u32_e32 v92, 8, v92
	s_or_b64 s[6:7], vcc, s[6:7]
	s_waitcnt vmcnt(0) lgkmcnt(0)
	v_fmac_f64_e32 v[86:87], v[94:95], v[96:97]
	s_andn2_b64 exec, exec, s[6:7]
	s_cbranch_execnz .LBB105_131
; %bb.132:
	s_or_b64 exec, exec, s[6:7]
	v_mov_b32_e32 v90, 0
	ds_read_b64 v[90:91], v90 offset:248
	s_waitcnt lgkmcnt(0)
	v_mul_f64 v[86:87], v[86:87], v[90:91]
	buffer_store_dword v87, off, s[0:3], 0 offset:252
	buffer_store_dword v86, off, s[0:3], 0 offset:248
.LBB105_133:
	s_or_b64 exec, exec, s[4:5]
	s_waitcnt lgkmcnt(0)
	; wave barrier
	buffer_load_dword v86, off, s[0:3], 0 offset:256
	buffer_load_dword v87, off, s[0:3], 0 offset:260
	v_cmp_gt_u32_e32 vcc, 32, v0
	s_waitcnt vmcnt(0)
	ds_write_b64 v88, v[86:87]
	s_waitcnt lgkmcnt(0)
	; wave barrier
	s_waitcnt lgkmcnt(0)
	s_and_saveexec_b64 s[4:5], vcc
	s_cbranch_execz .LBB105_137
; %bb.134:
	v_add_u32_e32 v90, -1, v0
	v_add_u32_e32 v91, 0x150, v1
	v_add_u32_e32 v92, 0, v1
	s_mov_b64 s[6:7], 0
	v_pk_mov_b32 v[86:87], 0, 0
.LBB105_135:                            ; =>This Inner Loop Header: Depth=1
	buffer_load_dword v94, v92, s[0:3], 0 offen
	buffer_load_dword v95, v92, s[0:3], 0 offen offset:4
	ds_read_b64 v[96:97], v91
	v_add_u32_e32 v90, 1, v90
	v_cmp_lt_u32_e32 vcc, 30, v90
	v_add_u32_e32 v91, 8, v91
	v_add_u32_e32 v92, 8, v92
	s_or_b64 s[6:7], vcc, s[6:7]
	s_waitcnt vmcnt(0) lgkmcnt(0)
	v_fmac_f64_e32 v[86:87], v[94:95], v[96:97]
	s_andn2_b64 exec, exec, s[6:7]
	s_cbranch_execnz .LBB105_135
; %bb.136:
	s_or_b64 exec, exec, s[6:7]
	v_mov_b32_e32 v90, 0
	ds_read_b64 v[90:91], v90 offset:256
	s_waitcnt lgkmcnt(0)
	v_mul_f64 v[86:87], v[86:87], v[90:91]
	buffer_store_dword v87, off, s[0:3], 0 offset:260
	buffer_store_dword v86, off, s[0:3], 0 offset:256
.LBB105_137:
	s_or_b64 exec, exec, s[4:5]
	s_waitcnt lgkmcnt(0)
	; wave barrier
	buffer_load_dword v86, off, s[0:3], 0 offset:264
	buffer_load_dword v87, off, s[0:3], 0 offset:268
	v_cmp_gt_u32_e32 vcc, 33, v0
	s_waitcnt vmcnt(0)
	ds_write_b64 v88, v[86:87]
	s_waitcnt lgkmcnt(0)
	; wave barrier
	s_waitcnt lgkmcnt(0)
	s_and_saveexec_b64 s[4:5], vcc
	s_cbranch_execz .LBB105_141
; %bb.138:
	v_add_u32_e32 v90, -1, v0
	v_add_u32_e32 v91, 0x150, v1
	v_add_u32_e32 v92, 0, v1
	s_mov_b64 s[6:7], 0
	v_pk_mov_b32 v[86:87], 0, 0
.LBB105_139:                            ; =>This Inner Loop Header: Depth=1
	buffer_load_dword v94, v92, s[0:3], 0 offen
	buffer_load_dword v95, v92, s[0:3], 0 offen offset:4
	ds_read_b64 v[96:97], v91
	v_add_u32_e32 v90, 1, v90
	v_cmp_lt_u32_e32 vcc, 31, v90
	v_add_u32_e32 v91, 8, v91
	v_add_u32_e32 v92, 8, v92
	s_or_b64 s[6:7], vcc, s[6:7]
	s_waitcnt vmcnt(0) lgkmcnt(0)
	v_fmac_f64_e32 v[86:87], v[94:95], v[96:97]
	s_andn2_b64 exec, exec, s[6:7]
	s_cbranch_execnz .LBB105_139
; %bb.140:
	s_or_b64 exec, exec, s[6:7]
	v_mov_b32_e32 v90, 0
	ds_read_b64 v[90:91], v90 offset:264
	s_waitcnt lgkmcnt(0)
	v_mul_f64 v[86:87], v[86:87], v[90:91]
	buffer_store_dword v87, off, s[0:3], 0 offset:268
	buffer_store_dword v86, off, s[0:3], 0 offset:264
.LBB105_141:
	s_or_b64 exec, exec, s[4:5]
	s_waitcnt lgkmcnt(0)
	; wave barrier
	buffer_load_dword v86, off, s[0:3], 0 offset:272
	buffer_load_dword v87, off, s[0:3], 0 offset:276
	v_cmp_gt_u32_e32 vcc, 34, v0
	s_waitcnt vmcnt(0)
	ds_write_b64 v88, v[86:87]
	s_waitcnt lgkmcnt(0)
	; wave barrier
	s_waitcnt lgkmcnt(0)
	s_and_saveexec_b64 s[4:5], vcc
	s_cbranch_execz .LBB105_145
; %bb.142:
	v_add_u32_e32 v90, -1, v0
	v_add_u32_e32 v91, 0x150, v1
	v_add_u32_e32 v92, 0, v1
	s_mov_b64 s[6:7], 0
	v_pk_mov_b32 v[86:87], 0, 0
.LBB105_143:                            ; =>This Inner Loop Header: Depth=1
	buffer_load_dword v94, v92, s[0:3], 0 offen
	buffer_load_dword v95, v92, s[0:3], 0 offen offset:4
	ds_read_b64 v[96:97], v91
	v_add_u32_e32 v90, 1, v90
	v_cmp_lt_u32_e32 vcc, 32, v90
	v_add_u32_e32 v91, 8, v91
	v_add_u32_e32 v92, 8, v92
	s_or_b64 s[6:7], vcc, s[6:7]
	s_waitcnt vmcnt(0) lgkmcnt(0)
	v_fmac_f64_e32 v[86:87], v[94:95], v[96:97]
	s_andn2_b64 exec, exec, s[6:7]
	s_cbranch_execnz .LBB105_143
; %bb.144:
	s_or_b64 exec, exec, s[6:7]
	v_mov_b32_e32 v90, 0
	ds_read_b64 v[90:91], v90 offset:272
	s_waitcnt lgkmcnt(0)
	v_mul_f64 v[86:87], v[86:87], v[90:91]
	buffer_store_dword v87, off, s[0:3], 0 offset:276
	buffer_store_dword v86, off, s[0:3], 0 offset:272
.LBB105_145:
	s_or_b64 exec, exec, s[4:5]
	s_waitcnt lgkmcnt(0)
	; wave barrier
	buffer_load_dword v86, off, s[0:3], 0 offset:280
	buffer_load_dword v87, off, s[0:3], 0 offset:284
	v_cmp_gt_u32_e32 vcc, 35, v0
	s_waitcnt vmcnt(0)
	ds_write_b64 v88, v[86:87]
	s_waitcnt lgkmcnt(0)
	; wave barrier
	s_waitcnt lgkmcnt(0)
	s_and_saveexec_b64 s[4:5], vcc
	s_cbranch_execz .LBB105_149
; %bb.146:
	v_add_u32_e32 v90, -1, v0
	v_add_u32_e32 v91, 0x150, v1
	v_add_u32_e32 v92, 0, v1
	s_mov_b64 s[6:7], 0
	v_pk_mov_b32 v[86:87], 0, 0
.LBB105_147:                            ; =>This Inner Loop Header: Depth=1
	buffer_load_dword v94, v92, s[0:3], 0 offen
	buffer_load_dword v95, v92, s[0:3], 0 offen offset:4
	ds_read_b64 v[96:97], v91
	v_add_u32_e32 v90, 1, v90
	v_cmp_lt_u32_e32 vcc, 33, v90
	v_add_u32_e32 v91, 8, v91
	v_add_u32_e32 v92, 8, v92
	s_or_b64 s[6:7], vcc, s[6:7]
	s_waitcnt vmcnt(0) lgkmcnt(0)
	v_fmac_f64_e32 v[86:87], v[94:95], v[96:97]
	s_andn2_b64 exec, exec, s[6:7]
	s_cbranch_execnz .LBB105_147
; %bb.148:
	s_or_b64 exec, exec, s[6:7]
	v_mov_b32_e32 v90, 0
	ds_read_b64 v[90:91], v90 offset:280
	s_waitcnt lgkmcnt(0)
	v_mul_f64 v[86:87], v[86:87], v[90:91]
	buffer_store_dword v87, off, s[0:3], 0 offset:284
	buffer_store_dword v86, off, s[0:3], 0 offset:280
.LBB105_149:
	s_or_b64 exec, exec, s[4:5]
	s_waitcnt lgkmcnt(0)
	; wave barrier
	buffer_load_dword v86, off, s[0:3], 0 offset:288
	buffer_load_dword v87, off, s[0:3], 0 offset:292
	v_cmp_gt_u32_e32 vcc, 36, v0
	s_waitcnt vmcnt(0)
	ds_write_b64 v88, v[86:87]
	s_waitcnt lgkmcnt(0)
	; wave barrier
	s_waitcnt lgkmcnt(0)
	s_and_saveexec_b64 s[4:5], vcc
	s_cbranch_execz .LBB105_153
; %bb.150:
	v_add_u32_e32 v90, -1, v0
	v_add_u32_e32 v91, 0x150, v1
	v_add_u32_e32 v92, 0, v1
	s_mov_b64 s[6:7], 0
	v_pk_mov_b32 v[86:87], 0, 0
.LBB105_151:                            ; =>This Inner Loop Header: Depth=1
	buffer_load_dword v94, v92, s[0:3], 0 offen
	buffer_load_dword v95, v92, s[0:3], 0 offen offset:4
	ds_read_b64 v[96:97], v91
	v_add_u32_e32 v90, 1, v90
	v_cmp_lt_u32_e32 vcc, 34, v90
	v_add_u32_e32 v91, 8, v91
	v_add_u32_e32 v92, 8, v92
	s_or_b64 s[6:7], vcc, s[6:7]
	s_waitcnt vmcnt(0) lgkmcnt(0)
	v_fmac_f64_e32 v[86:87], v[94:95], v[96:97]
	s_andn2_b64 exec, exec, s[6:7]
	s_cbranch_execnz .LBB105_151
; %bb.152:
	s_or_b64 exec, exec, s[6:7]
	v_mov_b32_e32 v90, 0
	ds_read_b64 v[90:91], v90 offset:288
	s_waitcnt lgkmcnt(0)
	v_mul_f64 v[86:87], v[86:87], v[90:91]
	buffer_store_dword v87, off, s[0:3], 0 offset:292
	buffer_store_dword v86, off, s[0:3], 0 offset:288
.LBB105_153:
	s_or_b64 exec, exec, s[4:5]
	s_waitcnt lgkmcnt(0)
	; wave barrier
	buffer_load_dword v86, off, s[0:3], 0 offset:296
	buffer_load_dword v87, off, s[0:3], 0 offset:300
	v_cmp_gt_u32_e32 vcc, 37, v0
	s_waitcnt vmcnt(0)
	ds_write_b64 v88, v[86:87]
	s_waitcnt lgkmcnt(0)
	; wave barrier
	s_waitcnt lgkmcnt(0)
	s_and_saveexec_b64 s[4:5], vcc
	s_cbranch_execz .LBB105_157
; %bb.154:
	v_add_u32_e32 v90, -1, v0
	v_add_u32_e32 v91, 0x150, v1
	v_add_u32_e32 v92, 0, v1
	s_mov_b64 s[6:7], 0
	v_pk_mov_b32 v[86:87], 0, 0
.LBB105_155:                            ; =>This Inner Loop Header: Depth=1
	buffer_load_dword v94, v92, s[0:3], 0 offen
	buffer_load_dword v95, v92, s[0:3], 0 offen offset:4
	ds_read_b64 v[96:97], v91
	v_add_u32_e32 v90, 1, v90
	v_cmp_lt_u32_e32 vcc, 35, v90
	v_add_u32_e32 v91, 8, v91
	v_add_u32_e32 v92, 8, v92
	s_or_b64 s[6:7], vcc, s[6:7]
	s_waitcnt vmcnt(0) lgkmcnt(0)
	v_fmac_f64_e32 v[86:87], v[94:95], v[96:97]
	s_andn2_b64 exec, exec, s[6:7]
	s_cbranch_execnz .LBB105_155
; %bb.156:
	s_or_b64 exec, exec, s[6:7]
	v_mov_b32_e32 v90, 0
	ds_read_b64 v[90:91], v90 offset:296
	s_waitcnt lgkmcnt(0)
	v_mul_f64 v[86:87], v[86:87], v[90:91]
	buffer_store_dword v87, off, s[0:3], 0 offset:300
	buffer_store_dword v86, off, s[0:3], 0 offset:296
.LBB105_157:
	s_or_b64 exec, exec, s[4:5]
	s_waitcnt lgkmcnt(0)
	; wave barrier
	buffer_load_dword v86, off, s[0:3], 0 offset:304
	buffer_load_dword v87, off, s[0:3], 0 offset:308
	v_cmp_gt_u32_e32 vcc, 38, v0
	s_waitcnt vmcnt(0)
	ds_write_b64 v88, v[86:87]
	s_waitcnt lgkmcnt(0)
	; wave barrier
	s_waitcnt lgkmcnt(0)
	s_and_saveexec_b64 s[4:5], vcc
	s_cbranch_execz .LBB105_161
; %bb.158:
	v_add_u32_e32 v90, -1, v0
	v_add_u32_e32 v91, 0x150, v1
	v_add_u32_e32 v92, 0, v1
	s_mov_b64 s[6:7], 0
	v_pk_mov_b32 v[86:87], 0, 0
.LBB105_159:                            ; =>This Inner Loop Header: Depth=1
	buffer_load_dword v94, v92, s[0:3], 0 offen
	buffer_load_dword v95, v92, s[0:3], 0 offen offset:4
	ds_read_b64 v[96:97], v91
	v_add_u32_e32 v90, 1, v90
	v_cmp_lt_u32_e32 vcc, 36, v90
	v_add_u32_e32 v91, 8, v91
	v_add_u32_e32 v92, 8, v92
	s_or_b64 s[6:7], vcc, s[6:7]
	s_waitcnt vmcnt(0) lgkmcnt(0)
	v_fmac_f64_e32 v[86:87], v[94:95], v[96:97]
	s_andn2_b64 exec, exec, s[6:7]
	s_cbranch_execnz .LBB105_159
; %bb.160:
	s_or_b64 exec, exec, s[6:7]
	v_mov_b32_e32 v90, 0
	ds_read_b64 v[90:91], v90 offset:304
	s_waitcnt lgkmcnt(0)
	v_mul_f64 v[86:87], v[86:87], v[90:91]
	buffer_store_dword v87, off, s[0:3], 0 offset:308
	buffer_store_dword v86, off, s[0:3], 0 offset:304
.LBB105_161:
	s_or_b64 exec, exec, s[4:5]
	s_waitcnt lgkmcnt(0)
	; wave barrier
	buffer_load_dword v86, off, s[0:3], 0 offset:312
	buffer_load_dword v87, off, s[0:3], 0 offset:316
	v_cmp_gt_u32_e32 vcc, 39, v0
	s_waitcnt vmcnt(0)
	ds_write_b64 v88, v[86:87]
	s_waitcnt lgkmcnt(0)
	; wave barrier
	s_waitcnt lgkmcnt(0)
	s_and_saveexec_b64 s[4:5], vcc
	s_cbranch_execz .LBB105_165
; %bb.162:
	v_add_u32_e32 v90, -1, v0
	v_add_u32_e32 v91, 0x150, v1
	v_add_u32_e32 v92, 0, v1
	s_mov_b64 s[6:7], 0
	v_pk_mov_b32 v[86:87], 0, 0
.LBB105_163:                            ; =>This Inner Loop Header: Depth=1
	buffer_load_dword v94, v92, s[0:3], 0 offen
	buffer_load_dword v95, v92, s[0:3], 0 offen offset:4
	ds_read_b64 v[96:97], v91
	v_add_u32_e32 v90, 1, v90
	v_cmp_lt_u32_e32 vcc, 37, v90
	v_add_u32_e32 v91, 8, v91
	v_add_u32_e32 v92, 8, v92
	s_or_b64 s[6:7], vcc, s[6:7]
	s_waitcnt vmcnt(0) lgkmcnt(0)
	v_fmac_f64_e32 v[86:87], v[94:95], v[96:97]
	s_andn2_b64 exec, exec, s[6:7]
	s_cbranch_execnz .LBB105_163
; %bb.164:
	s_or_b64 exec, exec, s[6:7]
	v_mov_b32_e32 v90, 0
	ds_read_b64 v[90:91], v90 offset:312
	s_waitcnt lgkmcnt(0)
	v_mul_f64 v[86:87], v[86:87], v[90:91]
	buffer_store_dword v87, off, s[0:3], 0 offset:316
	buffer_store_dword v86, off, s[0:3], 0 offset:312
.LBB105_165:
	s_or_b64 exec, exec, s[4:5]
	s_waitcnt lgkmcnt(0)
	; wave barrier
	buffer_load_dword v86, off, s[0:3], 0 offset:320
	buffer_load_dword v87, off, s[0:3], 0 offset:324
	v_cmp_gt_u32_e32 vcc, 40, v0
	s_waitcnt vmcnt(0)
	ds_write_b64 v88, v[86:87]
	s_waitcnt lgkmcnt(0)
	; wave barrier
	s_waitcnt lgkmcnt(0)
	s_and_saveexec_b64 s[4:5], vcc
	s_cbranch_execz .LBB105_169
; %bb.166:
	v_add_u32_e32 v90, -1, v0
	v_add_u32_e32 v91, 0x150, v1
	v_add_u32_e32 v92, 0, v1
	s_mov_b64 s[6:7], 0
	v_pk_mov_b32 v[86:87], 0, 0
.LBB105_167:                            ; =>This Inner Loop Header: Depth=1
	buffer_load_dword v94, v92, s[0:3], 0 offen
	buffer_load_dword v95, v92, s[0:3], 0 offen offset:4
	ds_read_b64 v[96:97], v91
	v_add_u32_e32 v90, 1, v90
	v_cmp_lt_u32_e32 vcc, 38, v90
	v_add_u32_e32 v91, 8, v91
	v_add_u32_e32 v92, 8, v92
	s_or_b64 s[6:7], vcc, s[6:7]
	s_waitcnt vmcnt(0) lgkmcnt(0)
	v_fmac_f64_e32 v[86:87], v[94:95], v[96:97]
	s_andn2_b64 exec, exec, s[6:7]
	s_cbranch_execnz .LBB105_167
; %bb.168:
	s_or_b64 exec, exec, s[6:7]
	v_mov_b32_e32 v90, 0
	ds_read_b64 v[90:91], v90 offset:320
	s_waitcnt lgkmcnt(0)
	v_mul_f64 v[86:87], v[86:87], v[90:91]
	buffer_store_dword v87, off, s[0:3], 0 offset:324
	buffer_store_dword v86, off, s[0:3], 0 offset:320
.LBB105_169:
	s_or_b64 exec, exec, s[4:5]
	s_waitcnt lgkmcnt(0)
	; wave barrier
	buffer_load_dword v86, off, s[0:3], 0 offset:328
	buffer_load_dword v87, off, s[0:3], 0 offset:332
	v_cmp_ne_u32_e32 vcc, 41, v0
	s_waitcnt vmcnt(0)
	ds_write_b64 v88, v[86:87]
	s_waitcnt lgkmcnt(0)
	; wave barrier
	s_waitcnt lgkmcnt(0)
	s_and_saveexec_b64 s[4:5], vcc
	s_cbranch_execz .LBB105_173
; %bb.170:
	v_add_u32_e32 v88, 0x150, v1
	v_add_u32_e32 v1, 0, v1
	s_mov_b64 s[6:7], 0
	v_pk_mov_b32 v[86:87], 0, 0
.LBB105_171:                            ; =>This Inner Loop Header: Depth=1
	buffer_load_dword v90, v1, s[0:3], 0 offen
	buffer_load_dword v91, v1, s[0:3], 0 offen offset:4
	ds_read_b64 v[92:93], v88
	v_add_u32_e32 v89, 1, v89
	v_cmp_lt_u32_e32 vcc, 39, v89
	v_add_u32_e32 v88, 8, v88
	v_add_u32_e32 v1, 8, v1
	s_or_b64 s[6:7], vcc, s[6:7]
	s_waitcnt vmcnt(0) lgkmcnt(0)
	v_fmac_f64_e32 v[86:87], v[90:91], v[92:93]
	s_andn2_b64 exec, exec, s[6:7]
	s_cbranch_execnz .LBB105_171
; %bb.172:
	s_or_b64 exec, exec, s[6:7]
	v_mov_b32_e32 v1, 0
	ds_read_b64 v[88:89], v1 offset:328
	s_waitcnt lgkmcnt(0)
	v_mul_f64 v[86:87], v[86:87], v[88:89]
	buffer_store_dword v87, off, s[0:3], 0 offset:332
	buffer_store_dword v86, off, s[0:3], 0 offset:328
.LBB105_173:
	s_or_b64 exec, exec, s[4:5]
	s_mov_b64 s[6:7], -1
	s_waitcnt lgkmcnt(0)
	; wave barrier
.LBB105_174:
	s_and_b64 vcc, exec, s[6:7]
	s_cbranch_vccz .LBB105_176
; %bb.175:
	s_lshl_b64 s[4:5], s[8:9], 2
	s_add_u32 s4, s14, s4
	s_addc_u32 s5, s15, s5
	v_mov_b32_e32 v1, 0
	global_load_dword v1, v1, s[4:5]
	s_waitcnt vmcnt(0)
	v_cmp_ne_u32_e32 vcc, 0, v1
	s_cbranch_vccz .LBB105_177
.LBB105_176:
	s_endpgm
.LBB105_177:
	v_mov_b32_e32 v1, 0x150
	v_lshl_add_u32 v1, v0, 3, v1
	v_cmp_eq_u32_e32 vcc, 41, v0
	s_and_saveexec_b64 s[4:5], vcc
	s_cbranch_execz .LBB105_179
; %bb.178:
	buffer_load_dword v86, off, s[0:3], 0 offset:320
	buffer_load_dword v87, off, s[0:3], 0 offset:324
	v_mov_b32_e32 v88, 0
	buffer_store_dword v88, off, s[0:3], 0 offset:320
	buffer_store_dword v88, off, s[0:3], 0 offset:324
	s_waitcnt vmcnt(2)
	ds_write_b64 v1, v[86:87]
.LBB105_179:
	s_or_b64 exec, exec, s[4:5]
	s_waitcnt lgkmcnt(0)
	; wave barrier
	s_waitcnt lgkmcnt(0)
	buffer_load_dword v88, off, s[0:3], 0 offset:328
	buffer_load_dword v89, off, s[0:3], 0 offset:332
	;; [unrolled: 1-line block ×4, first 2 shown]
	v_mov_b32_e32 v86, 0
	ds_read_b64 v[92:93], v86 offset:664
	v_cmp_lt_u32_e32 vcc, 39, v0
	s_waitcnt vmcnt(2) lgkmcnt(0)
	v_fma_f64 v[88:89], v[88:89], v[92:93], 0
	s_waitcnt vmcnt(0)
	v_add_f64 v[88:89], v[90:91], -v[88:89]
	buffer_store_dword v88, off, s[0:3], 0 offset:320
	buffer_store_dword v89, off, s[0:3], 0 offset:324
	s_and_saveexec_b64 s[4:5], vcc
	s_cbranch_execz .LBB105_181
; %bb.180:
	buffer_load_dword v88, off, s[0:3], 0 offset:312
	buffer_load_dword v89, off, s[0:3], 0 offset:316
	s_waitcnt vmcnt(0)
	ds_write_b64 v1, v[88:89]
	buffer_store_dword v86, off, s[0:3], 0 offset:312
	buffer_store_dword v86, off, s[0:3], 0 offset:316
.LBB105_181:
	s_or_b64 exec, exec, s[4:5]
	s_waitcnt lgkmcnt(0)
	; wave barrier
	s_waitcnt lgkmcnt(0)
	buffer_load_dword v90, off, s[0:3], 0 offset:320
	buffer_load_dword v91, off, s[0:3], 0 offset:324
	;; [unrolled: 1-line block ×6, first 2 shown]
	ds_read_b128 v[86:89], v86 offset:656
	v_cmp_lt_u32_e32 vcc, 38, v0
	s_waitcnt vmcnt(4) lgkmcnt(0)
	v_fma_f64 v[86:87], v[90:91], v[86:87], 0
	s_waitcnt vmcnt(2)
	v_fmac_f64_e32 v[86:87], v[92:93], v[88:89]
	s_waitcnt vmcnt(0)
	v_add_f64 v[86:87], v[94:95], -v[86:87]
	buffer_store_dword v86, off, s[0:3], 0 offset:312
	buffer_store_dword v87, off, s[0:3], 0 offset:316
	s_and_saveexec_b64 s[4:5], vcc
	s_cbranch_execz .LBB105_183
; %bb.182:
	buffer_load_dword v86, off, s[0:3], 0 offset:304
	buffer_load_dword v87, off, s[0:3], 0 offset:308
	v_mov_b32_e32 v88, 0
	buffer_store_dword v88, off, s[0:3], 0 offset:304
	buffer_store_dword v88, off, s[0:3], 0 offset:308
	s_waitcnt vmcnt(2)
	ds_write_b64 v1, v[86:87]
.LBB105_183:
	s_or_b64 exec, exec, s[4:5]
	s_waitcnt lgkmcnt(0)
	; wave barrier
	s_waitcnt lgkmcnt(0)
	buffer_load_dword v92, off, s[0:3], 0 offset:312
	buffer_load_dword v93, off, s[0:3], 0 offset:316
	;; [unrolled: 1-line block ×8, first 2 shown]
	v_mov_b32_e32 v86, 0
	ds_read2_b64 v[88:91], v86 offset0:81 offset1:82
	ds_read_b64 v[100:101], v86 offset:664
	v_cmp_lt_u32_e32 vcc, 37, v0
	s_waitcnt vmcnt(6) lgkmcnt(1)
	v_fma_f64 v[88:89], v[92:93], v[88:89], 0
	s_waitcnt vmcnt(4)
	v_fmac_f64_e32 v[88:89], v[94:95], v[90:91]
	s_waitcnt vmcnt(2) lgkmcnt(0)
	v_fmac_f64_e32 v[88:89], v[96:97], v[100:101]
	s_waitcnt vmcnt(0)
	v_add_f64 v[88:89], v[98:99], -v[88:89]
	buffer_store_dword v88, off, s[0:3], 0 offset:304
	buffer_store_dword v89, off, s[0:3], 0 offset:308
	s_and_saveexec_b64 s[4:5], vcc
	s_cbranch_execz .LBB105_185
; %bb.184:
	buffer_load_dword v88, off, s[0:3], 0 offset:296
	buffer_load_dword v89, off, s[0:3], 0 offset:300
	s_waitcnt vmcnt(0)
	ds_write_b64 v1, v[88:89]
	buffer_store_dword v86, off, s[0:3], 0 offset:296
	buffer_store_dword v86, off, s[0:3], 0 offset:300
.LBB105_185:
	s_or_b64 exec, exec, s[4:5]
	s_waitcnt lgkmcnt(0)
	; wave barrier
	s_waitcnt lgkmcnt(0)
	buffer_load_dword v96, off, s[0:3], 0 offset:304
	buffer_load_dword v97, off, s[0:3], 0 offset:308
	;; [unrolled: 1-line block ×10, first 2 shown]
	ds_read_b128 v[88:91], v86 offset:640
	ds_read_b128 v[92:95], v86 offset:656
	v_cmp_lt_u32_e32 vcc, 36, v0
	s_waitcnt vmcnt(8) lgkmcnt(1)
	v_fma_f64 v[86:87], v[96:97], v[88:89], 0
	s_waitcnt vmcnt(6)
	v_fmac_f64_e32 v[86:87], v[98:99], v[90:91]
	s_waitcnt vmcnt(4) lgkmcnt(0)
	v_fmac_f64_e32 v[86:87], v[100:101], v[92:93]
	s_waitcnt vmcnt(2)
	v_fmac_f64_e32 v[86:87], v[102:103], v[94:95]
	s_waitcnt vmcnt(0)
	v_add_f64 v[86:87], v[104:105], -v[86:87]
	buffer_store_dword v86, off, s[0:3], 0 offset:296
	buffer_store_dword v87, off, s[0:3], 0 offset:300
	s_and_saveexec_b64 s[4:5], vcc
	s_cbranch_execz .LBB105_187
; %bb.186:
	buffer_load_dword v86, off, s[0:3], 0 offset:288
	buffer_load_dword v87, off, s[0:3], 0 offset:292
	v_mov_b32_e32 v88, 0
	buffer_store_dword v88, off, s[0:3], 0 offset:288
	buffer_store_dword v88, off, s[0:3], 0 offset:292
	s_waitcnt vmcnt(2)
	ds_write_b64 v1, v[86:87]
.LBB105_187:
	s_or_b64 exec, exec, s[4:5]
	s_waitcnt lgkmcnt(0)
	; wave barrier
	s_waitcnt lgkmcnt(0)
	buffer_load_dword v96, off, s[0:3], 0 offset:296
	buffer_load_dword v97, off, s[0:3], 0 offset:300
	;; [unrolled: 1-line block ×12, first 2 shown]
	v_mov_b32_e32 v86, 0
	ds_read2_b64 v[88:91], v86 offset0:79 offset1:80
	ds_read2_b64 v[92:95], v86 offset0:81 offset1:82
	ds_read_b64 v[108:109], v86 offset:664
	v_cmp_lt_u32_e32 vcc, 35, v0
	s_waitcnt vmcnt(10) lgkmcnt(2)
	v_fma_f64 v[88:89], v[96:97], v[88:89], 0
	s_waitcnt vmcnt(8)
	v_fmac_f64_e32 v[88:89], v[98:99], v[90:91]
	s_waitcnt vmcnt(6) lgkmcnt(1)
	v_fmac_f64_e32 v[88:89], v[100:101], v[92:93]
	s_waitcnt vmcnt(4)
	v_fmac_f64_e32 v[88:89], v[102:103], v[94:95]
	s_waitcnt vmcnt(2) lgkmcnt(0)
	v_fmac_f64_e32 v[88:89], v[104:105], v[108:109]
	s_waitcnt vmcnt(0)
	v_add_f64 v[88:89], v[106:107], -v[88:89]
	buffer_store_dword v88, off, s[0:3], 0 offset:288
	buffer_store_dword v89, off, s[0:3], 0 offset:292
	s_and_saveexec_b64 s[4:5], vcc
	s_cbranch_execz .LBB105_189
; %bb.188:
	buffer_load_dword v88, off, s[0:3], 0 offset:280
	buffer_load_dword v89, off, s[0:3], 0 offset:284
	s_waitcnt vmcnt(0)
	ds_write_b64 v1, v[88:89]
	buffer_store_dword v86, off, s[0:3], 0 offset:280
	buffer_store_dword v86, off, s[0:3], 0 offset:284
.LBB105_189:
	s_or_b64 exec, exec, s[4:5]
	s_waitcnt lgkmcnt(0)
	; wave barrier
	s_waitcnt lgkmcnt(0)
	buffer_load_dword v100, off, s[0:3], 0 offset:288
	buffer_load_dword v101, off, s[0:3], 0 offset:292
	;; [unrolled: 1-line block ×14, first 2 shown]
	ds_read_b128 v[88:91], v86 offset:624
	ds_read_b128 v[92:95], v86 offset:640
	;; [unrolled: 1-line block ×3, first 2 shown]
	v_cmp_lt_u32_e32 vcc, 34, v0
	s_waitcnt vmcnt(12) lgkmcnt(2)
	v_fma_f64 v[86:87], v[100:101], v[88:89], 0
	s_waitcnt vmcnt(10)
	v_fmac_f64_e32 v[86:87], v[102:103], v[90:91]
	s_waitcnt vmcnt(8) lgkmcnt(1)
	v_fmac_f64_e32 v[86:87], v[104:105], v[92:93]
	s_waitcnt vmcnt(6)
	v_fmac_f64_e32 v[86:87], v[106:107], v[94:95]
	s_waitcnt vmcnt(4) lgkmcnt(0)
	v_fmac_f64_e32 v[86:87], v[108:109], v[96:97]
	s_waitcnt vmcnt(2)
	v_fmac_f64_e32 v[86:87], v[110:111], v[98:99]
	s_waitcnt vmcnt(0)
	v_add_f64 v[86:87], v[112:113], -v[86:87]
	buffer_store_dword v86, off, s[0:3], 0 offset:280
	buffer_store_dword v87, off, s[0:3], 0 offset:284
	s_and_saveexec_b64 s[4:5], vcc
	s_cbranch_execz .LBB105_191
; %bb.190:
	buffer_load_dword v86, off, s[0:3], 0 offset:272
	buffer_load_dword v87, off, s[0:3], 0 offset:276
	v_mov_b32_e32 v88, 0
	buffer_store_dword v88, off, s[0:3], 0 offset:272
	buffer_store_dword v88, off, s[0:3], 0 offset:276
	s_waitcnt vmcnt(2)
	ds_write_b64 v1, v[86:87]
.LBB105_191:
	s_or_b64 exec, exec, s[4:5]
	s_waitcnt lgkmcnt(0)
	; wave barrier
	s_waitcnt lgkmcnt(0)
	buffer_load_dword v100, off, s[0:3], 0 offset:280
	buffer_load_dword v101, off, s[0:3], 0 offset:284
	;; [unrolled: 1-line block ×16, first 2 shown]
	v_mov_b32_e32 v86, 0
	ds_read2_b64 v[88:91], v86 offset0:77 offset1:78
	ds_read2_b64 v[92:95], v86 offset0:79 offset1:80
	;; [unrolled: 1-line block ×3, first 2 shown]
	ds_read_b64 v[116:117], v86 offset:664
	v_cmp_lt_u32_e32 vcc, 33, v0
	s_waitcnt vmcnt(14) lgkmcnt(3)
	v_fma_f64 v[88:89], v[100:101], v[88:89], 0
	s_waitcnt vmcnt(12)
	v_fmac_f64_e32 v[88:89], v[102:103], v[90:91]
	s_waitcnt vmcnt(10) lgkmcnt(2)
	v_fmac_f64_e32 v[88:89], v[104:105], v[92:93]
	s_waitcnt vmcnt(8)
	v_fmac_f64_e32 v[88:89], v[106:107], v[94:95]
	s_waitcnt vmcnt(6) lgkmcnt(1)
	v_fmac_f64_e32 v[88:89], v[108:109], v[96:97]
	s_waitcnt vmcnt(4)
	v_fmac_f64_e32 v[88:89], v[110:111], v[98:99]
	s_waitcnt vmcnt(2) lgkmcnt(0)
	v_fmac_f64_e32 v[88:89], v[112:113], v[116:117]
	s_waitcnt vmcnt(0)
	v_add_f64 v[88:89], v[114:115], -v[88:89]
	buffer_store_dword v88, off, s[0:3], 0 offset:272
	buffer_store_dword v89, off, s[0:3], 0 offset:276
	s_and_saveexec_b64 s[4:5], vcc
	s_cbranch_execz .LBB105_193
; %bb.192:
	buffer_load_dword v88, off, s[0:3], 0 offset:264
	buffer_load_dword v89, off, s[0:3], 0 offset:268
	s_waitcnt vmcnt(0)
	ds_write_b64 v1, v[88:89]
	buffer_store_dword v86, off, s[0:3], 0 offset:264
	buffer_store_dword v86, off, s[0:3], 0 offset:268
.LBB105_193:
	s_or_b64 exec, exec, s[4:5]
	s_waitcnt lgkmcnt(0)
	; wave barrier
	s_waitcnt lgkmcnt(0)
	buffer_load_dword v104, off, s[0:3], 0 offset:272
	buffer_load_dword v105, off, s[0:3], 0 offset:276
	;; [unrolled: 1-line block ×18, first 2 shown]
	ds_read_b128 v[88:91], v86 offset:608
	ds_read_b128 v[92:95], v86 offset:624
	;; [unrolled: 1-line block ×4, first 2 shown]
	v_cmp_lt_u32_e32 vcc, 32, v0
	s_waitcnt vmcnt(16) lgkmcnt(3)
	v_fma_f64 v[86:87], v[104:105], v[88:89], 0
	s_waitcnt vmcnt(14)
	v_fmac_f64_e32 v[86:87], v[106:107], v[90:91]
	s_waitcnt vmcnt(12) lgkmcnt(2)
	v_fmac_f64_e32 v[86:87], v[108:109], v[92:93]
	s_waitcnt vmcnt(10)
	v_fmac_f64_e32 v[86:87], v[110:111], v[94:95]
	s_waitcnt vmcnt(8) lgkmcnt(1)
	v_fmac_f64_e32 v[86:87], v[112:113], v[96:97]
	;; [unrolled: 4-line block ×3, first 2 shown]
	s_waitcnt vmcnt(2)
	v_fmac_f64_e32 v[86:87], v[118:119], v[102:103]
	s_waitcnt vmcnt(0)
	v_add_f64 v[86:87], v[120:121], -v[86:87]
	buffer_store_dword v86, off, s[0:3], 0 offset:264
	buffer_store_dword v87, off, s[0:3], 0 offset:268
	s_and_saveexec_b64 s[4:5], vcc
	s_cbranch_execz .LBB105_195
; %bb.194:
	buffer_load_dword v86, off, s[0:3], 0 offset:256
	buffer_load_dword v87, off, s[0:3], 0 offset:260
	v_mov_b32_e32 v88, 0
	buffer_store_dword v88, off, s[0:3], 0 offset:256
	buffer_store_dword v88, off, s[0:3], 0 offset:260
	s_waitcnt vmcnt(2)
	ds_write_b64 v1, v[86:87]
.LBB105_195:
	s_or_b64 exec, exec, s[4:5]
	s_waitcnt lgkmcnt(0)
	; wave barrier
	s_waitcnt lgkmcnt(0)
	buffer_load_dword v104, off, s[0:3], 0 offset:264
	buffer_load_dword v105, off, s[0:3], 0 offset:268
	;; [unrolled: 1-line block ×20, first 2 shown]
	v_mov_b32_e32 v86, 0
	ds_read2_b64 v[88:91], v86 offset0:75 offset1:76
	ds_read2_b64 v[92:95], v86 offset0:77 offset1:78
	;; [unrolled: 1-line block ×4, first 2 shown]
	ds_read_b64 v[124:125], v86 offset:664
	v_cmp_lt_u32_e32 vcc, 31, v0
	s_waitcnt vmcnt(18) lgkmcnt(4)
	v_fma_f64 v[88:89], v[104:105], v[88:89], 0
	s_waitcnt vmcnt(16)
	v_fmac_f64_e32 v[88:89], v[106:107], v[90:91]
	s_waitcnt vmcnt(14) lgkmcnt(3)
	v_fmac_f64_e32 v[88:89], v[108:109], v[92:93]
	s_waitcnt vmcnt(12)
	v_fmac_f64_e32 v[88:89], v[110:111], v[94:95]
	s_waitcnt vmcnt(10) lgkmcnt(2)
	v_fmac_f64_e32 v[88:89], v[112:113], v[96:97]
	s_waitcnt vmcnt(8)
	v_fmac_f64_e32 v[88:89], v[114:115], v[98:99]
	s_waitcnt vmcnt(6) lgkmcnt(1)
	v_fmac_f64_e32 v[88:89], v[116:117], v[100:101]
	s_waitcnt vmcnt(2)
	v_fmac_f64_e32 v[88:89], v[120:121], v[102:103]
	s_waitcnt lgkmcnt(0)
	v_fmac_f64_e32 v[88:89], v[118:119], v[124:125]
	s_waitcnt vmcnt(0)
	v_add_f64 v[88:89], v[122:123], -v[88:89]
	buffer_store_dword v88, off, s[0:3], 0 offset:256
	buffer_store_dword v89, off, s[0:3], 0 offset:260
	s_and_saveexec_b64 s[4:5], vcc
	s_cbranch_execz .LBB105_197
; %bb.196:
	buffer_load_dword v88, off, s[0:3], 0 offset:248
	buffer_load_dword v89, off, s[0:3], 0 offset:252
	s_waitcnt vmcnt(0)
	ds_write_b64 v1, v[88:89]
	buffer_store_dword v86, off, s[0:3], 0 offset:248
	buffer_store_dword v86, off, s[0:3], 0 offset:252
.LBB105_197:
	s_or_b64 exec, exec, s[4:5]
	s_waitcnt lgkmcnt(0)
	; wave barrier
	s_waitcnt lgkmcnt(0)
	buffer_load_dword v104, off, s[0:3], 0 offset:248
	buffer_load_dword v105, off, s[0:3], 0 offset:252
	;; [unrolled: 1-line block ×16, first 2 shown]
	ds_read_b128 v[88:91], v86 offset:592
	ds_read_b128 v[92:95], v86 offset:608
	;; [unrolled: 1-line block ×4, first 2 shown]
	v_cmp_lt_u32_e32 vcc, 30, v0
	s_waitcnt vmcnt(12) lgkmcnt(3)
	v_fma_f64 v[106:107], v[106:107], v[88:89], 0
	buffer_load_dword v89, off, s[0:3], 0 offset:316
	buffer_load_dword v88, off, s[0:3], 0 offset:312
	s_waitcnt vmcnt(12)
	v_fmac_f64_e32 v[106:107], v[108:109], v[90:91]
	buffer_load_dword v91, off, s[0:3], 0 offset:324
	buffer_load_dword v90, off, s[0:3], 0 offset:320
	s_waitcnt vmcnt(12) lgkmcnt(2)
	v_fmac_f64_e32 v[106:107], v[110:111], v[92:93]
	s_waitcnt vmcnt(10)
	v_fmac_f64_e32 v[106:107], v[112:113], v[94:95]
	s_waitcnt vmcnt(8) lgkmcnt(1)
	v_fmac_f64_e32 v[106:107], v[114:115], v[96:97]
	s_waitcnt vmcnt(6)
	v_fmac_f64_e32 v[106:107], v[116:117], v[98:99]
	s_waitcnt vmcnt(4) lgkmcnt(0)
	v_fmac_f64_e32 v[106:107], v[118:119], v[100:101]
	s_waitcnt vmcnt(2)
	v_fmac_f64_e32 v[106:107], v[88:89], v[102:103]
	ds_read_b128 v[86:89], v86 offset:656
	s_waitcnt vmcnt(0) lgkmcnt(0)
	v_fmac_f64_e32 v[106:107], v[90:91], v[86:87]
	buffer_load_dword v87, off, s[0:3], 0 offset:332
	buffer_load_dword v86, off, s[0:3], 0 offset:328
	s_waitcnt vmcnt(0)
	v_fmac_f64_e32 v[106:107], v[86:87], v[88:89]
	v_add_f64 v[86:87], v[104:105], -v[106:107]
	buffer_store_dword v86, off, s[0:3], 0 offset:248
	buffer_store_dword v87, off, s[0:3], 0 offset:252
	s_and_saveexec_b64 s[4:5], vcc
	s_cbranch_execz .LBB105_199
; %bb.198:
	buffer_load_dword v86, off, s[0:3], 0 offset:240
	buffer_load_dword v87, off, s[0:3], 0 offset:244
	v_mov_b32_e32 v88, 0
	buffer_store_dword v88, off, s[0:3], 0 offset:240
	buffer_store_dword v88, off, s[0:3], 0 offset:244
	s_waitcnt vmcnt(2)
	ds_write_b64 v1, v[86:87]
.LBB105_199:
	s_or_b64 exec, exec, s[4:5]
	s_waitcnt lgkmcnt(0)
	; wave barrier
	s_waitcnt lgkmcnt(0)
	buffer_load_dword v92, off, s[0:3], 0 offset:240
	buffer_load_dword v93, off, s[0:3], 0 offset:244
	;; [unrolled: 1-line block ×16, first 2 shown]
	v_mov_b32_e32 v86, 0
	ds_read2_b64 v[88:91], v86 offset0:73 offset1:74
	v_cmp_lt_u32_e32 vcc, 29, v0
	s_waitcnt vmcnt(12) lgkmcnt(0)
	v_fma_f64 v[94:95], v[94:95], v[88:89], 0
	s_waitcnt vmcnt(10)
	v_fmac_f64_e32 v[94:95], v[96:97], v[90:91]
	ds_read2_b64 v[88:91], v86 offset0:75 offset1:76
	s_waitcnt vmcnt(8) lgkmcnt(0)
	v_fmac_f64_e32 v[94:95], v[98:99], v[88:89]
	s_waitcnt vmcnt(6)
	v_fmac_f64_e32 v[94:95], v[100:101], v[90:91]
	ds_read2_b64 v[88:91], v86 offset0:77 offset1:78
	s_waitcnt vmcnt(4) lgkmcnt(0)
	v_fmac_f64_e32 v[94:95], v[102:103], v[88:89]
	;; [unrolled: 5-line block ×3, first 2 shown]
	buffer_load_dword v89, off, s[0:3], 0 offset:308
	buffer_load_dword v88, off, s[0:3], 0 offset:304
	;; [unrolled: 1-line block ×4, first 2 shown]
	s_waitcnt vmcnt(2)
	v_fmac_f64_e32 v[94:95], v[88:89], v[90:91]
	ds_read2_b64 v[88:91], v86 offset0:81 offset1:82
	s_waitcnt vmcnt(0) lgkmcnt(0)
	v_fmac_f64_e32 v[94:95], v[96:97], v[88:89]
	buffer_load_dword v89, off, s[0:3], 0 offset:324
	buffer_load_dword v88, off, s[0:3], 0 offset:320
	s_waitcnt vmcnt(0)
	v_fmac_f64_e32 v[94:95], v[88:89], v[90:91]
	buffer_load_dword v89, off, s[0:3], 0 offset:332
	buffer_load_dword v88, off, s[0:3], 0 offset:328
	ds_read_b64 v[90:91], v86 offset:664
	s_waitcnt vmcnt(0) lgkmcnt(0)
	v_fmac_f64_e32 v[94:95], v[88:89], v[90:91]
	v_add_f64 v[88:89], v[92:93], -v[94:95]
	buffer_store_dword v89, off, s[0:3], 0 offset:244
	buffer_store_dword v88, off, s[0:3], 0 offset:240
	s_and_saveexec_b64 s[4:5], vcc
	s_cbranch_execz .LBB105_201
; %bb.200:
	buffer_load_dword v88, off, s[0:3], 0 offset:232
	buffer_load_dword v89, off, s[0:3], 0 offset:236
	s_waitcnt vmcnt(0)
	ds_write_b64 v1, v[88:89]
	buffer_store_dword v86, off, s[0:3], 0 offset:232
	buffer_store_dword v86, off, s[0:3], 0 offset:236
.LBB105_201:
	s_or_b64 exec, exec, s[4:5]
	s_waitcnt lgkmcnt(0)
	; wave barrier
	s_waitcnt lgkmcnt(0)
	buffer_load_dword v104, off, s[0:3], 0 offset:232
	buffer_load_dword v105, off, s[0:3], 0 offset:236
	;; [unrolled: 1-line block ×16, first 2 shown]
	ds_read_b128 v[88:91], v86 offset:576
	ds_read_b128 v[92:95], v86 offset:592
	;; [unrolled: 1-line block ×4, first 2 shown]
	v_cmp_lt_u32_e32 vcc, 28, v0
	s_waitcnt vmcnt(12) lgkmcnt(3)
	v_fma_f64 v[106:107], v[106:107], v[88:89], 0
	buffer_load_dword v89, off, s[0:3], 0 offset:300
	buffer_load_dword v88, off, s[0:3], 0 offset:296
	s_waitcnt vmcnt(12)
	v_fmac_f64_e32 v[106:107], v[108:109], v[90:91]
	s_waitcnt vmcnt(10) lgkmcnt(2)
	v_fmac_f64_e32 v[106:107], v[110:111], v[92:93]
	buffer_load_dword v93, off, s[0:3], 0 offset:308
	buffer_load_dword v92, off, s[0:3], 0 offset:304
	s_waitcnt vmcnt(10)
	v_fmac_f64_e32 v[106:107], v[112:113], v[94:95]
	s_waitcnt vmcnt(8) lgkmcnt(1)
	v_fmac_f64_e32 v[106:107], v[114:115], v[96:97]
	s_waitcnt vmcnt(6)
	v_fmac_f64_e32 v[106:107], v[116:117], v[98:99]
	s_waitcnt vmcnt(4) lgkmcnt(0)
	v_fmac_f64_e32 v[106:107], v[118:119], v[100:101]
	s_waitcnt vmcnt(2)
	v_fmac_f64_e32 v[106:107], v[88:89], v[102:103]
	ds_read_b128 v[88:91], v86 offset:640
	s_waitcnt vmcnt(0) lgkmcnt(0)
	v_fmac_f64_e32 v[106:107], v[92:93], v[88:89]
	buffer_load_dword v89, off, s[0:3], 0 offset:316
	buffer_load_dword v88, off, s[0:3], 0 offset:312
	s_waitcnt vmcnt(0)
	v_fmac_f64_e32 v[106:107], v[88:89], v[90:91]
	buffer_load_dword v91, off, s[0:3], 0 offset:324
	buffer_load_dword v90, off, s[0:3], 0 offset:320
	ds_read_b128 v[86:89], v86 offset:656
	s_waitcnt vmcnt(0) lgkmcnt(0)
	v_fmac_f64_e32 v[106:107], v[90:91], v[86:87]
	buffer_load_dword v87, off, s[0:3], 0 offset:332
	buffer_load_dword v86, off, s[0:3], 0 offset:328
	s_waitcnt vmcnt(0)
	v_fmac_f64_e32 v[106:107], v[86:87], v[88:89]
	v_add_f64 v[86:87], v[104:105], -v[106:107]
	buffer_store_dword v87, off, s[0:3], 0 offset:236
	buffer_store_dword v86, off, s[0:3], 0 offset:232
	s_and_saveexec_b64 s[4:5], vcc
	s_cbranch_execz .LBB105_203
; %bb.202:
	buffer_load_dword v86, off, s[0:3], 0 offset:224
	buffer_load_dword v87, off, s[0:3], 0 offset:228
	v_mov_b32_e32 v88, 0
	buffer_store_dword v88, off, s[0:3], 0 offset:224
	buffer_store_dword v88, off, s[0:3], 0 offset:228
	s_waitcnt vmcnt(2)
	ds_write_b64 v1, v[86:87]
.LBB105_203:
	s_or_b64 exec, exec, s[4:5]
	s_waitcnt lgkmcnt(0)
	; wave barrier
	s_waitcnt lgkmcnt(0)
	buffer_load_dword v92, off, s[0:3], 0 offset:224
	buffer_load_dword v93, off, s[0:3], 0 offset:228
	;; [unrolled: 1-line block ×16, first 2 shown]
	v_mov_b32_e32 v86, 0
	ds_read2_b64 v[88:91], v86 offset0:71 offset1:72
	v_cmp_lt_u32_e32 vcc, 27, v0
	s_waitcnt vmcnt(12) lgkmcnt(0)
	v_fma_f64 v[94:95], v[94:95], v[88:89], 0
	s_waitcnt vmcnt(10)
	v_fmac_f64_e32 v[94:95], v[96:97], v[90:91]
	ds_read2_b64 v[88:91], v86 offset0:73 offset1:74
	s_waitcnt vmcnt(8) lgkmcnt(0)
	v_fmac_f64_e32 v[94:95], v[98:99], v[88:89]
	s_waitcnt vmcnt(6)
	v_fmac_f64_e32 v[94:95], v[100:101], v[90:91]
	ds_read2_b64 v[88:91], v86 offset0:75 offset1:76
	s_waitcnt vmcnt(4) lgkmcnt(0)
	v_fmac_f64_e32 v[94:95], v[102:103], v[88:89]
	;; [unrolled: 5-line block ×3, first 2 shown]
	buffer_load_dword v89, off, s[0:3], 0 offset:292
	buffer_load_dword v88, off, s[0:3], 0 offset:288
	;; [unrolled: 1-line block ×4, first 2 shown]
	s_waitcnt vmcnt(2)
	v_fmac_f64_e32 v[94:95], v[88:89], v[90:91]
	ds_read2_b64 v[88:91], v86 offset0:79 offset1:80
	s_waitcnt vmcnt(0) lgkmcnt(0)
	v_fmac_f64_e32 v[94:95], v[96:97], v[88:89]
	buffer_load_dword v89, off, s[0:3], 0 offset:308
	buffer_load_dword v88, off, s[0:3], 0 offset:304
	;; [unrolled: 1-line block ×4, first 2 shown]
	s_waitcnt vmcnt(2)
	v_fmac_f64_e32 v[94:95], v[88:89], v[90:91]
	ds_read2_b64 v[88:91], v86 offset0:81 offset1:82
	s_waitcnt vmcnt(0) lgkmcnt(0)
	v_fmac_f64_e32 v[94:95], v[96:97], v[88:89]
	buffer_load_dword v89, off, s[0:3], 0 offset:324
	buffer_load_dword v88, off, s[0:3], 0 offset:320
	s_waitcnt vmcnt(0)
	v_fmac_f64_e32 v[94:95], v[88:89], v[90:91]
	buffer_load_dword v89, off, s[0:3], 0 offset:332
	buffer_load_dword v88, off, s[0:3], 0 offset:328
	ds_read_b64 v[90:91], v86 offset:664
	s_waitcnt vmcnt(0) lgkmcnt(0)
	v_fmac_f64_e32 v[94:95], v[88:89], v[90:91]
	v_add_f64 v[88:89], v[92:93], -v[94:95]
	buffer_store_dword v89, off, s[0:3], 0 offset:228
	buffer_store_dword v88, off, s[0:3], 0 offset:224
	s_and_saveexec_b64 s[4:5], vcc
	s_cbranch_execz .LBB105_205
; %bb.204:
	buffer_load_dword v88, off, s[0:3], 0 offset:216
	buffer_load_dword v89, off, s[0:3], 0 offset:220
	s_waitcnt vmcnt(0)
	ds_write_b64 v1, v[88:89]
	buffer_store_dword v86, off, s[0:3], 0 offset:216
	buffer_store_dword v86, off, s[0:3], 0 offset:220
.LBB105_205:
	s_or_b64 exec, exec, s[4:5]
	s_waitcnt lgkmcnt(0)
	; wave barrier
	s_waitcnt lgkmcnt(0)
	buffer_load_dword v104, off, s[0:3], 0 offset:216
	buffer_load_dword v105, off, s[0:3], 0 offset:220
	buffer_load_dword v106, off, s[0:3], 0 offset:224
	buffer_load_dword v107, off, s[0:3], 0 offset:228
	buffer_load_dword v108, off, s[0:3], 0 offset:232
	buffer_load_dword v109, off, s[0:3], 0 offset:236
	buffer_load_dword v110, off, s[0:3], 0 offset:240
	buffer_load_dword v111, off, s[0:3], 0 offset:244
	buffer_load_dword v112, off, s[0:3], 0 offset:248
	buffer_load_dword v113, off, s[0:3], 0 offset:252
	buffer_load_dword v114, off, s[0:3], 0 offset:256
	buffer_load_dword v115, off, s[0:3], 0 offset:260
	buffer_load_dword v116, off, s[0:3], 0 offset:264
	buffer_load_dword v117, off, s[0:3], 0 offset:268
	buffer_load_dword v118, off, s[0:3], 0 offset:272
	buffer_load_dword v119, off, s[0:3], 0 offset:276
	ds_read_b128 v[88:91], v86 offset:560
	ds_read_b128 v[92:95], v86 offset:576
	ds_read_b128 v[96:99], v86 offset:592
	ds_read_b128 v[100:103], v86 offset:608
	v_cmp_lt_u32_e32 vcc, 26, v0
	s_waitcnt vmcnt(12) lgkmcnt(3)
	v_fma_f64 v[106:107], v[106:107], v[88:89], 0
	buffer_load_dword v89, off, s[0:3], 0 offset:284
	buffer_load_dword v88, off, s[0:3], 0 offset:280
	s_waitcnt vmcnt(12)
	v_fmac_f64_e32 v[106:107], v[108:109], v[90:91]
	s_waitcnt vmcnt(10) lgkmcnt(2)
	v_fmac_f64_e32 v[106:107], v[110:111], v[92:93]
	buffer_load_dword v93, off, s[0:3], 0 offset:292
	buffer_load_dword v92, off, s[0:3], 0 offset:288
	s_waitcnt vmcnt(10)
	v_fmac_f64_e32 v[106:107], v[112:113], v[94:95]
	s_waitcnt vmcnt(8) lgkmcnt(1)
	v_fmac_f64_e32 v[106:107], v[114:115], v[96:97]
	s_waitcnt vmcnt(6)
	v_fmac_f64_e32 v[106:107], v[116:117], v[98:99]
	s_waitcnt vmcnt(4) lgkmcnt(0)
	v_fmac_f64_e32 v[106:107], v[118:119], v[100:101]
	s_waitcnt vmcnt(2)
	v_fmac_f64_e32 v[106:107], v[88:89], v[102:103]
	ds_read_b128 v[88:91], v86 offset:624
	s_waitcnt vmcnt(0) lgkmcnt(0)
	v_fmac_f64_e32 v[106:107], v[92:93], v[88:89]
	buffer_load_dword v89, off, s[0:3], 0 offset:300
	buffer_load_dword v88, off, s[0:3], 0 offset:296
	;; [unrolled: 1-line block ×4, first 2 shown]
	s_waitcnt vmcnt(2)
	v_fmac_f64_e32 v[106:107], v[88:89], v[90:91]
	ds_read_b128 v[88:91], v86 offset:640
	s_waitcnt vmcnt(0) lgkmcnt(0)
	v_fmac_f64_e32 v[106:107], v[92:93], v[88:89]
	buffer_load_dword v89, off, s[0:3], 0 offset:316
	buffer_load_dword v88, off, s[0:3], 0 offset:312
	s_waitcnt vmcnt(0)
	v_fmac_f64_e32 v[106:107], v[88:89], v[90:91]
	buffer_load_dword v91, off, s[0:3], 0 offset:324
	buffer_load_dword v90, off, s[0:3], 0 offset:320
	ds_read_b128 v[86:89], v86 offset:656
	s_waitcnt vmcnt(0) lgkmcnt(0)
	v_fmac_f64_e32 v[106:107], v[90:91], v[86:87]
	buffer_load_dword v87, off, s[0:3], 0 offset:332
	buffer_load_dword v86, off, s[0:3], 0 offset:328
	s_waitcnt vmcnt(0)
	v_fmac_f64_e32 v[106:107], v[86:87], v[88:89]
	v_add_f64 v[86:87], v[104:105], -v[106:107]
	buffer_store_dword v87, off, s[0:3], 0 offset:220
	buffer_store_dword v86, off, s[0:3], 0 offset:216
	s_and_saveexec_b64 s[4:5], vcc
	s_cbranch_execz .LBB105_207
; %bb.206:
	buffer_load_dword v86, off, s[0:3], 0 offset:208
	buffer_load_dword v87, off, s[0:3], 0 offset:212
	v_mov_b32_e32 v88, 0
	buffer_store_dword v88, off, s[0:3], 0 offset:208
	buffer_store_dword v88, off, s[0:3], 0 offset:212
	s_waitcnt vmcnt(2)
	ds_write_b64 v1, v[86:87]
.LBB105_207:
	s_or_b64 exec, exec, s[4:5]
	s_waitcnt lgkmcnt(0)
	; wave barrier
	s_waitcnt lgkmcnt(0)
	buffer_load_dword v92, off, s[0:3], 0 offset:208
	buffer_load_dword v93, off, s[0:3], 0 offset:212
	;; [unrolled: 1-line block ×16, first 2 shown]
	v_mov_b32_e32 v86, 0
	ds_read2_b64 v[88:91], v86 offset0:69 offset1:70
	v_cmp_lt_u32_e32 vcc, 25, v0
	s_waitcnt vmcnt(12) lgkmcnt(0)
	v_fma_f64 v[94:95], v[94:95], v[88:89], 0
	s_waitcnt vmcnt(10)
	v_fmac_f64_e32 v[94:95], v[96:97], v[90:91]
	ds_read2_b64 v[88:91], v86 offset0:71 offset1:72
	s_waitcnt vmcnt(8) lgkmcnt(0)
	v_fmac_f64_e32 v[94:95], v[98:99], v[88:89]
	s_waitcnt vmcnt(6)
	v_fmac_f64_e32 v[94:95], v[100:101], v[90:91]
	ds_read2_b64 v[88:91], v86 offset0:73 offset1:74
	s_waitcnt vmcnt(4) lgkmcnt(0)
	v_fmac_f64_e32 v[94:95], v[102:103], v[88:89]
	;; [unrolled: 5-line block ×3, first 2 shown]
	buffer_load_dword v89, off, s[0:3], 0 offset:276
	buffer_load_dword v88, off, s[0:3], 0 offset:272
	buffer_load_dword v97, off, s[0:3], 0 offset:284
	buffer_load_dword v96, off, s[0:3], 0 offset:280
	s_waitcnt vmcnt(2)
	v_fmac_f64_e32 v[94:95], v[88:89], v[90:91]
	ds_read2_b64 v[88:91], v86 offset0:77 offset1:78
	s_waitcnt vmcnt(0) lgkmcnt(0)
	v_fmac_f64_e32 v[94:95], v[96:97], v[88:89]
	buffer_load_dword v89, off, s[0:3], 0 offset:292
	buffer_load_dword v88, off, s[0:3], 0 offset:288
	buffer_load_dword v97, off, s[0:3], 0 offset:300
	buffer_load_dword v96, off, s[0:3], 0 offset:296
	s_waitcnt vmcnt(2)
	v_fmac_f64_e32 v[94:95], v[88:89], v[90:91]
	ds_read2_b64 v[88:91], v86 offset0:79 offset1:80
	s_waitcnt vmcnt(0) lgkmcnt(0)
	v_fmac_f64_e32 v[94:95], v[96:97], v[88:89]
	;; [unrolled: 9-line block ×3, first 2 shown]
	buffer_load_dword v89, off, s[0:3], 0 offset:324
	buffer_load_dword v88, off, s[0:3], 0 offset:320
	s_waitcnt vmcnt(0)
	v_fmac_f64_e32 v[94:95], v[88:89], v[90:91]
	buffer_load_dword v89, off, s[0:3], 0 offset:332
	buffer_load_dword v88, off, s[0:3], 0 offset:328
	ds_read_b64 v[90:91], v86 offset:664
	s_waitcnt vmcnt(0) lgkmcnt(0)
	v_fmac_f64_e32 v[94:95], v[88:89], v[90:91]
	v_add_f64 v[88:89], v[92:93], -v[94:95]
	buffer_store_dword v89, off, s[0:3], 0 offset:212
	buffer_store_dword v88, off, s[0:3], 0 offset:208
	s_and_saveexec_b64 s[4:5], vcc
	s_cbranch_execz .LBB105_209
; %bb.208:
	buffer_load_dword v88, off, s[0:3], 0 offset:200
	buffer_load_dword v89, off, s[0:3], 0 offset:204
	s_waitcnt vmcnt(0)
	ds_write_b64 v1, v[88:89]
	buffer_store_dword v86, off, s[0:3], 0 offset:200
	buffer_store_dword v86, off, s[0:3], 0 offset:204
.LBB105_209:
	s_or_b64 exec, exec, s[4:5]
	s_waitcnt lgkmcnt(0)
	; wave barrier
	s_waitcnt lgkmcnt(0)
	buffer_load_dword v104, off, s[0:3], 0 offset:200
	buffer_load_dword v105, off, s[0:3], 0 offset:204
	;; [unrolled: 1-line block ×16, first 2 shown]
	ds_read_b128 v[88:91], v86 offset:544
	ds_read_b128 v[92:95], v86 offset:560
	;; [unrolled: 1-line block ×4, first 2 shown]
	v_cmp_lt_u32_e32 vcc, 24, v0
	s_waitcnt vmcnt(12) lgkmcnt(3)
	v_fma_f64 v[106:107], v[106:107], v[88:89], 0
	buffer_load_dword v89, off, s[0:3], 0 offset:268
	buffer_load_dword v88, off, s[0:3], 0 offset:264
	s_waitcnt vmcnt(12)
	v_fmac_f64_e32 v[106:107], v[108:109], v[90:91]
	s_waitcnt vmcnt(10) lgkmcnt(2)
	v_fmac_f64_e32 v[106:107], v[110:111], v[92:93]
	buffer_load_dword v93, off, s[0:3], 0 offset:276
	buffer_load_dword v92, off, s[0:3], 0 offset:272
	s_waitcnt vmcnt(10)
	v_fmac_f64_e32 v[106:107], v[112:113], v[94:95]
	s_waitcnt vmcnt(8) lgkmcnt(1)
	v_fmac_f64_e32 v[106:107], v[114:115], v[96:97]
	s_waitcnt vmcnt(6)
	v_fmac_f64_e32 v[106:107], v[116:117], v[98:99]
	s_waitcnt vmcnt(4) lgkmcnt(0)
	v_fmac_f64_e32 v[106:107], v[118:119], v[100:101]
	s_waitcnt vmcnt(2)
	v_fmac_f64_e32 v[106:107], v[88:89], v[102:103]
	ds_read_b128 v[88:91], v86 offset:608
	s_waitcnt vmcnt(0) lgkmcnt(0)
	v_fmac_f64_e32 v[106:107], v[92:93], v[88:89]
	buffer_load_dword v89, off, s[0:3], 0 offset:284
	buffer_load_dword v88, off, s[0:3], 0 offset:280
	;; [unrolled: 1-line block ×4, first 2 shown]
	s_waitcnt vmcnt(2)
	v_fmac_f64_e32 v[106:107], v[88:89], v[90:91]
	ds_read_b128 v[88:91], v86 offset:624
	s_waitcnt vmcnt(0) lgkmcnt(0)
	v_fmac_f64_e32 v[106:107], v[92:93], v[88:89]
	buffer_load_dword v89, off, s[0:3], 0 offset:300
	buffer_load_dword v88, off, s[0:3], 0 offset:296
	;; [unrolled: 1-line block ×4, first 2 shown]
	s_waitcnt vmcnt(2)
	v_fmac_f64_e32 v[106:107], v[88:89], v[90:91]
	ds_read_b128 v[88:91], v86 offset:640
	s_waitcnt vmcnt(0) lgkmcnt(0)
	v_fmac_f64_e32 v[106:107], v[92:93], v[88:89]
	buffer_load_dword v89, off, s[0:3], 0 offset:316
	buffer_load_dword v88, off, s[0:3], 0 offset:312
	s_waitcnt vmcnt(0)
	v_fmac_f64_e32 v[106:107], v[88:89], v[90:91]
	buffer_load_dword v91, off, s[0:3], 0 offset:324
	buffer_load_dword v90, off, s[0:3], 0 offset:320
	ds_read_b128 v[86:89], v86 offset:656
	s_waitcnt vmcnt(0) lgkmcnt(0)
	v_fmac_f64_e32 v[106:107], v[90:91], v[86:87]
	buffer_load_dword v87, off, s[0:3], 0 offset:332
	buffer_load_dword v86, off, s[0:3], 0 offset:328
	s_waitcnt vmcnt(0)
	v_fmac_f64_e32 v[106:107], v[86:87], v[88:89]
	v_add_f64 v[86:87], v[104:105], -v[106:107]
	buffer_store_dword v87, off, s[0:3], 0 offset:204
	buffer_store_dword v86, off, s[0:3], 0 offset:200
	s_and_saveexec_b64 s[4:5], vcc
	s_cbranch_execz .LBB105_211
; %bb.210:
	buffer_load_dword v86, off, s[0:3], 0 offset:192
	buffer_load_dword v87, off, s[0:3], 0 offset:196
	v_mov_b32_e32 v88, 0
	buffer_store_dword v88, off, s[0:3], 0 offset:192
	buffer_store_dword v88, off, s[0:3], 0 offset:196
	s_waitcnt vmcnt(2)
	ds_write_b64 v1, v[86:87]
.LBB105_211:
	s_or_b64 exec, exec, s[4:5]
	s_waitcnt lgkmcnt(0)
	; wave barrier
	s_waitcnt lgkmcnt(0)
	buffer_load_dword v86, off, s[0:3], 0 offset:192
	buffer_load_dword v87, off, s[0:3], 0 offset:196
	;; [unrolled: 1-line block ×16, first 2 shown]
	v_mov_b32_e32 v90, 0
	ds_read2_b64 v[92:95], v90 offset0:67 offset1:68
	v_cmp_lt_u32_e32 vcc, 23, v0
	s_waitcnt vmcnt(12) lgkmcnt(0)
	v_fma_f64 v[88:89], v[88:89], v[92:93], 0
	s_waitcnt vmcnt(10)
	v_fmac_f64_e32 v[88:89], v[96:97], v[94:95]
	ds_read2_b64 v[92:95], v90 offset0:69 offset1:70
	s_waitcnt vmcnt(8) lgkmcnt(0)
	v_fmac_f64_e32 v[88:89], v[98:99], v[92:93]
	s_waitcnt vmcnt(6)
	v_fmac_f64_e32 v[88:89], v[100:101], v[94:95]
	ds_read2_b64 v[92:95], v90 offset0:71 offset1:72
	s_waitcnt vmcnt(4) lgkmcnt(0)
	v_fmac_f64_e32 v[88:89], v[102:103], v[92:93]
	;; [unrolled: 5-line block ×3, first 2 shown]
	buffer_load_dword v93, off, s[0:3], 0 offset:260
	buffer_load_dword v92, off, s[0:3], 0 offset:256
	buffer_load_dword v97, off, s[0:3], 0 offset:268
	buffer_load_dword v96, off, s[0:3], 0 offset:264
	s_waitcnt vmcnt(2)
	v_fmac_f64_e32 v[88:89], v[92:93], v[94:95]
	ds_read2_b64 v[92:95], v90 offset0:75 offset1:76
	s_waitcnt vmcnt(0) lgkmcnt(0)
	v_fmac_f64_e32 v[88:89], v[96:97], v[92:93]
	buffer_load_dword v93, off, s[0:3], 0 offset:276
	buffer_load_dword v92, off, s[0:3], 0 offset:272
	buffer_load_dword v97, off, s[0:3], 0 offset:284
	buffer_load_dword v96, off, s[0:3], 0 offset:280
	s_waitcnt vmcnt(2)
	v_fmac_f64_e32 v[88:89], v[92:93], v[94:95]
	ds_read2_b64 v[92:95], v90 offset0:77 offset1:78
	s_waitcnt vmcnt(0) lgkmcnt(0)
	v_fmac_f64_e32 v[88:89], v[96:97], v[92:93]
	;; [unrolled: 9-line block ×4, first 2 shown]
	buffer_load_dword v93, off, s[0:3], 0 offset:324
	buffer_load_dword v92, off, s[0:3], 0 offset:320
	s_waitcnt vmcnt(0)
	v_fmac_f64_e32 v[88:89], v[92:93], v[94:95]
	buffer_load_dword v93, off, s[0:3], 0 offset:332
	buffer_load_dword v92, off, s[0:3], 0 offset:328
	ds_read_b64 v[94:95], v90 offset:664
	s_waitcnt vmcnt(0) lgkmcnt(0)
	v_fmac_f64_e32 v[88:89], v[92:93], v[94:95]
	v_add_f64 v[86:87], v[86:87], -v[88:89]
	buffer_store_dword v87, off, s[0:3], 0 offset:196
	buffer_store_dword v86, off, s[0:3], 0 offset:192
	s_and_saveexec_b64 s[4:5], vcc
	s_cbranch_execz .LBB105_213
; %bb.212:
	buffer_load_dword v86, off, s[0:3], 0 offset:184
	buffer_load_dword v87, off, s[0:3], 0 offset:188
	s_waitcnt vmcnt(0)
	ds_write_b64 v1, v[86:87]
	buffer_store_dword v90, off, s[0:3], 0 offset:184
	buffer_store_dword v90, off, s[0:3], 0 offset:188
.LBB105_213:
	s_or_b64 exec, exec, s[4:5]
	s_waitcnt lgkmcnt(0)
	; wave barrier
	s_waitcnt lgkmcnt(0)
	buffer_load_dword v86, off, s[0:3], 0 offset:184
	buffer_load_dword v87, off, s[0:3], 0 offset:188
	;; [unrolled: 1-line block ×16, first 2 shown]
	ds_read_b128 v[92:95], v90 offset:528
	ds_read_b128 v[96:99], v90 offset:544
	;; [unrolled: 1-line block ×4, first 2 shown]
	v_cmp_lt_u32_e32 vcc, 22, v0
	s_waitcnt vmcnt(12) lgkmcnt(3)
	v_fma_f64 v[88:89], v[88:89], v[92:93], 0
	buffer_load_dword v93, off, s[0:3], 0 offset:252
	buffer_load_dword v92, off, s[0:3], 0 offset:248
	s_waitcnt vmcnt(12)
	v_fmac_f64_e32 v[88:89], v[108:109], v[94:95]
	s_waitcnt vmcnt(10) lgkmcnt(2)
	v_fmac_f64_e32 v[88:89], v[110:111], v[96:97]
	buffer_load_dword v97, off, s[0:3], 0 offset:260
	buffer_load_dword v96, off, s[0:3], 0 offset:256
	s_waitcnt vmcnt(10)
	v_fmac_f64_e32 v[88:89], v[112:113], v[98:99]
	s_waitcnt vmcnt(8) lgkmcnt(1)
	v_fmac_f64_e32 v[88:89], v[114:115], v[100:101]
	s_waitcnt vmcnt(6)
	v_fmac_f64_e32 v[88:89], v[116:117], v[102:103]
	s_waitcnt vmcnt(4) lgkmcnt(0)
	v_fmac_f64_e32 v[88:89], v[118:119], v[104:105]
	s_waitcnt vmcnt(2)
	v_fmac_f64_e32 v[88:89], v[92:93], v[106:107]
	ds_read_b128 v[92:95], v90 offset:592
	s_waitcnt vmcnt(0) lgkmcnt(0)
	v_fmac_f64_e32 v[88:89], v[96:97], v[92:93]
	buffer_load_dword v93, off, s[0:3], 0 offset:268
	buffer_load_dword v92, off, s[0:3], 0 offset:264
	buffer_load_dword v97, off, s[0:3], 0 offset:276
	buffer_load_dword v96, off, s[0:3], 0 offset:272
	s_waitcnt vmcnt(2)
	v_fmac_f64_e32 v[88:89], v[92:93], v[94:95]
	ds_read_b128 v[92:95], v90 offset:608
	s_waitcnt vmcnt(0) lgkmcnt(0)
	v_fmac_f64_e32 v[88:89], v[96:97], v[92:93]
	buffer_load_dword v93, off, s[0:3], 0 offset:284
	buffer_load_dword v92, off, s[0:3], 0 offset:280
	buffer_load_dword v97, off, s[0:3], 0 offset:292
	buffer_load_dword v96, off, s[0:3], 0 offset:288
	;; [unrolled: 9-line block ×3, first 2 shown]
	s_waitcnt vmcnt(2)
	v_fmac_f64_e32 v[88:89], v[92:93], v[94:95]
	ds_read_b128 v[92:95], v90 offset:640
	s_waitcnt vmcnt(0) lgkmcnt(0)
	v_fmac_f64_e32 v[88:89], v[96:97], v[92:93]
	buffer_load_dword v93, off, s[0:3], 0 offset:316
	buffer_load_dword v92, off, s[0:3], 0 offset:312
	s_waitcnt vmcnt(0)
	v_fmac_f64_e32 v[88:89], v[92:93], v[94:95]
	buffer_load_dword v95, off, s[0:3], 0 offset:324
	buffer_load_dword v94, off, s[0:3], 0 offset:320
	ds_read_b128 v[90:93], v90 offset:656
	s_waitcnt vmcnt(0) lgkmcnt(0)
	v_fmac_f64_e32 v[88:89], v[94:95], v[90:91]
	buffer_load_dword v91, off, s[0:3], 0 offset:332
	buffer_load_dword v90, off, s[0:3], 0 offset:328
	s_waitcnt vmcnt(0)
	v_fmac_f64_e32 v[88:89], v[90:91], v[92:93]
	v_add_f64 v[86:87], v[86:87], -v[88:89]
	buffer_store_dword v87, off, s[0:3], 0 offset:188
	buffer_store_dword v86, off, s[0:3], 0 offset:184
	s_and_saveexec_b64 s[4:5], vcc
	s_cbranch_execz .LBB105_215
; %bb.214:
	buffer_load_dword v86, off, s[0:3], 0 offset:176
	buffer_load_dword v87, off, s[0:3], 0 offset:180
	v_mov_b32_e32 v88, 0
	buffer_store_dword v88, off, s[0:3], 0 offset:176
	buffer_store_dword v88, off, s[0:3], 0 offset:180
	s_waitcnt vmcnt(2)
	ds_write_b64 v1, v[86:87]
.LBB105_215:
	s_or_b64 exec, exec, s[4:5]
	s_waitcnt lgkmcnt(0)
	; wave barrier
	s_waitcnt lgkmcnt(0)
	buffer_load_dword v86, off, s[0:3], 0 offset:176
	buffer_load_dword v87, off, s[0:3], 0 offset:180
	;; [unrolled: 1-line block ×16, first 2 shown]
	v_mov_b32_e32 v90, 0
	ds_read2_b64 v[92:95], v90 offset0:65 offset1:66
	v_cmp_lt_u32_e32 vcc, 21, v0
	s_waitcnt vmcnt(12) lgkmcnt(0)
	v_fma_f64 v[88:89], v[88:89], v[92:93], 0
	s_waitcnt vmcnt(10)
	v_fmac_f64_e32 v[88:89], v[96:97], v[94:95]
	ds_read2_b64 v[92:95], v90 offset0:67 offset1:68
	s_waitcnt vmcnt(8) lgkmcnt(0)
	v_fmac_f64_e32 v[88:89], v[98:99], v[92:93]
	s_waitcnt vmcnt(6)
	v_fmac_f64_e32 v[88:89], v[100:101], v[94:95]
	ds_read2_b64 v[92:95], v90 offset0:69 offset1:70
	s_waitcnt vmcnt(4) lgkmcnt(0)
	v_fmac_f64_e32 v[88:89], v[102:103], v[92:93]
	;; [unrolled: 5-line block ×3, first 2 shown]
	buffer_load_dword v93, off, s[0:3], 0 offset:244
	buffer_load_dword v92, off, s[0:3], 0 offset:240
	buffer_load_dword v97, off, s[0:3], 0 offset:252
	buffer_load_dword v96, off, s[0:3], 0 offset:248
	s_waitcnt vmcnt(2)
	v_fmac_f64_e32 v[88:89], v[92:93], v[94:95]
	ds_read2_b64 v[92:95], v90 offset0:73 offset1:74
	s_waitcnt vmcnt(0) lgkmcnt(0)
	v_fmac_f64_e32 v[88:89], v[96:97], v[92:93]
	buffer_load_dword v93, off, s[0:3], 0 offset:260
	buffer_load_dword v92, off, s[0:3], 0 offset:256
	buffer_load_dword v97, off, s[0:3], 0 offset:268
	buffer_load_dword v96, off, s[0:3], 0 offset:264
	s_waitcnt vmcnt(2)
	v_fmac_f64_e32 v[88:89], v[92:93], v[94:95]
	ds_read2_b64 v[92:95], v90 offset0:75 offset1:76
	s_waitcnt vmcnt(0) lgkmcnt(0)
	v_fmac_f64_e32 v[88:89], v[96:97], v[92:93]
	;; [unrolled: 9-line block ×5, first 2 shown]
	buffer_load_dword v93, off, s[0:3], 0 offset:324
	buffer_load_dword v92, off, s[0:3], 0 offset:320
	s_waitcnt vmcnt(0)
	v_fmac_f64_e32 v[88:89], v[92:93], v[94:95]
	buffer_load_dword v93, off, s[0:3], 0 offset:332
	buffer_load_dword v92, off, s[0:3], 0 offset:328
	ds_read_b64 v[94:95], v90 offset:664
	s_waitcnt vmcnt(0) lgkmcnt(0)
	v_fmac_f64_e32 v[88:89], v[92:93], v[94:95]
	v_add_f64 v[86:87], v[86:87], -v[88:89]
	buffer_store_dword v87, off, s[0:3], 0 offset:180
	buffer_store_dword v86, off, s[0:3], 0 offset:176
	s_and_saveexec_b64 s[4:5], vcc
	s_cbranch_execz .LBB105_217
; %bb.216:
	buffer_load_dword v86, off, s[0:3], 0 offset:168
	buffer_load_dword v87, off, s[0:3], 0 offset:172
	s_waitcnt vmcnt(0)
	ds_write_b64 v1, v[86:87]
	buffer_store_dword v90, off, s[0:3], 0 offset:168
	buffer_store_dword v90, off, s[0:3], 0 offset:172
.LBB105_217:
	s_or_b64 exec, exec, s[4:5]
	s_waitcnt lgkmcnt(0)
	; wave barrier
	s_waitcnt lgkmcnt(0)
	buffer_load_dword v86, off, s[0:3], 0 offset:168
	buffer_load_dword v87, off, s[0:3], 0 offset:172
	;; [unrolled: 1-line block ×16, first 2 shown]
	ds_read_b128 v[92:95], v90 offset:512
	ds_read_b128 v[96:99], v90 offset:528
	;; [unrolled: 1-line block ×4, first 2 shown]
	v_cmp_lt_u32_e32 vcc, 20, v0
	s_waitcnt vmcnt(12) lgkmcnt(3)
	v_fma_f64 v[88:89], v[88:89], v[92:93], 0
	buffer_load_dword v93, off, s[0:3], 0 offset:236
	buffer_load_dword v92, off, s[0:3], 0 offset:232
	s_waitcnt vmcnt(12)
	v_fmac_f64_e32 v[88:89], v[108:109], v[94:95]
	s_waitcnt vmcnt(10) lgkmcnt(2)
	v_fmac_f64_e32 v[88:89], v[110:111], v[96:97]
	buffer_load_dword v97, off, s[0:3], 0 offset:244
	buffer_load_dword v96, off, s[0:3], 0 offset:240
	s_waitcnt vmcnt(10)
	v_fmac_f64_e32 v[88:89], v[112:113], v[98:99]
	s_waitcnt vmcnt(8) lgkmcnt(1)
	v_fmac_f64_e32 v[88:89], v[114:115], v[100:101]
	s_waitcnt vmcnt(6)
	v_fmac_f64_e32 v[88:89], v[116:117], v[102:103]
	s_waitcnt vmcnt(4) lgkmcnt(0)
	v_fmac_f64_e32 v[88:89], v[118:119], v[104:105]
	s_waitcnt vmcnt(2)
	v_fmac_f64_e32 v[88:89], v[92:93], v[106:107]
	ds_read_b128 v[92:95], v90 offset:576
	s_waitcnt vmcnt(0) lgkmcnt(0)
	v_fmac_f64_e32 v[88:89], v[96:97], v[92:93]
	buffer_load_dword v93, off, s[0:3], 0 offset:252
	buffer_load_dword v92, off, s[0:3], 0 offset:248
	buffer_load_dword v97, off, s[0:3], 0 offset:260
	buffer_load_dword v96, off, s[0:3], 0 offset:256
	s_waitcnt vmcnt(2)
	v_fmac_f64_e32 v[88:89], v[92:93], v[94:95]
	ds_read_b128 v[92:95], v90 offset:592
	s_waitcnt vmcnt(0) lgkmcnt(0)
	v_fmac_f64_e32 v[88:89], v[96:97], v[92:93]
	buffer_load_dword v93, off, s[0:3], 0 offset:268
	buffer_load_dword v92, off, s[0:3], 0 offset:264
	buffer_load_dword v97, off, s[0:3], 0 offset:276
	buffer_load_dword v96, off, s[0:3], 0 offset:272
	;; [unrolled: 9-line block ×4, first 2 shown]
	s_waitcnt vmcnt(2)
	v_fmac_f64_e32 v[88:89], v[92:93], v[94:95]
	ds_read_b128 v[92:95], v90 offset:640
	s_waitcnt vmcnt(0) lgkmcnt(0)
	v_fmac_f64_e32 v[88:89], v[96:97], v[92:93]
	buffer_load_dword v93, off, s[0:3], 0 offset:316
	buffer_load_dword v92, off, s[0:3], 0 offset:312
	s_waitcnt vmcnt(0)
	v_fmac_f64_e32 v[88:89], v[92:93], v[94:95]
	buffer_load_dword v95, off, s[0:3], 0 offset:324
	buffer_load_dword v94, off, s[0:3], 0 offset:320
	ds_read_b128 v[90:93], v90 offset:656
	s_waitcnt vmcnt(0) lgkmcnt(0)
	v_fmac_f64_e32 v[88:89], v[94:95], v[90:91]
	buffer_load_dword v91, off, s[0:3], 0 offset:332
	buffer_load_dword v90, off, s[0:3], 0 offset:328
	s_waitcnt vmcnt(0)
	v_fmac_f64_e32 v[88:89], v[90:91], v[92:93]
	v_add_f64 v[86:87], v[86:87], -v[88:89]
	buffer_store_dword v87, off, s[0:3], 0 offset:172
	buffer_store_dword v86, off, s[0:3], 0 offset:168
	s_and_saveexec_b64 s[4:5], vcc
	s_cbranch_execz .LBB105_219
; %bb.218:
	buffer_load_dword v86, off, s[0:3], 0 offset:160
	buffer_load_dword v87, off, s[0:3], 0 offset:164
	v_mov_b32_e32 v88, 0
	buffer_store_dword v88, off, s[0:3], 0 offset:160
	buffer_store_dword v88, off, s[0:3], 0 offset:164
	s_waitcnt vmcnt(2)
	ds_write_b64 v1, v[86:87]
.LBB105_219:
	s_or_b64 exec, exec, s[4:5]
	s_waitcnt lgkmcnt(0)
	; wave barrier
	s_waitcnt lgkmcnt(0)
	buffer_load_dword v86, off, s[0:3], 0 offset:160
	buffer_load_dword v87, off, s[0:3], 0 offset:164
	;; [unrolled: 1-line block ×16, first 2 shown]
	v_mov_b32_e32 v90, 0
	ds_read2_b64 v[92:95], v90 offset0:63 offset1:64
	v_cmp_lt_u32_e32 vcc, 19, v0
	s_waitcnt vmcnt(12) lgkmcnt(0)
	v_fma_f64 v[88:89], v[88:89], v[92:93], 0
	s_waitcnt vmcnt(10)
	v_fmac_f64_e32 v[88:89], v[96:97], v[94:95]
	ds_read2_b64 v[92:95], v90 offset0:65 offset1:66
	s_waitcnt vmcnt(8) lgkmcnt(0)
	v_fmac_f64_e32 v[88:89], v[98:99], v[92:93]
	s_waitcnt vmcnt(6)
	v_fmac_f64_e32 v[88:89], v[100:101], v[94:95]
	ds_read2_b64 v[92:95], v90 offset0:67 offset1:68
	s_waitcnt vmcnt(4) lgkmcnt(0)
	v_fmac_f64_e32 v[88:89], v[102:103], v[92:93]
	;; [unrolled: 5-line block ×3, first 2 shown]
	buffer_load_dword v93, off, s[0:3], 0 offset:228
	buffer_load_dword v92, off, s[0:3], 0 offset:224
	buffer_load_dword v97, off, s[0:3], 0 offset:236
	buffer_load_dword v96, off, s[0:3], 0 offset:232
	s_waitcnt vmcnt(2)
	v_fmac_f64_e32 v[88:89], v[92:93], v[94:95]
	ds_read2_b64 v[92:95], v90 offset0:71 offset1:72
	s_waitcnt vmcnt(0) lgkmcnt(0)
	v_fmac_f64_e32 v[88:89], v[96:97], v[92:93]
	buffer_load_dword v93, off, s[0:3], 0 offset:244
	buffer_load_dword v92, off, s[0:3], 0 offset:240
	buffer_load_dword v97, off, s[0:3], 0 offset:252
	buffer_load_dword v96, off, s[0:3], 0 offset:248
	s_waitcnt vmcnt(2)
	v_fmac_f64_e32 v[88:89], v[92:93], v[94:95]
	ds_read2_b64 v[92:95], v90 offset0:73 offset1:74
	s_waitcnt vmcnt(0) lgkmcnt(0)
	v_fmac_f64_e32 v[88:89], v[96:97], v[92:93]
	;; [unrolled: 9-line block ×6, first 2 shown]
	buffer_load_dword v93, off, s[0:3], 0 offset:324
	buffer_load_dword v92, off, s[0:3], 0 offset:320
	s_waitcnt vmcnt(0)
	v_fmac_f64_e32 v[88:89], v[92:93], v[94:95]
	buffer_load_dword v93, off, s[0:3], 0 offset:332
	buffer_load_dword v92, off, s[0:3], 0 offset:328
	ds_read_b64 v[94:95], v90 offset:664
	s_waitcnt vmcnt(0) lgkmcnt(0)
	v_fmac_f64_e32 v[88:89], v[92:93], v[94:95]
	v_add_f64 v[86:87], v[86:87], -v[88:89]
	buffer_store_dword v87, off, s[0:3], 0 offset:164
	buffer_store_dword v86, off, s[0:3], 0 offset:160
	s_and_saveexec_b64 s[4:5], vcc
	s_cbranch_execz .LBB105_221
; %bb.220:
	buffer_load_dword v86, off, s[0:3], 0 offset:152
	buffer_load_dword v87, off, s[0:3], 0 offset:156
	s_waitcnt vmcnt(0)
	ds_write_b64 v1, v[86:87]
	buffer_store_dword v90, off, s[0:3], 0 offset:152
	buffer_store_dword v90, off, s[0:3], 0 offset:156
.LBB105_221:
	s_or_b64 exec, exec, s[4:5]
	s_waitcnt lgkmcnt(0)
	; wave barrier
	s_waitcnt lgkmcnt(0)
	buffer_load_dword v86, off, s[0:3], 0 offset:152
	buffer_load_dword v87, off, s[0:3], 0 offset:156
	;; [unrolled: 1-line block ×16, first 2 shown]
	ds_read_b128 v[92:95], v90 offset:496
	ds_read_b128 v[96:99], v90 offset:512
	;; [unrolled: 1-line block ×4, first 2 shown]
	v_cmp_lt_u32_e32 vcc, 18, v0
	s_waitcnt vmcnt(12) lgkmcnt(3)
	v_fma_f64 v[88:89], v[88:89], v[92:93], 0
	buffer_load_dword v93, off, s[0:3], 0 offset:220
	buffer_load_dword v92, off, s[0:3], 0 offset:216
	s_waitcnt vmcnt(12)
	v_fmac_f64_e32 v[88:89], v[108:109], v[94:95]
	s_waitcnt vmcnt(10) lgkmcnt(2)
	v_fmac_f64_e32 v[88:89], v[110:111], v[96:97]
	buffer_load_dword v97, off, s[0:3], 0 offset:228
	buffer_load_dword v96, off, s[0:3], 0 offset:224
	s_waitcnt vmcnt(10)
	v_fmac_f64_e32 v[88:89], v[112:113], v[98:99]
	s_waitcnt vmcnt(8) lgkmcnt(1)
	v_fmac_f64_e32 v[88:89], v[114:115], v[100:101]
	s_waitcnt vmcnt(6)
	v_fmac_f64_e32 v[88:89], v[116:117], v[102:103]
	s_waitcnt vmcnt(4) lgkmcnt(0)
	v_fmac_f64_e32 v[88:89], v[118:119], v[104:105]
	s_waitcnt vmcnt(2)
	v_fmac_f64_e32 v[88:89], v[92:93], v[106:107]
	ds_read_b128 v[92:95], v90 offset:560
	s_waitcnt vmcnt(0) lgkmcnt(0)
	v_fmac_f64_e32 v[88:89], v[96:97], v[92:93]
	buffer_load_dword v93, off, s[0:3], 0 offset:236
	buffer_load_dword v92, off, s[0:3], 0 offset:232
	buffer_load_dword v97, off, s[0:3], 0 offset:244
	buffer_load_dword v96, off, s[0:3], 0 offset:240
	s_waitcnt vmcnt(2)
	v_fmac_f64_e32 v[88:89], v[92:93], v[94:95]
	ds_read_b128 v[92:95], v90 offset:576
	s_waitcnt vmcnt(0) lgkmcnt(0)
	v_fmac_f64_e32 v[88:89], v[96:97], v[92:93]
	buffer_load_dword v93, off, s[0:3], 0 offset:252
	buffer_load_dword v92, off, s[0:3], 0 offset:248
	buffer_load_dword v97, off, s[0:3], 0 offset:260
	buffer_load_dword v96, off, s[0:3], 0 offset:256
	;; [unrolled: 9-line block ×5, first 2 shown]
	s_waitcnt vmcnt(2)
	v_fmac_f64_e32 v[88:89], v[92:93], v[94:95]
	ds_read_b128 v[92:95], v90 offset:640
	s_waitcnt vmcnt(0) lgkmcnt(0)
	v_fmac_f64_e32 v[88:89], v[96:97], v[92:93]
	buffer_load_dword v93, off, s[0:3], 0 offset:316
	buffer_load_dword v92, off, s[0:3], 0 offset:312
	s_waitcnt vmcnt(0)
	v_fmac_f64_e32 v[88:89], v[92:93], v[94:95]
	buffer_load_dword v95, off, s[0:3], 0 offset:324
	buffer_load_dword v94, off, s[0:3], 0 offset:320
	ds_read_b128 v[90:93], v90 offset:656
	s_waitcnt vmcnt(0) lgkmcnt(0)
	v_fmac_f64_e32 v[88:89], v[94:95], v[90:91]
	buffer_load_dword v91, off, s[0:3], 0 offset:332
	buffer_load_dword v90, off, s[0:3], 0 offset:328
	s_waitcnt vmcnt(0)
	v_fmac_f64_e32 v[88:89], v[90:91], v[92:93]
	v_add_f64 v[86:87], v[86:87], -v[88:89]
	buffer_store_dword v87, off, s[0:3], 0 offset:156
	buffer_store_dword v86, off, s[0:3], 0 offset:152
	s_and_saveexec_b64 s[4:5], vcc
	s_cbranch_execz .LBB105_223
; %bb.222:
	buffer_load_dword v86, off, s[0:3], 0 offset:144
	buffer_load_dword v87, off, s[0:3], 0 offset:148
	v_mov_b32_e32 v88, 0
	buffer_store_dword v88, off, s[0:3], 0 offset:144
	buffer_store_dword v88, off, s[0:3], 0 offset:148
	s_waitcnt vmcnt(2)
	ds_write_b64 v1, v[86:87]
.LBB105_223:
	s_or_b64 exec, exec, s[4:5]
	s_waitcnt lgkmcnt(0)
	; wave barrier
	s_waitcnt lgkmcnt(0)
	buffer_load_dword v86, off, s[0:3], 0 offset:144
	buffer_load_dword v87, off, s[0:3], 0 offset:148
	;; [unrolled: 1-line block ×16, first 2 shown]
	v_mov_b32_e32 v90, 0
	ds_read2_b64 v[92:95], v90 offset0:61 offset1:62
	v_cmp_lt_u32_e32 vcc, 17, v0
	s_waitcnt vmcnt(12) lgkmcnt(0)
	v_fma_f64 v[88:89], v[88:89], v[92:93], 0
	s_waitcnt vmcnt(10)
	v_fmac_f64_e32 v[88:89], v[96:97], v[94:95]
	ds_read2_b64 v[92:95], v90 offset0:63 offset1:64
	s_waitcnt vmcnt(8) lgkmcnt(0)
	v_fmac_f64_e32 v[88:89], v[98:99], v[92:93]
	s_waitcnt vmcnt(6)
	v_fmac_f64_e32 v[88:89], v[100:101], v[94:95]
	ds_read2_b64 v[92:95], v90 offset0:65 offset1:66
	s_waitcnt vmcnt(4) lgkmcnt(0)
	v_fmac_f64_e32 v[88:89], v[102:103], v[92:93]
	;; [unrolled: 5-line block ×3, first 2 shown]
	buffer_load_dword v93, off, s[0:3], 0 offset:212
	buffer_load_dword v92, off, s[0:3], 0 offset:208
	buffer_load_dword v97, off, s[0:3], 0 offset:220
	buffer_load_dword v96, off, s[0:3], 0 offset:216
	s_waitcnt vmcnt(2)
	v_fmac_f64_e32 v[88:89], v[92:93], v[94:95]
	ds_read2_b64 v[92:95], v90 offset0:69 offset1:70
	s_waitcnt vmcnt(0) lgkmcnt(0)
	v_fmac_f64_e32 v[88:89], v[96:97], v[92:93]
	buffer_load_dword v93, off, s[0:3], 0 offset:228
	buffer_load_dword v92, off, s[0:3], 0 offset:224
	buffer_load_dword v97, off, s[0:3], 0 offset:236
	buffer_load_dword v96, off, s[0:3], 0 offset:232
	s_waitcnt vmcnt(2)
	v_fmac_f64_e32 v[88:89], v[92:93], v[94:95]
	ds_read2_b64 v[92:95], v90 offset0:71 offset1:72
	s_waitcnt vmcnt(0) lgkmcnt(0)
	v_fmac_f64_e32 v[88:89], v[96:97], v[92:93]
	;; [unrolled: 9-line block ×7, first 2 shown]
	buffer_load_dword v93, off, s[0:3], 0 offset:324
	buffer_load_dword v92, off, s[0:3], 0 offset:320
	s_waitcnt vmcnt(0)
	v_fmac_f64_e32 v[88:89], v[92:93], v[94:95]
	buffer_load_dword v93, off, s[0:3], 0 offset:332
	buffer_load_dword v92, off, s[0:3], 0 offset:328
	ds_read_b64 v[94:95], v90 offset:664
	s_waitcnt vmcnt(0) lgkmcnt(0)
	v_fmac_f64_e32 v[88:89], v[92:93], v[94:95]
	v_add_f64 v[86:87], v[86:87], -v[88:89]
	buffer_store_dword v87, off, s[0:3], 0 offset:148
	buffer_store_dword v86, off, s[0:3], 0 offset:144
	s_and_saveexec_b64 s[4:5], vcc
	s_cbranch_execz .LBB105_225
; %bb.224:
	buffer_load_dword v86, off, s[0:3], 0 offset:136
	buffer_load_dword v87, off, s[0:3], 0 offset:140
	s_waitcnt vmcnt(0)
	ds_write_b64 v1, v[86:87]
	buffer_store_dword v90, off, s[0:3], 0 offset:136
	buffer_store_dword v90, off, s[0:3], 0 offset:140
.LBB105_225:
	s_or_b64 exec, exec, s[4:5]
	s_waitcnt lgkmcnt(0)
	; wave barrier
	s_waitcnt lgkmcnt(0)
	buffer_load_dword v86, off, s[0:3], 0 offset:136
	buffer_load_dword v87, off, s[0:3], 0 offset:140
	;; [unrolled: 1-line block ×16, first 2 shown]
	ds_read_b128 v[92:95], v90 offset:480
	ds_read_b128 v[96:99], v90 offset:496
	;; [unrolled: 1-line block ×4, first 2 shown]
	v_cmp_lt_u32_e32 vcc, 16, v0
	s_waitcnt vmcnt(12) lgkmcnt(3)
	v_fma_f64 v[88:89], v[88:89], v[92:93], 0
	buffer_load_dword v93, off, s[0:3], 0 offset:204
	buffer_load_dword v92, off, s[0:3], 0 offset:200
	s_waitcnt vmcnt(12)
	v_fmac_f64_e32 v[88:89], v[108:109], v[94:95]
	s_waitcnt vmcnt(10) lgkmcnt(2)
	v_fmac_f64_e32 v[88:89], v[110:111], v[96:97]
	buffer_load_dword v97, off, s[0:3], 0 offset:212
	buffer_load_dword v96, off, s[0:3], 0 offset:208
	s_waitcnt vmcnt(10)
	v_fmac_f64_e32 v[88:89], v[112:113], v[98:99]
	s_waitcnt vmcnt(8) lgkmcnt(1)
	v_fmac_f64_e32 v[88:89], v[114:115], v[100:101]
	s_waitcnt vmcnt(6)
	v_fmac_f64_e32 v[88:89], v[116:117], v[102:103]
	s_waitcnt vmcnt(4) lgkmcnt(0)
	v_fmac_f64_e32 v[88:89], v[118:119], v[104:105]
	s_waitcnt vmcnt(2)
	v_fmac_f64_e32 v[88:89], v[92:93], v[106:107]
	ds_read_b128 v[92:95], v90 offset:544
	s_waitcnt vmcnt(0) lgkmcnt(0)
	v_fmac_f64_e32 v[88:89], v[96:97], v[92:93]
	buffer_load_dword v93, off, s[0:3], 0 offset:220
	buffer_load_dword v92, off, s[0:3], 0 offset:216
	buffer_load_dword v97, off, s[0:3], 0 offset:228
	buffer_load_dword v96, off, s[0:3], 0 offset:224
	s_waitcnt vmcnt(2)
	v_fmac_f64_e32 v[88:89], v[92:93], v[94:95]
	ds_read_b128 v[92:95], v90 offset:560
	s_waitcnt vmcnt(0) lgkmcnt(0)
	v_fmac_f64_e32 v[88:89], v[96:97], v[92:93]
	buffer_load_dword v93, off, s[0:3], 0 offset:236
	buffer_load_dword v92, off, s[0:3], 0 offset:232
	buffer_load_dword v97, off, s[0:3], 0 offset:244
	buffer_load_dword v96, off, s[0:3], 0 offset:240
	;; [unrolled: 9-line block ×6, first 2 shown]
	s_waitcnt vmcnt(2)
	v_fmac_f64_e32 v[88:89], v[92:93], v[94:95]
	ds_read_b128 v[92:95], v90 offset:640
	s_waitcnt vmcnt(0) lgkmcnt(0)
	v_fmac_f64_e32 v[88:89], v[96:97], v[92:93]
	buffer_load_dword v93, off, s[0:3], 0 offset:316
	buffer_load_dword v92, off, s[0:3], 0 offset:312
	s_waitcnt vmcnt(0)
	v_fmac_f64_e32 v[88:89], v[92:93], v[94:95]
	buffer_load_dword v95, off, s[0:3], 0 offset:324
	buffer_load_dword v94, off, s[0:3], 0 offset:320
	ds_read_b128 v[90:93], v90 offset:656
	s_waitcnt vmcnt(0) lgkmcnt(0)
	v_fmac_f64_e32 v[88:89], v[94:95], v[90:91]
	buffer_load_dword v91, off, s[0:3], 0 offset:332
	buffer_load_dword v90, off, s[0:3], 0 offset:328
	s_waitcnt vmcnt(0)
	v_fmac_f64_e32 v[88:89], v[90:91], v[92:93]
	v_add_f64 v[86:87], v[86:87], -v[88:89]
	buffer_store_dword v87, off, s[0:3], 0 offset:140
	buffer_store_dword v86, off, s[0:3], 0 offset:136
	s_and_saveexec_b64 s[4:5], vcc
	s_cbranch_execz .LBB105_227
; %bb.226:
	buffer_load_dword v86, off, s[0:3], 0 offset:128
	buffer_load_dword v87, off, s[0:3], 0 offset:132
	v_mov_b32_e32 v88, 0
	buffer_store_dword v88, off, s[0:3], 0 offset:128
	buffer_store_dword v88, off, s[0:3], 0 offset:132
	s_waitcnt vmcnt(2)
	ds_write_b64 v1, v[86:87]
.LBB105_227:
	s_or_b64 exec, exec, s[4:5]
	s_waitcnt lgkmcnt(0)
	; wave barrier
	s_waitcnt lgkmcnt(0)
	buffer_load_dword v86, off, s[0:3], 0 offset:128
	buffer_load_dword v87, off, s[0:3], 0 offset:132
	;; [unrolled: 1-line block ×16, first 2 shown]
	v_mov_b32_e32 v90, 0
	ds_read2_b64 v[92:95], v90 offset0:59 offset1:60
	v_cmp_lt_u32_e32 vcc, 15, v0
	s_waitcnt vmcnt(12) lgkmcnt(0)
	v_fma_f64 v[88:89], v[88:89], v[92:93], 0
	s_waitcnt vmcnt(10)
	v_fmac_f64_e32 v[88:89], v[96:97], v[94:95]
	ds_read2_b64 v[92:95], v90 offset0:61 offset1:62
	s_waitcnt vmcnt(8) lgkmcnt(0)
	v_fmac_f64_e32 v[88:89], v[98:99], v[92:93]
	s_waitcnt vmcnt(6)
	v_fmac_f64_e32 v[88:89], v[100:101], v[94:95]
	ds_read2_b64 v[92:95], v90 offset0:63 offset1:64
	s_waitcnt vmcnt(4) lgkmcnt(0)
	v_fmac_f64_e32 v[88:89], v[102:103], v[92:93]
	;; [unrolled: 5-line block ×3, first 2 shown]
	buffer_load_dword v93, off, s[0:3], 0 offset:196
	buffer_load_dword v92, off, s[0:3], 0 offset:192
	buffer_load_dword v97, off, s[0:3], 0 offset:204
	buffer_load_dword v96, off, s[0:3], 0 offset:200
	s_waitcnt vmcnt(2)
	v_fmac_f64_e32 v[88:89], v[92:93], v[94:95]
	ds_read2_b64 v[92:95], v90 offset0:67 offset1:68
	s_waitcnt vmcnt(0) lgkmcnt(0)
	v_fmac_f64_e32 v[88:89], v[96:97], v[92:93]
	buffer_load_dword v93, off, s[0:3], 0 offset:212
	buffer_load_dword v92, off, s[0:3], 0 offset:208
	buffer_load_dword v97, off, s[0:3], 0 offset:220
	buffer_load_dword v96, off, s[0:3], 0 offset:216
	s_waitcnt vmcnt(2)
	v_fmac_f64_e32 v[88:89], v[92:93], v[94:95]
	ds_read2_b64 v[92:95], v90 offset0:69 offset1:70
	s_waitcnt vmcnt(0) lgkmcnt(0)
	v_fmac_f64_e32 v[88:89], v[96:97], v[92:93]
	buffer_load_dword v93, off, s[0:3], 0 offset:228
	buffer_load_dword v92, off, s[0:3], 0 offset:224
	buffer_load_dword v97, off, s[0:3], 0 offset:236
	buffer_load_dword v96, off, s[0:3], 0 offset:232
	s_waitcnt vmcnt(2)
	v_fmac_f64_e32 v[88:89], v[92:93], v[94:95]
	ds_read2_b64 v[92:95], v90 offset0:71 offset1:72
	s_waitcnt vmcnt(0) lgkmcnt(0)
	v_fmac_f64_e32 v[88:89], v[96:97], v[92:93]
	buffer_load_dword v93, off, s[0:3], 0 offset:244
	buffer_load_dword v92, off, s[0:3], 0 offset:240
	buffer_load_dword v97, off, s[0:3], 0 offset:252
	buffer_load_dword v96, off, s[0:3], 0 offset:248
	s_waitcnt vmcnt(2)
	v_fmac_f64_e32 v[88:89], v[92:93], v[94:95]
	ds_read2_b64 v[92:95], v90 offset0:73 offset1:74
	s_waitcnt vmcnt(0) lgkmcnt(0)
	v_fmac_f64_e32 v[88:89], v[96:97], v[92:93]
	buffer_load_dword v93, off, s[0:3], 0 offset:260
	buffer_load_dword v92, off, s[0:3], 0 offset:256
	buffer_load_dword v97, off, s[0:3], 0 offset:268
	buffer_load_dword v96, off, s[0:3], 0 offset:264
	s_waitcnt vmcnt(2)
	v_fmac_f64_e32 v[88:89], v[92:93], v[94:95]
	ds_read2_b64 v[92:95], v90 offset0:75 offset1:76
	s_waitcnt vmcnt(0) lgkmcnt(0)
	v_fmac_f64_e32 v[88:89], v[96:97], v[92:93]
	buffer_load_dword v93, off, s[0:3], 0 offset:276
	buffer_load_dword v92, off, s[0:3], 0 offset:272
	buffer_load_dword v97, off, s[0:3], 0 offset:284
	buffer_load_dword v96, off, s[0:3], 0 offset:280
	s_waitcnt vmcnt(2)
	v_fmac_f64_e32 v[88:89], v[92:93], v[94:95]
	ds_read2_b64 v[92:95], v90 offset0:77 offset1:78
	s_waitcnt vmcnt(0) lgkmcnt(0)
	v_fmac_f64_e32 v[88:89], v[96:97], v[92:93]
	buffer_load_dword v93, off, s[0:3], 0 offset:292
	buffer_load_dword v92, off, s[0:3], 0 offset:288
	buffer_load_dword v97, off, s[0:3], 0 offset:300
	buffer_load_dword v96, off, s[0:3], 0 offset:296
	s_waitcnt vmcnt(2)
	v_fmac_f64_e32 v[88:89], v[92:93], v[94:95]
	ds_read2_b64 v[92:95], v90 offset0:79 offset1:80
	s_waitcnt vmcnt(0) lgkmcnt(0)
	v_fmac_f64_e32 v[88:89], v[96:97], v[92:93]
	buffer_load_dword v93, off, s[0:3], 0 offset:308
	buffer_load_dword v92, off, s[0:3], 0 offset:304
	buffer_load_dword v97, off, s[0:3], 0 offset:316
	buffer_load_dword v96, off, s[0:3], 0 offset:312
	s_waitcnt vmcnt(2)
	v_fmac_f64_e32 v[88:89], v[92:93], v[94:95]
	ds_read2_b64 v[92:95], v90 offset0:81 offset1:82
	s_waitcnt vmcnt(0) lgkmcnt(0)
	v_fmac_f64_e32 v[88:89], v[96:97], v[92:93]
	buffer_load_dword v93, off, s[0:3], 0 offset:324
	buffer_load_dword v92, off, s[0:3], 0 offset:320
	s_waitcnt vmcnt(0)
	v_fmac_f64_e32 v[88:89], v[92:93], v[94:95]
	buffer_load_dword v93, off, s[0:3], 0 offset:332
	buffer_load_dword v92, off, s[0:3], 0 offset:328
	ds_read_b64 v[94:95], v90 offset:664
	s_waitcnt vmcnt(0) lgkmcnt(0)
	v_fmac_f64_e32 v[88:89], v[92:93], v[94:95]
	v_add_f64 v[86:87], v[86:87], -v[88:89]
	buffer_store_dword v87, off, s[0:3], 0 offset:132
	buffer_store_dword v86, off, s[0:3], 0 offset:128
	s_and_saveexec_b64 s[4:5], vcc
	s_cbranch_execz .LBB105_229
; %bb.228:
	buffer_load_dword v86, off, s[0:3], 0 offset:120
	buffer_load_dword v87, off, s[0:3], 0 offset:124
	s_waitcnt vmcnt(0)
	ds_write_b64 v1, v[86:87]
	buffer_store_dword v90, off, s[0:3], 0 offset:120
	buffer_store_dword v90, off, s[0:3], 0 offset:124
.LBB105_229:
	s_or_b64 exec, exec, s[4:5]
	s_waitcnt lgkmcnt(0)
	; wave barrier
	s_waitcnt lgkmcnt(0)
	buffer_load_dword v86, off, s[0:3], 0 offset:120
	buffer_load_dword v87, off, s[0:3], 0 offset:124
	;; [unrolled: 1-line block ×16, first 2 shown]
	ds_read_b128 v[92:95], v90 offset:464
	ds_read_b128 v[96:99], v90 offset:480
	;; [unrolled: 1-line block ×4, first 2 shown]
	v_cmp_lt_u32_e32 vcc, 14, v0
	s_waitcnt vmcnt(12) lgkmcnt(3)
	v_fma_f64 v[88:89], v[88:89], v[92:93], 0
	buffer_load_dword v93, off, s[0:3], 0 offset:188
	buffer_load_dword v92, off, s[0:3], 0 offset:184
	s_waitcnt vmcnt(12)
	v_fmac_f64_e32 v[88:89], v[108:109], v[94:95]
	s_waitcnt vmcnt(10) lgkmcnt(2)
	v_fmac_f64_e32 v[88:89], v[110:111], v[96:97]
	buffer_load_dword v97, off, s[0:3], 0 offset:196
	buffer_load_dword v96, off, s[0:3], 0 offset:192
	s_waitcnt vmcnt(10)
	v_fmac_f64_e32 v[88:89], v[112:113], v[98:99]
	s_waitcnt vmcnt(8) lgkmcnt(1)
	v_fmac_f64_e32 v[88:89], v[114:115], v[100:101]
	s_waitcnt vmcnt(6)
	v_fmac_f64_e32 v[88:89], v[116:117], v[102:103]
	s_waitcnt vmcnt(4) lgkmcnt(0)
	v_fmac_f64_e32 v[88:89], v[118:119], v[104:105]
	s_waitcnt vmcnt(2)
	v_fmac_f64_e32 v[88:89], v[92:93], v[106:107]
	ds_read_b128 v[92:95], v90 offset:528
	s_waitcnt vmcnt(0) lgkmcnt(0)
	v_fmac_f64_e32 v[88:89], v[96:97], v[92:93]
	buffer_load_dword v93, off, s[0:3], 0 offset:204
	buffer_load_dword v92, off, s[0:3], 0 offset:200
	buffer_load_dword v97, off, s[0:3], 0 offset:212
	buffer_load_dword v96, off, s[0:3], 0 offset:208
	s_waitcnt vmcnt(2)
	v_fmac_f64_e32 v[88:89], v[92:93], v[94:95]
	ds_read_b128 v[92:95], v90 offset:544
	s_waitcnt vmcnt(0) lgkmcnt(0)
	v_fmac_f64_e32 v[88:89], v[96:97], v[92:93]
	buffer_load_dword v93, off, s[0:3], 0 offset:220
	buffer_load_dword v92, off, s[0:3], 0 offset:216
	buffer_load_dword v97, off, s[0:3], 0 offset:228
	buffer_load_dword v96, off, s[0:3], 0 offset:224
	;; [unrolled: 9-line block ×7, first 2 shown]
	s_waitcnt vmcnt(2)
	v_fmac_f64_e32 v[88:89], v[92:93], v[94:95]
	ds_read_b128 v[92:95], v90 offset:640
	s_waitcnt vmcnt(0) lgkmcnt(0)
	v_fmac_f64_e32 v[88:89], v[96:97], v[92:93]
	buffer_load_dword v93, off, s[0:3], 0 offset:316
	buffer_load_dword v92, off, s[0:3], 0 offset:312
	s_waitcnt vmcnt(0)
	v_fmac_f64_e32 v[88:89], v[92:93], v[94:95]
	buffer_load_dword v95, off, s[0:3], 0 offset:324
	buffer_load_dword v94, off, s[0:3], 0 offset:320
	ds_read_b128 v[90:93], v90 offset:656
	s_waitcnt vmcnt(0) lgkmcnt(0)
	v_fmac_f64_e32 v[88:89], v[94:95], v[90:91]
	buffer_load_dword v91, off, s[0:3], 0 offset:332
	buffer_load_dword v90, off, s[0:3], 0 offset:328
	s_waitcnt vmcnt(0)
	v_fmac_f64_e32 v[88:89], v[90:91], v[92:93]
	v_add_f64 v[86:87], v[86:87], -v[88:89]
	buffer_store_dword v87, off, s[0:3], 0 offset:124
	buffer_store_dword v86, off, s[0:3], 0 offset:120
	s_and_saveexec_b64 s[4:5], vcc
	s_cbranch_execz .LBB105_231
; %bb.230:
	buffer_load_dword v86, off, s[0:3], 0 offset:112
	buffer_load_dword v87, off, s[0:3], 0 offset:116
	v_mov_b32_e32 v88, 0
	buffer_store_dword v88, off, s[0:3], 0 offset:112
	buffer_store_dword v88, off, s[0:3], 0 offset:116
	s_waitcnt vmcnt(2)
	ds_write_b64 v1, v[86:87]
.LBB105_231:
	s_or_b64 exec, exec, s[4:5]
	s_waitcnt lgkmcnt(0)
	; wave barrier
	s_waitcnt lgkmcnt(0)
	buffer_load_dword v86, off, s[0:3], 0 offset:112
	buffer_load_dword v87, off, s[0:3], 0 offset:116
	;; [unrolled: 1-line block ×16, first 2 shown]
	v_mov_b32_e32 v90, 0
	ds_read2_b64 v[92:95], v90 offset0:57 offset1:58
	v_cmp_lt_u32_e32 vcc, 13, v0
	s_waitcnt vmcnt(12) lgkmcnt(0)
	v_fma_f64 v[88:89], v[88:89], v[92:93], 0
	s_waitcnt vmcnt(10)
	v_fmac_f64_e32 v[88:89], v[96:97], v[94:95]
	ds_read2_b64 v[92:95], v90 offset0:59 offset1:60
	s_waitcnt vmcnt(8) lgkmcnt(0)
	v_fmac_f64_e32 v[88:89], v[98:99], v[92:93]
	s_waitcnt vmcnt(6)
	v_fmac_f64_e32 v[88:89], v[100:101], v[94:95]
	ds_read2_b64 v[92:95], v90 offset0:61 offset1:62
	s_waitcnt vmcnt(4) lgkmcnt(0)
	v_fmac_f64_e32 v[88:89], v[102:103], v[92:93]
	;; [unrolled: 5-line block ×3, first 2 shown]
	buffer_load_dword v93, off, s[0:3], 0 offset:180
	buffer_load_dword v92, off, s[0:3], 0 offset:176
	buffer_load_dword v97, off, s[0:3], 0 offset:188
	buffer_load_dword v96, off, s[0:3], 0 offset:184
	s_waitcnt vmcnt(2)
	v_fmac_f64_e32 v[88:89], v[92:93], v[94:95]
	ds_read2_b64 v[92:95], v90 offset0:65 offset1:66
	s_waitcnt vmcnt(0) lgkmcnt(0)
	v_fmac_f64_e32 v[88:89], v[96:97], v[92:93]
	buffer_load_dword v93, off, s[0:3], 0 offset:196
	buffer_load_dword v92, off, s[0:3], 0 offset:192
	buffer_load_dword v97, off, s[0:3], 0 offset:204
	buffer_load_dword v96, off, s[0:3], 0 offset:200
	s_waitcnt vmcnt(2)
	v_fmac_f64_e32 v[88:89], v[92:93], v[94:95]
	ds_read2_b64 v[92:95], v90 offset0:67 offset1:68
	s_waitcnt vmcnt(0) lgkmcnt(0)
	v_fmac_f64_e32 v[88:89], v[96:97], v[92:93]
	buffer_load_dword v93, off, s[0:3], 0 offset:212
	buffer_load_dword v92, off, s[0:3], 0 offset:208
	buffer_load_dword v97, off, s[0:3], 0 offset:220
	buffer_load_dword v96, off, s[0:3], 0 offset:216
	s_waitcnt vmcnt(2)
	v_fmac_f64_e32 v[88:89], v[92:93], v[94:95]
	ds_read2_b64 v[92:95], v90 offset0:69 offset1:70
	s_waitcnt vmcnt(0) lgkmcnt(0)
	v_fmac_f64_e32 v[88:89], v[96:97], v[92:93]
	buffer_load_dword v93, off, s[0:3], 0 offset:228
	buffer_load_dword v92, off, s[0:3], 0 offset:224
	buffer_load_dword v97, off, s[0:3], 0 offset:236
	buffer_load_dword v96, off, s[0:3], 0 offset:232
	s_waitcnt vmcnt(2)
	v_fmac_f64_e32 v[88:89], v[92:93], v[94:95]
	ds_read2_b64 v[92:95], v90 offset0:71 offset1:72
	s_waitcnt vmcnt(0) lgkmcnt(0)
	v_fmac_f64_e32 v[88:89], v[96:97], v[92:93]
	buffer_load_dword v93, off, s[0:3], 0 offset:244
	buffer_load_dword v92, off, s[0:3], 0 offset:240
	buffer_load_dword v97, off, s[0:3], 0 offset:252
	buffer_load_dword v96, off, s[0:3], 0 offset:248
	s_waitcnt vmcnt(2)
	v_fmac_f64_e32 v[88:89], v[92:93], v[94:95]
	ds_read2_b64 v[92:95], v90 offset0:73 offset1:74
	s_waitcnt vmcnt(0) lgkmcnt(0)
	v_fmac_f64_e32 v[88:89], v[96:97], v[92:93]
	buffer_load_dword v93, off, s[0:3], 0 offset:260
	buffer_load_dword v92, off, s[0:3], 0 offset:256
	buffer_load_dword v97, off, s[0:3], 0 offset:268
	buffer_load_dword v96, off, s[0:3], 0 offset:264
	s_waitcnt vmcnt(2)
	v_fmac_f64_e32 v[88:89], v[92:93], v[94:95]
	ds_read2_b64 v[92:95], v90 offset0:75 offset1:76
	s_waitcnt vmcnt(0) lgkmcnt(0)
	v_fmac_f64_e32 v[88:89], v[96:97], v[92:93]
	buffer_load_dword v93, off, s[0:3], 0 offset:276
	buffer_load_dword v92, off, s[0:3], 0 offset:272
	buffer_load_dword v97, off, s[0:3], 0 offset:284
	buffer_load_dword v96, off, s[0:3], 0 offset:280
	s_waitcnt vmcnt(2)
	v_fmac_f64_e32 v[88:89], v[92:93], v[94:95]
	ds_read2_b64 v[92:95], v90 offset0:77 offset1:78
	s_waitcnt vmcnt(0) lgkmcnt(0)
	v_fmac_f64_e32 v[88:89], v[96:97], v[92:93]
	buffer_load_dword v93, off, s[0:3], 0 offset:292
	buffer_load_dword v92, off, s[0:3], 0 offset:288
	buffer_load_dword v97, off, s[0:3], 0 offset:300
	buffer_load_dword v96, off, s[0:3], 0 offset:296
	s_waitcnt vmcnt(2)
	v_fmac_f64_e32 v[88:89], v[92:93], v[94:95]
	ds_read2_b64 v[92:95], v90 offset0:79 offset1:80
	s_waitcnt vmcnt(0) lgkmcnt(0)
	v_fmac_f64_e32 v[88:89], v[96:97], v[92:93]
	buffer_load_dword v93, off, s[0:3], 0 offset:308
	buffer_load_dword v92, off, s[0:3], 0 offset:304
	buffer_load_dword v97, off, s[0:3], 0 offset:316
	buffer_load_dword v96, off, s[0:3], 0 offset:312
	s_waitcnt vmcnt(2)
	v_fmac_f64_e32 v[88:89], v[92:93], v[94:95]
	ds_read2_b64 v[92:95], v90 offset0:81 offset1:82
	s_waitcnt vmcnt(0) lgkmcnt(0)
	v_fmac_f64_e32 v[88:89], v[96:97], v[92:93]
	buffer_load_dword v93, off, s[0:3], 0 offset:324
	buffer_load_dword v92, off, s[0:3], 0 offset:320
	s_waitcnt vmcnt(0)
	v_fmac_f64_e32 v[88:89], v[92:93], v[94:95]
	buffer_load_dword v93, off, s[0:3], 0 offset:332
	buffer_load_dword v92, off, s[0:3], 0 offset:328
	ds_read_b64 v[94:95], v90 offset:664
	s_waitcnt vmcnt(0) lgkmcnt(0)
	v_fmac_f64_e32 v[88:89], v[92:93], v[94:95]
	v_add_f64 v[86:87], v[86:87], -v[88:89]
	buffer_store_dword v87, off, s[0:3], 0 offset:116
	buffer_store_dword v86, off, s[0:3], 0 offset:112
	s_and_saveexec_b64 s[4:5], vcc
	s_cbranch_execz .LBB105_233
; %bb.232:
	buffer_load_dword v86, off, s[0:3], 0 offset:104
	buffer_load_dword v87, off, s[0:3], 0 offset:108
	s_waitcnt vmcnt(0)
	ds_write_b64 v1, v[86:87]
	buffer_store_dword v90, off, s[0:3], 0 offset:104
	buffer_store_dword v90, off, s[0:3], 0 offset:108
.LBB105_233:
	s_or_b64 exec, exec, s[4:5]
	s_waitcnt lgkmcnt(0)
	; wave barrier
	s_waitcnt lgkmcnt(0)
	buffer_load_dword v86, off, s[0:3], 0 offset:104
	buffer_load_dword v87, off, s[0:3], 0 offset:108
	;; [unrolled: 1-line block ×16, first 2 shown]
	ds_read_b128 v[92:95], v90 offset:448
	ds_read_b128 v[96:99], v90 offset:464
	;; [unrolled: 1-line block ×4, first 2 shown]
	v_cmp_lt_u32_e32 vcc, 12, v0
	s_waitcnt vmcnt(12) lgkmcnt(3)
	v_fma_f64 v[88:89], v[88:89], v[92:93], 0
	buffer_load_dword v93, off, s[0:3], 0 offset:172
	buffer_load_dword v92, off, s[0:3], 0 offset:168
	s_waitcnt vmcnt(12)
	v_fmac_f64_e32 v[88:89], v[108:109], v[94:95]
	s_waitcnt vmcnt(10) lgkmcnt(2)
	v_fmac_f64_e32 v[88:89], v[110:111], v[96:97]
	buffer_load_dword v97, off, s[0:3], 0 offset:180
	buffer_load_dword v96, off, s[0:3], 0 offset:176
	s_waitcnt vmcnt(10)
	v_fmac_f64_e32 v[88:89], v[112:113], v[98:99]
	s_waitcnt vmcnt(8) lgkmcnt(1)
	v_fmac_f64_e32 v[88:89], v[114:115], v[100:101]
	s_waitcnt vmcnt(6)
	v_fmac_f64_e32 v[88:89], v[116:117], v[102:103]
	s_waitcnt vmcnt(4) lgkmcnt(0)
	v_fmac_f64_e32 v[88:89], v[118:119], v[104:105]
	s_waitcnt vmcnt(2)
	v_fmac_f64_e32 v[88:89], v[92:93], v[106:107]
	ds_read_b128 v[92:95], v90 offset:512
	s_waitcnt vmcnt(0) lgkmcnt(0)
	v_fmac_f64_e32 v[88:89], v[96:97], v[92:93]
	buffer_load_dword v93, off, s[0:3], 0 offset:188
	buffer_load_dword v92, off, s[0:3], 0 offset:184
	buffer_load_dword v97, off, s[0:3], 0 offset:196
	buffer_load_dword v96, off, s[0:3], 0 offset:192
	s_waitcnt vmcnt(2)
	v_fmac_f64_e32 v[88:89], v[92:93], v[94:95]
	ds_read_b128 v[92:95], v90 offset:528
	s_waitcnt vmcnt(0) lgkmcnt(0)
	v_fmac_f64_e32 v[88:89], v[96:97], v[92:93]
	buffer_load_dword v93, off, s[0:3], 0 offset:204
	buffer_load_dword v92, off, s[0:3], 0 offset:200
	buffer_load_dword v97, off, s[0:3], 0 offset:212
	buffer_load_dword v96, off, s[0:3], 0 offset:208
	;; [unrolled: 9-line block ×8, first 2 shown]
	s_waitcnt vmcnt(2)
	v_fmac_f64_e32 v[88:89], v[92:93], v[94:95]
	ds_read_b128 v[92:95], v90 offset:640
	s_waitcnt vmcnt(0) lgkmcnt(0)
	v_fmac_f64_e32 v[88:89], v[96:97], v[92:93]
	buffer_load_dword v93, off, s[0:3], 0 offset:316
	buffer_load_dword v92, off, s[0:3], 0 offset:312
	s_waitcnt vmcnt(0)
	v_fmac_f64_e32 v[88:89], v[92:93], v[94:95]
	buffer_load_dword v95, off, s[0:3], 0 offset:324
	buffer_load_dword v94, off, s[0:3], 0 offset:320
	ds_read_b128 v[90:93], v90 offset:656
	s_waitcnt vmcnt(0) lgkmcnt(0)
	v_fmac_f64_e32 v[88:89], v[94:95], v[90:91]
	buffer_load_dword v91, off, s[0:3], 0 offset:332
	buffer_load_dword v90, off, s[0:3], 0 offset:328
	s_waitcnt vmcnt(0)
	v_fmac_f64_e32 v[88:89], v[90:91], v[92:93]
	v_add_f64 v[86:87], v[86:87], -v[88:89]
	buffer_store_dword v87, off, s[0:3], 0 offset:108
	buffer_store_dword v86, off, s[0:3], 0 offset:104
	s_and_saveexec_b64 s[4:5], vcc
	s_cbranch_execz .LBB105_235
; %bb.234:
	buffer_load_dword v86, off, s[0:3], 0 offset:96
	buffer_load_dword v87, off, s[0:3], 0 offset:100
	v_mov_b32_e32 v88, 0
	buffer_store_dword v88, off, s[0:3], 0 offset:96
	buffer_store_dword v88, off, s[0:3], 0 offset:100
	s_waitcnt vmcnt(2)
	ds_write_b64 v1, v[86:87]
.LBB105_235:
	s_or_b64 exec, exec, s[4:5]
	s_waitcnt lgkmcnt(0)
	; wave barrier
	s_waitcnt lgkmcnt(0)
	buffer_load_dword v86, off, s[0:3], 0 offset:96
	buffer_load_dword v87, off, s[0:3], 0 offset:100
	buffer_load_dword v88, off, s[0:3], 0 offset:104
	buffer_load_dword v89, off, s[0:3], 0 offset:108
	buffer_load_dword v96, off, s[0:3], 0 offset:112
	buffer_load_dword v97, off, s[0:3], 0 offset:116
	buffer_load_dword v98, off, s[0:3], 0 offset:120
	buffer_load_dword v99, off, s[0:3], 0 offset:124
	buffer_load_dword v100, off, s[0:3], 0 offset:128
	buffer_load_dword v101, off, s[0:3], 0 offset:132
	buffer_load_dword v102, off, s[0:3], 0 offset:136
	buffer_load_dword v103, off, s[0:3], 0 offset:140
	buffer_load_dword v104, off, s[0:3], 0 offset:144
	buffer_load_dword v105, off, s[0:3], 0 offset:148
	buffer_load_dword v106, off, s[0:3], 0 offset:152
	buffer_load_dword v107, off, s[0:3], 0 offset:156
	v_mov_b32_e32 v90, 0
	ds_read2_b64 v[92:95], v90 offset0:55 offset1:56
	v_cmp_lt_u32_e32 vcc, 11, v0
	s_waitcnt vmcnt(12) lgkmcnt(0)
	v_fma_f64 v[88:89], v[88:89], v[92:93], 0
	s_waitcnt vmcnt(10)
	v_fmac_f64_e32 v[88:89], v[96:97], v[94:95]
	ds_read2_b64 v[92:95], v90 offset0:57 offset1:58
	s_waitcnt vmcnt(8) lgkmcnt(0)
	v_fmac_f64_e32 v[88:89], v[98:99], v[92:93]
	s_waitcnt vmcnt(6)
	v_fmac_f64_e32 v[88:89], v[100:101], v[94:95]
	ds_read2_b64 v[92:95], v90 offset0:59 offset1:60
	s_waitcnt vmcnt(4) lgkmcnt(0)
	v_fmac_f64_e32 v[88:89], v[102:103], v[92:93]
	;; [unrolled: 5-line block ×3, first 2 shown]
	buffer_load_dword v93, off, s[0:3], 0 offset:164
	buffer_load_dword v92, off, s[0:3], 0 offset:160
	buffer_load_dword v97, off, s[0:3], 0 offset:172
	buffer_load_dword v96, off, s[0:3], 0 offset:168
	s_waitcnt vmcnt(2)
	v_fmac_f64_e32 v[88:89], v[92:93], v[94:95]
	ds_read2_b64 v[92:95], v90 offset0:63 offset1:64
	s_waitcnt vmcnt(0) lgkmcnt(0)
	v_fmac_f64_e32 v[88:89], v[96:97], v[92:93]
	buffer_load_dword v93, off, s[0:3], 0 offset:180
	buffer_load_dword v92, off, s[0:3], 0 offset:176
	buffer_load_dword v97, off, s[0:3], 0 offset:188
	buffer_load_dword v96, off, s[0:3], 0 offset:184
	s_waitcnt vmcnt(2)
	v_fmac_f64_e32 v[88:89], v[92:93], v[94:95]
	ds_read2_b64 v[92:95], v90 offset0:65 offset1:66
	s_waitcnt vmcnt(0) lgkmcnt(0)
	v_fmac_f64_e32 v[88:89], v[96:97], v[92:93]
	;; [unrolled: 9-line block ×10, first 2 shown]
	buffer_load_dword v93, off, s[0:3], 0 offset:324
	buffer_load_dword v92, off, s[0:3], 0 offset:320
	s_waitcnt vmcnt(0)
	v_fmac_f64_e32 v[88:89], v[92:93], v[94:95]
	buffer_load_dword v93, off, s[0:3], 0 offset:332
	buffer_load_dword v92, off, s[0:3], 0 offset:328
	ds_read_b64 v[94:95], v90 offset:664
	s_waitcnt vmcnt(0) lgkmcnt(0)
	v_fmac_f64_e32 v[88:89], v[92:93], v[94:95]
	v_add_f64 v[86:87], v[86:87], -v[88:89]
	buffer_store_dword v87, off, s[0:3], 0 offset:100
	buffer_store_dword v86, off, s[0:3], 0 offset:96
	s_and_saveexec_b64 s[4:5], vcc
	s_cbranch_execz .LBB105_237
; %bb.236:
	buffer_load_dword v86, off, s[0:3], 0 offset:88
	buffer_load_dword v87, off, s[0:3], 0 offset:92
	s_waitcnt vmcnt(0)
	ds_write_b64 v1, v[86:87]
	buffer_store_dword v90, off, s[0:3], 0 offset:88
	buffer_store_dword v90, off, s[0:3], 0 offset:92
.LBB105_237:
	s_or_b64 exec, exec, s[4:5]
	s_waitcnt lgkmcnt(0)
	; wave barrier
	s_waitcnt lgkmcnt(0)
	buffer_load_dword v86, off, s[0:3], 0 offset:88
	buffer_load_dword v87, off, s[0:3], 0 offset:92
	;; [unrolled: 1-line block ×16, first 2 shown]
	ds_read_b128 v[92:95], v90 offset:432
	ds_read_b128 v[96:99], v90 offset:448
	;; [unrolled: 1-line block ×4, first 2 shown]
	v_cmp_lt_u32_e32 vcc, 10, v0
	s_waitcnt vmcnt(12) lgkmcnt(3)
	v_fma_f64 v[88:89], v[88:89], v[92:93], 0
	buffer_load_dword v93, off, s[0:3], 0 offset:156
	buffer_load_dword v92, off, s[0:3], 0 offset:152
	s_waitcnt vmcnt(12)
	v_fmac_f64_e32 v[88:89], v[108:109], v[94:95]
	s_waitcnt vmcnt(10) lgkmcnt(2)
	v_fmac_f64_e32 v[88:89], v[110:111], v[96:97]
	buffer_load_dword v97, off, s[0:3], 0 offset:164
	buffer_load_dword v96, off, s[0:3], 0 offset:160
	s_waitcnt vmcnt(10)
	v_fmac_f64_e32 v[88:89], v[112:113], v[98:99]
	s_waitcnt vmcnt(8) lgkmcnt(1)
	v_fmac_f64_e32 v[88:89], v[114:115], v[100:101]
	s_waitcnt vmcnt(6)
	v_fmac_f64_e32 v[88:89], v[116:117], v[102:103]
	s_waitcnt vmcnt(4) lgkmcnt(0)
	v_fmac_f64_e32 v[88:89], v[118:119], v[104:105]
	s_waitcnt vmcnt(2)
	v_fmac_f64_e32 v[88:89], v[92:93], v[106:107]
	ds_read_b128 v[92:95], v90 offset:496
	s_waitcnt vmcnt(0) lgkmcnt(0)
	v_fmac_f64_e32 v[88:89], v[96:97], v[92:93]
	buffer_load_dword v93, off, s[0:3], 0 offset:172
	buffer_load_dword v92, off, s[0:3], 0 offset:168
	buffer_load_dword v97, off, s[0:3], 0 offset:180
	buffer_load_dword v96, off, s[0:3], 0 offset:176
	s_waitcnt vmcnt(2)
	v_fmac_f64_e32 v[88:89], v[92:93], v[94:95]
	ds_read_b128 v[92:95], v90 offset:512
	s_waitcnt vmcnt(0) lgkmcnt(0)
	v_fmac_f64_e32 v[88:89], v[96:97], v[92:93]
	buffer_load_dword v93, off, s[0:3], 0 offset:188
	buffer_load_dword v92, off, s[0:3], 0 offset:184
	buffer_load_dword v97, off, s[0:3], 0 offset:196
	buffer_load_dword v96, off, s[0:3], 0 offset:192
	;; [unrolled: 9-line block ×9, first 2 shown]
	s_waitcnt vmcnt(2)
	v_fmac_f64_e32 v[88:89], v[92:93], v[94:95]
	ds_read_b128 v[92:95], v90 offset:640
	s_waitcnt vmcnt(0) lgkmcnt(0)
	v_fmac_f64_e32 v[88:89], v[96:97], v[92:93]
	buffer_load_dword v93, off, s[0:3], 0 offset:316
	buffer_load_dword v92, off, s[0:3], 0 offset:312
	s_waitcnt vmcnt(0)
	v_fmac_f64_e32 v[88:89], v[92:93], v[94:95]
	buffer_load_dword v95, off, s[0:3], 0 offset:324
	buffer_load_dword v94, off, s[0:3], 0 offset:320
	ds_read_b128 v[90:93], v90 offset:656
	s_waitcnt vmcnt(0) lgkmcnt(0)
	v_fmac_f64_e32 v[88:89], v[94:95], v[90:91]
	buffer_load_dword v91, off, s[0:3], 0 offset:332
	buffer_load_dword v90, off, s[0:3], 0 offset:328
	s_waitcnt vmcnt(0)
	v_fmac_f64_e32 v[88:89], v[90:91], v[92:93]
	v_add_f64 v[86:87], v[86:87], -v[88:89]
	buffer_store_dword v87, off, s[0:3], 0 offset:92
	buffer_store_dword v86, off, s[0:3], 0 offset:88
	s_and_saveexec_b64 s[4:5], vcc
	s_cbranch_execz .LBB105_239
; %bb.238:
	buffer_load_dword v86, off, s[0:3], 0 offset:80
	buffer_load_dword v87, off, s[0:3], 0 offset:84
	v_mov_b32_e32 v88, 0
	buffer_store_dword v88, off, s[0:3], 0 offset:80
	buffer_store_dword v88, off, s[0:3], 0 offset:84
	s_waitcnt vmcnt(2)
	ds_write_b64 v1, v[86:87]
.LBB105_239:
	s_or_b64 exec, exec, s[4:5]
	s_waitcnt lgkmcnt(0)
	; wave barrier
	s_waitcnt lgkmcnt(0)
	buffer_load_dword v86, off, s[0:3], 0 offset:80
	buffer_load_dword v87, off, s[0:3], 0 offset:84
	;; [unrolled: 1-line block ×16, first 2 shown]
	v_mov_b32_e32 v90, 0
	ds_read2_b64 v[92:95], v90 offset0:53 offset1:54
	v_cmp_lt_u32_e32 vcc, 9, v0
	s_waitcnt vmcnt(12) lgkmcnt(0)
	v_fma_f64 v[88:89], v[88:89], v[92:93], 0
	s_waitcnt vmcnt(10)
	v_fmac_f64_e32 v[88:89], v[96:97], v[94:95]
	ds_read2_b64 v[92:95], v90 offset0:55 offset1:56
	s_waitcnt vmcnt(8) lgkmcnt(0)
	v_fmac_f64_e32 v[88:89], v[98:99], v[92:93]
	s_waitcnt vmcnt(6)
	v_fmac_f64_e32 v[88:89], v[100:101], v[94:95]
	ds_read2_b64 v[92:95], v90 offset0:57 offset1:58
	s_waitcnt vmcnt(4) lgkmcnt(0)
	v_fmac_f64_e32 v[88:89], v[102:103], v[92:93]
	;; [unrolled: 5-line block ×3, first 2 shown]
	buffer_load_dword v93, off, s[0:3], 0 offset:148
	buffer_load_dword v92, off, s[0:3], 0 offset:144
	buffer_load_dword v97, off, s[0:3], 0 offset:156
	buffer_load_dword v96, off, s[0:3], 0 offset:152
	s_waitcnt vmcnt(2)
	v_fmac_f64_e32 v[88:89], v[92:93], v[94:95]
	ds_read2_b64 v[92:95], v90 offset0:61 offset1:62
	s_waitcnt vmcnt(0) lgkmcnt(0)
	v_fmac_f64_e32 v[88:89], v[96:97], v[92:93]
	buffer_load_dword v93, off, s[0:3], 0 offset:164
	buffer_load_dword v92, off, s[0:3], 0 offset:160
	buffer_load_dword v97, off, s[0:3], 0 offset:172
	buffer_load_dword v96, off, s[0:3], 0 offset:168
	s_waitcnt vmcnt(2)
	v_fmac_f64_e32 v[88:89], v[92:93], v[94:95]
	ds_read2_b64 v[92:95], v90 offset0:63 offset1:64
	s_waitcnt vmcnt(0) lgkmcnt(0)
	v_fmac_f64_e32 v[88:89], v[96:97], v[92:93]
	;; [unrolled: 9-line block ×11, first 2 shown]
	buffer_load_dword v93, off, s[0:3], 0 offset:324
	buffer_load_dword v92, off, s[0:3], 0 offset:320
	s_waitcnt vmcnt(0)
	v_fmac_f64_e32 v[88:89], v[92:93], v[94:95]
	buffer_load_dword v93, off, s[0:3], 0 offset:332
	buffer_load_dword v92, off, s[0:3], 0 offset:328
	ds_read_b64 v[94:95], v90 offset:664
	s_waitcnt vmcnt(0) lgkmcnt(0)
	v_fmac_f64_e32 v[88:89], v[92:93], v[94:95]
	v_add_f64 v[86:87], v[86:87], -v[88:89]
	buffer_store_dword v87, off, s[0:3], 0 offset:84
	buffer_store_dword v86, off, s[0:3], 0 offset:80
	s_and_saveexec_b64 s[4:5], vcc
	s_cbranch_execz .LBB105_241
; %bb.240:
	buffer_load_dword v86, off, s[0:3], 0 offset:72
	buffer_load_dword v87, off, s[0:3], 0 offset:76
	s_waitcnt vmcnt(0)
	ds_write_b64 v1, v[86:87]
	buffer_store_dword v90, off, s[0:3], 0 offset:72
	buffer_store_dword v90, off, s[0:3], 0 offset:76
.LBB105_241:
	s_or_b64 exec, exec, s[4:5]
	s_waitcnt lgkmcnt(0)
	; wave barrier
	s_waitcnt lgkmcnt(0)
	buffer_load_dword v86, off, s[0:3], 0 offset:72
	buffer_load_dword v87, off, s[0:3], 0 offset:76
	;; [unrolled: 1-line block ×16, first 2 shown]
	ds_read_b128 v[92:95], v90 offset:416
	ds_read_b128 v[96:99], v90 offset:432
	;; [unrolled: 1-line block ×4, first 2 shown]
	v_cmp_lt_u32_e32 vcc, 8, v0
	s_waitcnt vmcnt(12) lgkmcnt(3)
	v_fma_f64 v[88:89], v[88:89], v[92:93], 0
	buffer_load_dword v93, off, s[0:3], 0 offset:140
	buffer_load_dword v92, off, s[0:3], 0 offset:136
	s_waitcnt vmcnt(12)
	v_fmac_f64_e32 v[88:89], v[108:109], v[94:95]
	s_waitcnt vmcnt(10) lgkmcnt(2)
	v_fmac_f64_e32 v[88:89], v[110:111], v[96:97]
	buffer_load_dword v97, off, s[0:3], 0 offset:148
	buffer_load_dword v96, off, s[0:3], 0 offset:144
	s_waitcnt vmcnt(10)
	v_fmac_f64_e32 v[88:89], v[112:113], v[98:99]
	s_waitcnt vmcnt(8) lgkmcnt(1)
	v_fmac_f64_e32 v[88:89], v[114:115], v[100:101]
	s_waitcnt vmcnt(6)
	v_fmac_f64_e32 v[88:89], v[116:117], v[102:103]
	s_waitcnt vmcnt(4) lgkmcnt(0)
	v_fmac_f64_e32 v[88:89], v[118:119], v[104:105]
	s_waitcnt vmcnt(2)
	v_fmac_f64_e32 v[88:89], v[92:93], v[106:107]
	ds_read_b128 v[92:95], v90 offset:480
	s_waitcnt vmcnt(0) lgkmcnt(0)
	v_fmac_f64_e32 v[88:89], v[96:97], v[92:93]
	buffer_load_dword v93, off, s[0:3], 0 offset:156
	buffer_load_dword v92, off, s[0:3], 0 offset:152
	buffer_load_dword v97, off, s[0:3], 0 offset:164
	buffer_load_dword v96, off, s[0:3], 0 offset:160
	s_waitcnt vmcnt(2)
	v_fmac_f64_e32 v[88:89], v[92:93], v[94:95]
	ds_read_b128 v[92:95], v90 offset:496
	s_waitcnt vmcnt(0) lgkmcnt(0)
	v_fmac_f64_e32 v[88:89], v[96:97], v[92:93]
	buffer_load_dword v93, off, s[0:3], 0 offset:172
	buffer_load_dword v92, off, s[0:3], 0 offset:168
	buffer_load_dword v97, off, s[0:3], 0 offset:180
	buffer_load_dword v96, off, s[0:3], 0 offset:176
	;; [unrolled: 9-line block ×10, first 2 shown]
	s_waitcnt vmcnt(2)
	v_fmac_f64_e32 v[88:89], v[92:93], v[94:95]
	ds_read_b128 v[92:95], v90 offset:640
	s_waitcnt vmcnt(0) lgkmcnt(0)
	v_fmac_f64_e32 v[88:89], v[96:97], v[92:93]
	buffer_load_dword v93, off, s[0:3], 0 offset:316
	buffer_load_dword v92, off, s[0:3], 0 offset:312
	s_waitcnt vmcnt(0)
	v_fmac_f64_e32 v[88:89], v[92:93], v[94:95]
	buffer_load_dword v95, off, s[0:3], 0 offset:324
	buffer_load_dword v94, off, s[0:3], 0 offset:320
	ds_read_b128 v[90:93], v90 offset:656
	s_waitcnt vmcnt(0) lgkmcnt(0)
	v_fmac_f64_e32 v[88:89], v[94:95], v[90:91]
	buffer_load_dword v91, off, s[0:3], 0 offset:332
	buffer_load_dword v90, off, s[0:3], 0 offset:328
	s_waitcnt vmcnt(0)
	v_fmac_f64_e32 v[88:89], v[90:91], v[92:93]
	v_add_f64 v[86:87], v[86:87], -v[88:89]
	buffer_store_dword v87, off, s[0:3], 0 offset:76
	buffer_store_dword v86, off, s[0:3], 0 offset:72
	s_and_saveexec_b64 s[4:5], vcc
	s_cbranch_execz .LBB105_243
; %bb.242:
	buffer_load_dword v86, off, s[0:3], 0 offset:64
	buffer_load_dword v87, off, s[0:3], 0 offset:68
	v_mov_b32_e32 v88, 0
	buffer_store_dword v88, off, s[0:3], 0 offset:64
	buffer_store_dword v88, off, s[0:3], 0 offset:68
	s_waitcnt vmcnt(2)
	ds_write_b64 v1, v[86:87]
.LBB105_243:
	s_or_b64 exec, exec, s[4:5]
	s_waitcnt lgkmcnt(0)
	; wave barrier
	s_waitcnt lgkmcnt(0)
	buffer_load_dword v86, off, s[0:3], 0 offset:64
	buffer_load_dword v87, off, s[0:3], 0 offset:68
	;; [unrolled: 1-line block ×16, first 2 shown]
	v_mov_b32_e32 v90, 0
	ds_read2_b64 v[92:95], v90 offset0:51 offset1:52
	v_cmp_lt_u32_e32 vcc, 7, v0
	s_waitcnt vmcnt(12) lgkmcnt(0)
	v_fma_f64 v[88:89], v[88:89], v[92:93], 0
	s_waitcnt vmcnt(10)
	v_fmac_f64_e32 v[88:89], v[96:97], v[94:95]
	ds_read2_b64 v[92:95], v90 offset0:53 offset1:54
	s_waitcnt vmcnt(8) lgkmcnt(0)
	v_fmac_f64_e32 v[88:89], v[98:99], v[92:93]
	s_waitcnt vmcnt(6)
	v_fmac_f64_e32 v[88:89], v[100:101], v[94:95]
	ds_read2_b64 v[92:95], v90 offset0:55 offset1:56
	s_waitcnt vmcnt(4) lgkmcnt(0)
	v_fmac_f64_e32 v[88:89], v[102:103], v[92:93]
	;; [unrolled: 5-line block ×3, first 2 shown]
	buffer_load_dword v93, off, s[0:3], 0 offset:132
	buffer_load_dword v92, off, s[0:3], 0 offset:128
	buffer_load_dword v97, off, s[0:3], 0 offset:140
	buffer_load_dword v96, off, s[0:3], 0 offset:136
	s_waitcnt vmcnt(2)
	v_fmac_f64_e32 v[88:89], v[92:93], v[94:95]
	ds_read2_b64 v[92:95], v90 offset0:59 offset1:60
	s_waitcnt vmcnt(0) lgkmcnt(0)
	v_fmac_f64_e32 v[88:89], v[96:97], v[92:93]
	buffer_load_dword v93, off, s[0:3], 0 offset:148
	buffer_load_dword v92, off, s[0:3], 0 offset:144
	buffer_load_dword v97, off, s[0:3], 0 offset:156
	buffer_load_dword v96, off, s[0:3], 0 offset:152
	s_waitcnt vmcnt(2)
	v_fmac_f64_e32 v[88:89], v[92:93], v[94:95]
	ds_read2_b64 v[92:95], v90 offset0:61 offset1:62
	s_waitcnt vmcnt(0) lgkmcnt(0)
	v_fmac_f64_e32 v[88:89], v[96:97], v[92:93]
	;; [unrolled: 9-line block ×12, first 2 shown]
	buffer_load_dword v93, off, s[0:3], 0 offset:324
	buffer_load_dword v92, off, s[0:3], 0 offset:320
	s_waitcnt vmcnt(0)
	v_fmac_f64_e32 v[88:89], v[92:93], v[94:95]
	buffer_load_dword v93, off, s[0:3], 0 offset:332
	buffer_load_dword v92, off, s[0:3], 0 offset:328
	ds_read_b64 v[94:95], v90 offset:664
	s_waitcnt vmcnt(0) lgkmcnt(0)
	v_fmac_f64_e32 v[88:89], v[92:93], v[94:95]
	v_add_f64 v[86:87], v[86:87], -v[88:89]
	buffer_store_dword v87, off, s[0:3], 0 offset:68
	buffer_store_dword v86, off, s[0:3], 0 offset:64
	s_and_saveexec_b64 s[4:5], vcc
	s_cbranch_execz .LBB105_245
; %bb.244:
	buffer_load_dword v86, off, s[0:3], 0 offset:56
	buffer_load_dword v87, off, s[0:3], 0 offset:60
	s_waitcnt vmcnt(0)
	ds_write_b64 v1, v[86:87]
	buffer_store_dword v90, off, s[0:3], 0 offset:56
	buffer_store_dword v90, off, s[0:3], 0 offset:60
.LBB105_245:
	s_or_b64 exec, exec, s[4:5]
	s_waitcnt lgkmcnt(0)
	; wave barrier
	s_waitcnt lgkmcnt(0)
	buffer_load_dword v86, off, s[0:3], 0 offset:56
	buffer_load_dword v87, off, s[0:3], 0 offset:60
	;; [unrolled: 1-line block ×16, first 2 shown]
	ds_read_b128 v[92:95], v90 offset:400
	ds_read_b128 v[96:99], v90 offset:416
	;; [unrolled: 1-line block ×4, first 2 shown]
	v_cmp_lt_u32_e32 vcc, 6, v0
	s_waitcnt vmcnt(12) lgkmcnt(3)
	v_fma_f64 v[88:89], v[88:89], v[92:93], 0
	buffer_load_dword v93, off, s[0:3], 0 offset:124
	buffer_load_dword v92, off, s[0:3], 0 offset:120
	s_waitcnt vmcnt(12)
	v_fmac_f64_e32 v[88:89], v[108:109], v[94:95]
	s_waitcnt vmcnt(10) lgkmcnt(2)
	v_fmac_f64_e32 v[88:89], v[110:111], v[96:97]
	buffer_load_dword v97, off, s[0:3], 0 offset:132
	buffer_load_dword v96, off, s[0:3], 0 offset:128
	s_waitcnt vmcnt(10)
	v_fmac_f64_e32 v[88:89], v[112:113], v[98:99]
	s_waitcnt vmcnt(8) lgkmcnt(1)
	v_fmac_f64_e32 v[88:89], v[114:115], v[100:101]
	s_waitcnt vmcnt(6)
	v_fmac_f64_e32 v[88:89], v[116:117], v[102:103]
	s_waitcnt vmcnt(4) lgkmcnt(0)
	v_fmac_f64_e32 v[88:89], v[118:119], v[104:105]
	s_waitcnt vmcnt(2)
	v_fmac_f64_e32 v[88:89], v[92:93], v[106:107]
	ds_read_b128 v[92:95], v90 offset:464
	s_waitcnt vmcnt(0) lgkmcnt(0)
	v_fmac_f64_e32 v[88:89], v[96:97], v[92:93]
	buffer_load_dword v93, off, s[0:3], 0 offset:140
	buffer_load_dword v92, off, s[0:3], 0 offset:136
	buffer_load_dword v97, off, s[0:3], 0 offset:148
	buffer_load_dword v96, off, s[0:3], 0 offset:144
	s_waitcnt vmcnt(2)
	v_fmac_f64_e32 v[88:89], v[92:93], v[94:95]
	ds_read_b128 v[92:95], v90 offset:480
	s_waitcnt vmcnt(0) lgkmcnt(0)
	v_fmac_f64_e32 v[88:89], v[96:97], v[92:93]
	buffer_load_dword v93, off, s[0:3], 0 offset:156
	buffer_load_dword v92, off, s[0:3], 0 offset:152
	buffer_load_dword v97, off, s[0:3], 0 offset:164
	buffer_load_dword v96, off, s[0:3], 0 offset:160
	;; [unrolled: 9-line block ×11, first 2 shown]
	s_waitcnt vmcnt(2)
	v_fmac_f64_e32 v[88:89], v[92:93], v[94:95]
	ds_read_b128 v[92:95], v90 offset:640
	s_waitcnt vmcnt(0) lgkmcnt(0)
	v_fmac_f64_e32 v[88:89], v[96:97], v[92:93]
	buffer_load_dword v93, off, s[0:3], 0 offset:316
	buffer_load_dword v92, off, s[0:3], 0 offset:312
	s_waitcnt vmcnt(0)
	v_fmac_f64_e32 v[88:89], v[92:93], v[94:95]
	buffer_load_dword v95, off, s[0:3], 0 offset:324
	buffer_load_dword v94, off, s[0:3], 0 offset:320
	ds_read_b128 v[90:93], v90 offset:656
	s_waitcnt vmcnt(0) lgkmcnt(0)
	v_fmac_f64_e32 v[88:89], v[94:95], v[90:91]
	buffer_load_dword v91, off, s[0:3], 0 offset:332
	buffer_load_dword v90, off, s[0:3], 0 offset:328
	s_waitcnt vmcnt(0)
	v_fmac_f64_e32 v[88:89], v[90:91], v[92:93]
	v_add_f64 v[86:87], v[86:87], -v[88:89]
	buffer_store_dword v87, off, s[0:3], 0 offset:60
	buffer_store_dword v86, off, s[0:3], 0 offset:56
	s_and_saveexec_b64 s[4:5], vcc
	s_cbranch_execz .LBB105_247
; %bb.246:
	buffer_load_dword v86, off, s[0:3], 0 offset:48
	buffer_load_dword v87, off, s[0:3], 0 offset:52
	v_mov_b32_e32 v88, 0
	buffer_store_dword v88, off, s[0:3], 0 offset:48
	buffer_store_dword v88, off, s[0:3], 0 offset:52
	s_waitcnt vmcnt(2)
	ds_write_b64 v1, v[86:87]
.LBB105_247:
	s_or_b64 exec, exec, s[4:5]
	s_waitcnt lgkmcnt(0)
	; wave barrier
	s_waitcnt lgkmcnt(0)
	buffer_load_dword v86, off, s[0:3], 0 offset:48
	buffer_load_dword v87, off, s[0:3], 0 offset:52
	;; [unrolled: 1-line block ×16, first 2 shown]
	v_mov_b32_e32 v90, 0
	ds_read2_b64 v[92:95], v90 offset0:49 offset1:50
	v_cmp_lt_u32_e32 vcc, 5, v0
	s_waitcnt vmcnt(12) lgkmcnt(0)
	v_fma_f64 v[88:89], v[88:89], v[92:93], 0
	s_waitcnt vmcnt(10)
	v_fmac_f64_e32 v[88:89], v[96:97], v[94:95]
	ds_read2_b64 v[92:95], v90 offset0:51 offset1:52
	s_waitcnt vmcnt(8) lgkmcnt(0)
	v_fmac_f64_e32 v[88:89], v[98:99], v[92:93]
	s_waitcnt vmcnt(6)
	v_fmac_f64_e32 v[88:89], v[100:101], v[94:95]
	ds_read2_b64 v[92:95], v90 offset0:53 offset1:54
	s_waitcnt vmcnt(4) lgkmcnt(0)
	v_fmac_f64_e32 v[88:89], v[102:103], v[92:93]
	;; [unrolled: 5-line block ×3, first 2 shown]
	buffer_load_dword v93, off, s[0:3], 0 offset:116
	buffer_load_dword v92, off, s[0:3], 0 offset:112
	buffer_load_dword v97, off, s[0:3], 0 offset:124
	buffer_load_dword v96, off, s[0:3], 0 offset:120
	s_waitcnt vmcnt(2)
	v_fmac_f64_e32 v[88:89], v[92:93], v[94:95]
	ds_read2_b64 v[92:95], v90 offset0:57 offset1:58
	s_waitcnt vmcnt(0) lgkmcnt(0)
	v_fmac_f64_e32 v[88:89], v[96:97], v[92:93]
	buffer_load_dword v93, off, s[0:3], 0 offset:132
	buffer_load_dword v92, off, s[0:3], 0 offset:128
	buffer_load_dword v97, off, s[0:3], 0 offset:140
	buffer_load_dword v96, off, s[0:3], 0 offset:136
	s_waitcnt vmcnt(2)
	v_fmac_f64_e32 v[88:89], v[92:93], v[94:95]
	ds_read2_b64 v[92:95], v90 offset0:59 offset1:60
	s_waitcnt vmcnt(0) lgkmcnt(0)
	v_fmac_f64_e32 v[88:89], v[96:97], v[92:93]
	;; [unrolled: 9-line block ×13, first 2 shown]
	buffer_load_dword v93, off, s[0:3], 0 offset:324
	buffer_load_dword v92, off, s[0:3], 0 offset:320
	s_waitcnt vmcnt(0)
	v_fmac_f64_e32 v[88:89], v[92:93], v[94:95]
	buffer_load_dword v93, off, s[0:3], 0 offset:332
	buffer_load_dword v92, off, s[0:3], 0 offset:328
	ds_read_b64 v[94:95], v90 offset:664
	s_waitcnt vmcnt(0) lgkmcnt(0)
	v_fmac_f64_e32 v[88:89], v[92:93], v[94:95]
	v_add_f64 v[86:87], v[86:87], -v[88:89]
	buffer_store_dword v87, off, s[0:3], 0 offset:52
	buffer_store_dword v86, off, s[0:3], 0 offset:48
	s_and_saveexec_b64 s[4:5], vcc
	s_cbranch_execz .LBB105_249
; %bb.248:
	buffer_load_dword v86, off, s[0:3], 0 offset:40
	buffer_load_dword v87, off, s[0:3], 0 offset:44
	s_waitcnt vmcnt(0)
	ds_write_b64 v1, v[86:87]
	buffer_store_dword v90, off, s[0:3], 0 offset:40
	buffer_store_dword v90, off, s[0:3], 0 offset:44
.LBB105_249:
	s_or_b64 exec, exec, s[4:5]
	s_waitcnt lgkmcnt(0)
	; wave barrier
	s_waitcnt lgkmcnt(0)
	buffer_load_dword v86, off, s[0:3], 0 offset:40
	buffer_load_dword v87, off, s[0:3], 0 offset:44
	;; [unrolled: 1-line block ×16, first 2 shown]
	ds_read_b128 v[92:95], v90 offset:384
	ds_read_b128 v[96:99], v90 offset:400
	ds_read_b128 v[100:103], v90 offset:416
	ds_read_b128 v[104:107], v90 offset:432
	v_cmp_lt_u32_e32 vcc, 4, v0
	s_waitcnt vmcnt(12) lgkmcnt(3)
	v_fma_f64 v[88:89], v[88:89], v[92:93], 0
	buffer_load_dword v93, off, s[0:3], 0 offset:108
	buffer_load_dword v92, off, s[0:3], 0 offset:104
	s_waitcnt vmcnt(12)
	v_fmac_f64_e32 v[88:89], v[108:109], v[94:95]
	s_waitcnt vmcnt(10) lgkmcnt(2)
	v_fmac_f64_e32 v[88:89], v[110:111], v[96:97]
	buffer_load_dword v97, off, s[0:3], 0 offset:116
	buffer_load_dword v96, off, s[0:3], 0 offset:112
	s_waitcnt vmcnt(10)
	v_fmac_f64_e32 v[88:89], v[112:113], v[98:99]
	s_waitcnt vmcnt(8) lgkmcnt(1)
	v_fmac_f64_e32 v[88:89], v[114:115], v[100:101]
	s_waitcnt vmcnt(6)
	v_fmac_f64_e32 v[88:89], v[116:117], v[102:103]
	s_waitcnt vmcnt(4) lgkmcnt(0)
	v_fmac_f64_e32 v[88:89], v[118:119], v[104:105]
	s_waitcnt vmcnt(2)
	v_fmac_f64_e32 v[88:89], v[92:93], v[106:107]
	ds_read_b128 v[92:95], v90 offset:448
	s_waitcnt vmcnt(0) lgkmcnt(0)
	v_fmac_f64_e32 v[88:89], v[96:97], v[92:93]
	buffer_load_dword v93, off, s[0:3], 0 offset:124
	buffer_load_dword v92, off, s[0:3], 0 offset:120
	buffer_load_dword v97, off, s[0:3], 0 offset:132
	buffer_load_dword v96, off, s[0:3], 0 offset:128
	s_waitcnt vmcnt(2)
	v_fmac_f64_e32 v[88:89], v[92:93], v[94:95]
	ds_read_b128 v[92:95], v90 offset:464
	s_waitcnt vmcnt(0) lgkmcnt(0)
	v_fmac_f64_e32 v[88:89], v[96:97], v[92:93]
	buffer_load_dword v93, off, s[0:3], 0 offset:140
	buffer_load_dword v92, off, s[0:3], 0 offset:136
	buffer_load_dword v97, off, s[0:3], 0 offset:148
	buffer_load_dword v96, off, s[0:3], 0 offset:144
	;; [unrolled: 9-line block ×12, first 2 shown]
	s_waitcnt vmcnt(2)
	v_fmac_f64_e32 v[88:89], v[92:93], v[94:95]
	ds_read_b128 v[92:95], v90 offset:640
	s_waitcnt vmcnt(0) lgkmcnt(0)
	v_fmac_f64_e32 v[88:89], v[96:97], v[92:93]
	buffer_load_dword v93, off, s[0:3], 0 offset:316
	buffer_load_dword v92, off, s[0:3], 0 offset:312
	s_waitcnt vmcnt(0)
	v_fmac_f64_e32 v[88:89], v[92:93], v[94:95]
	buffer_load_dword v95, off, s[0:3], 0 offset:324
	buffer_load_dword v94, off, s[0:3], 0 offset:320
	ds_read_b128 v[90:93], v90 offset:656
	s_waitcnt vmcnt(0) lgkmcnt(0)
	v_fmac_f64_e32 v[88:89], v[94:95], v[90:91]
	buffer_load_dword v91, off, s[0:3], 0 offset:332
	buffer_load_dword v90, off, s[0:3], 0 offset:328
	s_waitcnt vmcnt(0)
	v_fmac_f64_e32 v[88:89], v[90:91], v[92:93]
	v_add_f64 v[86:87], v[86:87], -v[88:89]
	buffer_store_dword v87, off, s[0:3], 0 offset:44
	buffer_store_dword v86, off, s[0:3], 0 offset:40
	s_and_saveexec_b64 s[4:5], vcc
	s_cbranch_execz .LBB105_251
; %bb.250:
	buffer_load_dword v86, off, s[0:3], 0 offset:32
	buffer_load_dword v87, off, s[0:3], 0 offset:36
	v_mov_b32_e32 v88, 0
	buffer_store_dword v88, off, s[0:3], 0 offset:32
	buffer_store_dword v88, off, s[0:3], 0 offset:36
	s_waitcnt vmcnt(2)
	ds_write_b64 v1, v[86:87]
.LBB105_251:
	s_or_b64 exec, exec, s[4:5]
	s_waitcnt lgkmcnt(0)
	; wave barrier
	s_waitcnt lgkmcnt(0)
	buffer_load_dword v86, off, s[0:3], 0 offset:32
	buffer_load_dword v87, off, s[0:3], 0 offset:36
	;; [unrolled: 1-line block ×16, first 2 shown]
	v_mov_b32_e32 v90, 0
	ds_read2_b64 v[92:95], v90 offset0:47 offset1:48
	v_cmp_lt_u32_e32 vcc, 3, v0
	s_waitcnt vmcnt(12) lgkmcnt(0)
	v_fma_f64 v[88:89], v[88:89], v[92:93], 0
	s_waitcnt vmcnt(10)
	v_fmac_f64_e32 v[88:89], v[96:97], v[94:95]
	ds_read2_b64 v[92:95], v90 offset0:49 offset1:50
	s_waitcnt vmcnt(8) lgkmcnt(0)
	v_fmac_f64_e32 v[88:89], v[98:99], v[92:93]
	s_waitcnt vmcnt(6)
	v_fmac_f64_e32 v[88:89], v[100:101], v[94:95]
	ds_read2_b64 v[92:95], v90 offset0:51 offset1:52
	s_waitcnt vmcnt(4) lgkmcnt(0)
	v_fmac_f64_e32 v[88:89], v[102:103], v[92:93]
	;; [unrolled: 5-line block ×3, first 2 shown]
	buffer_load_dword v93, off, s[0:3], 0 offset:100
	buffer_load_dword v92, off, s[0:3], 0 offset:96
	buffer_load_dword v97, off, s[0:3], 0 offset:108
	buffer_load_dword v96, off, s[0:3], 0 offset:104
	s_waitcnt vmcnt(2)
	v_fmac_f64_e32 v[88:89], v[92:93], v[94:95]
	ds_read2_b64 v[92:95], v90 offset0:55 offset1:56
	s_waitcnt vmcnt(0) lgkmcnt(0)
	v_fmac_f64_e32 v[88:89], v[96:97], v[92:93]
	buffer_load_dword v93, off, s[0:3], 0 offset:116
	buffer_load_dword v92, off, s[0:3], 0 offset:112
	buffer_load_dword v97, off, s[0:3], 0 offset:124
	buffer_load_dword v96, off, s[0:3], 0 offset:120
	s_waitcnt vmcnt(2)
	v_fmac_f64_e32 v[88:89], v[92:93], v[94:95]
	ds_read2_b64 v[92:95], v90 offset0:57 offset1:58
	s_waitcnt vmcnt(0) lgkmcnt(0)
	v_fmac_f64_e32 v[88:89], v[96:97], v[92:93]
	;; [unrolled: 9-line block ×14, first 2 shown]
	buffer_load_dword v93, off, s[0:3], 0 offset:324
	buffer_load_dword v92, off, s[0:3], 0 offset:320
	s_waitcnt vmcnt(0)
	v_fmac_f64_e32 v[88:89], v[92:93], v[94:95]
	buffer_load_dword v93, off, s[0:3], 0 offset:332
	buffer_load_dword v92, off, s[0:3], 0 offset:328
	ds_read_b64 v[94:95], v90 offset:664
	s_waitcnt vmcnt(0) lgkmcnt(0)
	v_fmac_f64_e32 v[88:89], v[92:93], v[94:95]
	v_add_f64 v[86:87], v[86:87], -v[88:89]
	buffer_store_dword v87, off, s[0:3], 0 offset:36
	buffer_store_dword v86, off, s[0:3], 0 offset:32
	s_and_saveexec_b64 s[4:5], vcc
	s_cbranch_execz .LBB105_253
; %bb.252:
	buffer_load_dword v86, off, s[0:3], 0 offset:24
	buffer_load_dword v87, off, s[0:3], 0 offset:28
	s_waitcnt vmcnt(0)
	ds_write_b64 v1, v[86:87]
	buffer_store_dword v90, off, s[0:3], 0 offset:24
	buffer_store_dword v90, off, s[0:3], 0 offset:28
.LBB105_253:
	s_or_b64 exec, exec, s[4:5]
	s_waitcnt lgkmcnt(0)
	; wave barrier
	s_waitcnt lgkmcnt(0)
	buffer_load_dword v86, off, s[0:3], 0 offset:24
	buffer_load_dword v87, off, s[0:3], 0 offset:28
	;; [unrolled: 1-line block ×16, first 2 shown]
	ds_read_b128 v[92:95], v90 offset:368
	ds_read_b128 v[96:99], v90 offset:384
	;; [unrolled: 1-line block ×4, first 2 shown]
	v_cmp_lt_u32_e32 vcc, 2, v0
	s_waitcnt vmcnt(12) lgkmcnt(3)
	v_fma_f64 v[88:89], v[88:89], v[92:93], 0
	buffer_load_dword v93, off, s[0:3], 0 offset:92
	buffer_load_dword v92, off, s[0:3], 0 offset:88
	s_waitcnt vmcnt(12)
	v_fmac_f64_e32 v[88:89], v[108:109], v[94:95]
	s_waitcnt vmcnt(10) lgkmcnt(2)
	v_fmac_f64_e32 v[88:89], v[110:111], v[96:97]
	buffer_load_dword v97, off, s[0:3], 0 offset:100
	buffer_load_dword v96, off, s[0:3], 0 offset:96
	s_waitcnt vmcnt(10)
	v_fmac_f64_e32 v[88:89], v[112:113], v[98:99]
	s_waitcnt vmcnt(8) lgkmcnt(1)
	v_fmac_f64_e32 v[88:89], v[114:115], v[100:101]
	s_waitcnt vmcnt(6)
	v_fmac_f64_e32 v[88:89], v[116:117], v[102:103]
	s_waitcnt vmcnt(4) lgkmcnt(0)
	v_fmac_f64_e32 v[88:89], v[118:119], v[104:105]
	s_waitcnt vmcnt(2)
	v_fmac_f64_e32 v[88:89], v[92:93], v[106:107]
	ds_read_b128 v[92:95], v90 offset:432
	s_waitcnt vmcnt(0) lgkmcnt(0)
	v_fmac_f64_e32 v[88:89], v[96:97], v[92:93]
	buffer_load_dword v93, off, s[0:3], 0 offset:108
	buffer_load_dword v92, off, s[0:3], 0 offset:104
	buffer_load_dword v97, off, s[0:3], 0 offset:116
	buffer_load_dword v96, off, s[0:3], 0 offset:112
	s_waitcnt vmcnt(2)
	v_fmac_f64_e32 v[88:89], v[92:93], v[94:95]
	ds_read_b128 v[92:95], v90 offset:448
	s_waitcnt vmcnt(0) lgkmcnt(0)
	v_fmac_f64_e32 v[88:89], v[96:97], v[92:93]
	buffer_load_dword v93, off, s[0:3], 0 offset:124
	buffer_load_dword v92, off, s[0:3], 0 offset:120
	buffer_load_dword v97, off, s[0:3], 0 offset:132
	buffer_load_dword v96, off, s[0:3], 0 offset:128
	s_waitcnt vmcnt(2)
	v_fmac_f64_e32 v[88:89], v[92:93], v[94:95]
	ds_read_b128 v[92:95], v90 offset:464
	s_waitcnt vmcnt(0) lgkmcnt(0)
	v_fmac_f64_e32 v[88:89], v[96:97], v[92:93]
	buffer_load_dword v93, off, s[0:3], 0 offset:140
	buffer_load_dword v92, off, s[0:3], 0 offset:136
	buffer_load_dword v97, off, s[0:3], 0 offset:148
	buffer_load_dword v96, off, s[0:3], 0 offset:144
	s_waitcnt vmcnt(2)
	v_fmac_f64_e32 v[88:89], v[92:93], v[94:95]
	ds_read_b128 v[92:95], v90 offset:480
	s_waitcnt vmcnt(0) lgkmcnt(0)
	v_fmac_f64_e32 v[88:89], v[96:97], v[92:93]
	buffer_load_dword v93, off, s[0:3], 0 offset:156
	buffer_load_dword v92, off, s[0:3], 0 offset:152
	buffer_load_dword v97, off, s[0:3], 0 offset:164
	buffer_load_dword v96, off, s[0:3], 0 offset:160
	s_waitcnt vmcnt(2)
	v_fmac_f64_e32 v[88:89], v[92:93], v[94:95]
	ds_read_b128 v[92:95], v90 offset:496
	s_waitcnt vmcnt(0) lgkmcnt(0)
	v_fmac_f64_e32 v[88:89], v[96:97], v[92:93]
	buffer_load_dword v93, off, s[0:3], 0 offset:172
	buffer_load_dword v92, off, s[0:3], 0 offset:168
	buffer_load_dword v97, off, s[0:3], 0 offset:180
	buffer_load_dword v96, off, s[0:3], 0 offset:176
	s_waitcnt vmcnt(2)
	v_fmac_f64_e32 v[88:89], v[92:93], v[94:95]
	ds_read_b128 v[92:95], v90 offset:512
	s_waitcnt vmcnt(0) lgkmcnt(0)
	v_fmac_f64_e32 v[88:89], v[96:97], v[92:93]
	buffer_load_dword v93, off, s[0:3], 0 offset:188
	buffer_load_dword v92, off, s[0:3], 0 offset:184
	buffer_load_dword v97, off, s[0:3], 0 offset:196
	buffer_load_dword v96, off, s[0:3], 0 offset:192
	s_waitcnt vmcnt(2)
	v_fmac_f64_e32 v[88:89], v[92:93], v[94:95]
	ds_read_b128 v[92:95], v90 offset:528
	s_waitcnt vmcnt(0) lgkmcnt(0)
	v_fmac_f64_e32 v[88:89], v[96:97], v[92:93]
	buffer_load_dword v93, off, s[0:3], 0 offset:204
	buffer_load_dword v92, off, s[0:3], 0 offset:200
	buffer_load_dword v97, off, s[0:3], 0 offset:212
	buffer_load_dword v96, off, s[0:3], 0 offset:208
	s_waitcnt vmcnt(2)
	v_fmac_f64_e32 v[88:89], v[92:93], v[94:95]
	ds_read_b128 v[92:95], v90 offset:544
	s_waitcnt vmcnt(0) lgkmcnt(0)
	v_fmac_f64_e32 v[88:89], v[96:97], v[92:93]
	buffer_load_dword v93, off, s[0:3], 0 offset:220
	buffer_load_dword v92, off, s[0:3], 0 offset:216
	buffer_load_dword v97, off, s[0:3], 0 offset:228
	buffer_load_dword v96, off, s[0:3], 0 offset:224
	s_waitcnt vmcnt(2)
	v_fmac_f64_e32 v[88:89], v[92:93], v[94:95]
	ds_read_b128 v[92:95], v90 offset:560
	s_waitcnt vmcnt(0) lgkmcnt(0)
	v_fmac_f64_e32 v[88:89], v[96:97], v[92:93]
	buffer_load_dword v93, off, s[0:3], 0 offset:236
	buffer_load_dword v92, off, s[0:3], 0 offset:232
	buffer_load_dword v97, off, s[0:3], 0 offset:244
	buffer_load_dword v96, off, s[0:3], 0 offset:240
	s_waitcnt vmcnt(2)
	v_fmac_f64_e32 v[88:89], v[92:93], v[94:95]
	ds_read_b128 v[92:95], v90 offset:576
	s_waitcnt vmcnt(0) lgkmcnt(0)
	v_fmac_f64_e32 v[88:89], v[96:97], v[92:93]
	buffer_load_dword v93, off, s[0:3], 0 offset:252
	buffer_load_dword v92, off, s[0:3], 0 offset:248
	buffer_load_dword v97, off, s[0:3], 0 offset:260
	buffer_load_dword v96, off, s[0:3], 0 offset:256
	s_waitcnt vmcnt(2)
	v_fmac_f64_e32 v[88:89], v[92:93], v[94:95]
	ds_read_b128 v[92:95], v90 offset:592
	s_waitcnt vmcnt(0) lgkmcnt(0)
	v_fmac_f64_e32 v[88:89], v[96:97], v[92:93]
	buffer_load_dword v93, off, s[0:3], 0 offset:268
	buffer_load_dword v92, off, s[0:3], 0 offset:264
	buffer_load_dword v97, off, s[0:3], 0 offset:276
	buffer_load_dword v96, off, s[0:3], 0 offset:272
	s_waitcnt vmcnt(2)
	v_fmac_f64_e32 v[88:89], v[92:93], v[94:95]
	ds_read_b128 v[92:95], v90 offset:608
	s_waitcnt vmcnt(0) lgkmcnt(0)
	v_fmac_f64_e32 v[88:89], v[96:97], v[92:93]
	buffer_load_dword v93, off, s[0:3], 0 offset:284
	buffer_load_dword v92, off, s[0:3], 0 offset:280
	buffer_load_dword v97, off, s[0:3], 0 offset:292
	buffer_load_dword v96, off, s[0:3], 0 offset:288
	s_waitcnt vmcnt(2)
	v_fmac_f64_e32 v[88:89], v[92:93], v[94:95]
	ds_read_b128 v[92:95], v90 offset:624
	s_waitcnt vmcnt(0) lgkmcnt(0)
	v_fmac_f64_e32 v[88:89], v[96:97], v[92:93]
	buffer_load_dword v93, off, s[0:3], 0 offset:300
	buffer_load_dword v92, off, s[0:3], 0 offset:296
	buffer_load_dword v97, off, s[0:3], 0 offset:308
	buffer_load_dword v96, off, s[0:3], 0 offset:304
	s_waitcnt vmcnt(2)
	v_fmac_f64_e32 v[88:89], v[92:93], v[94:95]
	ds_read_b128 v[92:95], v90 offset:640
	s_waitcnt vmcnt(0) lgkmcnt(0)
	v_fmac_f64_e32 v[88:89], v[96:97], v[92:93]
	buffer_load_dword v93, off, s[0:3], 0 offset:316
	buffer_load_dword v92, off, s[0:3], 0 offset:312
	s_waitcnt vmcnt(0)
	v_fmac_f64_e32 v[88:89], v[92:93], v[94:95]
	buffer_load_dword v95, off, s[0:3], 0 offset:324
	buffer_load_dword v94, off, s[0:3], 0 offset:320
	ds_read_b128 v[90:93], v90 offset:656
	s_waitcnt vmcnt(0) lgkmcnt(0)
	v_fmac_f64_e32 v[88:89], v[94:95], v[90:91]
	buffer_load_dword v91, off, s[0:3], 0 offset:332
	buffer_load_dword v90, off, s[0:3], 0 offset:328
	s_waitcnt vmcnt(0)
	v_fmac_f64_e32 v[88:89], v[90:91], v[92:93]
	v_add_f64 v[86:87], v[86:87], -v[88:89]
	buffer_store_dword v87, off, s[0:3], 0 offset:28
	buffer_store_dword v86, off, s[0:3], 0 offset:24
	s_and_saveexec_b64 s[4:5], vcc
	s_cbranch_execz .LBB105_255
; %bb.254:
	buffer_load_dword v86, off, s[0:3], 0 offset:16
	buffer_load_dword v87, off, s[0:3], 0 offset:20
	v_mov_b32_e32 v88, 0
	buffer_store_dword v88, off, s[0:3], 0 offset:16
	buffer_store_dword v88, off, s[0:3], 0 offset:20
	s_waitcnt vmcnt(2)
	ds_write_b64 v1, v[86:87]
.LBB105_255:
	s_or_b64 exec, exec, s[4:5]
	s_waitcnt lgkmcnt(0)
	; wave barrier
	s_waitcnt lgkmcnt(0)
	buffer_load_dword v86, off, s[0:3], 0 offset:16
	buffer_load_dword v87, off, s[0:3], 0 offset:20
	;; [unrolled: 1-line block ×16, first 2 shown]
	v_mov_b32_e32 v90, 0
	ds_read2_b64 v[92:95], v90 offset0:45 offset1:46
	v_cmp_lt_u32_e32 vcc, 1, v0
	s_waitcnt vmcnt(12) lgkmcnt(0)
	v_fma_f64 v[88:89], v[88:89], v[92:93], 0
	s_waitcnt vmcnt(10)
	v_fmac_f64_e32 v[88:89], v[96:97], v[94:95]
	ds_read2_b64 v[92:95], v90 offset0:47 offset1:48
	s_waitcnt vmcnt(8) lgkmcnt(0)
	v_fmac_f64_e32 v[88:89], v[98:99], v[92:93]
	s_waitcnt vmcnt(6)
	v_fmac_f64_e32 v[88:89], v[100:101], v[94:95]
	ds_read2_b64 v[92:95], v90 offset0:49 offset1:50
	s_waitcnt vmcnt(4) lgkmcnt(0)
	v_fmac_f64_e32 v[88:89], v[102:103], v[92:93]
	;; [unrolled: 5-line block ×3, first 2 shown]
	buffer_load_dword v93, off, s[0:3], 0 offset:84
	buffer_load_dword v92, off, s[0:3], 0 offset:80
	buffer_load_dword v97, off, s[0:3], 0 offset:92
	buffer_load_dword v96, off, s[0:3], 0 offset:88
	s_waitcnt vmcnt(2)
	v_fmac_f64_e32 v[88:89], v[92:93], v[94:95]
	ds_read2_b64 v[92:95], v90 offset0:53 offset1:54
	s_waitcnt vmcnt(0) lgkmcnt(0)
	v_fmac_f64_e32 v[88:89], v[96:97], v[92:93]
	buffer_load_dword v93, off, s[0:3], 0 offset:100
	buffer_load_dword v92, off, s[0:3], 0 offset:96
	buffer_load_dword v97, off, s[0:3], 0 offset:108
	buffer_load_dword v96, off, s[0:3], 0 offset:104
	s_waitcnt vmcnt(2)
	v_fmac_f64_e32 v[88:89], v[92:93], v[94:95]
	ds_read2_b64 v[92:95], v90 offset0:55 offset1:56
	s_waitcnt vmcnt(0) lgkmcnt(0)
	v_fmac_f64_e32 v[88:89], v[96:97], v[92:93]
	;; [unrolled: 9-line block ×15, first 2 shown]
	buffer_load_dword v93, off, s[0:3], 0 offset:324
	buffer_load_dword v92, off, s[0:3], 0 offset:320
	s_waitcnt vmcnt(0)
	v_fmac_f64_e32 v[88:89], v[92:93], v[94:95]
	buffer_load_dword v93, off, s[0:3], 0 offset:332
	buffer_load_dword v92, off, s[0:3], 0 offset:328
	ds_read_b64 v[94:95], v90 offset:664
	s_waitcnt vmcnt(0) lgkmcnt(0)
	v_fmac_f64_e32 v[88:89], v[92:93], v[94:95]
	v_add_f64 v[86:87], v[86:87], -v[88:89]
	buffer_store_dword v87, off, s[0:3], 0 offset:20
	buffer_store_dword v86, off, s[0:3], 0 offset:16
	s_and_saveexec_b64 s[4:5], vcc
	s_cbranch_execz .LBB105_257
; %bb.256:
	buffer_load_dword v86, off, s[0:3], 0 offset:8
	buffer_load_dword v87, off, s[0:3], 0 offset:12
	s_waitcnt vmcnt(0)
	ds_write_b64 v1, v[86:87]
	buffer_store_dword v90, off, s[0:3], 0 offset:8
	buffer_store_dword v90, off, s[0:3], 0 offset:12
.LBB105_257:
	s_or_b64 exec, exec, s[4:5]
	s_waitcnt lgkmcnt(0)
	; wave barrier
	s_waitcnt lgkmcnt(0)
	buffer_load_dword v86, off, s[0:3], 0 offset:8
	buffer_load_dword v87, off, s[0:3], 0 offset:12
	;; [unrolled: 1-line block ×16, first 2 shown]
	ds_read_b128 v[92:95], v90 offset:352
	ds_read_b128 v[96:99], v90 offset:368
	;; [unrolled: 1-line block ×4, first 2 shown]
	v_cmp_ne_u32_e32 vcc, 0, v0
	s_waitcnt vmcnt(12) lgkmcnt(3)
	v_fma_f64 v[88:89], v[88:89], v[92:93], 0
	buffer_load_dword v93, off, s[0:3], 0 offset:76
	buffer_load_dword v92, off, s[0:3], 0 offset:72
	s_waitcnt vmcnt(12)
	v_fmac_f64_e32 v[88:89], v[108:109], v[94:95]
	s_waitcnt vmcnt(10) lgkmcnt(2)
	v_fmac_f64_e32 v[88:89], v[110:111], v[96:97]
	buffer_load_dword v97, off, s[0:3], 0 offset:84
	buffer_load_dword v96, off, s[0:3], 0 offset:80
	s_waitcnt vmcnt(10)
	v_fmac_f64_e32 v[88:89], v[112:113], v[98:99]
	s_waitcnt vmcnt(8) lgkmcnt(1)
	v_fmac_f64_e32 v[88:89], v[114:115], v[100:101]
	s_waitcnt vmcnt(6)
	v_fmac_f64_e32 v[88:89], v[116:117], v[102:103]
	s_waitcnt vmcnt(4) lgkmcnt(0)
	v_fmac_f64_e32 v[88:89], v[118:119], v[104:105]
	s_waitcnt vmcnt(2)
	v_fmac_f64_e32 v[88:89], v[92:93], v[106:107]
	ds_read_b128 v[92:95], v90 offset:416
	s_waitcnt vmcnt(0) lgkmcnt(0)
	v_fmac_f64_e32 v[88:89], v[96:97], v[92:93]
	buffer_load_dword v93, off, s[0:3], 0 offset:92
	buffer_load_dword v92, off, s[0:3], 0 offset:88
	buffer_load_dword v97, off, s[0:3], 0 offset:100
	buffer_load_dword v96, off, s[0:3], 0 offset:96
	s_waitcnt vmcnt(2)
	v_fmac_f64_e32 v[88:89], v[92:93], v[94:95]
	ds_read_b128 v[92:95], v90 offset:432
	s_waitcnt vmcnt(0) lgkmcnt(0)
	v_fmac_f64_e32 v[88:89], v[96:97], v[92:93]
	buffer_load_dword v93, off, s[0:3], 0 offset:108
	buffer_load_dword v92, off, s[0:3], 0 offset:104
	buffer_load_dword v97, off, s[0:3], 0 offset:116
	buffer_load_dword v96, off, s[0:3], 0 offset:112
	;; [unrolled: 9-line block ×14, first 2 shown]
	s_waitcnt vmcnt(2)
	v_fmac_f64_e32 v[88:89], v[92:93], v[94:95]
	ds_read_b128 v[92:95], v90 offset:640
	s_waitcnt vmcnt(0) lgkmcnt(0)
	v_fmac_f64_e32 v[88:89], v[96:97], v[92:93]
	buffer_load_dword v93, off, s[0:3], 0 offset:316
	buffer_load_dword v92, off, s[0:3], 0 offset:312
	s_waitcnt vmcnt(0)
	v_fmac_f64_e32 v[88:89], v[92:93], v[94:95]
	buffer_load_dword v95, off, s[0:3], 0 offset:324
	buffer_load_dword v94, off, s[0:3], 0 offset:320
	ds_read_b128 v[90:93], v90 offset:656
	s_waitcnt vmcnt(0) lgkmcnt(0)
	v_fmac_f64_e32 v[88:89], v[94:95], v[90:91]
	buffer_load_dword v91, off, s[0:3], 0 offset:332
	buffer_load_dword v90, off, s[0:3], 0 offset:328
	s_waitcnt vmcnt(0)
	v_fmac_f64_e32 v[88:89], v[90:91], v[92:93]
	v_add_f64 v[86:87], v[86:87], -v[88:89]
	buffer_store_dword v87, off, s[0:3], 0 offset:12
	buffer_store_dword v86, off, s[0:3], 0 offset:8
	s_and_saveexec_b64 s[4:5], vcc
	s_cbranch_execz .LBB105_259
; %bb.258:
	buffer_load_dword v86, off, s[0:3], 0
	buffer_load_dword v87, off, s[0:3], 0 offset:4
	v_mov_b32_e32 v0, 0
	buffer_store_dword v0, off, s[0:3], 0
	buffer_store_dword v0, off, s[0:3], 0 offset:4
	s_waitcnt vmcnt(2)
	ds_write_b64 v1, v[86:87]
.LBB105_259:
	s_or_b64 exec, exec, s[4:5]
	s_waitcnt lgkmcnt(0)
	; wave barrier
	s_waitcnt lgkmcnt(0)
	buffer_load_dword v0, off, s[0:3], 0
	buffer_load_dword v1, off, s[0:3], 0 offset:4
	buffer_load_dword v92, off, s[0:3], 0 offset:8
	;; [unrolled: 1-line block ×15, first 2 shown]
	v_mov_b32_e32 v90, 0
	ds_read2_b64 v[86:89], v90 offset0:43 offset1:44
	s_and_b64 vcc, exec, s[16:17]
	s_waitcnt vmcnt(12) lgkmcnt(0)
	v_fma_f64 v[86:87], v[92:93], v[86:87], 0
	s_waitcnt vmcnt(10)
	v_fmac_f64_e32 v[86:87], v[94:95], v[88:89]
	ds_read2_b64 v[92:95], v90 offset0:45 offset1:46
	s_waitcnt vmcnt(8) lgkmcnt(0)
	v_fmac_f64_e32 v[86:87], v[96:97], v[92:93]
	s_waitcnt vmcnt(6)
	v_fmac_f64_e32 v[86:87], v[98:99], v[94:95]
	ds_read2_b64 v[92:95], v90 offset0:47 offset1:48
	s_waitcnt vmcnt(4) lgkmcnt(0)
	v_fmac_f64_e32 v[86:87], v[100:101], v[92:93]
	s_waitcnt vmcnt(2)
	v_fmac_f64_e32 v[86:87], v[102:103], v[94:95]
	ds_read2_b64 v[92:95], v90 offset0:49 offset1:50
	buffer_load_dword v89, off, s[0:3], 0 offset:68
	buffer_load_dword v88, off, s[0:3], 0 offset:64
	s_waitcnt vmcnt(2) lgkmcnt(0)
	v_fmac_f64_e32 v[86:87], v[104:105], v[92:93]
	s_waitcnt vmcnt(0)
	v_fmac_f64_e32 v[86:87], v[88:89], v[94:95]
	buffer_load_dword v89, off, s[0:3], 0 offset:76
	buffer_load_dword v88, off, s[0:3], 0 offset:72
	ds_read2_b64 v[92:95], v90 offset0:51 offset1:52
	s_waitcnt vmcnt(0) lgkmcnt(0)
	v_fmac_f64_e32 v[86:87], v[88:89], v[92:93]
	buffer_load_dword v89, off, s[0:3], 0 offset:84
	buffer_load_dword v88, off, s[0:3], 0 offset:80
	s_waitcnt vmcnt(0)
	v_fmac_f64_e32 v[86:87], v[88:89], v[94:95]
	buffer_load_dword v89, off, s[0:3], 0 offset:92
	buffer_load_dword v88, off, s[0:3], 0 offset:88
	ds_read2_b64 v[92:95], v90 offset0:53 offset1:54
	s_waitcnt vmcnt(0) lgkmcnt(0)
	v_fmac_f64_e32 v[86:87], v[88:89], v[92:93]
	buffer_load_dword v89, off, s[0:3], 0 offset:100
	buffer_load_dword v88, off, s[0:3], 0 offset:96
	;; [unrolled: 9-line block ×16, first 2 shown]
	buffer_load_dword v93, off, s[0:3], 0 offset:332
	buffer_load_dword v92, off, s[0:3], 0 offset:328
	ds_read_b64 v[90:91], v90 offset:664
	s_waitcnt vmcnt(2)
	v_fmac_f64_e32 v[86:87], v[88:89], v[94:95]
	s_waitcnt vmcnt(0) lgkmcnt(0)
	v_fmac_f64_e32 v[86:87], v[92:93], v[90:91]
	v_add_f64 v[0:1], v[0:1], -v[86:87]
	buffer_store_dword v1, off, s[0:3], 0 offset:4
	buffer_store_dword v0, off, s[0:3], 0
	s_cbranch_vccz .LBB105_343
; %bb.260:
	v_pk_mov_b32 v[0:1], s[10:11], s[10:11] op_sel:[0,1]
	flat_load_dword v0, v[0:1] offset:160
	s_waitcnt vmcnt(0) lgkmcnt(0)
	v_add_u32_e32 v0, -1, v0
	v_cmp_ne_u32_e32 vcc, 40, v0
	s_and_saveexec_b64 s[4:5], vcc
	s_cbranch_execz .LBB105_262
; %bb.261:
	v_mov_b32_e32 v1, 0
	v_lshl_add_u32 v0, v0, 3, v1
	buffer_load_dword v1, v0, s[0:3], 0 offen offset:4
	buffer_load_dword v86, v0, s[0:3], 0 offen
	s_waitcnt vmcnt(1)
	buffer_store_dword v1, off, s[0:3], 0 offset:324
	s_waitcnt vmcnt(1)
	buffer_store_dword v86, off, s[0:3], 0 offset:320
	buffer_store_dword v89, v0, s[0:3], 0 offen offset:4
	buffer_store_dword v88, v0, s[0:3], 0 offen
.LBB105_262:
	s_or_b64 exec, exec, s[4:5]
	v_pk_mov_b32 v[0:1], s[10:11], s[10:11] op_sel:[0,1]
	flat_load_dword v0, v[0:1] offset:156
	s_waitcnt vmcnt(0) lgkmcnt(0)
	v_add_u32_e32 v0, -1, v0
	v_cmp_ne_u32_e32 vcc, 39, v0
	s_and_saveexec_b64 s[4:5], vcc
	s_cbranch_execz .LBB105_264
; %bb.263:
	v_mov_b32_e32 v1, 0
	v_lshl_add_u32 v0, v0, 3, v1
	buffer_load_dword v1, v0, s[0:3], 0 offen
	buffer_load_dword v86, v0, s[0:3], 0 offen offset:4
	buffer_load_dword v87, off, s[0:3], 0 offset:312
	buffer_load_dword v88, off, s[0:3], 0 offset:316
	s_waitcnt vmcnt(3)
	buffer_store_dword v1, off, s[0:3], 0 offset:312
	s_waitcnt vmcnt(3)
	buffer_store_dword v86, off, s[0:3], 0 offset:316
	s_waitcnt vmcnt(3)
	buffer_store_dword v87, v0, s[0:3], 0 offen
	s_waitcnt vmcnt(3)
	buffer_store_dword v88, v0, s[0:3], 0 offen offset:4
.LBB105_264:
	s_or_b64 exec, exec, s[4:5]
	v_pk_mov_b32 v[0:1], s[10:11], s[10:11] op_sel:[0,1]
	flat_load_dword v0, v[0:1] offset:152
	s_waitcnt vmcnt(0) lgkmcnt(0)
	v_add_u32_e32 v0, -1, v0
	v_cmp_ne_u32_e32 vcc, 38, v0
	s_and_saveexec_b64 s[4:5], vcc
	s_cbranch_execz .LBB105_266
; %bb.265:
	v_mov_b32_e32 v1, 0
	v_lshl_add_u32 v0, v0, 3, v1
	buffer_load_dword v1, v0, s[0:3], 0 offen
	buffer_load_dword v86, v0, s[0:3], 0 offen offset:4
	buffer_load_dword v87, off, s[0:3], 0 offset:308
	buffer_load_dword v88, off, s[0:3], 0 offset:304
	s_waitcnt vmcnt(3)
	buffer_store_dword v1, off, s[0:3], 0 offset:304
	s_waitcnt vmcnt(3)
	buffer_store_dword v86, off, s[0:3], 0 offset:308
	s_waitcnt vmcnt(3)
	buffer_store_dword v87, v0, s[0:3], 0 offen offset:4
	s_waitcnt vmcnt(3)
	buffer_store_dword v88, v0, s[0:3], 0 offen
.LBB105_266:
	s_or_b64 exec, exec, s[4:5]
	v_pk_mov_b32 v[0:1], s[10:11], s[10:11] op_sel:[0,1]
	flat_load_dword v0, v[0:1] offset:148
	s_waitcnt vmcnt(0) lgkmcnt(0)
	v_add_u32_e32 v0, -1, v0
	v_cmp_ne_u32_e32 vcc, 37, v0
	s_and_saveexec_b64 s[4:5], vcc
	s_cbranch_execz .LBB105_268
; %bb.267:
	v_mov_b32_e32 v1, 0
	v_lshl_add_u32 v0, v0, 3, v1
	buffer_load_dword v1, v0, s[0:3], 0 offen
	buffer_load_dword v86, v0, s[0:3], 0 offen offset:4
	buffer_load_dword v87, off, s[0:3], 0 offset:296
	buffer_load_dword v88, off, s[0:3], 0 offset:300
	s_waitcnt vmcnt(3)
	buffer_store_dword v1, off, s[0:3], 0 offset:296
	s_waitcnt vmcnt(3)
	buffer_store_dword v86, off, s[0:3], 0 offset:300
	s_waitcnt vmcnt(3)
	buffer_store_dword v87, v0, s[0:3], 0 offen
	s_waitcnt vmcnt(3)
	buffer_store_dword v88, v0, s[0:3], 0 offen offset:4
.LBB105_268:
	s_or_b64 exec, exec, s[4:5]
	v_pk_mov_b32 v[0:1], s[10:11], s[10:11] op_sel:[0,1]
	flat_load_dword v0, v[0:1] offset:144
	s_waitcnt vmcnt(0) lgkmcnt(0)
	v_add_u32_e32 v0, -1, v0
	v_cmp_ne_u32_e32 vcc, 36, v0
	s_and_saveexec_b64 s[4:5], vcc
	s_cbranch_execz .LBB105_270
; %bb.269:
	v_mov_b32_e32 v1, 0
	v_lshl_add_u32 v0, v0, 3, v1
	buffer_load_dword v1, v0, s[0:3], 0 offen
	buffer_load_dword v86, v0, s[0:3], 0 offen offset:4
	buffer_load_dword v87, off, s[0:3], 0 offset:292
	buffer_load_dword v88, off, s[0:3], 0 offset:288
	s_waitcnt vmcnt(3)
	buffer_store_dword v1, off, s[0:3], 0 offset:288
	s_waitcnt vmcnt(3)
	buffer_store_dword v86, off, s[0:3], 0 offset:292
	s_waitcnt vmcnt(3)
	buffer_store_dword v87, v0, s[0:3], 0 offen offset:4
	s_waitcnt vmcnt(3)
	buffer_store_dword v88, v0, s[0:3], 0 offen
.LBB105_270:
	;; [unrolled: 48-line block ×19, first 2 shown]
	s_or_b64 exec, exec, s[4:5]
	v_pk_mov_b32 v[0:1], s[10:11], s[10:11] op_sel:[0,1]
	flat_load_dword v0, v[0:1] offset:4
	s_waitcnt vmcnt(0) lgkmcnt(0)
	v_add_u32_e32 v0, -1, v0
	v_cmp_ne_u32_e32 vcc, 1, v0
	s_and_saveexec_b64 s[4:5], vcc
	s_cbranch_execz .LBB105_340
; %bb.339:
	v_mov_b32_e32 v1, 0
	v_lshl_add_u32 v0, v0, 3, v1
	buffer_load_dword v1, v0, s[0:3], 0 offen
	buffer_load_dword v86, v0, s[0:3], 0 offen offset:4
	buffer_load_dword v87, off, s[0:3], 0 offset:8
	buffer_load_dword v88, off, s[0:3], 0 offset:12
	s_waitcnt vmcnt(3)
	buffer_store_dword v1, off, s[0:3], 0 offset:8
	s_waitcnt vmcnt(3)
	buffer_store_dword v86, off, s[0:3], 0 offset:12
	s_waitcnt vmcnt(3)
	buffer_store_dword v87, v0, s[0:3], 0 offen
	s_waitcnt vmcnt(3)
	buffer_store_dword v88, v0, s[0:3], 0 offen offset:4
.LBB105_340:
	s_or_b64 exec, exec, s[4:5]
	v_pk_mov_b32 v[0:1], s[10:11], s[10:11] op_sel:[0,1]
	flat_load_dword v86, v[0:1]
	s_nop 0
	buffer_load_dword v0, off, s[0:3], 0
	buffer_load_dword v1, off, s[0:3], 0 offset:4
	s_waitcnt vmcnt(0) lgkmcnt(0)
	v_add_u32_e32 v86, -1, v86
	v_cmp_ne_u32_e32 vcc, 0, v86
	s_and_saveexec_b64 s[4:5], vcc
	s_cbranch_execz .LBB105_342
; %bb.341:
	v_mov_b32_e32 v87, 0
	v_lshl_add_u32 v86, v86, 3, v87
	buffer_load_dword v87, v86, s[0:3], 0 offen offset:4
	buffer_load_dword v88, v86, s[0:3], 0 offen
	s_waitcnt vmcnt(1)
	buffer_store_dword v87, off, s[0:3], 0 offset:4
	s_waitcnt vmcnt(1)
	buffer_store_dword v88, off, s[0:3], 0
	buffer_store_dword v1, v86, s[0:3], 0 offen offset:4
	buffer_store_dword v0, v86, s[0:3], 0 offen
	buffer_load_dword v0, off, s[0:3], 0
	s_nop 0
	buffer_load_dword v1, off, s[0:3], 0 offset:4
.LBB105_342:
	s_or_b64 exec, exec, s[4:5]
.LBB105_343:
	s_waitcnt vmcnt(0)
	global_store_dwordx2 v[84:85], v[0:1], off
	buffer_load_dword v0, off, s[0:3], 0 offset:8
	s_nop 0
	buffer_load_dword v1, off, s[0:3], 0 offset:12
	buffer_load_dword v84, off, s[0:3], 0 offset:16
	;; [unrolled: 1-line block ×15, first 2 shown]
	s_waitcnt vmcnt(14)
	global_store_dwordx2 v[82:83], v[0:1], off
	s_waitcnt vmcnt(13)
	global_store_dwordx2 v[2:3], v[84:85], off
	;; [unrolled: 2-line block ×8, first 2 shown]
	buffer_load_dword v0, off, s[0:3], 0 offset:72
	buffer_load_dword v1, off, s[0:3], 0 offset:76
	s_waitcnt vmcnt(0)
	global_store_dwordx2 v[14:15], v[0:1], off
	buffer_load_dword v0, off, s[0:3], 0 offset:80
	s_nop 0
	buffer_load_dword v1, off, s[0:3], 0 offset:84
	s_waitcnt vmcnt(0)
	global_store_dwordx2 v[16:17], v[0:1], off
	buffer_load_dword v0, off, s[0:3], 0 offset:88
	s_nop 0
	;; [unrolled: 5-line block ×32, first 2 shown]
	buffer_load_dword v1, off, s[0:3], 0 offset:332
	s_waitcnt vmcnt(0)
	global_store_dwordx2 v[66:67], v[0:1], off
	s_endpgm
	.section	.rodata,"a",@progbits
	.p2align	6, 0x0
	.amdhsa_kernel _ZN9rocsolver6v33100L18getri_kernel_smallILi42EdPKPdEEvT1_iilPiilS6_bb
		.amdhsa_group_segment_fixed_size 680
		.amdhsa_private_segment_fixed_size 352
		.amdhsa_kernarg_size 60
		.amdhsa_user_sgpr_count 8
		.amdhsa_user_sgpr_private_segment_buffer 1
		.amdhsa_user_sgpr_dispatch_ptr 0
		.amdhsa_user_sgpr_queue_ptr 0
		.amdhsa_user_sgpr_kernarg_segment_ptr 1
		.amdhsa_user_sgpr_dispatch_id 0
		.amdhsa_user_sgpr_flat_scratch_init 1
		.amdhsa_user_sgpr_kernarg_preload_length 0
		.amdhsa_user_sgpr_kernarg_preload_offset 0
		.amdhsa_user_sgpr_private_segment_size 0
		.amdhsa_uses_dynamic_stack 0
		.amdhsa_system_sgpr_private_segment_wavefront_offset 1
		.amdhsa_system_sgpr_workgroup_id_x 1
		.amdhsa_system_sgpr_workgroup_id_y 0
		.amdhsa_system_sgpr_workgroup_id_z 0
		.amdhsa_system_sgpr_workgroup_info 0
		.amdhsa_system_vgpr_workitem_id 0
		.amdhsa_next_free_vgpr 126
		.amdhsa_next_free_sgpr 22
		.amdhsa_accum_offset 128
		.amdhsa_reserve_vcc 1
		.amdhsa_reserve_flat_scratch 1
		.amdhsa_float_round_mode_32 0
		.amdhsa_float_round_mode_16_64 0
		.amdhsa_float_denorm_mode_32 3
		.amdhsa_float_denorm_mode_16_64 3
		.amdhsa_dx10_clamp 1
		.amdhsa_ieee_mode 1
		.amdhsa_fp16_overflow 0
		.amdhsa_tg_split 0
		.amdhsa_exception_fp_ieee_invalid_op 0
		.amdhsa_exception_fp_denorm_src 0
		.amdhsa_exception_fp_ieee_div_zero 0
		.amdhsa_exception_fp_ieee_overflow 0
		.amdhsa_exception_fp_ieee_underflow 0
		.amdhsa_exception_fp_ieee_inexact 0
		.amdhsa_exception_int_div_zero 0
	.end_amdhsa_kernel
	.section	.text._ZN9rocsolver6v33100L18getri_kernel_smallILi42EdPKPdEEvT1_iilPiilS6_bb,"axG",@progbits,_ZN9rocsolver6v33100L18getri_kernel_smallILi42EdPKPdEEvT1_iilPiilS6_bb,comdat
.Lfunc_end105:
	.size	_ZN9rocsolver6v33100L18getri_kernel_smallILi42EdPKPdEEvT1_iilPiilS6_bb, .Lfunc_end105-_ZN9rocsolver6v33100L18getri_kernel_smallILi42EdPKPdEEvT1_iilPiilS6_bb
                                        ; -- End function
	.section	.AMDGPU.csdata,"",@progbits
; Kernel info:
; codeLenInByte = 46208
; NumSgprs: 28
; NumVgprs: 126
; NumAgprs: 0
; TotalNumVgprs: 126
; ScratchSize: 352
; MemoryBound: 0
; FloatMode: 240
; IeeeMode: 1
; LDSByteSize: 680 bytes/workgroup (compile time only)
; SGPRBlocks: 3
; VGPRBlocks: 15
; NumSGPRsForWavesPerEU: 28
; NumVGPRsForWavesPerEU: 126
; AccumOffset: 128
; Occupancy: 4
; WaveLimiterHint : 1
; COMPUTE_PGM_RSRC2:SCRATCH_EN: 1
; COMPUTE_PGM_RSRC2:USER_SGPR: 8
; COMPUTE_PGM_RSRC2:TRAP_HANDLER: 0
; COMPUTE_PGM_RSRC2:TGID_X_EN: 1
; COMPUTE_PGM_RSRC2:TGID_Y_EN: 0
; COMPUTE_PGM_RSRC2:TGID_Z_EN: 0
; COMPUTE_PGM_RSRC2:TIDIG_COMP_CNT: 0
; COMPUTE_PGM_RSRC3_GFX90A:ACCUM_OFFSET: 31
; COMPUTE_PGM_RSRC3_GFX90A:TG_SPLIT: 0
	.section	.text._ZN9rocsolver6v33100L18getri_kernel_smallILi43EdPKPdEEvT1_iilPiilS6_bb,"axG",@progbits,_ZN9rocsolver6v33100L18getri_kernel_smallILi43EdPKPdEEvT1_iilPiilS6_bb,comdat
	.globl	_ZN9rocsolver6v33100L18getri_kernel_smallILi43EdPKPdEEvT1_iilPiilS6_bb ; -- Begin function _ZN9rocsolver6v33100L18getri_kernel_smallILi43EdPKPdEEvT1_iilPiilS6_bb
	.p2align	8
	.type	_ZN9rocsolver6v33100L18getri_kernel_smallILi43EdPKPdEEvT1_iilPiilS6_bb,@function
_ZN9rocsolver6v33100L18getri_kernel_smallILi43EdPKPdEEvT1_iilPiilS6_bb: ; @_ZN9rocsolver6v33100L18getri_kernel_smallILi43EdPKPdEEvT1_iilPiilS6_bb
; %bb.0:
	s_add_u32 flat_scratch_lo, s6, s9
	s_addc_u32 flat_scratch_hi, s7, 0
	s_add_u32 s0, s0, s9
	s_addc_u32 s1, s1, 0
	v_cmp_gt_u32_e32 vcc, 43, v0
	s_and_saveexec_b64 s[6:7], vcc
	s_cbranch_execz .LBB106_180
; %bb.1:
	s_load_dword s20, s[4:5], 0x38
	s_load_dwordx2 s[6:7], s[4:5], 0x0
	s_load_dwordx4 s[12:15], s[4:5], 0x28
	s_waitcnt lgkmcnt(0)
	s_bitcmp1_b32 s20, 8
	s_cselect_b64 s[16:17], -1, 0
	s_ashr_i32 s9, s8, 31
	s_lshl_b64 s[10:11], s[8:9], 3
	s_add_u32 s6, s6, s10
	s_addc_u32 s7, s7, s11
	s_load_dwordx2 s[18:19], s[6:7], 0x0
	s_bfe_u32 s6, s20, 0x10008
	s_cmp_eq_u32 s6, 0
                                        ; implicit-def: $sgpr10_sgpr11
	s_cbranch_scc1 .LBB106_3
; %bb.2:
	s_load_dword s6, s[4:5], 0x20
	s_load_dwordx2 s[10:11], s[4:5], 0x18
	s_mul_i32 s7, s8, s13
	s_mul_hi_u32 s13, s8, s12
	s_add_i32 s13, s13, s7
	s_mul_i32 s21, s9, s12
	s_add_i32 s13, s13, s21
	s_mul_i32 s12, s8, s12
	s_waitcnt lgkmcnt(0)
	s_ashr_i32 s7, s6, 31
	s_lshl_b64 s[12:13], s[12:13], 2
	s_add_u32 s10, s10, s12
	s_addc_u32 s11, s11, s13
	s_lshl_b64 s[6:7], s[6:7], 2
	s_add_u32 s10, s10, s6
	s_addc_u32 s11, s11, s7
.LBB106_3:
	s_load_dwordx2 s[6:7], s[4:5], 0x8
	s_waitcnt lgkmcnt(0)
	s_ashr_i32 s5, s6, 31
	s_mov_b32 s4, s6
	s_lshl_b64 s[4:5], s[4:5], 3
	s_add_u32 s4, s18, s4
	s_addc_u32 s5, s19, s5
	s_add_i32 s6, s7, s7
	v_add_u32_e32 v4, s6, v0
	v_ashrrev_i32_e32 v5, 31, v4
	v_lshlrev_b64 v[2:3], 3, v[4:5]
	v_add_u32_e32 v6, s7, v4
	v_mov_b32_e32 v1, s5
	v_add_co_u32_e32 v2, vcc, s4, v2
	v_ashrrev_i32_e32 v7, 31, v6
	v_addc_co_u32_e32 v3, vcc, v1, v3, vcc
	v_lshlrev_b64 v[4:5], 3, v[6:7]
	v_add_u32_e32 v8, s7, v6
	v_add_co_u32_e32 v4, vcc, s4, v4
	v_ashrrev_i32_e32 v9, 31, v8
	v_addc_co_u32_e32 v5, vcc, v1, v5, vcc
	v_lshlrev_b64 v[6:7], 3, v[8:9]
	v_add_u32_e32 v10, s7, v8
	;; [unrolled: 5-line block ×5, first 2 shown]
	v_add_co_u32_e32 v12, vcc, s4, v12
	v_ashrrev_i32_e32 v15, 31, v14
	v_addc_co_u32_e32 v13, vcc, v1, v13, vcc
	v_lshlrev_b64 v[16:17], 3, v[14:15]
	v_add_co_u32_e32 v18, vcc, s4, v16
	v_add_u32_e32 v16, s7, v14
	v_addc_co_u32_e32 v19, vcc, v1, v17, vcc
	v_ashrrev_i32_e32 v17, 31, v16
	v_lshlrev_b64 v[14:15], 3, v[16:17]
	v_add_u32_e32 v20, s7, v16
	v_add_co_u32_e32 v14, vcc, s4, v14
	v_ashrrev_i32_e32 v21, 31, v20
	v_addc_co_u32_e32 v15, vcc, v1, v15, vcc
	v_lshlrev_b64 v[16:17], 3, v[20:21]
	v_add_u32_e32 v22, s7, v20
	v_add_co_u32_e32 v16, vcc, s4, v16
	v_ashrrev_i32_e32 v23, 31, v22
	v_addc_co_u32_e32 v17, vcc, v1, v17, vcc
	;; [unrolled: 5-line block ×25, first 2 shown]
	v_lshlrev_b64 v[66:67], 3, v[68:69]
	v_add_co_u32_e32 v66, vcc, s4, v66
	v_add_u32_e32 v70, s7, v68
	v_addc_co_u32_e32 v67, vcc, v1, v67, vcc
	v_ashrrev_i32_e32 v71, 31, v70
	v_lshlrev_b32_e32 v1, 3, v0
	v_lshlrev_b64 v[68:69], 3, v[70:71]
	global_load_dwordx2 v[88:89], v1, s[4:5]
	global_load_dwordx2 v[92:93], v[2:3], off
	global_load_dwordx2 v[94:95], v[4:5], off
	;; [unrolled: 1-line block ×3, first 2 shown]
	v_mov_b32_e32 v71, s5
	v_add_co_u32_e32 v86, vcc, s4, v1
	s_ashr_i32 s13, s7, 31
	s_mov_b32 s12, s7
	v_addc_co_u32_e32 v87, vcc, 0, v71, vcc
	s_lshl_b64 s[12:13], s[12:13], 3
	v_mov_b32_e32 v71, s13
	v_add_co_u32_e32 v84, vcc, s12, v86
	v_addc_co_u32_e32 v85, vcc, v87, v71, vcc
	global_load_dwordx2 v[90:91], v[84:85], off
	global_load_dwordx2 v[98:99], v[8:9], off
	;; [unrolled: 1-line block ×4, first 2 shown]
	v_add_u32_e32 v70, s7, v70
	v_mov_b32_e32 v72, s5
	v_add_co_u32_e32 v68, vcc, s4, v68
	v_ashrrev_i32_e32 v71, 31, v70
	v_addc_co_u32_e32 v69, vcc, v72, v69, vcc
	v_lshlrev_b64 v[72:73], 3, v[70:71]
	v_add_u32_e32 v70, s7, v70
	v_mov_b32_e32 v74, s5
	v_add_co_u32_e32 v72, vcc, s4, v72
	v_ashrrev_i32_e32 v71, 31, v70
	v_addc_co_u32_e32 v73, vcc, v74, v73, vcc
	v_lshlrev_b64 v[74:75], 3, v[70:71]
	;; [unrolled: 6-line block ×7, first 2 shown]
	global_load_dwordx2 v[104:105], v[18:19], off
	global_load_dwordx2 v[108:109], v[16:17], off
	;; [unrolled: 1-line block ×3, first 2 shown]
	v_mov_b32_e32 v118, s5
	global_load_dwordx2 v[110:111], v[20:21], off
	global_load_dwordx2 v[112:113], v[22:23], off
	global_load_dwordx2 v[114:115], v[24:25], off
	global_load_dwordx2 v[116:117], v[26:27], off
	v_add_co_u32_e32 v70, vcc, s4, v70
	v_addc_co_u32_e32 v71, vcc, v118, v71, vcc
	global_load_dwordx2 v[118:119], v[28:29], off
	global_load_dwordx2 v[120:121], v[30:31], off
	;; [unrolled: 1-line block ×3, first 2 shown]
	s_waitcnt vmcnt(17)
	buffer_store_dword v89, off, s[0:3], 0 offset:4
	buffer_store_dword v88, off, s[0:3], 0
	global_load_dwordx2 v[88:89], v[32:33], off
	s_waitcnt vmcnt(16)
	buffer_store_dword v91, off, s[0:3], 0 offset:12
	buffer_store_dword v90, off, s[0:3], 0 offset:8
	global_load_dwordx2 v[90:91], v[34:35], off
	s_nop 0
	buffer_store_dword v93, off, s[0:3], 0 offset:20
	buffer_store_dword v92, off, s[0:3], 0 offset:16
	global_load_dwordx2 v[92:93], v[36:37], off
	s_nop 0
	;; [unrolled: 4-line block ×3, first 2 shown]
	buffer_store_dword v97, off, s[0:3], 0 offset:36
	buffer_store_dword v96, off, s[0:3], 0 offset:32
	global_load_dwordx2 v[96:97], v[40:41], off
	s_waitcnt vmcnt(27)
	buffer_store_dword v99, off, s[0:3], 0 offset:44
	buffer_store_dword v98, off, s[0:3], 0 offset:40
	global_load_dwordx2 v[98:99], v[42:43], off
	s_waitcnt vmcnt(29)
	;; [unrolled: 4-line block ×4, first 2 shown]
	buffer_store_dword v105, off, s[0:3], 0 offset:68
	buffer_store_dword v104, off, s[0:3], 0 offset:64
	s_waitcnt vmcnt(33)
	buffer_store_dword v106, off, s[0:3], 0 offset:72
	buffer_store_dword v107, off, s[0:3], 0 offset:76
	;; [unrolled: 1-line block ×4, first 2 shown]
	s_waitcnt vmcnt(36)
	buffer_store_dword v110, off, s[0:3], 0 offset:88
	buffer_store_dword v111, off, s[0:3], 0 offset:92
	s_waitcnt vmcnt(37)
	buffer_store_dword v112, off, s[0:3], 0 offset:96
	buffer_store_dword v113, off, s[0:3], 0 offset:100
	;; [unrolled: 3-line block ×6, first 2 shown]
	global_load_dwordx2 v[104:105], v[48:49], off
	global_load_dwordx2 v[106:107], v[50:51], off
	;; [unrolled: 1-line block ×9, first 2 shown]
	s_bitcmp0_b32 s20, 0
	s_waitcnt vmcnt(48)
	buffer_store_dword v88, off, s[0:3], 0 offset:136
	buffer_store_dword v89, off, s[0:3], 0 offset:140
	global_load_dwordx2 v[88:89], v[52:53], off
	s_mov_b64 s[6:7], -1
	s_waitcnt vmcnt(48)
	buffer_store_dword v90, off, s[0:3], 0 offset:144
	buffer_store_dword v91, off, s[0:3], 0 offset:148
	global_load_dwordx2 v[90:91], v[56:57], off
	s_waitcnt vmcnt(48)
	buffer_store_dword v93, off, s[0:3], 0 offset:156
	buffer_store_dword v92, off, s[0:3], 0 offset:152
	global_load_dwordx2 v[92:93], v[60:61], off
	;; [unrolled: 4-line block ×7, first 2 shown]
	s_waitcnt vmcnt(32)
	buffer_store_dword v105, off, s[0:3], 0 offset:204
	buffer_store_dword v104, off, s[0:3], 0 offset:200
	s_waitcnt vmcnt(33)
	buffer_store_dword v107, off, s[0:3], 0 offset:212
	buffer_store_dword v106, off, s[0:3], 0 offset:208
	;; [unrolled: 3-line block ×3, first 2 shown]
	buffer_store_dword v108, off, s[0:3], 0 offset:224
	buffer_store_dword v109, off, s[0:3], 0 offset:228
	s_waitcnt vmcnt(26)
	buffer_store_dword v90, off, s[0:3], 0 offset:232
	buffer_store_dword v91, off, s[0:3], 0 offset:236
	buffer_store_dword v110, off, s[0:3], 0 offset:240
	buffer_store_dword v111, off, s[0:3], 0 offset:244
	s_waitcnt vmcnt(27)
	buffer_store_dword v93, off, s[0:3], 0 offset:252
	buffer_store_dword v92, off, s[0:3], 0 offset:248
	;; [unrolled: 5-line block ×7, first 2 shown]
	buffer_store_dword v122, off, s[0:3], 0 offset:336
	buffer_store_dword v123, off, s[0:3], 0 offset:340
	s_cbranch_scc1 .LBB106_178
; %bb.4:
	v_cmp_eq_u32_e64 s[4:5], 0, v0
	s_and_saveexec_b64 s[6:7], s[4:5]
	s_cbranch_execz .LBB106_6
; %bb.5:
	v_mov_b32_e32 v88, 0
	ds_write_b32 v88, v88 offset:344
.LBB106_6:
	s_or_b64 exec, exec, s[6:7]
	v_mov_b32_e32 v88, 0
	v_lshl_add_u32 v88, v0, 3, v88
	s_waitcnt lgkmcnt(0)
	; wave barrier
	s_waitcnt lgkmcnt(0)
	buffer_load_dword v90, v88, s[0:3], 0 offen
	buffer_load_dword v91, v88, s[0:3], 0 offen offset:4
	s_waitcnt vmcnt(0)
	v_cmp_eq_f64_e32 vcc, 0, v[90:91]
	s_and_saveexec_b64 s[12:13], vcc
	s_cbranch_execz .LBB106_10
; %bb.7:
	v_mov_b32_e32 v89, 0
	ds_read_b32 v91, v89 offset:344
	v_add_u32_e32 v90, 1, v0
	s_waitcnt lgkmcnt(0)
	v_readfirstlane_b32 s6, v91
	s_cmp_eq_u32 s6, 0
	s_cselect_b64 s[18:19], -1, 0
	v_cmp_gt_i32_e32 vcc, s6, v90
	s_or_b64 s[18:19], s[18:19], vcc
	s_and_b64 exec, exec, s[18:19]
	s_cbranch_execz .LBB106_10
; %bb.8:
	s_mov_b64 s[18:19], 0
	v_mov_b32_e32 v91, s6
.LBB106_9:                              ; =>This Inner Loop Header: Depth=1
	ds_cmpst_rtn_b32 v91, v89, v91, v90 offset:344
	s_waitcnt lgkmcnt(0)
	v_cmp_ne_u32_e32 vcc, 0, v91
	v_cmp_le_i32_e64 s[6:7], v91, v90
	s_and_b64 s[6:7], vcc, s[6:7]
	s_and_b64 s[6:7], exec, s[6:7]
	s_or_b64 s[18:19], s[6:7], s[18:19]
	s_andn2_b64 exec, exec, s[18:19]
	s_cbranch_execnz .LBB106_9
.LBB106_10:
	s_or_b64 exec, exec, s[12:13]
	v_mov_b32_e32 v90, 0
	s_waitcnt lgkmcnt(0)
	; wave barrier
	ds_read_b32 v89, v90 offset:344
	s_and_saveexec_b64 s[6:7], s[4:5]
	s_cbranch_execz .LBB106_12
; %bb.11:
	s_lshl_b64 s[12:13], s[8:9], 2
	s_add_u32 s12, s14, s12
	s_addc_u32 s13, s15, s13
	s_waitcnt lgkmcnt(0)
	global_store_dword v90, v89, s[12:13]
.LBB106_12:
	s_or_b64 exec, exec, s[6:7]
	s_waitcnt lgkmcnt(0)
	v_cmp_ne_u32_e32 vcc, 0, v89
	s_mov_b64 s[6:7], 0
	s_cbranch_vccnz .LBB106_178
; %bb.13:
	buffer_load_dword v90, v88, s[0:3], 0 offen
	buffer_load_dword v91, v88, s[0:3], 0 offen offset:4
	s_waitcnt vmcnt(0)
	v_div_scale_f64 v[92:93], s[6:7], v[90:91], v[90:91], 1.0
	v_rcp_f64_e32 v[94:95], v[92:93]
	v_div_scale_f64 v[96:97], vcc, 1.0, v[90:91], 1.0
	v_fma_f64 v[98:99], -v[92:93], v[94:95], 1.0
	v_fmac_f64_e32 v[94:95], v[94:95], v[98:99]
	v_fma_f64 v[98:99], -v[92:93], v[94:95], 1.0
	v_fmac_f64_e32 v[94:95], v[94:95], v[98:99]
	v_mul_f64 v[98:99], v[96:97], v[94:95]
	v_fma_f64 v[92:93], -v[92:93], v[98:99], v[96:97]
	v_div_fmas_f64 v[92:93], v[92:93], v[94:95], v[98:99]
	v_div_fixup_f64 v[92:93], v[92:93], v[90:91], 1.0
	buffer_store_dword v93, v88, s[0:3], 0 offen offset:4
	buffer_store_dword v92, v88, s[0:3], 0 offen
	buffer_load_dword v95, off, s[0:3], 0 offset:12
	buffer_load_dword v94, off, s[0:3], 0 offset:8
	v_add_u32_e32 v90, 0x160, v1
	v_xor_b32_e32 v93, 0x80000000, v93
	s_waitcnt vmcnt(0)
	ds_write2_b64 v1, v[92:93], v[94:95] offset1:44
	s_waitcnt lgkmcnt(0)
	; wave barrier
	s_waitcnt lgkmcnt(0)
	s_and_saveexec_b64 s[6:7], s[4:5]
	s_cbranch_execz .LBB106_15
; %bb.14:
	buffer_load_dword v92, v88, s[0:3], 0 offen
	buffer_load_dword v93, v88, s[0:3], 0 offen offset:4
	v_mov_b32_e32 v89, 0
	ds_read_b64 v[94:95], v90
	ds_read_b64 v[96:97], v89 offset:8
	s_waitcnt vmcnt(0) lgkmcnt(1)
	v_fma_f64 v[92:93], v[92:93], v[94:95], 0
	s_waitcnt lgkmcnt(0)
	v_mul_f64 v[92:93], v[92:93], v[96:97]
	buffer_store_dword v92, off, s[0:3], 0 offset:8
	buffer_store_dword v93, off, s[0:3], 0 offset:12
.LBB106_15:
	s_or_b64 exec, exec, s[6:7]
	s_waitcnt lgkmcnt(0)
	; wave barrier
	buffer_load_dword v92, off, s[0:3], 0 offset:16
	buffer_load_dword v93, off, s[0:3], 0 offset:20
	v_cmp_gt_u32_e32 vcc, 2, v0
	s_waitcnt vmcnt(0)
	ds_write_b64 v90, v[92:93]
	s_waitcnt lgkmcnt(0)
	; wave barrier
	s_waitcnt lgkmcnt(0)
	s_and_saveexec_b64 s[6:7], vcc
	s_cbranch_execz .LBB106_17
; %bb.16:
	buffer_load_dword v89, v88, s[0:3], 0 offen offset:4
	buffer_load_dword v96, off, s[0:3], 0 offset:8
	s_nop 0
	buffer_load_dword v88, v88, s[0:3], 0 offen
	s_nop 0
	buffer_load_dword v97, off, s[0:3], 0 offset:12
	ds_read_b64 v[98:99], v90
	v_mov_b32_e32 v91, 0
	ds_read2_b64 v[92:95], v91 offset0:2 offset1:45
	s_waitcnt vmcnt(1) lgkmcnt(1)
	v_fma_f64 v[88:89], v[88:89], v[98:99], 0
	s_waitcnt vmcnt(0) lgkmcnt(0)
	v_fma_f64 v[94:95], v[96:97], v[94:95], v[88:89]
	v_cndmask_b32_e64 v89, v89, v95, s[4:5]
	v_cndmask_b32_e64 v88, v88, v94, s[4:5]
	v_mul_f64 v[88:89], v[88:89], v[92:93]
	buffer_store_dword v89, off, s[0:3], 0 offset:20
	buffer_store_dword v88, off, s[0:3], 0 offset:16
.LBB106_17:
	s_or_b64 exec, exec, s[6:7]
	s_waitcnt lgkmcnt(0)
	; wave barrier
	buffer_load_dword v88, off, s[0:3], 0 offset:24
	buffer_load_dword v89, off, s[0:3], 0 offset:28
	v_cmp_gt_u32_e32 vcc, 3, v0
	v_add_u32_e32 v91, -1, v0
	s_waitcnt vmcnt(0)
	ds_write_b64 v90, v[88:89]
	s_waitcnt lgkmcnt(0)
	; wave barrier
	s_waitcnt lgkmcnt(0)
	s_and_saveexec_b64 s[4:5], vcc
	s_cbranch_execz .LBB106_21
; %bb.18:
	v_add_u32_e32 v92, -1, v0
	v_add_u32_e32 v93, 0x160, v1
	v_add_u32_e32 v94, 0, v1
	s_mov_b64 s[6:7], 0
	v_pk_mov_b32 v[88:89], 0, 0
.LBB106_19:                             ; =>This Inner Loop Header: Depth=1
	buffer_load_dword v96, v94, s[0:3], 0 offen
	buffer_load_dword v97, v94, s[0:3], 0 offen offset:4
	ds_read_b64 v[98:99], v93
	v_add_u32_e32 v92, 1, v92
	v_cmp_lt_u32_e32 vcc, 1, v92
	v_add_u32_e32 v93, 8, v93
	v_add_u32_e32 v94, 8, v94
	s_or_b64 s[6:7], vcc, s[6:7]
	s_waitcnt vmcnt(0) lgkmcnt(0)
	v_fmac_f64_e32 v[88:89], v[96:97], v[98:99]
	s_andn2_b64 exec, exec, s[6:7]
	s_cbranch_execnz .LBB106_19
; %bb.20:
	s_or_b64 exec, exec, s[6:7]
	v_mov_b32_e32 v92, 0
	ds_read_b64 v[92:93], v92 offset:24
	s_waitcnt lgkmcnt(0)
	v_mul_f64 v[88:89], v[88:89], v[92:93]
	buffer_store_dword v89, off, s[0:3], 0 offset:28
	buffer_store_dword v88, off, s[0:3], 0 offset:24
.LBB106_21:
	s_or_b64 exec, exec, s[4:5]
	s_waitcnt lgkmcnt(0)
	; wave barrier
	buffer_load_dword v88, off, s[0:3], 0 offset:32
	buffer_load_dword v89, off, s[0:3], 0 offset:36
	v_cmp_gt_u32_e32 vcc, 4, v0
	s_waitcnt vmcnt(0)
	ds_write_b64 v90, v[88:89]
	s_waitcnt lgkmcnt(0)
	; wave barrier
	s_waitcnt lgkmcnt(0)
	s_and_saveexec_b64 s[4:5], vcc
	s_cbranch_execz .LBB106_25
; %bb.22:
	v_add_u32_e32 v92, -1, v0
	v_add_u32_e32 v93, 0x160, v1
	v_add_u32_e32 v94, 0, v1
	s_mov_b64 s[6:7], 0
	v_pk_mov_b32 v[88:89], 0, 0
.LBB106_23:                             ; =>This Inner Loop Header: Depth=1
	buffer_load_dword v96, v94, s[0:3], 0 offen
	buffer_load_dword v97, v94, s[0:3], 0 offen offset:4
	ds_read_b64 v[98:99], v93
	v_add_u32_e32 v92, 1, v92
	v_cmp_lt_u32_e32 vcc, 2, v92
	v_add_u32_e32 v93, 8, v93
	v_add_u32_e32 v94, 8, v94
	s_or_b64 s[6:7], vcc, s[6:7]
	s_waitcnt vmcnt(0) lgkmcnt(0)
	v_fmac_f64_e32 v[88:89], v[96:97], v[98:99]
	s_andn2_b64 exec, exec, s[6:7]
	s_cbranch_execnz .LBB106_23
; %bb.24:
	s_or_b64 exec, exec, s[6:7]
	v_mov_b32_e32 v92, 0
	ds_read_b64 v[92:93], v92 offset:32
	s_waitcnt lgkmcnt(0)
	v_mul_f64 v[88:89], v[88:89], v[92:93]
	buffer_store_dword v89, off, s[0:3], 0 offset:36
	buffer_store_dword v88, off, s[0:3], 0 offset:32
.LBB106_25:
	s_or_b64 exec, exec, s[4:5]
	s_waitcnt lgkmcnt(0)
	; wave barrier
	buffer_load_dword v88, off, s[0:3], 0 offset:40
	buffer_load_dword v89, off, s[0:3], 0 offset:44
	v_cmp_gt_u32_e32 vcc, 5, v0
	;; [unrolled: 41-line block ×21, first 2 shown]
	s_waitcnt vmcnt(0)
	ds_write_b64 v90, v[88:89]
	s_waitcnt lgkmcnt(0)
	; wave barrier
	s_waitcnt lgkmcnt(0)
	s_and_saveexec_b64 s[4:5], vcc
	s_cbranch_execz .LBB106_105
; %bb.102:
	v_add_u32_e32 v92, -1, v0
	v_add_u32_e32 v93, 0x160, v1
	v_add_u32_e32 v94, 0, v1
	s_mov_b64 s[6:7], 0
	v_pk_mov_b32 v[88:89], 0, 0
.LBB106_103:                            ; =>This Inner Loop Header: Depth=1
	buffer_load_dword v96, v94, s[0:3], 0 offen
	buffer_load_dword v97, v94, s[0:3], 0 offen offset:4
	ds_read_b64 v[98:99], v93
	v_add_u32_e32 v92, 1, v92
	v_cmp_lt_u32_e32 vcc, 22, v92
	v_add_u32_e32 v93, 8, v93
	v_add_u32_e32 v94, 8, v94
	s_or_b64 s[6:7], vcc, s[6:7]
	s_waitcnt vmcnt(0) lgkmcnt(0)
	v_fmac_f64_e32 v[88:89], v[96:97], v[98:99]
	s_andn2_b64 exec, exec, s[6:7]
	s_cbranch_execnz .LBB106_103
; %bb.104:
	s_or_b64 exec, exec, s[6:7]
	v_mov_b32_e32 v92, 0
	ds_read_b64 v[92:93], v92 offset:192
	s_waitcnt lgkmcnt(0)
	v_mul_f64 v[88:89], v[88:89], v[92:93]
	buffer_store_dword v89, off, s[0:3], 0 offset:196
	buffer_store_dword v88, off, s[0:3], 0 offset:192
.LBB106_105:
	s_or_b64 exec, exec, s[4:5]
	s_waitcnt lgkmcnt(0)
	; wave barrier
	buffer_load_dword v88, off, s[0:3], 0 offset:200
	buffer_load_dword v89, off, s[0:3], 0 offset:204
	v_cmp_gt_u32_e32 vcc, 25, v0
	s_waitcnt vmcnt(0)
	ds_write_b64 v90, v[88:89]
	s_waitcnt lgkmcnt(0)
	; wave barrier
	s_waitcnt lgkmcnt(0)
	s_and_saveexec_b64 s[4:5], vcc
	s_cbranch_execz .LBB106_109
; %bb.106:
	v_add_u32_e32 v92, -1, v0
	v_add_u32_e32 v93, 0x160, v1
	v_add_u32_e32 v94, 0, v1
	s_mov_b64 s[6:7], 0
	v_pk_mov_b32 v[88:89], 0, 0
.LBB106_107:                            ; =>This Inner Loop Header: Depth=1
	buffer_load_dword v96, v94, s[0:3], 0 offen
	buffer_load_dword v97, v94, s[0:3], 0 offen offset:4
	ds_read_b64 v[98:99], v93
	v_add_u32_e32 v92, 1, v92
	v_cmp_lt_u32_e32 vcc, 23, v92
	v_add_u32_e32 v93, 8, v93
	v_add_u32_e32 v94, 8, v94
	s_or_b64 s[6:7], vcc, s[6:7]
	s_waitcnt vmcnt(0) lgkmcnt(0)
	v_fmac_f64_e32 v[88:89], v[96:97], v[98:99]
	s_andn2_b64 exec, exec, s[6:7]
	s_cbranch_execnz .LBB106_107
; %bb.108:
	s_or_b64 exec, exec, s[6:7]
	v_mov_b32_e32 v92, 0
	ds_read_b64 v[92:93], v92 offset:200
	s_waitcnt lgkmcnt(0)
	v_mul_f64 v[88:89], v[88:89], v[92:93]
	buffer_store_dword v89, off, s[0:3], 0 offset:204
	buffer_store_dword v88, off, s[0:3], 0 offset:200
.LBB106_109:
	s_or_b64 exec, exec, s[4:5]
	s_waitcnt lgkmcnt(0)
	; wave barrier
	buffer_load_dword v88, off, s[0:3], 0 offset:208
	buffer_load_dword v89, off, s[0:3], 0 offset:212
	v_cmp_gt_u32_e32 vcc, 26, v0
	;; [unrolled: 41-line block ×17, first 2 shown]
	s_waitcnt vmcnt(0)
	ds_write_b64 v90, v[88:89]
	s_waitcnt lgkmcnt(0)
	; wave barrier
	s_waitcnt lgkmcnt(0)
	s_and_saveexec_b64 s[4:5], vcc
	s_cbranch_execz .LBB106_173
; %bb.170:
	v_add_u32_e32 v92, -1, v0
	v_add_u32_e32 v93, 0x160, v1
	v_add_u32_e32 v94, 0, v1
	s_mov_b64 s[6:7], 0
	v_pk_mov_b32 v[88:89], 0, 0
.LBB106_171:                            ; =>This Inner Loop Header: Depth=1
	buffer_load_dword v96, v94, s[0:3], 0 offen
	buffer_load_dword v97, v94, s[0:3], 0 offen offset:4
	ds_read_b64 v[98:99], v93
	v_add_u32_e32 v92, 1, v92
	v_cmp_lt_u32_e32 vcc, 39, v92
	v_add_u32_e32 v93, 8, v93
	v_add_u32_e32 v94, 8, v94
	s_or_b64 s[6:7], vcc, s[6:7]
	s_waitcnt vmcnt(0) lgkmcnt(0)
	v_fmac_f64_e32 v[88:89], v[96:97], v[98:99]
	s_andn2_b64 exec, exec, s[6:7]
	s_cbranch_execnz .LBB106_171
; %bb.172:
	s_or_b64 exec, exec, s[6:7]
	v_mov_b32_e32 v92, 0
	ds_read_b64 v[92:93], v92 offset:328
	s_waitcnt lgkmcnt(0)
	v_mul_f64 v[88:89], v[88:89], v[92:93]
	buffer_store_dword v89, off, s[0:3], 0 offset:332
	buffer_store_dword v88, off, s[0:3], 0 offset:328
.LBB106_173:
	s_or_b64 exec, exec, s[4:5]
	s_waitcnt lgkmcnt(0)
	; wave barrier
	buffer_load_dword v88, off, s[0:3], 0 offset:336
	buffer_load_dword v89, off, s[0:3], 0 offset:340
	v_cmp_ne_u32_e32 vcc, 42, v0
	s_waitcnt vmcnt(0)
	ds_write_b64 v90, v[88:89]
	s_waitcnt lgkmcnt(0)
	; wave barrier
	s_waitcnt lgkmcnt(0)
	s_and_saveexec_b64 s[4:5], vcc
	s_cbranch_execz .LBB106_177
; %bb.174:
	v_add_u32_e32 v90, 0x160, v1
	v_add_u32_e32 v1, 0, v1
	s_mov_b64 s[6:7], 0
	v_pk_mov_b32 v[88:89], 0, 0
.LBB106_175:                            ; =>This Inner Loop Header: Depth=1
	buffer_load_dword v92, v1, s[0:3], 0 offen
	buffer_load_dword v93, v1, s[0:3], 0 offen offset:4
	ds_read_b64 v[94:95], v90
	v_add_u32_e32 v91, 1, v91
	v_cmp_lt_u32_e32 vcc, 40, v91
	v_add_u32_e32 v90, 8, v90
	v_add_u32_e32 v1, 8, v1
	s_or_b64 s[6:7], vcc, s[6:7]
	s_waitcnt vmcnt(0) lgkmcnt(0)
	v_fmac_f64_e32 v[88:89], v[92:93], v[94:95]
	s_andn2_b64 exec, exec, s[6:7]
	s_cbranch_execnz .LBB106_175
; %bb.176:
	s_or_b64 exec, exec, s[6:7]
	v_mov_b32_e32 v1, 0
	ds_read_b64 v[90:91], v1 offset:336
	s_waitcnt lgkmcnt(0)
	v_mul_f64 v[88:89], v[88:89], v[90:91]
	buffer_store_dword v89, off, s[0:3], 0 offset:340
	buffer_store_dword v88, off, s[0:3], 0 offset:336
.LBB106_177:
	s_or_b64 exec, exec, s[4:5]
	s_mov_b64 s[6:7], -1
	s_waitcnt lgkmcnt(0)
	; wave barrier
.LBB106_178:
	s_and_b64 vcc, exec, s[6:7]
	s_cbranch_vccz .LBB106_180
; %bb.179:
	s_lshl_b64 s[4:5], s[8:9], 2
	s_add_u32 s4, s14, s4
	s_addc_u32 s5, s15, s5
	v_mov_b32_e32 v1, 0
	global_load_dword v1, v1, s[4:5]
	s_waitcnt vmcnt(0)
	v_cmp_ne_u32_e32 vcc, 0, v1
	s_cbranch_vccz .LBB106_181
.LBB106_180:
	s_endpgm
.LBB106_181:
	v_mov_b32_e32 v1, 0x160
	v_lshl_add_u32 v1, v0, 3, v1
	v_cmp_eq_u32_e32 vcc, 42, v0
	s_and_saveexec_b64 s[4:5], vcc
	s_cbranch_execz .LBB106_183
; %bb.182:
	buffer_load_dword v88, off, s[0:3], 0 offset:328
	buffer_load_dword v89, off, s[0:3], 0 offset:332
	v_mov_b32_e32 v90, 0
	buffer_store_dword v90, off, s[0:3], 0 offset:328
	buffer_store_dword v90, off, s[0:3], 0 offset:332
	s_waitcnt vmcnt(2)
	ds_write_b64 v1, v[88:89]
.LBB106_183:
	s_or_b64 exec, exec, s[4:5]
	s_waitcnt lgkmcnt(0)
	; wave barrier
	s_waitcnt lgkmcnt(0)
	buffer_load_dword v90, off, s[0:3], 0 offset:336
	buffer_load_dword v91, off, s[0:3], 0 offset:340
	;; [unrolled: 1-line block ×4, first 2 shown]
	v_mov_b32_e32 v88, 0
	ds_read_b64 v[94:95], v88 offset:688
	v_cmp_lt_u32_e32 vcc, 40, v0
	s_waitcnt vmcnt(2) lgkmcnt(0)
	v_fma_f64 v[90:91], v[90:91], v[94:95], 0
	s_waitcnt vmcnt(0)
	v_add_f64 v[90:91], v[92:93], -v[90:91]
	buffer_store_dword v90, off, s[0:3], 0 offset:328
	buffer_store_dword v91, off, s[0:3], 0 offset:332
	s_and_saveexec_b64 s[4:5], vcc
	s_cbranch_execz .LBB106_185
; %bb.184:
	buffer_load_dword v90, off, s[0:3], 0 offset:320
	buffer_load_dword v91, off, s[0:3], 0 offset:324
	s_waitcnt vmcnt(0)
	ds_write_b64 v1, v[90:91]
	buffer_store_dword v88, off, s[0:3], 0 offset:320
	buffer_store_dword v88, off, s[0:3], 0 offset:324
.LBB106_185:
	s_or_b64 exec, exec, s[4:5]
	s_waitcnt lgkmcnt(0)
	; wave barrier
	s_waitcnt lgkmcnt(0)
	buffer_load_dword v92, off, s[0:3], 0 offset:328
	buffer_load_dword v93, off, s[0:3], 0 offset:332
	;; [unrolled: 1-line block ×6, first 2 shown]
	ds_read2_b64 v[88:91], v88 offset0:85 offset1:86
	v_cmp_lt_u32_e32 vcc, 39, v0
	s_waitcnt vmcnt(4) lgkmcnt(0)
	v_fma_f64 v[88:89], v[92:93], v[88:89], 0
	s_waitcnt vmcnt(2)
	v_fmac_f64_e32 v[88:89], v[94:95], v[90:91]
	s_waitcnt vmcnt(0)
	v_add_f64 v[88:89], v[96:97], -v[88:89]
	buffer_store_dword v88, off, s[0:3], 0 offset:320
	buffer_store_dword v89, off, s[0:3], 0 offset:324
	s_and_saveexec_b64 s[4:5], vcc
	s_cbranch_execz .LBB106_187
; %bb.186:
	buffer_load_dword v88, off, s[0:3], 0 offset:312
	buffer_load_dword v89, off, s[0:3], 0 offset:316
	v_mov_b32_e32 v90, 0
	buffer_store_dword v90, off, s[0:3], 0 offset:312
	buffer_store_dword v90, off, s[0:3], 0 offset:316
	s_waitcnt vmcnt(2)
	ds_write_b64 v1, v[88:89]
.LBB106_187:
	s_or_b64 exec, exec, s[4:5]
	s_waitcnt lgkmcnt(0)
	; wave barrier
	s_waitcnt lgkmcnt(0)
	buffer_load_dword v94, off, s[0:3], 0 offset:320
	buffer_load_dword v95, off, s[0:3], 0 offset:324
	;; [unrolled: 1-line block ×8, first 2 shown]
	v_mov_b32_e32 v88, 0
	ds_read_b128 v[90:93], v88 offset:672
	ds_read_b64 v[102:103], v88 offset:688
	v_cmp_lt_u32_e32 vcc, 38, v0
	s_waitcnt vmcnt(6) lgkmcnt(1)
	v_fma_f64 v[90:91], v[94:95], v[90:91], 0
	s_waitcnt vmcnt(4)
	v_fmac_f64_e32 v[90:91], v[96:97], v[92:93]
	s_waitcnt vmcnt(2) lgkmcnt(0)
	v_fmac_f64_e32 v[90:91], v[98:99], v[102:103]
	s_waitcnt vmcnt(0)
	v_add_f64 v[90:91], v[100:101], -v[90:91]
	buffer_store_dword v90, off, s[0:3], 0 offset:312
	buffer_store_dword v91, off, s[0:3], 0 offset:316
	s_and_saveexec_b64 s[4:5], vcc
	s_cbranch_execz .LBB106_189
; %bb.188:
	buffer_load_dword v90, off, s[0:3], 0 offset:304
	buffer_load_dword v91, off, s[0:3], 0 offset:308
	s_waitcnt vmcnt(0)
	ds_write_b64 v1, v[90:91]
	buffer_store_dword v88, off, s[0:3], 0 offset:304
	buffer_store_dword v88, off, s[0:3], 0 offset:308
.LBB106_189:
	s_or_b64 exec, exec, s[4:5]
	s_waitcnt lgkmcnt(0)
	; wave barrier
	s_waitcnt lgkmcnt(0)
	buffer_load_dword v98, off, s[0:3], 0 offset:312
	buffer_load_dword v99, off, s[0:3], 0 offset:316
	;; [unrolled: 1-line block ×10, first 2 shown]
	ds_read2_b64 v[90:93], v88 offset0:83 offset1:84
	ds_read2_b64 v[94:97], v88 offset0:85 offset1:86
	v_cmp_lt_u32_e32 vcc, 37, v0
	s_waitcnt vmcnt(8) lgkmcnt(1)
	v_fma_f64 v[88:89], v[98:99], v[90:91], 0
	s_waitcnt vmcnt(6)
	v_fmac_f64_e32 v[88:89], v[100:101], v[92:93]
	s_waitcnt vmcnt(4) lgkmcnt(0)
	v_fmac_f64_e32 v[88:89], v[102:103], v[94:95]
	s_waitcnt vmcnt(2)
	v_fmac_f64_e32 v[88:89], v[104:105], v[96:97]
	s_waitcnt vmcnt(0)
	v_add_f64 v[88:89], v[106:107], -v[88:89]
	buffer_store_dword v88, off, s[0:3], 0 offset:304
	buffer_store_dword v89, off, s[0:3], 0 offset:308
	s_and_saveexec_b64 s[4:5], vcc
	s_cbranch_execz .LBB106_191
; %bb.190:
	buffer_load_dword v88, off, s[0:3], 0 offset:296
	buffer_load_dword v89, off, s[0:3], 0 offset:300
	v_mov_b32_e32 v90, 0
	buffer_store_dword v90, off, s[0:3], 0 offset:296
	buffer_store_dword v90, off, s[0:3], 0 offset:300
	s_waitcnt vmcnt(2)
	ds_write_b64 v1, v[88:89]
.LBB106_191:
	s_or_b64 exec, exec, s[4:5]
	s_waitcnt lgkmcnt(0)
	; wave barrier
	s_waitcnt lgkmcnt(0)
	buffer_load_dword v98, off, s[0:3], 0 offset:304
	buffer_load_dword v99, off, s[0:3], 0 offset:308
	;; [unrolled: 1-line block ×12, first 2 shown]
	v_mov_b32_e32 v88, 0
	ds_read_b128 v[90:93], v88 offset:656
	ds_read_b128 v[94:97], v88 offset:672
	ds_read_b64 v[110:111], v88 offset:688
	v_cmp_lt_u32_e32 vcc, 36, v0
	s_waitcnt vmcnt(10) lgkmcnt(2)
	v_fma_f64 v[90:91], v[98:99], v[90:91], 0
	s_waitcnt vmcnt(8)
	v_fmac_f64_e32 v[90:91], v[100:101], v[92:93]
	s_waitcnt vmcnt(6) lgkmcnt(1)
	v_fmac_f64_e32 v[90:91], v[102:103], v[94:95]
	s_waitcnt vmcnt(4)
	v_fmac_f64_e32 v[90:91], v[104:105], v[96:97]
	s_waitcnt vmcnt(2) lgkmcnt(0)
	v_fmac_f64_e32 v[90:91], v[106:107], v[110:111]
	s_waitcnt vmcnt(0)
	v_add_f64 v[90:91], v[108:109], -v[90:91]
	buffer_store_dword v90, off, s[0:3], 0 offset:296
	buffer_store_dword v91, off, s[0:3], 0 offset:300
	s_and_saveexec_b64 s[4:5], vcc
	s_cbranch_execz .LBB106_193
; %bb.192:
	buffer_load_dword v90, off, s[0:3], 0 offset:288
	buffer_load_dword v91, off, s[0:3], 0 offset:292
	s_waitcnt vmcnt(0)
	ds_write_b64 v1, v[90:91]
	buffer_store_dword v88, off, s[0:3], 0 offset:288
	buffer_store_dword v88, off, s[0:3], 0 offset:292
.LBB106_193:
	s_or_b64 exec, exec, s[4:5]
	s_waitcnt lgkmcnt(0)
	; wave barrier
	s_waitcnt lgkmcnt(0)
	buffer_load_dword v102, off, s[0:3], 0 offset:296
	buffer_load_dword v103, off, s[0:3], 0 offset:300
	;; [unrolled: 1-line block ×14, first 2 shown]
	ds_read2_b64 v[90:93], v88 offset0:81 offset1:82
	ds_read2_b64 v[94:97], v88 offset0:83 offset1:84
	;; [unrolled: 1-line block ×3, first 2 shown]
	v_cmp_lt_u32_e32 vcc, 35, v0
	s_waitcnt vmcnt(12) lgkmcnt(2)
	v_fma_f64 v[88:89], v[102:103], v[90:91], 0
	s_waitcnt vmcnt(10)
	v_fmac_f64_e32 v[88:89], v[104:105], v[92:93]
	s_waitcnt vmcnt(8) lgkmcnt(1)
	v_fmac_f64_e32 v[88:89], v[106:107], v[94:95]
	s_waitcnt vmcnt(6)
	v_fmac_f64_e32 v[88:89], v[108:109], v[96:97]
	s_waitcnt vmcnt(4) lgkmcnt(0)
	v_fmac_f64_e32 v[88:89], v[110:111], v[98:99]
	s_waitcnt vmcnt(2)
	v_fmac_f64_e32 v[88:89], v[112:113], v[100:101]
	s_waitcnt vmcnt(0)
	v_add_f64 v[88:89], v[114:115], -v[88:89]
	buffer_store_dword v88, off, s[0:3], 0 offset:288
	buffer_store_dword v89, off, s[0:3], 0 offset:292
	s_and_saveexec_b64 s[4:5], vcc
	s_cbranch_execz .LBB106_195
; %bb.194:
	buffer_load_dword v88, off, s[0:3], 0 offset:280
	buffer_load_dword v89, off, s[0:3], 0 offset:284
	v_mov_b32_e32 v90, 0
	buffer_store_dword v90, off, s[0:3], 0 offset:280
	buffer_store_dword v90, off, s[0:3], 0 offset:284
	s_waitcnt vmcnt(2)
	ds_write_b64 v1, v[88:89]
.LBB106_195:
	s_or_b64 exec, exec, s[4:5]
	s_waitcnt lgkmcnt(0)
	; wave barrier
	s_waitcnt lgkmcnt(0)
	buffer_load_dword v102, off, s[0:3], 0 offset:288
	buffer_load_dword v103, off, s[0:3], 0 offset:292
	;; [unrolled: 1-line block ×16, first 2 shown]
	v_mov_b32_e32 v88, 0
	ds_read_b128 v[90:93], v88 offset:640
	ds_read_b128 v[94:97], v88 offset:656
	ds_read_b128 v[98:101], v88 offset:672
	ds_read_b64 v[118:119], v88 offset:688
	v_cmp_lt_u32_e32 vcc, 34, v0
	s_waitcnt vmcnt(14) lgkmcnt(3)
	v_fma_f64 v[90:91], v[102:103], v[90:91], 0
	s_waitcnt vmcnt(12)
	v_fmac_f64_e32 v[90:91], v[104:105], v[92:93]
	s_waitcnt vmcnt(10) lgkmcnt(2)
	v_fmac_f64_e32 v[90:91], v[106:107], v[94:95]
	s_waitcnt vmcnt(8)
	v_fmac_f64_e32 v[90:91], v[108:109], v[96:97]
	s_waitcnt vmcnt(6) lgkmcnt(1)
	v_fmac_f64_e32 v[90:91], v[110:111], v[98:99]
	s_waitcnt vmcnt(4)
	v_fmac_f64_e32 v[90:91], v[112:113], v[100:101]
	s_waitcnt vmcnt(2) lgkmcnt(0)
	v_fmac_f64_e32 v[90:91], v[114:115], v[118:119]
	s_waitcnt vmcnt(0)
	v_add_f64 v[90:91], v[116:117], -v[90:91]
	buffer_store_dword v90, off, s[0:3], 0 offset:280
	buffer_store_dword v91, off, s[0:3], 0 offset:284
	s_and_saveexec_b64 s[4:5], vcc
	s_cbranch_execz .LBB106_197
; %bb.196:
	buffer_load_dword v90, off, s[0:3], 0 offset:272
	buffer_load_dword v91, off, s[0:3], 0 offset:276
	s_waitcnt vmcnt(0)
	ds_write_b64 v1, v[90:91]
	buffer_store_dword v88, off, s[0:3], 0 offset:272
	buffer_store_dword v88, off, s[0:3], 0 offset:276
.LBB106_197:
	s_or_b64 exec, exec, s[4:5]
	s_waitcnt lgkmcnt(0)
	; wave barrier
	s_waitcnt lgkmcnt(0)
	buffer_load_dword v106, off, s[0:3], 0 offset:280
	buffer_load_dword v107, off, s[0:3], 0 offset:284
	;; [unrolled: 1-line block ×18, first 2 shown]
	ds_read2_b64 v[90:93], v88 offset0:79 offset1:80
	ds_read2_b64 v[94:97], v88 offset0:81 offset1:82
	;; [unrolled: 1-line block ×4, first 2 shown]
	v_cmp_lt_u32_e32 vcc, 33, v0
	s_waitcnt vmcnt(16) lgkmcnt(3)
	v_fma_f64 v[88:89], v[106:107], v[90:91], 0
	s_waitcnt vmcnt(14)
	v_fmac_f64_e32 v[88:89], v[108:109], v[92:93]
	s_waitcnt vmcnt(12) lgkmcnt(2)
	v_fmac_f64_e32 v[88:89], v[110:111], v[94:95]
	s_waitcnt vmcnt(10)
	v_fmac_f64_e32 v[88:89], v[112:113], v[96:97]
	s_waitcnt vmcnt(8) lgkmcnt(1)
	v_fmac_f64_e32 v[88:89], v[114:115], v[98:99]
	;; [unrolled: 4-line block ×3, first 2 shown]
	s_waitcnt vmcnt(2)
	v_fmac_f64_e32 v[88:89], v[120:121], v[104:105]
	s_waitcnt vmcnt(0)
	v_add_f64 v[88:89], v[122:123], -v[88:89]
	buffer_store_dword v88, off, s[0:3], 0 offset:272
	buffer_store_dword v89, off, s[0:3], 0 offset:276
	s_and_saveexec_b64 s[4:5], vcc
	s_cbranch_execz .LBB106_199
; %bb.198:
	buffer_load_dword v88, off, s[0:3], 0 offset:264
	buffer_load_dword v89, off, s[0:3], 0 offset:268
	v_mov_b32_e32 v90, 0
	buffer_store_dword v90, off, s[0:3], 0 offset:264
	buffer_store_dword v90, off, s[0:3], 0 offset:268
	s_waitcnt vmcnt(2)
	ds_write_b64 v1, v[88:89]
.LBB106_199:
	s_or_b64 exec, exec, s[4:5]
	s_waitcnt lgkmcnt(0)
	; wave barrier
	s_waitcnt lgkmcnt(0)
	buffer_load_dword v106, off, s[0:3], 0 offset:264
	buffer_load_dword v107, off, s[0:3], 0 offset:268
	;; [unrolled: 1-line block ×16, first 2 shown]
	v_mov_b32_e32 v88, 0
	ds_read_b128 v[90:93], v88 offset:624
	ds_read_b128 v[94:97], v88 offset:640
	;; [unrolled: 1-line block ×4, first 2 shown]
	v_cmp_lt_u32_e32 vcc, 32, v0
	s_waitcnt vmcnt(12) lgkmcnt(3)
	v_fma_f64 v[90:91], v[108:109], v[90:91], 0
	s_waitcnt vmcnt(10)
	v_fmac_f64_e32 v[90:91], v[110:111], v[92:93]
	buffer_load_dword v93, off, s[0:3], 0 offset:332
	buffer_load_dword v92, off, s[0:3], 0 offset:328
	s_waitcnt vmcnt(10) lgkmcnt(2)
	v_fmac_f64_e32 v[90:91], v[112:113], v[94:95]
	s_waitcnt vmcnt(8)
	v_fmac_f64_e32 v[90:91], v[114:115], v[96:97]
	s_waitcnt vmcnt(6) lgkmcnt(1)
	v_fmac_f64_e32 v[90:91], v[116:117], v[98:99]
	s_waitcnt vmcnt(4)
	v_fmac_f64_e32 v[90:91], v[118:119], v[100:101]
	;; [unrolled: 4-line block ×3, first 2 shown]
	buffer_load_dword v93, off, s[0:3], 0 offset:340
	buffer_load_dword v92, off, s[0:3], 0 offset:336
	ds_read_b64 v[94:95], v88 offset:688
	s_waitcnt vmcnt(0) lgkmcnt(0)
	v_fmac_f64_e32 v[90:91], v[92:93], v[94:95]
	v_add_f64 v[90:91], v[106:107], -v[90:91]
	buffer_store_dword v90, off, s[0:3], 0 offset:264
	buffer_store_dword v91, off, s[0:3], 0 offset:268
	s_and_saveexec_b64 s[4:5], vcc
	s_cbranch_execz .LBB106_201
; %bb.200:
	buffer_load_dword v90, off, s[0:3], 0 offset:256
	buffer_load_dword v91, off, s[0:3], 0 offset:260
	s_waitcnt vmcnt(0)
	ds_write_b64 v1, v[90:91]
	buffer_store_dword v88, off, s[0:3], 0 offset:256
	buffer_store_dword v88, off, s[0:3], 0 offset:260
.LBB106_201:
	s_or_b64 exec, exec, s[4:5]
	s_waitcnt lgkmcnt(0)
	; wave barrier
	s_waitcnt lgkmcnt(0)
	buffer_load_dword v94, off, s[0:3], 0 offset:256
	buffer_load_dword v95, off, s[0:3], 0 offset:260
	;; [unrolled: 1-line block ×16, first 2 shown]
	ds_read2_b64 v[90:93], v88 offset0:77 offset1:78
	v_cmp_lt_u32_e32 vcc, 31, v0
	s_waitcnt vmcnt(12) lgkmcnt(0)
	v_fma_f64 v[96:97], v[96:97], v[90:91], 0
	s_waitcnt vmcnt(10)
	v_fmac_f64_e32 v[96:97], v[98:99], v[92:93]
	ds_read2_b64 v[90:93], v88 offset0:79 offset1:80
	s_waitcnt vmcnt(8) lgkmcnt(0)
	v_fmac_f64_e32 v[96:97], v[100:101], v[90:91]
	s_waitcnt vmcnt(6)
	v_fmac_f64_e32 v[96:97], v[102:103], v[92:93]
	ds_read2_b64 v[90:93], v88 offset0:81 offset1:82
	s_waitcnt vmcnt(4) lgkmcnt(0)
	v_fmac_f64_e32 v[96:97], v[104:105], v[90:91]
	;; [unrolled: 5-line block ×3, first 2 shown]
	buffer_load_dword v91, off, s[0:3], 0 offset:324
	buffer_load_dword v90, off, s[0:3], 0 offset:320
	s_waitcnt vmcnt(0)
	v_fmac_f64_e32 v[96:97], v[90:91], v[92:93]
	buffer_load_dword v93, off, s[0:3], 0 offset:332
	buffer_load_dword v92, off, s[0:3], 0 offset:328
	ds_read2_b64 v[88:91], v88 offset0:85 offset1:86
	s_waitcnt vmcnt(0) lgkmcnt(0)
	v_fmac_f64_e32 v[96:97], v[92:93], v[88:89]
	buffer_load_dword v89, off, s[0:3], 0 offset:340
	buffer_load_dword v88, off, s[0:3], 0 offset:336
	s_waitcnt vmcnt(0)
	v_fmac_f64_e32 v[96:97], v[88:89], v[90:91]
	v_add_f64 v[88:89], v[94:95], -v[96:97]
	buffer_store_dword v88, off, s[0:3], 0 offset:256
	buffer_store_dword v89, off, s[0:3], 0 offset:260
	s_and_saveexec_b64 s[4:5], vcc
	s_cbranch_execz .LBB106_203
; %bb.202:
	buffer_load_dword v88, off, s[0:3], 0 offset:248
	buffer_load_dword v89, off, s[0:3], 0 offset:252
	v_mov_b32_e32 v90, 0
	buffer_store_dword v90, off, s[0:3], 0 offset:248
	buffer_store_dword v90, off, s[0:3], 0 offset:252
	s_waitcnt vmcnt(2)
	ds_write_b64 v1, v[88:89]
.LBB106_203:
	s_or_b64 exec, exec, s[4:5]
	s_waitcnt lgkmcnt(0)
	; wave barrier
	s_waitcnt lgkmcnt(0)
	buffer_load_dword v106, off, s[0:3], 0 offset:248
	buffer_load_dword v107, off, s[0:3], 0 offset:252
	buffer_load_dword v108, off, s[0:3], 0 offset:256
	buffer_load_dword v109, off, s[0:3], 0 offset:260
	buffer_load_dword v110, off, s[0:3], 0 offset:264
	buffer_load_dword v111, off, s[0:3], 0 offset:268
	buffer_load_dword v112, off, s[0:3], 0 offset:272
	buffer_load_dword v113, off, s[0:3], 0 offset:276
	buffer_load_dword v114, off, s[0:3], 0 offset:280
	buffer_load_dword v115, off, s[0:3], 0 offset:284
	buffer_load_dword v116, off, s[0:3], 0 offset:288
	buffer_load_dword v117, off, s[0:3], 0 offset:292
	buffer_load_dword v118, off, s[0:3], 0 offset:296
	buffer_load_dword v119, off, s[0:3], 0 offset:300
	buffer_load_dword v120, off, s[0:3], 0 offset:304
	buffer_load_dword v121, off, s[0:3], 0 offset:308
	v_mov_b32_e32 v88, 0
	ds_read_b128 v[90:93], v88 offset:608
	ds_read_b128 v[94:97], v88 offset:624
	;; [unrolled: 1-line block ×4, first 2 shown]
	v_cmp_lt_u32_e32 vcc, 30, v0
	s_waitcnt vmcnt(12) lgkmcnt(3)
	v_fma_f64 v[108:109], v[108:109], v[90:91], 0
	buffer_load_dword v91, off, s[0:3], 0 offset:316
	buffer_load_dword v90, off, s[0:3], 0 offset:312
	s_waitcnt vmcnt(12)
	v_fmac_f64_e32 v[108:109], v[110:111], v[92:93]
	s_waitcnt vmcnt(10) lgkmcnt(2)
	v_fmac_f64_e32 v[108:109], v[112:113], v[94:95]
	buffer_load_dword v95, off, s[0:3], 0 offset:324
	buffer_load_dword v94, off, s[0:3], 0 offset:320
	s_waitcnt vmcnt(10)
	v_fmac_f64_e32 v[108:109], v[114:115], v[96:97]
	s_waitcnt vmcnt(8) lgkmcnt(1)
	v_fmac_f64_e32 v[108:109], v[116:117], v[98:99]
	s_waitcnt vmcnt(6)
	v_fmac_f64_e32 v[108:109], v[118:119], v[100:101]
	s_waitcnt vmcnt(4) lgkmcnt(0)
	v_fmac_f64_e32 v[108:109], v[120:121], v[102:103]
	s_waitcnt vmcnt(2)
	v_fmac_f64_e32 v[108:109], v[90:91], v[104:105]
	ds_read_b128 v[90:93], v88 offset:672
	s_waitcnt vmcnt(0) lgkmcnt(0)
	v_fmac_f64_e32 v[108:109], v[94:95], v[90:91]
	buffer_load_dword v91, off, s[0:3], 0 offset:332
	buffer_load_dword v90, off, s[0:3], 0 offset:328
	s_waitcnt vmcnt(0)
	v_fmac_f64_e32 v[108:109], v[90:91], v[92:93]
	buffer_load_dword v91, off, s[0:3], 0 offset:340
	buffer_load_dword v90, off, s[0:3], 0 offset:336
	ds_read_b64 v[92:93], v88 offset:688
	s_waitcnt vmcnt(0) lgkmcnt(0)
	v_fmac_f64_e32 v[108:109], v[90:91], v[92:93]
	v_add_f64 v[90:91], v[106:107], -v[108:109]
	buffer_store_dword v91, off, s[0:3], 0 offset:252
	buffer_store_dword v90, off, s[0:3], 0 offset:248
	s_and_saveexec_b64 s[4:5], vcc
	s_cbranch_execz .LBB106_205
; %bb.204:
	buffer_load_dword v90, off, s[0:3], 0 offset:240
	buffer_load_dword v91, off, s[0:3], 0 offset:244
	s_waitcnt vmcnt(0)
	ds_write_b64 v1, v[90:91]
	buffer_store_dword v88, off, s[0:3], 0 offset:240
	buffer_store_dword v88, off, s[0:3], 0 offset:244
.LBB106_205:
	s_or_b64 exec, exec, s[4:5]
	s_waitcnt lgkmcnt(0)
	; wave barrier
	s_waitcnt lgkmcnt(0)
	buffer_load_dword v94, off, s[0:3], 0 offset:240
	buffer_load_dword v95, off, s[0:3], 0 offset:244
	;; [unrolled: 1-line block ×16, first 2 shown]
	ds_read2_b64 v[90:93], v88 offset0:75 offset1:76
	v_cmp_lt_u32_e32 vcc, 29, v0
	s_waitcnt vmcnt(12) lgkmcnt(0)
	v_fma_f64 v[96:97], v[96:97], v[90:91], 0
	s_waitcnt vmcnt(10)
	v_fmac_f64_e32 v[96:97], v[98:99], v[92:93]
	ds_read2_b64 v[90:93], v88 offset0:77 offset1:78
	s_waitcnt vmcnt(8) lgkmcnt(0)
	v_fmac_f64_e32 v[96:97], v[100:101], v[90:91]
	s_waitcnt vmcnt(6)
	v_fmac_f64_e32 v[96:97], v[102:103], v[92:93]
	ds_read2_b64 v[90:93], v88 offset0:79 offset1:80
	s_waitcnt vmcnt(4) lgkmcnt(0)
	v_fmac_f64_e32 v[96:97], v[104:105], v[90:91]
	;; [unrolled: 5-line block ×3, first 2 shown]
	buffer_load_dword v91, off, s[0:3], 0 offset:308
	buffer_load_dword v90, off, s[0:3], 0 offset:304
	;; [unrolled: 1-line block ×4, first 2 shown]
	s_waitcnt vmcnt(2)
	v_fmac_f64_e32 v[96:97], v[90:91], v[92:93]
	ds_read2_b64 v[90:93], v88 offset0:83 offset1:84
	s_waitcnt vmcnt(0) lgkmcnt(0)
	v_fmac_f64_e32 v[96:97], v[98:99], v[90:91]
	buffer_load_dword v91, off, s[0:3], 0 offset:324
	buffer_load_dword v90, off, s[0:3], 0 offset:320
	s_waitcnt vmcnt(0)
	v_fmac_f64_e32 v[96:97], v[90:91], v[92:93]
	buffer_load_dword v93, off, s[0:3], 0 offset:332
	buffer_load_dword v92, off, s[0:3], 0 offset:328
	ds_read2_b64 v[88:91], v88 offset0:85 offset1:86
	s_waitcnt vmcnt(0) lgkmcnt(0)
	v_fmac_f64_e32 v[96:97], v[92:93], v[88:89]
	buffer_load_dword v89, off, s[0:3], 0 offset:340
	buffer_load_dword v88, off, s[0:3], 0 offset:336
	s_waitcnt vmcnt(0)
	v_fmac_f64_e32 v[96:97], v[88:89], v[90:91]
	v_add_f64 v[88:89], v[94:95], -v[96:97]
	buffer_store_dword v89, off, s[0:3], 0 offset:244
	buffer_store_dword v88, off, s[0:3], 0 offset:240
	s_and_saveexec_b64 s[4:5], vcc
	s_cbranch_execz .LBB106_207
; %bb.206:
	buffer_load_dword v88, off, s[0:3], 0 offset:232
	buffer_load_dword v89, off, s[0:3], 0 offset:236
	v_mov_b32_e32 v90, 0
	buffer_store_dword v90, off, s[0:3], 0 offset:232
	buffer_store_dword v90, off, s[0:3], 0 offset:236
	s_waitcnt vmcnt(2)
	ds_write_b64 v1, v[88:89]
.LBB106_207:
	s_or_b64 exec, exec, s[4:5]
	s_waitcnt lgkmcnt(0)
	; wave barrier
	s_waitcnt lgkmcnt(0)
	buffer_load_dword v106, off, s[0:3], 0 offset:232
	buffer_load_dword v107, off, s[0:3], 0 offset:236
	;; [unrolled: 1-line block ×16, first 2 shown]
	v_mov_b32_e32 v88, 0
	ds_read_b128 v[90:93], v88 offset:592
	ds_read_b128 v[94:97], v88 offset:608
	ds_read_b128 v[98:101], v88 offset:624
	ds_read_b128 v[102:105], v88 offset:640
	v_cmp_lt_u32_e32 vcc, 28, v0
	s_waitcnt vmcnt(12) lgkmcnt(3)
	v_fma_f64 v[108:109], v[108:109], v[90:91], 0
	buffer_load_dword v91, off, s[0:3], 0 offset:300
	buffer_load_dword v90, off, s[0:3], 0 offset:296
	s_waitcnt vmcnt(12)
	v_fmac_f64_e32 v[108:109], v[110:111], v[92:93]
	s_waitcnt vmcnt(10) lgkmcnt(2)
	v_fmac_f64_e32 v[108:109], v[112:113], v[94:95]
	buffer_load_dword v95, off, s[0:3], 0 offset:308
	buffer_load_dword v94, off, s[0:3], 0 offset:304
	s_waitcnt vmcnt(10)
	v_fmac_f64_e32 v[108:109], v[114:115], v[96:97]
	s_waitcnt vmcnt(8) lgkmcnt(1)
	v_fmac_f64_e32 v[108:109], v[116:117], v[98:99]
	s_waitcnt vmcnt(6)
	v_fmac_f64_e32 v[108:109], v[118:119], v[100:101]
	s_waitcnt vmcnt(4) lgkmcnt(0)
	v_fmac_f64_e32 v[108:109], v[120:121], v[102:103]
	s_waitcnt vmcnt(2)
	v_fmac_f64_e32 v[108:109], v[90:91], v[104:105]
	ds_read_b128 v[90:93], v88 offset:656
	s_waitcnt vmcnt(0) lgkmcnt(0)
	v_fmac_f64_e32 v[108:109], v[94:95], v[90:91]
	buffer_load_dword v91, off, s[0:3], 0 offset:316
	buffer_load_dword v90, off, s[0:3], 0 offset:312
	;; [unrolled: 1-line block ×4, first 2 shown]
	s_waitcnt vmcnt(2)
	v_fmac_f64_e32 v[108:109], v[90:91], v[92:93]
	ds_read_b128 v[90:93], v88 offset:672
	s_waitcnt vmcnt(0) lgkmcnt(0)
	v_fmac_f64_e32 v[108:109], v[94:95], v[90:91]
	buffer_load_dword v91, off, s[0:3], 0 offset:332
	buffer_load_dword v90, off, s[0:3], 0 offset:328
	s_waitcnt vmcnt(0)
	v_fmac_f64_e32 v[108:109], v[90:91], v[92:93]
	buffer_load_dword v91, off, s[0:3], 0 offset:340
	buffer_load_dword v90, off, s[0:3], 0 offset:336
	ds_read_b64 v[92:93], v88 offset:688
	s_waitcnt vmcnt(0) lgkmcnt(0)
	v_fmac_f64_e32 v[108:109], v[90:91], v[92:93]
	v_add_f64 v[90:91], v[106:107], -v[108:109]
	buffer_store_dword v91, off, s[0:3], 0 offset:236
	buffer_store_dword v90, off, s[0:3], 0 offset:232
	s_and_saveexec_b64 s[4:5], vcc
	s_cbranch_execz .LBB106_209
; %bb.208:
	buffer_load_dword v90, off, s[0:3], 0 offset:224
	buffer_load_dword v91, off, s[0:3], 0 offset:228
	s_waitcnt vmcnt(0)
	ds_write_b64 v1, v[90:91]
	buffer_store_dword v88, off, s[0:3], 0 offset:224
	buffer_store_dword v88, off, s[0:3], 0 offset:228
.LBB106_209:
	s_or_b64 exec, exec, s[4:5]
	s_waitcnt lgkmcnt(0)
	; wave barrier
	s_waitcnt lgkmcnt(0)
	buffer_load_dword v94, off, s[0:3], 0 offset:224
	buffer_load_dword v95, off, s[0:3], 0 offset:228
	;; [unrolled: 1-line block ×16, first 2 shown]
	ds_read2_b64 v[90:93], v88 offset0:73 offset1:74
	v_cmp_lt_u32_e32 vcc, 27, v0
	s_waitcnt vmcnt(12) lgkmcnt(0)
	v_fma_f64 v[96:97], v[96:97], v[90:91], 0
	s_waitcnt vmcnt(10)
	v_fmac_f64_e32 v[96:97], v[98:99], v[92:93]
	ds_read2_b64 v[90:93], v88 offset0:75 offset1:76
	s_waitcnt vmcnt(8) lgkmcnt(0)
	v_fmac_f64_e32 v[96:97], v[100:101], v[90:91]
	s_waitcnt vmcnt(6)
	v_fmac_f64_e32 v[96:97], v[102:103], v[92:93]
	ds_read2_b64 v[90:93], v88 offset0:77 offset1:78
	s_waitcnt vmcnt(4) lgkmcnt(0)
	v_fmac_f64_e32 v[96:97], v[104:105], v[90:91]
	;; [unrolled: 5-line block ×3, first 2 shown]
	buffer_load_dword v91, off, s[0:3], 0 offset:292
	buffer_load_dword v90, off, s[0:3], 0 offset:288
	;; [unrolled: 1-line block ×4, first 2 shown]
	s_waitcnt vmcnt(2)
	v_fmac_f64_e32 v[96:97], v[90:91], v[92:93]
	ds_read2_b64 v[90:93], v88 offset0:81 offset1:82
	s_waitcnt vmcnt(0) lgkmcnt(0)
	v_fmac_f64_e32 v[96:97], v[98:99], v[90:91]
	buffer_load_dword v91, off, s[0:3], 0 offset:308
	buffer_load_dword v90, off, s[0:3], 0 offset:304
	;; [unrolled: 1-line block ×4, first 2 shown]
	s_waitcnt vmcnt(2)
	v_fmac_f64_e32 v[96:97], v[90:91], v[92:93]
	ds_read2_b64 v[90:93], v88 offset0:83 offset1:84
	s_waitcnt vmcnt(0) lgkmcnt(0)
	v_fmac_f64_e32 v[96:97], v[98:99], v[90:91]
	buffer_load_dword v91, off, s[0:3], 0 offset:324
	buffer_load_dword v90, off, s[0:3], 0 offset:320
	s_waitcnt vmcnt(0)
	v_fmac_f64_e32 v[96:97], v[90:91], v[92:93]
	buffer_load_dword v93, off, s[0:3], 0 offset:332
	buffer_load_dword v92, off, s[0:3], 0 offset:328
	ds_read2_b64 v[88:91], v88 offset0:85 offset1:86
	s_waitcnt vmcnt(0) lgkmcnt(0)
	v_fmac_f64_e32 v[96:97], v[92:93], v[88:89]
	buffer_load_dword v89, off, s[0:3], 0 offset:340
	buffer_load_dword v88, off, s[0:3], 0 offset:336
	s_waitcnt vmcnt(0)
	v_fmac_f64_e32 v[96:97], v[88:89], v[90:91]
	v_add_f64 v[88:89], v[94:95], -v[96:97]
	buffer_store_dword v89, off, s[0:3], 0 offset:228
	buffer_store_dword v88, off, s[0:3], 0 offset:224
	s_and_saveexec_b64 s[4:5], vcc
	s_cbranch_execz .LBB106_211
; %bb.210:
	buffer_load_dword v88, off, s[0:3], 0 offset:216
	buffer_load_dword v89, off, s[0:3], 0 offset:220
	v_mov_b32_e32 v90, 0
	buffer_store_dword v90, off, s[0:3], 0 offset:216
	buffer_store_dword v90, off, s[0:3], 0 offset:220
	s_waitcnt vmcnt(2)
	ds_write_b64 v1, v[88:89]
.LBB106_211:
	s_or_b64 exec, exec, s[4:5]
	s_waitcnt lgkmcnt(0)
	; wave barrier
	s_waitcnt lgkmcnt(0)
	buffer_load_dword v106, off, s[0:3], 0 offset:216
	buffer_load_dword v107, off, s[0:3], 0 offset:220
	;; [unrolled: 1-line block ×16, first 2 shown]
	v_mov_b32_e32 v88, 0
	ds_read_b128 v[90:93], v88 offset:576
	ds_read_b128 v[94:97], v88 offset:592
	;; [unrolled: 1-line block ×4, first 2 shown]
	v_cmp_lt_u32_e32 vcc, 26, v0
	s_waitcnt vmcnt(12) lgkmcnt(3)
	v_fma_f64 v[108:109], v[108:109], v[90:91], 0
	buffer_load_dword v91, off, s[0:3], 0 offset:284
	buffer_load_dword v90, off, s[0:3], 0 offset:280
	s_waitcnt vmcnt(12)
	v_fmac_f64_e32 v[108:109], v[110:111], v[92:93]
	s_waitcnt vmcnt(10) lgkmcnt(2)
	v_fmac_f64_e32 v[108:109], v[112:113], v[94:95]
	buffer_load_dword v95, off, s[0:3], 0 offset:292
	buffer_load_dword v94, off, s[0:3], 0 offset:288
	s_waitcnt vmcnt(10)
	v_fmac_f64_e32 v[108:109], v[114:115], v[96:97]
	s_waitcnt vmcnt(8) lgkmcnt(1)
	v_fmac_f64_e32 v[108:109], v[116:117], v[98:99]
	s_waitcnt vmcnt(6)
	v_fmac_f64_e32 v[108:109], v[118:119], v[100:101]
	s_waitcnt vmcnt(4) lgkmcnt(0)
	v_fmac_f64_e32 v[108:109], v[120:121], v[102:103]
	s_waitcnt vmcnt(2)
	v_fmac_f64_e32 v[108:109], v[90:91], v[104:105]
	ds_read_b128 v[90:93], v88 offset:640
	s_waitcnt vmcnt(0) lgkmcnt(0)
	v_fmac_f64_e32 v[108:109], v[94:95], v[90:91]
	buffer_load_dword v91, off, s[0:3], 0 offset:300
	buffer_load_dword v90, off, s[0:3], 0 offset:296
	;; [unrolled: 1-line block ×4, first 2 shown]
	s_waitcnt vmcnt(2)
	v_fmac_f64_e32 v[108:109], v[90:91], v[92:93]
	ds_read_b128 v[90:93], v88 offset:656
	s_waitcnt vmcnt(0) lgkmcnt(0)
	v_fmac_f64_e32 v[108:109], v[94:95], v[90:91]
	buffer_load_dword v91, off, s[0:3], 0 offset:316
	buffer_load_dword v90, off, s[0:3], 0 offset:312
	;; [unrolled: 1-line block ×4, first 2 shown]
	s_waitcnt vmcnt(2)
	v_fmac_f64_e32 v[108:109], v[90:91], v[92:93]
	ds_read_b128 v[90:93], v88 offset:672
	s_waitcnt vmcnt(0) lgkmcnt(0)
	v_fmac_f64_e32 v[108:109], v[94:95], v[90:91]
	buffer_load_dword v91, off, s[0:3], 0 offset:332
	buffer_load_dword v90, off, s[0:3], 0 offset:328
	s_waitcnt vmcnt(0)
	v_fmac_f64_e32 v[108:109], v[90:91], v[92:93]
	buffer_load_dword v91, off, s[0:3], 0 offset:340
	buffer_load_dword v90, off, s[0:3], 0 offset:336
	ds_read_b64 v[92:93], v88 offset:688
	s_waitcnt vmcnt(0) lgkmcnt(0)
	v_fmac_f64_e32 v[108:109], v[90:91], v[92:93]
	v_add_f64 v[90:91], v[106:107], -v[108:109]
	buffer_store_dword v91, off, s[0:3], 0 offset:220
	buffer_store_dword v90, off, s[0:3], 0 offset:216
	s_and_saveexec_b64 s[4:5], vcc
	s_cbranch_execz .LBB106_213
; %bb.212:
	buffer_load_dword v90, off, s[0:3], 0 offset:208
	buffer_load_dword v91, off, s[0:3], 0 offset:212
	s_waitcnt vmcnt(0)
	ds_write_b64 v1, v[90:91]
	buffer_store_dword v88, off, s[0:3], 0 offset:208
	buffer_store_dword v88, off, s[0:3], 0 offset:212
.LBB106_213:
	s_or_b64 exec, exec, s[4:5]
	s_waitcnt lgkmcnt(0)
	; wave barrier
	s_waitcnt lgkmcnt(0)
	buffer_load_dword v94, off, s[0:3], 0 offset:208
	buffer_load_dword v95, off, s[0:3], 0 offset:212
	;; [unrolled: 1-line block ×16, first 2 shown]
	ds_read2_b64 v[90:93], v88 offset0:71 offset1:72
	v_cmp_lt_u32_e32 vcc, 25, v0
	s_waitcnt vmcnt(12) lgkmcnt(0)
	v_fma_f64 v[96:97], v[96:97], v[90:91], 0
	s_waitcnt vmcnt(10)
	v_fmac_f64_e32 v[96:97], v[98:99], v[92:93]
	ds_read2_b64 v[90:93], v88 offset0:73 offset1:74
	s_waitcnt vmcnt(8) lgkmcnt(0)
	v_fmac_f64_e32 v[96:97], v[100:101], v[90:91]
	s_waitcnt vmcnt(6)
	v_fmac_f64_e32 v[96:97], v[102:103], v[92:93]
	ds_read2_b64 v[90:93], v88 offset0:75 offset1:76
	s_waitcnt vmcnt(4) lgkmcnt(0)
	v_fmac_f64_e32 v[96:97], v[104:105], v[90:91]
	;; [unrolled: 5-line block ×3, first 2 shown]
	buffer_load_dword v91, off, s[0:3], 0 offset:276
	buffer_load_dword v90, off, s[0:3], 0 offset:272
	buffer_load_dword v99, off, s[0:3], 0 offset:284
	buffer_load_dword v98, off, s[0:3], 0 offset:280
	s_waitcnt vmcnt(2)
	v_fmac_f64_e32 v[96:97], v[90:91], v[92:93]
	ds_read2_b64 v[90:93], v88 offset0:79 offset1:80
	s_waitcnt vmcnt(0) lgkmcnt(0)
	v_fmac_f64_e32 v[96:97], v[98:99], v[90:91]
	buffer_load_dword v91, off, s[0:3], 0 offset:292
	buffer_load_dword v90, off, s[0:3], 0 offset:288
	buffer_load_dword v99, off, s[0:3], 0 offset:300
	buffer_load_dword v98, off, s[0:3], 0 offset:296
	s_waitcnt vmcnt(2)
	v_fmac_f64_e32 v[96:97], v[90:91], v[92:93]
	ds_read2_b64 v[90:93], v88 offset0:81 offset1:82
	s_waitcnt vmcnt(0) lgkmcnt(0)
	v_fmac_f64_e32 v[96:97], v[98:99], v[90:91]
	;; [unrolled: 9-line block ×3, first 2 shown]
	buffer_load_dword v91, off, s[0:3], 0 offset:324
	buffer_load_dword v90, off, s[0:3], 0 offset:320
	s_waitcnt vmcnt(0)
	v_fmac_f64_e32 v[96:97], v[90:91], v[92:93]
	buffer_load_dword v93, off, s[0:3], 0 offset:332
	buffer_load_dword v92, off, s[0:3], 0 offset:328
	ds_read2_b64 v[88:91], v88 offset0:85 offset1:86
	s_waitcnt vmcnt(0) lgkmcnt(0)
	v_fmac_f64_e32 v[96:97], v[92:93], v[88:89]
	buffer_load_dword v89, off, s[0:3], 0 offset:340
	buffer_load_dword v88, off, s[0:3], 0 offset:336
	s_waitcnt vmcnt(0)
	v_fmac_f64_e32 v[96:97], v[88:89], v[90:91]
	v_add_f64 v[88:89], v[94:95], -v[96:97]
	buffer_store_dword v89, off, s[0:3], 0 offset:212
	buffer_store_dword v88, off, s[0:3], 0 offset:208
	s_and_saveexec_b64 s[4:5], vcc
	s_cbranch_execz .LBB106_215
; %bb.214:
	buffer_load_dword v88, off, s[0:3], 0 offset:200
	buffer_load_dword v89, off, s[0:3], 0 offset:204
	v_mov_b32_e32 v90, 0
	buffer_store_dword v90, off, s[0:3], 0 offset:200
	buffer_store_dword v90, off, s[0:3], 0 offset:204
	s_waitcnt vmcnt(2)
	ds_write_b64 v1, v[88:89]
.LBB106_215:
	s_or_b64 exec, exec, s[4:5]
	s_waitcnt lgkmcnt(0)
	; wave barrier
	s_waitcnt lgkmcnt(0)
	buffer_load_dword v88, off, s[0:3], 0 offset:200
	buffer_load_dword v89, off, s[0:3], 0 offset:204
	;; [unrolled: 1-line block ×16, first 2 shown]
	v_mov_b32_e32 v92, 0
	ds_read_b128 v[94:97], v92 offset:560
	ds_read_b128 v[98:101], v92 offset:576
	;; [unrolled: 1-line block ×4, first 2 shown]
	v_cmp_lt_u32_e32 vcc, 24, v0
	s_waitcnt vmcnt(12) lgkmcnt(3)
	v_fma_f64 v[90:91], v[90:91], v[94:95], 0
	buffer_load_dword v95, off, s[0:3], 0 offset:268
	buffer_load_dword v94, off, s[0:3], 0 offset:264
	s_waitcnt vmcnt(12)
	v_fmac_f64_e32 v[90:91], v[110:111], v[96:97]
	s_waitcnt vmcnt(10) lgkmcnt(2)
	v_fmac_f64_e32 v[90:91], v[112:113], v[98:99]
	buffer_load_dword v99, off, s[0:3], 0 offset:276
	buffer_load_dword v98, off, s[0:3], 0 offset:272
	s_waitcnt vmcnt(10)
	v_fmac_f64_e32 v[90:91], v[114:115], v[100:101]
	s_waitcnt vmcnt(8) lgkmcnt(1)
	v_fmac_f64_e32 v[90:91], v[116:117], v[102:103]
	s_waitcnt vmcnt(6)
	v_fmac_f64_e32 v[90:91], v[118:119], v[104:105]
	s_waitcnt vmcnt(4) lgkmcnt(0)
	v_fmac_f64_e32 v[90:91], v[120:121], v[106:107]
	s_waitcnt vmcnt(2)
	v_fmac_f64_e32 v[90:91], v[94:95], v[108:109]
	ds_read_b128 v[94:97], v92 offset:624
	s_waitcnt vmcnt(0) lgkmcnt(0)
	v_fmac_f64_e32 v[90:91], v[98:99], v[94:95]
	buffer_load_dword v95, off, s[0:3], 0 offset:284
	buffer_load_dword v94, off, s[0:3], 0 offset:280
	buffer_load_dword v99, off, s[0:3], 0 offset:292
	buffer_load_dword v98, off, s[0:3], 0 offset:288
	s_waitcnt vmcnt(2)
	v_fmac_f64_e32 v[90:91], v[94:95], v[96:97]
	ds_read_b128 v[94:97], v92 offset:640
	s_waitcnt vmcnt(0) lgkmcnt(0)
	v_fmac_f64_e32 v[90:91], v[98:99], v[94:95]
	buffer_load_dword v95, off, s[0:3], 0 offset:300
	buffer_load_dword v94, off, s[0:3], 0 offset:296
	buffer_load_dword v99, off, s[0:3], 0 offset:308
	buffer_load_dword v98, off, s[0:3], 0 offset:304
	;; [unrolled: 9-line block ×3, first 2 shown]
	s_waitcnt vmcnt(2)
	v_fmac_f64_e32 v[90:91], v[94:95], v[96:97]
	ds_read_b128 v[94:97], v92 offset:672
	s_waitcnt vmcnt(0) lgkmcnt(0)
	v_fmac_f64_e32 v[90:91], v[98:99], v[94:95]
	buffer_load_dword v95, off, s[0:3], 0 offset:332
	buffer_load_dword v94, off, s[0:3], 0 offset:328
	s_waitcnt vmcnt(0)
	v_fmac_f64_e32 v[90:91], v[94:95], v[96:97]
	buffer_load_dword v95, off, s[0:3], 0 offset:340
	buffer_load_dword v94, off, s[0:3], 0 offset:336
	ds_read_b64 v[96:97], v92 offset:688
	s_waitcnt vmcnt(0) lgkmcnt(0)
	v_fmac_f64_e32 v[90:91], v[94:95], v[96:97]
	v_add_f64 v[88:89], v[88:89], -v[90:91]
	buffer_store_dword v89, off, s[0:3], 0 offset:204
	buffer_store_dword v88, off, s[0:3], 0 offset:200
	s_and_saveexec_b64 s[4:5], vcc
	s_cbranch_execz .LBB106_217
; %bb.216:
	buffer_load_dword v88, off, s[0:3], 0 offset:192
	buffer_load_dword v89, off, s[0:3], 0 offset:196
	s_waitcnt vmcnt(0)
	ds_write_b64 v1, v[88:89]
	buffer_store_dword v92, off, s[0:3], 0 offset:192
	buffer_store_dword v92, off, s[0:3], 0 offset:196
.LBB106_217:
	s_or_b64 exec, exec, s[4:5]
	s_waitcnt lgkmcnt(0)
	; wave barrier
	s_waitcnt lgkmcnt(0)
	buffer_load_dword v88, off, s[0:3], 0 offset:192
	buffer_load_dword v89, off, s[0:3], 0 offset:196
	;; [unrolled: 1-line block ×16, first 2 shown]
	ds_read2_b64 v[94:97], v92 offset0:69 offset1:70
	v_cmp_lt_u32_e32 vcc, 23, v0
	s_waitcnt vmcnt(12) lgkmcnt(0)
	v_fma_f64 v[90:91], v[90:91], v[94:95], 0
	s_waitcnt vmcnt(10)
	v_fmac_f64_e32 v[90:91], v[98:99], v[96:97]
	ds_read2_b64 v[94:97], v92 offset0:71 offset1:72
	s_waitcnt vmcnt(8) lgkmcnt(0)
	v_fmac_f64_e32 v[90:91], v[100:101], v[94:95]
	s_waitcnt vmcnt(6)
	v_fmac_f64_e32 v[90:91], v[102:103], v[96:97]
	ds_read2_b64 v[94:97], v92 offset0:73 offset1:74
	s_waitcnt vmcnt(4) lgkmcnt(0)
	v_fmac_f64_e32 v[90:91], v[104:105], v[94:95]
	;; [unrolled: 5-line block ×3, first 2 shown]
	buffer_load_dword v95, off, s[0:3], 0 offset:260
	buffer_load_dword v94, off, s[0:3], 0 offset:256
	buffer_load_dword v99, off, s[0:3], 0 offset:268
	buffer_load_dword v98, off, s[0:3], 0 offset:264
	s_waitcnt vmcnt(2)
	v_fmac_f64_e32 v[90:91], v[94:95], v[96:97]
	ds_read2_b64 v[94:97], v92 offset0:77 offset1:78
	s_waitcnt vmcnt(0) lgkmcnt(0)
	v_fmac_f64_e32 v[90:91], v[98:99], v[94:95]
	buffer_load_dword v95, off, s[0:3], 0 offset:276
	buffer_load_dword v94, off, s[0:3], 0 offset:272
	buffer_load_dword v99, off, s[0:3], 0 offset:284
	buffer_load_dword v98, off, s[0:3], 0 offset:280
	s_waitcnt vmcnt(2)
	v_fmac_f64_e32 v[90:91], v[94:95], v[96:97]
	ds_read2_b64 v[94:97], v92 offset0:79 offset1:80
	s_waitcnt vmcnt(0) lgkmcnt(0)
	v_fmac_f64_e32 v[90:91], v[98:99], v[94:95]
	;; [unrolled: 9-line block ×4, first 2 shown]
	buffer_load_dword v95, off, s[0:3], 0 offset:324
	buffer_load_dword v94, off, s[0:3], 0 offset:320
	s_waitcnt vmcnt(0)
	v_fmac_f64_e32 v[90:91], v[94:95], v[96:97]
	buffer_load_dword v97, off, s[0:3], 0 offset:332
	buffer_load_dword v96, off, s[0:3], 0 offset:328
	ds_read2_b64 v[92:95], v92 offset0:85 offset1:86
	s_waitcnt vmcnt(0) lgkmcnt(0)
	v_fmac_f64_e32 v[90:91], v[96:97], v[92:93]
	buffer_load_dword v93, off, s[0:3], 0 offset:340
	buffer_load_dword v92, off, s[0:3], 0 offset:336
	s_waitcnt vmcnt(0)
	v_fmac_f64_e32 v[90:91], v[92:93], v[94:95]
	v_add_f64 v[88:89], v[88:89], -v[90:91]
	buffer_store_dword v89, off, s[0:3], 0 offset:196
	buffer_store_dword v88, off, s[0:3], 0 offset:192
	s_and_saveexec_b64 s[4:5], vcc
	s_cbranch_execz .LBB106_219
; %bb.218:
	buffer_load_dword v88, off, s[0:3], 0 offset:184
	buffer_load_dword v89, off, s[0:3], 0 offset:188
	v_mov_b32_e32 v90, 0
	buffer_store_dword v90, off, s[0:3], 0 offset:184
	buffer_store_dword v90, off, s[0:3], 0 offset:188
	s_waitcnt vmcnt(2)
	ds_write_b64 v1, v[88:89]
.LBB106_219:
	s_or_b64 exec, exec, s[4:5]
	s_waitcnt lgkmcnt(0)
	; wave barrier
	s_waitcnt lgkmcnt(0)
	buffer_load_dword v88, off, s[0:3], 0 offset:184
	buffer_load_dword v89, off, s[0:3], 0 offset:188
	;; [unrolled: 1-line block ×16, first 2 shown]
	v_mov_b32_e32 v92, 0
	ds_read_b128 v[94:97], v92 offset:544
	ds_read_b128 v[98:101], v92 offset:560
	;; [unrolled: 1-line block ×4, first 2 shown]
	v_cmp_lt_u32_e32 vcc, 22, v0
	s_waitcnt vmcnt(12) lgkmcnt(3)
	v_fma_f64 v[90:91], v[90:91], v[94:95], 0
	buffer_load_dword v95, off, s[0:3], 0 offset:252
	buffer_load_dword v94, off, s[0:3], 0 offset:248
	s_waitcnt vmcnt(12)
	v_fmac_f64_e32 v[90:91], v[110:111], v[96:97]
	s_waitcnt vmcnt(10) lgkmcnt(2)
	v_fmac_f64_e32 v[90:91], v[112:113], v[98:99]
	buffer_load_dword v99, off, s[0:3], 0 offset:260
	buffer_load_dword v98, off, s[0:3], 0 offset:256
	s_waitcnt vmcnt(10)
	v_fmac_f64_e32 v[90:91], v[114:115], v[100:101]
	s_waitcnt vmcnt(8) lgkmcnt(1)
	v_fmac_f64_e32 v[90:91], v[116:117], v[102:103]
	s_waitcnt vmcnt(6)
	v_fmac_f64_e32 v[90:91], v[118:119], v[104:105]
	s_waitcnt vmcnt(4) lgkmcnt(0)
	v_fmac_f64_e32 v[90:91], v[120:121], v[106:107]
	s_waitcnt vmcnt(2)
	v_fmac_f64_e32 v[90:91], v[94:95], v[108:109]
	ds_read_b128 v[94:97], v92 offset:608
	s_waitcnt vmcnt(0) lgkmcnt(0)
	v_fmac_f64_e32 v[90:91], v[98:99], v[94:95]
	buffer_load_dword v95, off, s[0:3], 0 offset:268
	buffer_load_dword v94, off, s[0:3], 0 offset:264
	buffer_load_dword v99, off, s[0:3], 0 offset:276
	buffer_load_dword v98, off, s[0:3], 0 offset:272
	s_waitcnt vmcnt(2)
	v_fmac_f64_e32 v[90:91], v[94:95], v[96:97]
	ds_read_b128 v[94:97], v92 offset:624
	s_waitcnt vmcnt(0) lgkmcnt(0)
	v_fmac_f64_e32 v[90:91], v[98:99], v[94:95]
	buffer_load_dword v95, off, s[0:3], 0 offset:284
	buffer_load_dword v94, off, s[0:3], 0 offset:280
	buffer_load_dword v99, off, s[0:3], 0 offset:292
	buffer_load_dword v98, off, s[0:3], 0 offset:288
	;; [unrolled: 9-line block ×4, first 2 shown]
	s_waitcnt vmcnt(2)
	v_fmac_f64_e32 v[90:91], v[94:95], v[96:97]
	ds_read_b128 v[94:97], v92 offset:672
	s_waitcnt vmcnt(0) lgkmcnt(0)
	v_fmac_f64_e32 v[90:91], v[98:99], v[94:95]
	buffer_load_dword v95, off, s[0:3], 0 offset:332
	buffer_load_dword v94, off, s[0:3], 0 offset:328
	s_waitcnt vmcnt(0)
	v_fmac_f64_e32 v[90:91], v[94:95], v[96:97]
	buffer_load_dword v95, off, s[0:3], 0 offset:340
	buffer_load_dword v94, off, s[0:3], 0 offset:336
	ds_read_b64 v[96:97], v92 offset:688
	s_waitcnt vmcnt(0) lgkmcnt(0)
	v_fmac_f64_e32 v[90:91], v[94:95], v[96:97]
	v_add_f64 v[88:89], v[88:89], -v[90:91]
	buffer_store_dword v89, off, s[0:3], 0 offset:188
	buffer_store_dword v88, off, s[0:3], 0 offset:184
	s_and_saveexec_b64 s[4:5], vcc
	s_cbranch_execz .LBB106_221
; %bb.220:
	buffer_load_dword v88, off, s[0:3], 0 offset:176
	buffer_load_dword v89, off, s[0:3], 0 offset:180
	s_waitcnt vmcnt(0)
	ds_write_b64 v1, v[88:89]
	buffer_store_dword v92, off, s[0:3], 0 offset:176
	buffer_store_dword v92, off, s[0:3], 0 offset:180
.LBB106_221:
	s_or_b64 exec, exec, s[4:5]
	s_waitcnt lgkmcnt(0)
	; wave barrier
	s_waitcnt lgkmcnt(0)
	buffer_load_dword v88, off, s[0:3], 0 offset:176
	buffer_load_dword v89, off, s[0:3], 0 offset:180
	;; [unrolled: 1-line block ×16, first 2 shown]
	ds_read2_b64 v[94:97], v92 offset0:67 offset1:68
	v_cmp_lt_u32_e32 vcc, 21, v0
	s_waitcnt vmcnt(12) lgkmcnt(0)
	v_fma_f64 v[90:91], v[90:91], v[94:95], 0
	s_waitcnt vmcnt(10)
	v_fmac_f64_e32 v[90:91], v[98:99], v[96:97]
	ds_read2_b64 v[94:97], v92 offset0:69 offset1:70
	s_waitcnt vmcnt(8) lgkmcnt(0)
	v_fmac_f64_e32 v[90:91], v[100:101], v[94:95]
	s_waitcnt vmcnt(6)
	v_fmac_f64_e32 v[90:91], v[102:103], v[96:97]
	ds_read2_b64 v[94:97], v92 offset0:71 offset1:72
	s_waitcnt vmcnt(4) lgkmcnt(0)
	v_fmac_f64_e32 v[90:91], v[104:105], v[94:95]
	;; [unrolled: 5-line block ×3, first 2 shown]
	buffer_load_dword v95, off, s[0:3], 0 offset:244
	buffer_load_dword v94, off, s[0:3], 0 offset:240
	buffer_load_dword v99, off, s[0:3], 0 offset:252
	buffer_load_dword v98, off, s[0:3], 0 offset:248
	s_waitcnt vmcnt(2)
	v_fmac_f64_e32 v[90:91], v[94:95], v[96:97]
	ds_read2_b64 v[94:97], v92 offset0:75 offset1:76
	s_waitcnt vmcnt(0) lgkmcnt(0)
	v_fmac_f64_e32 v[90:91], v[98:99], v[94:95]
	buffer_load_dword v95, off, s[0:3], 0 offset:260
	buffer_load_dword v94, off, s[0:3], 0 offset:256
	buffer_load_dword v99, off, s[0:3], 0 offset:268
	buffer_load_dword v98, off, s[0:3], 0 offset:264
	s_waitcnt vmcnt(2)
	v_fmac_f64_e32 v[90:91], v[94:95], v[96:97]
	ds_read2_b64 v[94:97], v92 offset0:77 offset1:78
	s_waitcnt vmcnt(0) lgkmcnt(0)
	v_fmac_f64_e32 v[90:91], v[98:99], v[94:95]
	;; [unrolled: 9-line block ×5, first 2 shown]
	buffer_load_dword v95, off, s[0:3], 0 offset:324
	buffer_load_dword v94, off, s[0:3], 0 offset:320
	s_waitcnt vmcnt(0)
	v_fmac_f64_e32 v[90:91], v[94:95], v[96:97]
	buffer_load_dword v97, off, s[0:3], 0 offset:332
	buffer_load_dword v96, off, s[0:3], 0 offset:328
	ds_read2_b64 v[92:95], v92 offset0:85 offset1:86
	s_waitcnt vmcnt(0) lgkmcnt(0)
	v_fmac_f64_e32 v[90:91], v[96:97], v[92:93]
	buffer_load_dword v93, off, s[0:3], 0 offset:340
	buffer_load_dword v92, off, s[0:3], 0 offset:336
	s_waitcnt vmcnt(0)
	v_fmac_f64_e32 v[90:91], v[92:93], v[94:95]
	v_add_f64 v[88:89], v[88:89], -v[90:91]
	buffer_store_dword v89, off, s[0:3], 0 offset:180
	buffer_store_dword v88, off, s[0:3], 0 offset:176
	s_and_saveexec_b64 s[4:5], vcc
	s_cbranch_execz .LBB106_223
; %bb.222:
	buffer_load_dword v88, off, s[0:3], 0 offset:168
	buffer_load_dword v89, off, s[0:3], 0 offset:172
	v_mov_b32_e32 v90, 0
	buffer_store_dword v90, off, s[0:3], 0 offset:168
	buffer_store_dword v90, off, s[0:3], 0 offset:172
	s_waitcnt vmcnt(2)
	ds_write_b64 v1, v[88:89]
.LBB106_223:
	s_or_b64 exec, exec, s[4:5]
	s_waitcnt lgkmcnt(0)
	; wave barrier
	s_waitcnt lgkmcnt(0)
	buffer_load_dword v88, off, s[0:3], 0 offset:168
	buffer_load_dword v89, off, s[0:3], 0 offset:172
	;; [unrolled: 1-line block ×16, first 2 shown]
	v_mov_b32_e32 v92, 0
	ds_read_b128 v[94:97], v92 offset:528
	ds_read_b128 v[98:101], v92 offset:544
	;; [unrolled: 1-line block ×4, first 2 shown]
	v_cmp_lt_u32_e32 vcc, 20, v0
	s_waitcnt vmcnt(12) lgkmcnt(3)
	v_fma_f64 v[90:91], v[90:91], v[94:95], 0
	buffer_load_dword v95, off, s[0:3], 0 offset:236
	buffer_load_dword v94, off, s[0:3], 0 offset:232
	s_waitcnt vmcnt(12)
	v_fmac_f64_e32 v[90:91], v[110:111], v[96:97]
	s_waitcnt vmcnt(10) lgkmcnt(2)
	v_fmac_f64_e32 v[90:91], v[112:113], v[98:99]
	buffer_load_dword v99, off, s[0:3], 0 offset:244
	buffer_load_dword v98, off, s[0:3], 0 offset:240
	s_waitcnt vmcnt(10)
	v_fmac_f64_e32 v[90:91], v[114:115], v[100:101]
	s_waitcnt vmcnt(8) lgkmcnt(1)
	v_fmac_f64_e32 v[90:91], v[116:117], v[102:103]
	s_waitcnt vmcnt(6)
	v_fmac_f64_e32 v[90:91], v[118:119], v[104:105]
	s_waitcnt vmcnt(4) lgkmcnt(0)
	v_fmac_f64_e32 v[90:91], v[120:121], v[106:107]
	s_waitcnt vmcnt(2)
	v_fmac_f64_e32 v[90:91], v[94:95], v[108:109]
	ds_read_b128 v[94:97], v92 offset:592
	s_waitcnt vmcnt(0) lgkmcnt(0)
	v_fmac_f64_e32 v[90:91], v[98:99], v[94:95]
	buffer_load_dword v95, off, s[0:3], 0 offset:252
	buffer_load_dword v94, off, s[0:3], 0 offset:248
	buffer_load_dword v99, off, s[0:3], 0 offset:260
	buffer_load_dword v98, off, s[0:3], 0 offset:256
	s_waitcnt vmcnt(2)
	v_fmac_f64_e32 v[90:91], v[94:95], v[96:97]
	ds_read_b128 v[94:97], v92 offset:608
	s_waitcnt vmcnt(0) lgkmcnt(0)
	v_fmac_f64_e32 v[90:91], v[98:99], v[94:95]
	buffer_load_dword v95, off, s[0:3], 0 offset:268
	buffer_load_dword v94, off, s[0:3], 0 offset:264
	buffer_load_dword v99, off, s[0:3], 0 offset:276
	buffer_load_dword v98, off, s[0:3], 0 offset:272
	;; [unrolled: 9-line block ×5, first 2 shown]
	s_waitcnt vmcnt(2)
	v_fmac_f64_e32 v[90:91], v[94:95], v[96:97]
	ds_read_b128 v[94:97], v92 offset:672
	s_waitcnt vmcnt(0) lgkmcnt(0)
	v_fmac_f64_e32 v[90:91], v[98:99], v[94:95]
	buffer_load_dword v95, off, s[0:3], 0 offset:332
	buffer_load_dword v94, off, s[0:3], 0 offset:328
	s_waitcnt vmcnt(0)
	v_fmac_f64_e32 v[90:91], v[94:95], v[96:97]
	buffer_load_dword v95, off, s[0:3], 0 offset:340
	buffer_load_dword v94, off, s[0:3], 0 offset:336
	ds_read_b64 v[96:97], v92 offset:688
	s_waitcnt vmcnt(0) lgkmcnt(0)
	v_fmac_f64_e32 v[90:91], v[94:95], v[96:97]
	v_add_f64 v[88:89], v[88:89], -v[90:91]
	buffer_store_dword v89, off, s[0:3], 0 offset:172
	buffer_store_dword v88, off, s[0:3], 0 offset:168
	s_and_saveexec_b64 s[4:5], vcc
	s_cbranch_execz .LBB106_225
; %bb.224:
	buffer_load_dword v88, off, s[0:3], 0 offset:160
	buffer_load_dword v89, off, s[0:3], 0 offset:164
	s_waitcnt vmcnt(0)
	ds_write_b64 v1, v[88:89]
	buffer_store_dword v92, off, s[0:3], 0 offset:160
	buffer_store_dword v92, off, s[0:3], 0 offset:164
.LBB106_225:
	s_or_b64 exec, exec, s[4:5]
	s_waitcnt lgkmcnt(0)
	; wave barrier
	s_waitcnt lgkmcnt(0)
	buffer_load_dword v88, off, s[0:3], 0 offset:160
	buffer_load_dword v89, off, s[0:3], 0 offset:164
	;; [unrolled: 1-line block ×16, first 2 shown]
	ds_read2_b64 v[94:97], v92 offset0:65 offset1:66
	v_cmp_lt_u32_e32 vcc, 19, v0
	s_waitcnt vmcnt(12) lgkmcnt(0)
	v_fma_f64 v[90:91], v[90:91], v[94:95], 0
	s_waitcnt vmcnt(10)
	v_fmac_f64_e32 v[90:91], v[98:99], v[96:97]
	ds_read2_b64 v[94:97], v92 offset0:67 offset1:68
	s_waitcnt vmcnt(8) lgkmcnt(0)
	v_fmac_f64_e32 v[90:91], v[100:101], v[94:95]
	s_waitcnt vmcnt(6)
	v_fmac_f64_e32 v[90:91], v[102:103], v[96:97]
	ds_read2_b64 v[94:97], v92 offset0:69 offset1:70
	s_waitcnt vmcnt(4) lgkmcnt(0)
	v_fmac_f64_e32 v[90:91], v[104:105], v[94:95]
	;; [unrolled: 5-line block ×3, first 2 shown]
	buffer_load_dword v95, off, s[0:3], 0 offset:228
	buffer_load_dword v94, off, s[0:3], 0 offset:224
	buffer_load_dword v99, off, s[0:3], 0 offset:236
	buffer_load_dword v98, off, s[0:3], 0 offset:232
	s_waitcnt vmcnt(2)
	v_fmac_f64_e32 v[90:91], v[94:95], v[96:97]
	ds_read2_b64 v[94:97], v92 offset0:73 offset1:74
	s_waitcnt vmcnt(0) lgkmcnt(0)
	v_fmac_f64_e32 v[90:91], v[98:99], v[94:95]
	buffer_load_dword v95, off, s[0:3], 0 offset:244
	buffer_load_dword v94, off, s[0:3], 0 offset:240
	buffer_load_dword v99, off, s[0:3], 0 offset:252
	buffer_load_dword v98, off, s[0:3], 0 offset:248
	s_waitcnt vmcnt(2)
	v_fmac_f64_e32 v[90:91], v[94:95], v[96:97]
	ds_read2_b64 v[94:97], v92 offset0:75 offset1:76
	s_waitcnt vmcnt(0) lgkmcnt(0)
	v_fmac_f64_e32 v[90:91], v[98:99], v[94:95]
	;; [unrolled: 9-line block ×6, first 2 shown]
	buffer_load_dword v95, off, s[0:3], 0 offset:324
	buffer_load_dword v94, off, s[0:3], 0 offset:320
	s_waitcnt vmcnt(0)
	v_fmac_f64_e32 v[90:91], v[94:95], v[96:97]
	buffer_load_dword v97, off, s[0:3], 0 offset:332
	buffer_load_dword v96, off, s[0:3], 0 offset:328
	ds_read2_b64 v[92:95], v92 offset0:85 offset1:86
	s_waitcnt vmcnt(0) lgkmcnt(0)
	v_fmac_f64_e32 v[90:91], v[96:97], v[92:93]
	buffer_load_dword v93, off, s[0:3], 0 offset:340
	buffer_load_dword v92, off, s[0:3], 0 offset:336
	s_waitcnt vmcnt(0)
	v_fmac_f64_e32 v[90:91], v[92:93], v[94:95]
	v_add_f64 v[88:89], v[88:89], -v[90:91]
	buffer_store_dword v89, off, s[0:3], 0 offset:164
	buffer_store_dword v88, off, s[0:3], 0 offset:160
	s_and_saveexec_b64 s[4:5], vcc
	s_cbranch_execz .LBB106_227
; %bb.226:
	buffer_load_dword v88, off, s[0:3], 0 offset:152
	buffer_load_dword v89, off, s[0:3], 0 offset:156
	v_mov_b32_e32 v90, 0
	buffer_store_dword v90, off, s[0:3], 0 offset:152
	buffer_store_dword v90, off, s[0:3], 0 offset:156
	s_waitcnt vmcnt(2)
	ds_write_b64 v1, v[88:89]
.LBB106_227:
	s_or_b64 exec, exec, s[4:5]
	s_waitcnt lgkmcnt(0)
	; wave barrier
	s_waitcnt lgkmcnt(0)
	buffer_load_dword v88, off, s[0:3], 0 offset:152
	buffer_load_dword v89, off, s[0:3], 0 offset:156
	;; [unrolled: 1-line block ×16, first 2 shown]
	v_mov_b32_e32 v92, 0
	ds_read_b128 v[94:97], v92 offset:512
	ds_read_b128 v[98:101], v92 offset:528
	;; [unrolled: 1-line block ×4, first 2 shown]
	v_cmp_lt_u32_e32 vcc, 18, v0
	s_waitcnt vmcnt(12) lgkmcnt(3)
	v_fma_f64 v[90:91], v[90:91], v[94:95], 0
	buffer_load_dword v95, off, s[0:3], 0 offset:220
	buffer_load_dword v94, off, s[0:3], 0 offset:216
	s_waitcnt vmcnt(12)
	v_fmac_f64_e32 v[90:91], v[110:111], v[96:97]
	s_waitcnt vmcnt(10) lgkmcnt(2)
	v_fmac_f64_e32 v[90:91], v[112:113], v[98:99]
	buffer_load_dword v99, off, s[0:3], 0 offset:228
	buffer_load_dword v98, off, s[0:3], 0 offset:224
	s_waitcnt vmcnt(10)
	v_fmac_f64_e32 v[90:91], v[114:115], v[100:101]
	s_waitcnt vmcnt(8) lgkmcnt(1)
	v_fmac_f64_e32 v[90:91], v[116:117], v[102:103]
	s_waitcnt vmcnt(6)
	v_fmac_f64_e32 v[90:91], v[118:119], v[104:105]
	s_waitcnt vmcnt(4) lgkmcnt(0)
	v_fmac_f64_e32 v[90:91], v[120:121], v[106:107]
	s_waitcnt vmcnt(2)
	v_fmac_f64_e32 v[90:91], v[94:95], v[108:109]
	ds_read_b128 v[94:97], v92 offset:576
	s_waitcnt vmcnt(0) lgkmcnt(0)
	v_fmac_f64_e32 v[90:91], v[98:99], v[94:95]
	buffer_load_dword v95, off, s[0:3], 0 offset:236
	buffer_load_dword v94, off, s[0:3], 0 offset:232
	buffer_load_dword v99, off, s[0:3], 0 offset:244
	buffer_load_dword v98, off, s[0:3], 0 offset:240
	s_waitcnt vmcnt(2)
	v_fmac_f64_e32 v[90:91], v[94:95], v[96:97]
	ds_read_b128 v[94:97], v92 offset:592
	s_waitcnt vmcnt(0) lgkmcnt(0)
	v_fmac_f64_e32 v[90:91], v[98:99], v[94:95]
	buffer_load_dword v95, off, s[0:3], 0 offset:252
	buffer_load_dword v94, off, s[0:3], 0 offset:248
	buffer_load_dword v99, off, s[0:3], 0 offset:260
	buffer_load_dword v98, off, s[0:3], 0 offset:256
	;; [unrolled: 9-line block ×6, first 2 shown]
	s_waitcnt vmcnt(2)
	v_fmac_f64_e32 v[90:91], v[94:95], v[96:97]
	ds_read_b128 v[94:97], v92 offset:672
	s_waitcnt vmcnt(0) lgkmcnt(0)
	v_fmac_f64_e32 v[90:91], v[98:99], v[94:95]
	buffer_load_dword v95, off, s[0:3], 0 offset:332
	buffer_load_dword v94, off, s[0:3], 0 offset:328
	s_waitcnt vmcnt(0)
	v_fmac_f64_e32 v[90:91], v[94:95], v[96:97]
	buffer_load_dword v95, off, s[0:3], 0 offset:340
	buffer_load_dword v94, off, s[0:3], 0 offset:336
	ds_read_b64 v[96:97], v92 offset:688
	s_waitcnt vmcnt(0) lgkmcnt(0)
	v_fmac_f64_e32 v[90:91], v[94:95], v[96:97]
	v_add_f64 v[88:89], v[88:89], -v[90:91]
	buffer_store_dword v89, off, s[0:3], 0 offset:156
	buffer_store_dword v88, off, s[0:3], 0 offset:152
	s_and_saveexec_b64 s[4:5], vcc
	s_cbranch_execz .LBB106_229
; %bb.228:
	buffer_load_dword v88, off, s[0:3], 0 offset:144
	buffer_load_dword v89, off, s[0:3], 0 offset:148
	s_waitcnt vmcnt(0)
	ds_write_b64 v1, v[88:89]
	buffer_store_dword v92, off, s[0:3], 0 offset:144
	buffer_store_dword v92, off, s[0:3], 0 offset:148
.LBB106_229:
	s_or_b64 exec, exec, s[4:5]
	s_waitcnt lgkmcnt(0)
	; wave barrier
	s_waitcnt lgkmcnt(0)
	buffer_load_dword v88, off, s[0:3], 0 offset:144
	buffer_load_dword v89, off, s[0:3], 0 offset:148
	;; [unrolled: 1-line block ×16, first 2 shown]
	ds_read2_b64 v[94:97], v92 offset0:63 offset1:64
	v_cmp_lt_u32_e32 vcc, 17, v0
	s_waitcnt vmcnt(12) lgkmcnt(0)
	v_fma_f64 v[90:91], v[90:91], v[94:95], 0
	s_waitcnt vmcnt(10)
	v_fmac_f64_e32 v[90:91], v[98:99], v[96:97]
	ds_read2_b64 v[94:97], v92 offset0:65 offset1:66
	s_waitcnt vmcnt(8) lgkmcnt(0)
	v_fmac_f64_e32 v[90:91], v[100:101], v[94:95]
	s_waitcnt vmcnt(6)
	v_fmac_f64_e32 v[90:91], v[102:103], v[96:97]
	ds_read2_b64 v[94:97], v92 offset0:67 offset1:68
	s_waitcnt vmcnt(4) lgkmcnt(0)
	v_fmac_f64_e32 v[90:91], v[104:105], v[94:95]
	;; [unrolled: 5-line block ×3, first 2 shown]
	buffer_load_dword v95, off, s[0:3], 0 offset:212
	buffer_load_dword v94, off, s[0:3], 0 offset:208
	buffer_load_dword v99, off, s[0:3], 0 offset:220
	buffer_load_dword v98, off, s[0:3], 0 offset:216
	s_waitcnt vmcnt(2)
	v_fmac_f64_e32 v[90:91], v[94:95], v[96:97]
	ds_read2_b64 v[94:97], v92 offset0:71 offset1:72
	s_waitcnt vmcnt(0) lgkmcnt(0)
	v_fmac_f64_e32 v[90:91], v[98:99], v[94:95]
	buffer_load_dword v95, off, s[0:3], 0 offset:228
	buffer_load_dword v94, off, s[0:3], 0 offset:224
	buffer_load_dword v99, off, s[0:3], 0 offset:236
	buffer_load_dword v98, off, s[0:3], 0 offset:232
	s_waitcnt vmcnt(2)
	v_fmac_f64_e32 v[90:91], v[94:95], v[96:97]
	ds_read2_b64 v[94:97], v92 offset0:73 offset1:74
	s_waitcnt vmcnt(0) lgkmcnt(0)
	v_fmac_f64_e32 v[90:91], v[98:99], v[94:95]
	;; [unrolled: 9-line block ×7, first 2 shown]
	buffer_load_dword v95, off, s[0:3], 0 offset:324
	buffer_load_dword v94, off, s[0:3], 0 offset:320
	s_waitcnt vmcnt(0)
	v_fmac_f64_e32 v[90:91], v[94:95], v[96:97]
	buffer_load_dword v97, off, s[0:3], 0 offset:332
	buffer_load_dword v96, off, s[0:3], 0 offset:328
	ds_read2_b64 v[92:95], v92 offset0:85 offset1:86
	s_waitcnt vmcnt(0) lgkmcnt(0)
	v_fmac_f64_e32 v[90:91], v[96:97], v[92:93]
	buffer_load_dword v93, off, s[0:3], 0 offset:340
	buffer_load_dword v92, off, s[0:3], 0 offset:336
	s_waitcnt vmcnt(0)
	v_fmac_f64_e32 v[90:91], v[92:93], v[94:95]
	v_add_f64 v[88:89], v[88:89], -v[90:91]
	buffer_store_dword v89, off, s[0:3], 0 offset:148
	buffer_store_dword v88, off, s[0:3], 0 offset:144
	s_and_saveexec_b64 s[4:5], vcc
	s_cbranch_execz .LBB106_231
; %bb.230:
	buffer_load_dword v88, off, s[0:3], 0 offset:136
	buffer_load_dword v89, off, s[0:3], 0 offset:140
	v_mov_b32_e32 v90, 0
	buffer_store_dword v90, off, s[0:3], 0 offset:136
	buffer_store_dword v90, off, s[0:3], 0 offset:140
	s_waitcnt vmcnt(2)
	ds_write_b64 v1, v[88:89]
.LBB106_231:
	s_or_b64 exec, exec, s[4:5]
	s_waitcnt lgkmcnt(0)
	; wave barrier
	s_waitcnt lgkmcnt(0)
	buffer_load_dword v88, off, s[0:3], 0 offset:136
	buffer_load_dword v89, off, s[0:3], 0 offset:140
	;; [unrolled: 1-line block ×16, first 2 shown]
	v_mov_b32_e32 v92, 0
	ds_read_b128 v[94:97], v92 offset:496
	ds_read_b128 v[98:101], v92 offset:512
	;; [unrolled: 1-line block ×4, first 2 shown]
	v_cmp_lt_u32_e32 vcc, 16, v0
	s_waitcnt vmcnt(12) lgkmcnt(3)
	v_fma_f64 v[90:91], v[90:91], v[94:95], 0
	buffer_load_dword v95, off, s[0:3], 0 offset:204
	buffer_load_dword v94, off, s[0:3], 0 offset:200
	s_waitcnt vmcnt(12)
	v_fmac_f64_e32 v[90:91], v[110:111], v[96:97]
	s_waitcnt vmcnt(10) lgkmcnt(2)
	v_fmac_f64_e32 v[90:91], v[112:113], v[98:99]
	buffer_load_dword v99, off, s[0:3], 0 offset:212
	buffer_load_dword v98, off, s[0:3], 0 offset:208
	s_waitcnt vmcnt(10)
	v_fmac_f64_e32 v[90:91], v[114:115], v[100:101]
	s_waitcnt vmcnt(8) lgkmcnt(1)
	v_fmac_f64_e32 v[90:91], v[116:117], v[102:103]
	s_waitcnt vmcnt(6)
	v_fmac_f64_e32 v[90:91], v[118:119], v[104:105]
	s_waitcnt vmcnt(4) lgkmcnt(0)
	v_fmac_f64_e32 v[90:91], v[120:121], v[106:107]
	s_waitcnt vmcnt(2)
	v_fmac_f64_e32 v[90:91], v[94:95], v[108:109]
	ds_read_b128 v[94:97], v92 offset:560
	s_waitcnt vmcnt(0) lgkmcnt(0)
	v_fmac_f64_e32 v[90:91], v[98:99], v[94:95]
	buffer_load_dword v95, off, s[0:3], 0 offset:220
	buffer_load_dword v94, off, s[0:3], 0 offset:216
	buffer_load_dword v99, off, s[0:3], 0 offset:228
	buffer_load_dword v98, off, s[0:3], 0 offset:224
	s_waitcnt vmcnt(2)
	v_fmac_f64_e32 v[90:91], v[94:95], v[96:97]
	ds_read_b128 v[94:97], v92 offset:576
	s_waitcnt vmcnt(0) lgkmcnt(0)
	v_fmac_f64_e32 v[90:91], v[98:99], v[94:95]
	buffer_load_dword v95, off, s[0:3], 0 offset:236
	buffer_load_dword v94, off, s[0:3], 0 offset:232
	buffer_load_dword v99, off, s[0:3], 0 offset:244
	buffer_load_dword v98, off, s[0:3], 0 offset:240
	;; [unrolled: 9-line block ×7, first 2 shown]
	s_waitcnt vmcnt(2)
	v_fmac_f64_e32 v[90:91], v[94:95], v[96:97]
	ds_read_b128 v[94:97], v92 offset:672
	s_waitcnt vmcnt(0) lgkmcnt(0)
	v_fmac_f64_e32 v[90:91], v[98:99], v[94:95]
	buffer_load_dword v95, off, s[0:3], 0 offset:332
	buffer_load_dword v94, off, s[0:3], 0 offset:328
	s_waitcnt vmcnt(0)
	v_fmac_f64_e32 v[90:91], v[94:95], v[96:97]
	buffer_load_dword v95, off, s[0:3], 0 offset:340
	buffer_load_dword v94, off, s[0:3], 0 offset:336
	ds_read_b64 v[96:97], v92 offset:688
	s_waitcnt vmcnt(0) lgkmcnt(0)
	v_fmac_f64_e32 v[90:91], v[94:95], v[96:97]
	v_add_f64 v[88:89], v[88:89], -v[90:91]
	buffer_store_dword v89, off, s[0:3], 0 offset:140
	buffer_store_dword v88, off, s[0:3], 0 offset:136
	s_and_saveexec_b64 s[4:5], vcc
	s_cbranch_execz .LBB106_233
; %bb.232:
	buffer_load_dword v88, off, s[0:3], 0 offset:128
	buffer_load_dword v89, off, s[0:3], 0 offset:132
	s_waitcnt vmcnt(0)
	ds_write_b64 v1, v[88:89]
	buffer_store_dword v92, off, s[0:3], 0 offset:128
	buffer_store_dword v92, off, s[0:3], 0 offset:132
.LBB106_233:
	s_or_b64 exec, exec, s[4:5]
	s_waitcnt lgkmcnt(0)
	; wave barrier
	s_waitcnt lgkmcnt(0)
	buffer_load_dword v88, off, s[0:3], 0 offset:128
	buffer_load_dword v89, off, s[0:3], 0 offset:132
	;; [unrolled: 1-line block ×16, first 2 shown]
	ds_read2_b64 v[94:97], v92 offset0:61 offset1:62
	v_cmp_lt_u32_e32 vcc, 15, v0
	s_waitcnt vmcnt(12) lgkmcnt(0)
	v_fma_f64 v[90:91], v[90:91], v[94:95], 0
	s_waitcnt vmcnt(10)
	v_fmac_f64_e32 v[90:91], v[98:99], v[96:97]
	ds_read2_b64 v[94:97], v92 offset0:63 offset1:64
	s_waitcnt vmcnt(8) lgkmcnt(0)
	v_fmac_f64_e32 v[90:91], v[100:101], v[94:95]
	s_waitcnt vmcnt(6)
	v_fmac_f64_e32 v[90:91], v[102:103], v[96:97]
	ds_read2_b64 v[94:97], v92 offset0:65 offset1:66
	s_waitcnt vmcnt(4) lgkmcnt(0)
	v_fmac_f64_e32 v[90:91], v[104:105], v[94:95]
	s_waitcnt vmcnt(2)
	v_fmac_f64_e32 v[90:91], v[106:107], v[96:97]
	ds_read2_b64 v[94:97], v92 offset0:67 offset1:68
	s_waitcnt vmcnt(0) lgkmcnt(0)
	v_fmac_f64_e32 v[90:91], v[108:109], v[94:95]
	buffer_load_dword v95, off, s[0:3], 0 offset:196
	buffer_load_dword v94, off, s[0:3], 0 offset:192
	buffer_load_dword v99, off, s[0:3], 0 offset:204
	buffer_load_dword v98, off, s[0:3], 0 offset:200
	s_waitcnt vmcnt(2)
	v_fmac_f64_e32 v[90:91], v[94:95], v[96:97]
	ds_read2_b64 v[94:97], v92 offset0:69 offset1:70
	s_waitcnt vmcnt(0) lgkmcnt(0)
	v_fmac_f64_e32 v[90:91], v[98:99], v[94:95]
	buffer_load_dword v95, off, s[0:3], 0 offset:212
	buffer_load_dword v94, off, s[0:3], 0 offset:208
	buffer_load_dword v99, off, s[0:3], 0 offset:220
	buffer_load_dword v98, off, s[0:3], 0 offset:216
	s_waitcnt vmcnt(2)
	v_fmac_f64_e32 v[90:91], v[94:95], v[96:97]
	ds_read2_b64 v[94:97], v92 offset0:71 offset1:72
	s_waitcnt vmcnt(0) lgkmcnt(0)
	v_fmac_f64_e32 v[90:91], v[98:99], v[94:95]
	;; [unrolled: 9-line block ×8, first 2 shown]
	buffer_load_dword v95, off, s[0:3], 0 offset:324
	buffer_load_dword v94, off, s[0:3], 0 offset:320
	s_waitcnt vmcnt(0)
	v_fmac_f64_e32 v[90:91], v[94:95], v[96:97]
	buffer_load_dword v97, off, s[0:3], 0 offset:332
	buffer_load_dword v96, off, s[0:3], 0 offset:328
	ds_read2_b64 v[92:95], v92 offset0:85 offset1:86
	s_waitcnt vmcnt(0) lgkmcnt(0)
	v_fmac_f64_e32 v[90:91], v[96:97], v[92:93]
	buffer_load_dword v93, off, s[0:3], 0 offset:340
	buffer_load_dword v92, off, s[0:3], 0 offset:336
	s_waitcnt vmcnt(0)
	v_fmac_f64_e32 v[90:91], v[92:93], v[94:95]
	v_add_f64 v[88:89], v[88:89], -v[90:91]
	buffer_store_dword v89, off, s[0:3], 0 offset:132
	buffer_store_dword v88, off, s[0:3], 0 offset:128
	s_and_saveexec_b64 s[4:5], vcc
	s_cbranch_execz .LBB106_235
; %bb.234:
	buffer_load_dword v88, off, s[0:3], 0 offset:120
	buffer_load_dword v89, off, s[0:3], 0 offset:124
	v_mov_b32_e32 v90, 0
	buffer_store_dword v90, off, s[0:3], 0 offset:120
	buffer_store_dword v90, off, s[0:3], 0 offset:124
	s_waitcnt vmcnt(2)
	ds_write_b64 v1, v[88:89]
.LBB106_235:
	s_or_b64 exec, exec, s[4:5]
	s_waitcnt lgkmcnt(0)
	; wave barrier
	s_waitcnt lgkmcnt(0)
	buffer_load_dword v88, off, s[0:3], 0 offset:120
	buffer_load_dword v89, off, s[0:3], 0 offset:124
	;; [unrolled: 1-line block ×16, first 2 shown]
	v_mov_b32_e32 v92, 0
	ds_read_b128 v[94:97], v92 offset:480
	ds_read_b128 v[98:101], v92 offset:496
	;; [unrolled: 1-line block ×4, first 2 shown]
	v_cmp_lt_u32_e32 vcc, 14, v0
	s_waitcnt vmcnt(12) lgkmcnt(3)
	v_fma_f64 v[90:91], v[90:91], v[94:95], 0
	buffer_load_dword v95, off, s[0:3], 0 offset:188
	buffer_load_dword v94, off, s[0:3], 0 offset:184
	s_waitcnt vmcnt(12)
	v_fmac_f64_e32 v[90:91], v[110:111], v[96:97]
	s_waitcnt vmcnt(10) lgkmcnt(2)
	v_fmac_f64_e32 v[90:91], v[112:113], v[98:99]
	buffer_load_dword v99, off, s[0:3], 0 offset:196
	buffer_load_dword v98, off, s[0:3], 0 offset:192
	s_waitcnt vmcnt(10)
	v_fmac_f64_e32 v[90:91], v[114:115], v[100:101]
	s_waitcnt vmcnt(8) lgkmcnt(1)
	v_fmac_f64_e32 v[90:91], v[116:117], v[102:103]
	s_waitcnt vmcnt(6)
	v_fmac_f64_e32 v[90:91], v[118:119], v[104:105]
	s_waitcnt vmcnt(4) lgkmcnt(0)
	v_fmac_f64_e32 v[90:91], v[120:121], v[106:107]
	s_waitcnt vmcnt(2)
	v_fmac_f64_e32 v[90:91], v[94:95], v[108:109]
	ds_read_b128 v[94:97], v92 offset:544
	s_waitcnt vmcnt(0) lgkmcnt(0)
	v_fmac_f64_e32 v[90:91], v[98:99], v[94:95]
	buffer_load_dword v95, off, s[0:3], 0 offset:204
	buffer_load_dword v94, off, s[0:3], 0 offset:200
	buffer_load_dword v99, off, s[0:3], 0 offset:212
	buffer_load_dword v98, off, s[0:3], 0 offset:208
	s_waitcnt vmcnt(2)
	v_fmac_f64_e32 v[90:91], v[94:95], v[96:97]
	ds_read_b128 v[94:97], v92 offset:560
	s_waitcnt vmcnt(0) lgkmcnt(0)
	v_fmac_f64_e32 v[90:91], v[98:99], v[94:95]
	buffer_load_dword v95, off, s[0:3], 0 offset:220
	buffer_load_dword v94, off, s[0:3], 0 offset:216
	buffer_load_dword v99, off, s[0:3], 0 offset:228
	buffer_load_dword v98, off, s[0:3], 0 offset:224
	;; [unrolled: 9-line block ×8, first 2 shown]
	s_waitcnt vmcnt(2)
	v_fmac_f64_e32 v[90:91], v[94:95], v[96:97]
	ds_read_b128 v[94:97], v92 offset:672
	s_waitcnt vmcnt(0) lgkmcnt(0)
	v_fmac_f64_e32 v[90:91], v[98:99], v[94:95]
	buffer_load_dword v95, off, s[0:3], 0 offset:332
	buffer_load_dword v94, off, s[0:3], 0 offset:328
	s_waitcnt vmcnt(0)
	v_fmac_f64_e32 v[90:91], v[94:95], v[96:97]
	buffer_load_dword v95, off, s[0:3], 0 offset:340
	buffer_load_dword v94, off, s[0:3], 0 offset:336
	ds_read_b64 v[96:97], v92 offset:688
	s_waitcnt vmcnt(0) lgkmcnt(0)
	v_fmac_f64_e32 v[90:91], v[94:95], v[96:97]
	v_add_f64 v[88:89], v[88:89], -v[90:91]
	buffer_store_dword v89, off, s[0:3], 0 offset:124
	buffer_store_dword v88, off, s[0:3], 0 offset:120
	s_and_saveexec_b64 s[4:5], vcc
	s_cbranch_execz .LBB106_237
; %bb.236:
	buffer_load_dword v88, off, s[0:3], 0 offset:112
	buffer_load_dword v89, off, s[0:3], 0 offset:116
	s_waitcnt vmcnt(0)
	ds_write_b64 v1, v[88:89]
	buffer_store_dword v92, off, s[0:3], 0 offset:112
	buffer_store_dword v92, off, s[0:3], 0 offset:116
.LBB106_237:
	s_or_b64 exec, exec, s[4:5]
	s_waitcnt lgkmcnt(0)
	; wave barrier
	s_waitcnt lgkmcnt(0)
	buffer_load_dword v88, off, s[0:3], 0 offset:112
	buffer_load_dword v89, off, s[0:3], 0 offset:116
	;; [unrolled: 1-line block ×16, first 2 shown]
	ds_read2_b64 v[94:97], v92 offset0:59 offset1:60
	v_cmp_lt_u32_e32 vcc, 13, v0
	s_waitcnt vmcnt(12) lgkmcnt(0)
	v_fma_f64 v[90:91], v[90:91], v[94:95], 0
	s_waitcnt vmcnt(10)
	v_fmac_f64_e32 v[90:91], v[98:99], v[96:97]
	ds_read2_b64 v[94:97], v92 offset0:61 offset1:62
	s_waitcnt vmcnt(8) lgkmcnt(0)
	v_fmac_f64_e32 v[90:91], v[100:101], v[94:95]
	s_waitcnt vmcnt(6)
	v_fmac_f64_e32 v[90:91], v[102:103], v[96:97]
	ds_read2_b64 v[94:97], v92 offset0:63 offset1:64
	s_waitcnt vmcnt(4) lgkmcnt(0)
	v_fmac_f64_e32 v[90:91], v[104:105], v[94:95]
	;; [unrolled: 5-line block ×3, first 2 shown]
	buffer_load_dword v95, off, s[0:3], 0 offset:180
	buffer_load_dword v94, off, s[0:3], 0 offset:176
	buffer_load_dword v99, off, s[0:3], 0 offset:188
	buffer_load_dword v98, off, s[0:3], 0 offset:184
	s_waitcnt vmcnt(2)
	v_fmac_f64_e32 v[90:91], v[94:95], v[96:97]
	ds_read2_b64 v[94:97], v92 offset0:67 offset1:68
	s_waitcnt vmcnt(0) lgkmcnt(0)
	v_fmac_f64_e32 v[90:91], v[98:99], v[94:95]
	buffer_load_dword v95, off, s[0:3], 0 offset:196
	buffer_load_dword v94, off, s[0:3], 0 offset:192
	buffer_load_dword v99, off, s[0:3], 0 offset:204
	buffer_load_dword v98, off, s[0:3], 0 offset:200
	s_waitcnt vmcnt(2)
	v_fmac_f64_e32 v[90:91], v[94:95], v[96:97]
	ds_read2_b64 v[94:97], v92 offset0:69 offset1:70
	s_waitcnt vmcnt(0) lgkmcnt(0)
	v_fmac_f64_e32 v[90:91], v[98:99], v[94:95]
	;; [unrolled: 9-line block ×9, first 2 shown]
	buffer_load_dword v95, off, s[0:3], 0 offset:324
	buffer_load_dword v94, off, s[0:3], 0 offset:320
	s_waitcnt vmcnt(0)
	v_fmac_f64_e32 v[90:91], v[94:95], v[96:97]
	buffer_load_dword v97, off, s[0:3], 0 offset:332
	buffer_load_dword v96, off, s[0:3], 0 offset:328
	ds_read2_b64 v[92:95], v92 offset0:85 offset1:86
	s_waitcnt vmcnt(0) lgkmcnt(0)
	v_fmac_f64_e32 v[90:91], v[96:97], v[92:93]
	buffer_load_dword v93, off, s[0:3], 0 offset:340
	buffer_load_dword v92, off, s[0:3], 0 offset:336
	s_waitcnt vmcnt(0)
	v_fmac_f64_e32 v[90:91], v[92:93], v[94:95]
	v_add_f64 v[88:89], v[88:89], -v[90:91]
	buffer_store_dword v89, off, s[0:3], 0 offset:116
	buffer_store_dword v88, off, s[0:3], 0 offset:112
	s_and_saveexec_b64 s[4:5], vcc
	s_cbranch_execz .LBB106_239
; %bb.238:
	buffer_load_dword v88, off, s[0:3], 0 offset:104
	buffer_load_dword v89, off, s[0:3], 0 offset:108
	v_mov_b32_e32 v90, 0
	buffer_store_dword v90, off, s[0:3], 0 offset:104
	buffer_store_dword v90, off, s[0:3], 0 offset:108
	s_waitcnt vmcnt(2)
	ds_write_b64 v1, v[88:89]
.LBB106_239:
	s_or_b64 exec, exec, s[4:5]
	s_waitcnt lgkmcnt(0)
	; wave barrier
	s_waitcnt lgkmcnt(0)
	buffer_load_dword v88, off, s[0:3], 0 offset:104
	buffer_load_dword v89, off, s[0:3], 0 offset:108
	;; [unrolled: 1-line block ×16, first 2 shown]
	v_mov_b32_e32 v92, 0
	ds_read_b128 v[94:97], v92 offset:464
	ds_read_b128 v[98:101], v92 offset:480
	;; [unrolled: 1-line block ×4, first 2 shown]
	v_cmp_lt_u32_e32 vcc, 12, v0
	s_waitcnt vmcnt(12) lgkmcnt(3)
	v_fma_f64 v[90:91], v[90:91], v[94:95], 0
	buffer_load_dword v95, off, s[0:3], 0 offset:172
	buffer_load_dword v94, off, s[0:3], 0 offset:168
	s_waitcnt vmcnt(12)
	v_fmac_f64_e32 v[90:91], v[110:111], v[96:97]
	s_waitcnt vmcnt(10) lgkmcnt(2)
	v_fmac_f64_e32 v[90:91], v[112:113], v[98:99]
	buffer_load_dword v99, off, s[0:3], 0 offset:180
	buffer_load_dword v98, off, s[0:3], 0 offset:176
	s_waitcnt vmcnt(10)
	v_fmac_f64_e32 v[90:91], v[114:115], v[100:101]
	s_waitcnt vmcnt(8) lgkmcnt(1)
	v_fmac_f64_e32 v[90:91], v[116:117], v[102:103]
	s_waitcnt vmcnt(6)
	v_fmac_f64_e32 v[90:91], v[118:119], v[104:105]
	s_waitcnt vmcnt(4) lgkmcnt(0)
	v_fmac_f64_e32 v[90:91], v[120:121], v[106:107]
	s_waitcnt vmcnt(2)
	v_fmac_f64_e32 v[90:91], v[94:95], v[108:109]
	ds_read_b128 v[94:97], v92 offset:528
	s_waitcnt vmcnt(0) lgkmcnt(0)
	v_fmac_f64_e32 v[90:91], v[98:99], v[94:95]
	buffer_load_dword v95, off, s[0:3], 0 offset:188
	buffer_load_dword v94, off, s[0:3], 0 offset:184
	buffer_load_dword v99, off, s[0:3], 0 offset:196
	buffer_load_dword v98, off, s[0:3], 0 offset:192
	s_waitcnt vmcnt(2)
	v_fmac_f64_e32 v[90:91], v[94:95], v[96:97]
	ds_read_b128 v[94:97], v92 offset:544
	s_waitcnt vmcnt(0) lgkmcnt(0)
	v_fmac_f64_e32 v[90:91], v[98:99], v[94:95]
	buffer_load_dword v95, off, s[0:3], 0 offset:204
	buffer_load_dword v94, off, s[0:3], 0 offset:200
	buffer_load_dword v99, off, s[0:3], 0 offset:212
	buffer_load_dword v98, off, s[0:3], 0 offset:208
	;; [unrolled: 9-line block ×9, first 2 shown]
	s_waitcnt vmcnt(2)
	v_fmac_f64_e32 v[90:91], v[94:95], v[96:97]
	ds_read_b128 v[94:97], v92 offset:672
	s_waitcnt vmcnt(0) lgkmcnt(0)
	v_fmac_f64_e32 v[90:91], v[98:99], v[94:95]
	buffer_load_dword v95, off, s[0:3], 0 offset:332
	buffer_load_dword v94, off, s[0:3], 0 offset:328
	s_waitcnt vmcnt(0)
	v_fmac_f64_e32 v[90:91], v[94:95], v[96:97]
	buffer_load_dword v95, off, s[0:3], 0 offset:340
	buffer_load_dword v94, off, s[0:3], 0 offset:336
	ds_read_b64 v[96:97], v92 offset:688
	s_waitcnt vmcnt(0) lgkmcnt(0)
	v_fmac_f64_e32 v[90:91], v[94:95], v[96:97]
	v_add_f64 v[88:89], v[88:89], -v[90:91]
	buffer_store_dword v89, off, s[0:3], 0 offset:108
	buffer_store_dword v88, off, s[0:3], 0 offset:104
	s_and_saveexec_b64 s[4:5], vcc
	s_cbranch_execz .LBB106_241
; %bb.240:
	buffer_load_dword v88, off, s[0:3], 0 offset:96
	buffer_load_dword v89, off, s[0:3], 0 offset:100
	s_waitcnt vmcnt(0)
	ds_write_b64 v1, v[88:89]
	buffer_store_dword v92, off, s[0:3], 0 offset:96
	buffer_store_dword v92, off, s[0:3], 0 offset:100
.LBB106_241:
	s_or_b64 exec, exec, s[4:5]
	s_waitcnt lgkmcnt(0)
	; wave barrier
	s_waitcnt lgkmcnt(0)
	buffer_load_dword v88, off, s[0:3], 0 offset:96
	buffer_load_dword v89, off, s[0:3], 0 offset:100
	;; [unrolled: 1-line block ×16, first 2 shown]
	ds_read2_b64 v[94:97], v92 offset0:57 offset1:58
	v_cmp_lt_u32_e32 vcc, 11, v0
	s_waitcnt vmcnt(12) lgkmcnt(0)
	v_fma_f64 v[90:91], v[90:91], v[94:95], 0
	s_waitcnt vmcnt(10)
	v_fmac_f64_e32 v[90:91], v[98:99], v[96:97]
	ds_read2_b64 v[94:97], v92 offset0:59 offset1:60
	s_waitcnt vmcnt(8) lgkmcnt(0)
	v_fmac_f64_e32 v[90:91], v[100:101], v[94:95]
	s_waitcnt vmcnt(6)
	v_fmac_f64_e32 v[90:91], v[102:103], v[96:97]
	ds_read2_b64 v[94:97], v92 offset0:61 offset1:62
	s_waitcnt vmcnt(4) lgkmcnt(0)
	v_fmac_f64_e32 v[90:91], v[104:105], v[94:95]
	;; [unrolled: 5-line block ×3, first 2 shown]
	buffer_load_dword v95, off, s[0:3], 0 offset:164
	buffer_load_dword v94, off, s[0:3], 0 offset:160
	buffer_load_dword v99, off, s[0:3], 0 offset:172
	buffer_load_dword v98, off, s[0:3], 0 offset:168
	s_waitcnt vmcnt(2)
	v_fmac_f64_e32 v[90:91], v[94:95], v[96:97]
	ds_read2_b64 v[94:97], v92 offset0:65 offset1:66
	s_waitcnt vmcnt(0) lgkmcnt(0)
	v_fmac_f64_e32 v[90:91], v[98:99], v[94:95]
	buffer_load_dword v95, off, s[0:3], 0 offset:180
	buffer_load_dword v94, off, s[0:3], 0 offset:176
	buffer_load_dword v99, off, s[0:3], 0 offset:188
	buffer_load_dword v98, off, s[0:3], 0 offset:184
	s_waitcnt vmcnt(2)
	v_fmac_f64_e32 v[90:91], v[94:95], v[96:97]
	ds_read2_b64 v[94:97], v92 offset0:67 offset1:68
	s_waitcnt vmcnt(0) lgkmcnt(0)
	v_fmac_f64_e32 v[90:91], v[98:99], v[94:95]
	;; [unrolled: 9-line block ×10, first 2 shown]
	buffer_load_dword v95, off, s[0:3], 0 offset:324
	buffer_load_dword v94, off, s[0:3], 0 offset:320
	s_waitcnt vmcnt(0)
	v_fmac_f64_e32 v[90:91], v[94:95], v[96:97]
	buffer_load_dword v97, off, s[0:3], 0 offset:332
	buffer_load_dword v96, off, s[0:3], 0 offset:328
	ds_read2_b64 v[92:95], v92 offset0:85 offset1:86
	s_waitcnt vmcnt(0) lgkmcnt(0)
	v_fmac_f64_e32 v[90:91], v[96:97], v[92:93]
	buffer_load_dword v93, off, s[0:3], 0 offset:340
	buffer_load_dword v92, off, s[0:3], 0 offset:336
	s_waitcnt vmcnt(0)
	v_fmac_f64_e32 v[90:91], v[92:93], v[94:95]
	v_add_f64 v[88:89], v[88:89], -v[90:91]
	buffer_store_dword v89, off, s[0:3], 0 offset:100
	buffer_store_dword v88, off, s[0:3], 0 offset:96
	s_and_saveexec_b64 s[4:5], vcc
	s_cbranch_execz .LBB106_243
; %bb.242:
	buffer_load_dword v88, off, s[0:3], 0 offset:88
	buffer_load_dword v89, off, s[0:3], 0 offset:92
	v_mov_b32_e32 v90, 0
	buffer_store_dword v90, off, s[0:3], 0 offset:88
	buffer_store_dword v90, off, s[0:3], 0 offset:92
	s_waitcnt vmcnt(2)
	ds_write_b64 v1, v[88:89]
.LBB106_243:
	s_or_b64 exec, exec, s[4:5]
	s_waitcnt lgkmcnt(0)
	; wave barrier
	s_waitcnt lgkmcnt(0)
	buffer_load_dword v88, off, s[0:3], 0 offset:88
	buffer_load_dword v89, off, s[0:3], 0 offset:92
	;; [unrolled: 1-line block ×16, first 2 shown]
	v_mov_b32_e32 v92, 0
	ds_read_b128 v[94:97], v92 offset:448
	ds_read_b128 v[98:101], v92 offset:464
	;; [unrolled: 1-line block ×4, first 2 shown]
	v_cmp_lt_u32_e32 vcc, 10, v0
	s_waitcnt vmcnt(12) lgkmcnt(3)
	v_fma_f64 v[90:91], v[90:91], v[94:95], 0
	buffer_load_dword v95, off, s[0:3], 0 offset:156
	buffer_load_dword v94, off, s[0:3], 0 offset:152
	s_waitcnt vmcnt(12)
	v_fmac_f64_e32 v[90:91], v[110:111], v[96:97]
	s_waitcnt vmcnt(10) lgkmcnt(2)
	v_fmac_f64_e32 v[90:91], v[112:113], v[98:99]
	buffer_load_dword v99, off, s[0:3], 0 offset:164
	buffer_load_dword v98, off, s[0:3], 0 offset:160
	s_waitcnt vmcnt(10)
	v_fmac_f64_e32 v[90:91], v[114:115], v[100:101]
	s_waitcnt vmcnt(8) lgkmcnt(1)
	v_fmac_f64_e32 v[90:91], v[116:117], v[102:103]
	s_waitcnt vmcnt(6)
	v_fmac_f64_e32 v[90:91], v[118:119], v[104:105]
	s_waitcnt vmcnt(4) lgkmcnt(0)
	v_fmac_f64_e32 v[90:91], v[120:121], v[106:107]
	s_waitcnt vmcnt(2)
	v_fmac_f64_e32 v[90:91], v[94:95], v[108:109]
	ds_read_b128 v[94:97], v92 offset:512
	s_waitcnt vmcnt(0) lgkmcnt(0)
	v_fmac_f64_e32 v[90:91], v[98:99], v[94:95]
	buffer_load_dword v95, off, s[0:3], 0 offset:172
	buffer_load_dword v94, off, s[0:3], 0 offset:168
	buffer_load_dword v99, off, s[0:3], 0 offset:180
	buffer_load_dword v98, off, s[0:3], 0 offset:176
	s_waitcnt vmcnt(2)
	v_fmac_f64_e32 v[90:91], v[94:95], v[96:97]
	ds_read_b128 v[94:97], v92 offset:528
	s_waitcnt vmcnt(0) lgkmcnt(0)
	v_fmac_f64_e32 v[90:91], v[98:99], v[94:95]
	buffer_load_dword v95, off, s[0:3], 0 offset:188
	buffer_load_dword v94, off, s[0:3], 0 offset:184
	buffer_load_dword v99, off, s[0:3], 0 offset:196
	buffer_load_dword v98, off, s[0:3], 0 offset:192
	;; [unrolled: 9-line block ×10, first 2 shown]
	s_waitcnt vmcnt(2)
	v_fmac_f64_e32 v[90:91], v[94:95], v[96:97]
	ds_read_b128 v[94:97], v92 offset:672
	s_waitcnt vmcnt(0) lgkmcnt(0)
	v_fmac_f64_e32 v[90:91], v[98:99], v[94:95]
	buffer_load_dword v95, off, s[0:3], 0 offset:332
	buffer_load_dword v94, off, s[0:3], 0 offset:328
	s_waitcnt vmcnt(0)
	v_fmac_f64_e32 v[90:91], v[94:95], v[96:97]
	buffer_load_dword v95, off, s[0:3], 0 offset:340
	buffer_load_dword v94, off, s[0:3], 0 offset:336
	ds_read_b64 v[96:97], v92 offset:688
	s_waitcnt vmcnt(0) lgkmcnt(0)
	v_fmac_f64_e32 v[90:91], v[94:95], v[96:97]
	v_add_f64 v[88:89], v[88:89], -v[90:91]
	buffer_store_dword v89, off, s[0:3], 0 offset:92
	buffer_store_dword v88, off, s[0:3], 0 offset:88
	s_and_saveexec_b64 s[4:5], vcc
	s_cbranch_execz .LBB106_245
; %bb.244:
	buffer_load_dword v88, off, s[0:3], 0 offset:80
	buffer_load_dword v89, off, s[0:3], 0 offset:84
	s_waitcnt vmcnt(0)
	ds_write_b64 v1, v[88:89]
	buffer_store_dword v92, off, s[0:3], 0 offset:80
	buffer_store_dword v92, off, s[0:3], 0 offset:84
.LBB106_245:
	s_or_b64 exec, exec, s[4:5]
	s_waitcnt lgkmcnt(0)
	; wave barrier
	s_waitcnt lgkmcnt(0)
	buffer_load_dword v88, off, s[0:3], 0 offset:80
	buffer_load_dword v89, off, s[0:3], 0 offset:84
	;; [unrolled: 1-line block ×16, first 2 shown]
	ds_read2_b64 v[94:97], v92 offset0:55 offset1:56
	v_cmp_lt_u32_e32 vcc, 9, v0
	s_waitcnt vmcnt(12) lgkmcnt(0)
	v_fma_f64 v[90:91], v[90:91], v[94:95], 0
	s_waitcnt vmcnt(10)
	v_fmac_f64_e32 v[90:91], v[98:99], v[96:97]
	ds_read2_b64 v[94:97], v92 offset0:57 offset1:58
	s_waitcnt vmcnt(8) lgkmcnt(0)
	v_fmac_f64_e32 v[90:91], v[100:101], v[94:95]
	s_waitcnt vmcnt(6)
	v_fmac_f64_e32 v[90:91], v[102:103], v[96:97]
	ds_read2_b64 v[94:97], v92 offset0:59 offset1:60
	s_waitcnt vmcnt(4) lgkmcnt(0)
	v_fmac_f64_e32 v[90:91], v[104:105], v[94:95]
	;; [unrolled: 5-line block ×3, first 2 shown]
	buffer_load_dword v95, off, s[0:3], 0 offset:148
	buffer_load_dword v94, off, s[0:3], 0 offset:144
	buffer_load_dword v99, off, s[0:3], 0 offset:156
	buffer_load_dword v98, off, s[0:3], 0 offset:152
	s_waitcnt vmcnt(2)
	v_fmac_f64_e32 v[90:91], v[94:95], v[96:97]
	ds_read2_b64 v[94:97], v92 offset0:63 offset1:64
	s_waitcnt vmcnt(0) lgkmcnt(0)
	v_fmac_f64_e32 v[90:91], v[98:99], v[94:95]
	buffer_load_dword v95, off, s[0:3], 0 offset:164
	buffer_load_dword v94, off, s[0:3], 0 offset:160
	buffer_load_dword v99, off, s[0:3], 0 offset:172
	buffer_load_dword v98, off, s[0:3], 0 offset:168
	s_waitcnt vmcnt(2)
	v_fmac_f64_e32 v[90:91], v[94:95], v[96:97]
	ds_read2_b64 v[94:97], v92 offset0:65 offset1:66
	s_waitcnt vmcnt(0) lgkmcnt(0)
	v_fmac_f64_e32 v[90:91], v[98:99], v[94:95]
	buffer_load_dword v95, off, s[0:3], 0 offset:180
	buffer_load_dword v94, off, s[0:3], 0 offset:176
	buffer_load_dword v99, off, s[0:3], 0 offset:188
	buffer_load_dword v98, off, s[0:3], 0 offset:184
	s_waitcnt vmcnt(2)
	v_fmac_f64_e32 v[90:91], v[94:95], v[96:97]
	ds_read2_b64 v[94:97], v92 offset0:67 offset1:68
	s_waitcnt vmcnt(0) lgkmcnt(0)
	v_fmac_f64_e32 v[90:91], v[98:99], v[94:95]
	buffer_load_dword v95, off, s[0:3], 0 offset:196
	buffer_load_dword v94, off, s[0:3], 0 offset:192
	buffer_load_dword v99, off, s[0:3], 0 offset:204
	buffer_load_dword v98, off, s[0:3], 0 offset:200
	s_waitcnt vmcnt(2)
	v_fmac_f64_e32 v[90:91], v[94:95], v[96:97]
	ds_read2_b64 v[94:97], v92 offset0:69 offset1:70
	s_waitcnt vmcnt(0) lgkmcnt(0)
	v_fmac_f64_e32 v[90:91], v[98:99], v[94:95]
	buffer_load_dword v95, off, s[0:3], 0 offset:212
	buffer_load_dword v94, off, s[0:3], 0 offset:208
	buffer_load_dword v99, off, s[0:3], 0 offset:220
	buffer_load_dword v98, off, s[0:3], 0 offset:216
	s_waitcnt vmcnt(2)
	v_fmac_f64_e32 v[90:91], v[94:95], v[96:97]
	ds_read2_b64 v[94:97], v92 offset0:71 offset1:72
	s_waitcnt vmcnt(0) lgkmcnt(0)
	v_fmac_f64_e32 v[90:91], v[98:99], v[94:95]
	buffer_load_dword v95, off, s[0:3], 0 offset:228
	buffer_load_dword v94, off, s[0:3], 0 offset:224
	buffer_load_dword v99, off, s[0:3], 0 offset:236
	buffer_load_dword v98, off, s[0:3], 0 offset:232
	s_waitcnt vmcnt(2)
	v_fmac_f64_e32 v[90:91], v[94:95], v[96:97]
	ds_read2_b64 v[94:97], v92 offset0:73 offset1:74
	s_waitcnt vmcnt(0) lgkmcnt(0)
	v_fmac_f64_e32 v[90:91], v[98:99], v[94:95]
	buffer_load_dword v95, off, s[0:3], 0 offset:244
	buffer_load_dword v94, off, s[0:3], 0 offset:240
	buffer_load_dword v99, off, s[0:3], 0 offset:252
	buffer_load_dword v98, off, s[0:3], 0 offset:248
	s_waitcnt vmcnt(2)
	v_fmac_f64_e32 v[90:91], v[94:95], v[96:97]
	ds_read2_b64 v[94:97], v92 offset0:75 offset1:76
	s_waitcnt vmcnt(0) lgkmcnt(0)
	v_fmac_f64_e32 v[90:91], v[98:99], v[94:95]
	buffer_load_dword v95, off, s[0:3], 0 offset:260
	buffer_load_dword v94, off, s[0:3], 0 offset:256
	buffer_load_dword v99, off, s[0:3], 0 offset:268
	buffer_load_dword v98, off, s[0:3], 0 offset:264
	s_waitcnt vmcnt(2)
	v_fmac_f64_e32 v[90:91], v[94:95], v[96:97]
	ds_read2_b64 v[94:97], v92 offset0:77 offset1:78
	s_waitcnt vmcnt(0) lgkmcnt(0)
	v_fmac_f64_e32 v[90:91], v[98:99], v[94:95]
	buffer_load_dword v95, off, s[0:3], 0 offset:276
	buffer_load_dword v94, off, s[0:3], 0 offset:272
	buffer_load_dword v99, off, s[0:3], 0 offset:284
	buffer_load_dword v98, off, s[0:3], 0 offset:280
	s_waitcnt vmcnt(2)
	v_fmac_f64_e32 v[90:91], v[94:95], v[96:97]
	ds_read2_b64 v[94:97], v92 offset0:79 offset1:80
	s_waitcnt vmcnt(0) lgkmcnt(0)
	v_fmac_f64_e32 v[90:91], v[98:99], v[94:95]
	buffer_load_dword v95, off, s[0:3], 0 offset:292
	buffer_load_dword v94, off, s[0:3], 0 offset:288
	buffer_load_dword v99, off, s[0:3], 0 offset:300
	buffer_load_dword v98, off, s[0:3], 0 offset:296
	s_waitcnt vmcnt(2)
	v_fmac_f64_e32 v[90:91], v[94:95], v[96:97]
	ds_read2_b64 v[94:97], v92 offset0:81 offset1:82
	s_waitcnt vmcnt(0) lgkmcnt(0)
	v_fmac_f64_e32 v[90:91], v[98:99], v[94:95]
	buffer_load_dword v95, off, s[0:3], 0 offset:308
	buffer_load_dword v94, off, s[0:3], 0 offset:304
	buffer_load_dword v99, off, s[0:3], 0 offset:316
	buffer_load_dword v98, off, s[0:3], 0 offset:312
	s_waitcnt vmcnt(2)
	v_fmac_f64_e32 v[90:91], v[94:95], v[96:97]
	ds_read2_b64 v[94:97], v92 offset0:83 offset1:84
	s_waitcnt vmcnt(0) lgkmcnt(0)
	v_fmac_f64_e32 v[90:91], v[98:99], v[94:95]
	buffer_load_dword v95, off, s[0:3], 0 offset:324
	buffer_load_dword v94, off, s[0:3], 0 offset:320
	s_waitcnt vmcnt(0)
	v_fmac_f64_e32 v[90:91], v[94:95], v[96:97]
	buffer_load_dword v97, off, s[0:3], 0 offset:332
	buffer_load_dword v96, off, s[0:3], 0 offset:328
	ds_read2_b64 v[92:95], v92 offset0:85 offset1:86
	s_waitcnt vmcnt(0) lgkmcnt(0)
	v_fmac_f64_e32 v[90:91], v[96:97], v[92:93]
	buffer_load_dword v93, off, s[0:3], 0 offset:340
	buffer_load_dword v92, off, s[0:3], 0 offset:336
	s_waitcnt vmcnt(0)
	v_fmac_f64_e32 v[90:91], v[92:93], v[94:95]
	v_add_f64 v[88:89], v[88:89], -v[90:91]
	buffer_store_dword v89, off, s[0:3], 0 offset:84
	buffer_store_dword v88, off, s[0:3], 0 offset:80
	s_and_saveexec_b64 s[4:5], vcc
	s_cbranch_execz .LBB106_247
; %bb.246:
	buffer_load_dword v88, off, s[0:3], 0 offset:72
	buffer_load_dword v89, off, s[0:3], 0 offset:76
	v_mov_b32_e32 v90, 0
	buffer_store_dword v90, off, s[0:3], 0 offset:72
	buffer_store_dword v90, off, s[0:3], 0 offset:76
	s_waitcnt vmcnt(2)
	ds_write_b64 v1, v[88:89]
.LBB106_247:
	s_or_b64 exec, exec, s[4:5]
	s_waitcnt lgkmcnt(0)
	; wave barrier
	s_waitcnt lgkmcnt(0)
	buffer_load_dword v88, off, s[0:3], 0 offset:72
	buffer_load_dword v89, off, s[0:3], 0 offset:76
	;; [unrolled: 1-line block ×16, first 2 shown]
	v_mov_b32_e32 v92, 0
	ds_read_b128 v[94:97], v92 offset:432
	ds_read_b128 v[98:101], v92 offset:448
	;; [unrolled: 1-line block ×4, first 2 shown]
	v_cmp_lt_u32_e32 vcc, 8, v0
	s_waitcnt vmcnt(12) lgkmcnt(3)
	v_fma_f64 v[90:91], v[90:91], v[94:95], 0
	buffer_load_dword v95, off, s[0:3], 0 offset:140
	buffer_load_dword v94, off, s[0:3], 0 offset:136
	s_waitcnt vmcnt(12)
	v_fmac_f64_e32 v[90:91], v[110:111], v[96:97]
	s_waitcnt vmcnt(10) lgkmcnt(2)
	v_fmac_f64_e32 v[90:91], v[112:113], v[98:99]
	buffer_load_dword v99, off, s[0:3], 0 offset:148
	buffer_load_dword v98, off, s[0:3], 0 offset:144
	s_waitcnt vmcnt(10)
	v_fmac_f64_e32 v[90:91], v[114:115], v[100:101]
	s_waitcnt vmcnt(8) lgkmcnt(1)
	v_fmac_f64_e32 v[90:91], v[116:117], v[102:103]
	s_waitcnt vmcnt(6)
	v_fmac_f64_e32 v[90:91], v[118:119], v[104:105]
	s_waitcnt vmcnt(4) lgkmcnt(0)
	v_fmac_f64_e32 v[90:91], v[120:121], v[106:107]
	s_waitcnt vmcnt(2)
	v_fmac_f64_e32 v[90:91], v[94:95], v[108:109]
	ds_read_b128 v[94:97], v92 offset:496
	s_waitcnt vmcnt(0) lgkmcnt(0)
	v_fmac_f64_e32 v[90:91], v[98:99], v[94:95]
	buffer_load_dword v95, off, s[0:3], 0 offset:156
	buffer_load_dword v94, off, s[0:3], 0 offset:152
	buffer_load_dword v99, off, s[0:3], 0 offset:164
	buffer_load_dword v98, off, s[0:3], 0 offset:160
	s_waitcnt vmcnt(2)
	v_fmac_f64_e32 v[90:91], v[94:95], v[96:97]
	ds_read_b128 v[94:97], v92 offset:512
	s_waitcnt vmcnt(0) lgkmcnt(0)
	v_fmac_f64_e32 v[90:91], v[98:99], v[94:95]
	buffer_load_dword v95, off, s[0:3], 0 offset:172
	buffer_load_dword v94, off, s[0:3], 0 offset:168
	buffer_load_dword v99, off, s[0:3], 0 offset:180
	buffer_load_dword v98, off, s[0:3], 0 offset:176
	s_waitcnt vmcnt(2)
	v_fmac_f64_e32 v[90:91], v[94:95], v[96:97]
	ds_read_b128 v[94:97], v92 offset:528
	s_waitcnt vmcnt(0) lgkmcnt(0)
	v_fmac_f64_e32 v[90:91], v[98:99], v[94:95]
	buffer_load_dword v95, off, s[0:3], 0 offset:188
	buffer_load_dword v94, off, s[0:3], 0 offset:184
	buffer_load_dword v99, off, s[0:3], 0 offset:196
	buffer_load_dword v98, off, s[0:3], 0 offset:192
	s_waitcnt vmcnt(2)
	v_fmac_f64_e32 v[90:91], v[94:95], v[96:97]
	ds_read_b128 v[94:97], v92 offset:544
	s_waitcnt vmcnt(0) lgkmcnt(0)
	v_fmac_f64_e32 v[90:91], v[98:99], v[94:95]
	buffer_load_dword v95, off, s[0:3], 0 offset:204
	buffer_load_dword v94, off, s[0:3], 0 offset:200
	buffer_load_dword v99, off, s[0:3], 0 offset:212
	buffer_load_dword v98, off, s[0:3], 0 offset:208
	s_waitcnt vmcnt(2)
	v_fmac_f64_e32 v[90:91], v[94:95], v[96:97]
	ds_read_b128 v[94:97], v92 offset:560
	s_waitcnt vmcnt(0) lgkmcnt(0)
	v_fmac_f64_e32 v[90:91], v[98:99], v[94:95]
	buffer_load_dword v95, off, s[0:3], 0 offset:220
	buffer_load_dword v94, off, s[0:3], 0 offset:216
	buffer_load_dword v99, off, s[0:3], 0 offset:228
	buffer_load_dword v98, off, s[0:3], 0 offset:224
	s_waitcnt vmcnt(2)
	v_fmac_f64_e32 v[90:91], v[94:95], v[96:97]
	ds_read_b128 v[94:97], v92 offset:576
	s_waitcnt vmcnt(0) lgkmcnt(0)
	v_fmac_f64_e32 v[90:91], v[98:99], v[94:95]
	buffer_load_dword v95, off, s[0:3], 0 offset:236
	buffer_load_dword v94, off, s[0:3], 0 offset:232
	buffer_load_dword v99, off, s[0:3], 0 offset:244
	buffer_load_dword v98, off, s[0:3], 0 offset:240
	s_waitcnt vmcnt(2)
	v_fmac_f64_e32 v[90:91], v[94:95], v[96:97]
	ds_read_b128 v[94:97], v92 offset:592
	s_waitcnt vmcnt(0) lgkmcnt(0)
	v_fmac_f64_e32 v[90:91], v[98:99], v[94:95]
	buffer_load_dword v95, off, s[0:3], 0 offset:252
	buffer_load_dword v94, off, s[0:3], 0 offset:248
	buffer_load_dword v99, off, s[0:3], 0 offset:260
	buffer_load_dword v98, off, s[0:3], 0 offset:256
	s_waitcnt vmcnt(2)
	v_fmac_f64_e32 v[90:91], v[94:95], v[96:97]
	ds_read_b128 v[94:97], v92 offset:608
	s_waitcnt vmcnt(0) lgkmcnt(0)
	v_fmac_f64_e32 v[90:91], v[98:99], v[94:95]
	buffer_load_dword v95, off, s[0:3], 0 offset:268
	buffer_load_dword v94, off, s[0:3], 0 offset:264
	buffer_load_dword v99, off, s[0:3], 0 offset:276
	buffer_load_dword v98, off, s[0:3], 0 offset:272
	s_waitcnt vmcnt(2)
	v_fmac_f64_e32 v[90:91], v[94:95], v[96:97]
	ds_read_b128 v[94:97], v92 offset:624
	s_waitcnt vmcnt(0) lgkmcnt(0)
	v_fmac_f64_e32 v[90:91], v[98:99], v[94:95]
	buffer_load_dword v95, off, s[0:3], 0 offset:284
	buffer_load_dword v94, off, s[0:3], 0 offset:280
	buffer_load_dword v99, off, s[0:3], 0 offset:292
	buffer_load_dword v98, off, s[0:3], 0 offset:288
	s_waitcnt vmcnt(2)
	v_fmac_f64_e32 v[90:91], v[94:95], v[96:97]
	ds_read_b128 v[94:97], v92 offset:640
	s_waitcnt vmcnt(0) lgkmcnt(0)
	v_fmac_f64_e32 v[90:91], v[98:99], v[94:95]
	buffer_load_dword v95, off, s[0:3], 0 offset:300
	buffer_load_dword v94, off, s[0:3], 0 offset:296
	buffer_load_dword v99, off, s[0:3], 0 offset:308
	buffer_load_dword v98, off, s[0:3], 0 offset:304
	s_waitcnt vmcnt(2)
	v_fmac_f64_e32 v[90:91], v[94:95], v[96:97]
	ds_read_b128 v[94:97], v92 offset:656
	s_waitcnt vmcnt(0) lgkmcnt(0)
	v_fmac_f64_e32 v[90:91], v[98:99], v[94:95]
	buffer_load_dword v95, off, s[0:3], 0 offset:316
	buffer_load_dword v94, off, s[0:3], 0 offset:312
	buffer_load_dword v99, off, s[0:3], 0 offset:324
	buffer_load_dword v98, off, s[0:3], 0 offset:320
	s_waitcnt vmcnt(2)
	v_fmac_f64_e32 v[90:91], v[94:95], v[96:97]
	ds_read_b128 v[94:97], v92 offset:672
	s_waitcnt vmcnt(0) lgkmcnt(0)
	v_fmac_f64_e32 v[90:91], v[98:99], v[94:95]
	buffer_load_dword v95, off, s[0:3], 0 offset:332
	buffer_load_dword v94, off, s[0:3], 0 offset:328
	s_waitcnt vmcnt(0)
	v_fmac_f64_e32 v[90:91], v[94:95], v[96:97]
	buffer_load_dword v95, off, s[0:3], 0 offset:340
	buffer_load_dword v94, off, s[0:3], 0 offset:336
	ds_read_b64 v[96:97], v92 offset:688
	s_waitcnt vmcnt(0) lgkmcnt(0)
	v_fmac_f64_e32 v[90:91], v[94:95], v[96:97]
	v_add_f64 v[88:89], v[88:89], -v[90:91]
	buffer_store_dword v89, off, s[0:3], 0 offset:76
	buffer_store_dword v88, off, s[0:3], 0 offset:72
	s_and_saveexec_b64 s[4:5], vcc
	s_cbranch_execz .LBB106_249
; %bb.248:
	buffer_load_dword v88, off, s[0:3], 0 offset:64
	buffer_load_dword v89, off, s[0:3], 0 offset:68
	s_waitcnt vmcnt(0)
	ds_write_b64 v1, v[88:89]
	buffer_store_dword v92, off, s[0:3], 0 offset:64
	buffer_store_dword v92, off, s[0:3], 0 offset:68
.LBB106_249:
	s_or_b64 exec, exec, s[4:5]
	s_waitcnt lgkmcnt(0)
	; wave barrier
	s_waitcnt lgkmcnt(0)
	buffer_load_dword v88, off, s[0:3], 0 offset:64
	buffer_load_dword v89, off, s[0:3], 0 offset:68
	;; [unrolled: 1-line block ×16, first 2 shown]
	ds_read2_b64 v[94:97], v92 offset0:53 offset1:54
	v_cmp_lt_u32_e32 vcc, 7, v0
	s_waitcnt vmcnt(12) lgkmcnt(0)
	v_fma_f64 v[90:91], v[90:91], v[94:95], 0
	s_waitcnt vmcnt(10)
	v_fmac_f64_e32 v[90:91], v[98:99], v[96:97]
	ds_read2_b64 v[94:97], v92 offset0:55 offset1:56
	s_waitcnt vmcnt(8) lgkmcnt(0)
	v_fmac_f64_e32 v[90:91], v[100:101], v[94:95]
	s_waitcnt vmcnt(6)
	v_fmac_f64_e32 v[90:91], v[102:103], v[96:97]
	ds_read2_b64 v[94:97], v92 offset0:57 offset1:58
	s_waitcnt vmcnt(4) lgkmcnt(0)
	v_fmac_f64_e32 v[90:91], v[104:105], v[94:95]
	;; [unrolled: 5-line block ×3, first 2 shown]
	buffer_load_dword v95, off, s[0:3], 0 offset:132
	buffer_load_dword v94, off, s[0:3], 0 offset:128
	buffer_load_dword v99, off, s[0:3], 0 offset:140
	buffer_load_dword v98, off, s[0:3], 0 offset:136
	s_waitcnt vmcnt(2)
	v_fmac_f64_e32 v[90:91], v[94:95], v[96:97]
	ds_read2_b64 v[94:97], v92 offset0:61 offset1:62
	s_waitcnt vmcnt(0) lgkmcnt(0)
	v_fmac_f64_e32 v[90:91], v[98:99], v[94:95]
	buffer_load_dword v95, off, s[0:3], 0 offset:148
	buffer_load_dword v94, off, s[0:3], 0 offset:144
	buffer_load_dword v99, off, s[0:3], 0 offset:156
	buffer_load_dword v98, off, s[0:3], 0 offset:152
	s_waitcnt vmcnt(2)
	v_fmac_f64_e32 v[90:91], v[94:95], v[96:97]
	ds_read2_b64 v[94:97], v92 offset0:63 offset1:64
	s_waitcnt vmcnt(0) lgkmcnt(0)
	v_fmac_f64_e32 v[90:91], v[98:99], v[94:95]
	;; [unrolled: 9-line block ×12, first 2 shown]
	buffer_load_dword v95, off, s[0:3], 0 offset:324
	buffer_load_dword v94, off, s[0:3], 0 offset:320
	s_waitcnt vmcnt(0)
	v_fmac_f64_e32 v[90:91], v[94:95], v[96:97]
	buffer_load_dword v97, off, s[0:3], 0 offset:332
	buffer_load_dword v96, off, s[0:3], 0 offset:328
	ds_read2_b64 v[92:95], v92 offset0:85 offset1:86
	s_waitcnt vmcnt(0) lgkmcnt(0)
	v_fmac_f64_e32 v[90:91], v[96:97], v[92:93]
	buffer_load_dword v93, off, s[0:3], 0 offset:340
	buffer_load_dword v92, off, s[0:3], 0 offset:336
	s_waitcnt vmcnt(0)
	v_fmac_f64_e32 v[90:91], v[92:93], v[94:95]
	v_add_f64 v[88:89], v[88:89], -v[90:91]
	buffer_store_dword v89, off, s[0:3], 0 offset:68
	buffer_store_dword v88, off, s[0:3], 0 offset:64
	s_and_saveexec_b64 s[4:5], vcc
	s_cbranch_execz .LBB106_251
; %bb.250:
	buffer_load_dword v88, off, s[0:3], 0 offset:56
	buffer_load_dword v89, off, s[0:3], 0 offset:60
	v_mov_b32_e32 v90, 0
	buffer_store_dword v90, off, s[0:3], 0 offset:56
	buffer_store_dword v90, off, s[0:3], 0 offset:60
	s_waitcnt vmcnt(2)
	ds_write_b64 v1, v[88:89]
.LBB106_251:
	s_or_b64 exec, exec, s[4:5]
	s_waitcnt lgkmcnt(0)
	; wave barrier
	s_waitcnt lgkmcnt(0)
	buffer_load_dword v88, off, s[0:3], 0 offset:56
	buffer_load_dword v89, off, s[0:3], 0 offset:60
	;; [unrolled: 1-line block ×16, first 2 shown]
	v_mov_b32_e32 v92, 0
	ds_read_b128 v[94:97], v92 offset:416
	ds_read_b128 v[98:101], v92 offset:432
	;; [unrolled: 1-line block ×4, first 2 shown]
	v_cmp_lt_u32_e32 vcc, 6, v0
	s_waitcnt vmcnt(12) lgkmcnt(3)
	v_fma_f64 v[90:91], v[90:91], v[94:95], 0
	buffer_load_dword v95, off, s[0:3], 0 offset:124
	buffer_load_dword v94, off, s[0:3], 0 offset:120
	s_waitcnt vmcnt(12)
	v_fmac_f64_e32 v[90:91], v[110:111], v[96:97]
	s_waitcnt vmcnt(10) lgkmcnt(2)
	v_fmac_f64_e32 v[90:91], v[112:113], v[98:99]
	buffer_load_dword v99, off, s[0:3], 0 offset:132
	buffer_load_dword v98, off, s[0:3], 0 offset:128
	s_waitcnt vmcnt(10)
	v_fmac_f64_e32 v[90:91], v[114:115], v[100:101]
	s_waitcnt vmcnt(8) lgkmcnt(1)
	v_fmac_f64_e32 v[90:91], v[116:117], v[102:103]
	s_waitcnt vmcnt(6)
	v_fmac_f64_e32 v[90:91], v[118:119], v[104:105]
	s_waitcnt vmcnt(4) lgkmcnt(0)
	v_fmac_f64_e32 v[90:91], v[120:121], v[106:107]
	s_waitcnt vmcnt(2)
	v_fmac_f64_e32 v[90:91], v[94:95], v[108:109]
	ds_read_b128 v[94:97], v92 offset:480
	s_waitcnt vmcnt(0) lgkmcnt(0)
	v_fmac_f64_e32 v[90:91], v[98:99], v[94:95]
	buffer_load_dword v95, off, s[0:3], 0 offset:140
	buffer_load_dword v94, off, s[0:3], 0 offset:136
	buffer_load_dword v99, off, s[0:3], 0 offset:148
	buffer_load_dword v98, off, s[0:3], 0 offset:144
	s_waitcnt vmcnt(2)
	v_fmac_f64_e32 v[90:91], v[94:95], v[96:97]
	ds_read_b128 v[94:97], v92 offset:496
	s_waitcnt vmcnt(0) lgkmcnt(0)
	v_fmac_f64_e32 v[90:91], v[98:99], v[94:95]
	buffer_load_dword v95, off, s[0:3], 0 offset:156
	buffer_load_dword v94, off, s[0:3], 0 offset:152
	buffer_load_dword v99, off, s[0:3], 0 offset:164
	buffer_load_dword v98, off, s[0:3], 0 offset:160
	;; [unrolled: 9-line block ×12, first 2 shown]
	s_waitcnt vmcnt(2)
	v_fmac_f64_e32 v[90:91], v[94:95], v[96:97]
	ds_read_b128 v[94:97], v92 offset:672
	s_waitcnt vmcnt(0) lgkmcnt(0)
	v_fmac_f64_e32 v[90:91], v[98:99], v[94:95]
	buffer_load_dword v95, off, s[0:3], 0 offset:332
	buffer_load_dword v94, off, s[0:3], 0 offset:328
	s_waitcnt vmcnt(0)
	v_fmac_f64_e32 v[90:91], v[94:95], v[96:97]
	buffer_load_dword v95, off, s[0:3], 0 offset:340
	buffer_load_dword v94, off, s[0:3], 0 offset:336
	ds_read_b64 v[96:97], v92 offset:688
	s_waitcnt vmcnt(0) lgkmcnt(0)
	v_fmac_f64_e32 v[90:91], v[94:95], v[96:97]
	v_add_f64 v[88:89], v[88:89], -v[90:91]
	buffer_store_dword v89, off, s[0:3], 0 offset:60
	buffer_store_dword v88, off, s[0:3], 0 offset:56
	s_and_saveexec_b64 s[4:5], vcc
	s_cbranch_execz .LBB106_253
; %bb.252:
	buffer_load_dword v88, off, s[0:3], 0 offset:48
	buffer_load_dword v89, off, s[0:3], 0 offset:52
	s_waitcnt vmcnt(0)
	ds_write_b64 v1, v[88:89]
	buffer_store_dword v92, off, s[0:3], 0 offset:48
	buffer_store_dword v92, off, s[0:3], 0 offset:52
.LBB106_253:
	s_or_b64 exec, exec, s[4:5]
	s_waitcnt lgkmcnt(0)
	; wave barrier
	s_waitcnt lgkmcnt(0)
	buffer_load_dword v88, off, s[0:3], 0 offset:48
	buffer_load_dword v89, off, s[0:3], 0 offset:52
	;; [unrolled: 1-line block ×16, first 2 shown]
	ds_read2_b64 v[94:97], v92 offset0:51 offset1:52
	v_cmp_lt_u32_e32 vcc, 5, v0
	s_waitcnt vmcnt(12) lgkmcnt(0)
	v_fma_f64 v[90:91], v[90:91], v[94:95], 0
	s_waitcnt vmcnt(10)
	v_fmac_f64_e32 v[90:91], v[98:99], v[96:97]
	ds_read2_b64 v[94:97], v92 offset0:53 offset1:54
	s_waitcnt vmcnt(8) lgkmcnt(0)
	v_fmac_f64_e32 v[90:91], v[100:101], v[94:95]
	s_waitcnt vmcnt(6)
	v_fmac_f64_e32 v[90:91], v[102:103], v[96:97]
	ds_read2_b64 v[94:97], v92 offset0:55 offset1:56
	s_waitcnt vmcnt(4) lgkmcnt(0)
	v_fmac_f64_e32 v[90:91], v[104:105], v[94:95]
	;; [unrolled: 5-line block ×3, first 2 shown]
	buffer_load_dword v95, off, s[0:3], 0 offset:116
	buffer_load_dword v94, off, s[0:3], 0 offset:112
	buffer_load_dword v99, off, s[0:3], 0 offset:124
	buffer_load_dword v98, off, s[0:3], 0 offset:120
	s_waitcnt vmcnt(2)
	v_fmac_f64_e32 v[90:91], v[94:95], v[96:97]
	ds_read2_b64 v[94:97], v92 offset0:59 offset1:60
	s_waitcnt vmcnt(0) lgkmcnt(0)
	v_fmac_f64_e32 v[90:91], v[98:99], v[94:95]
	buffer_load_dword v95, off, s[0:3], 0 offset:132
	buffer_load_dword v94, off, s[0:3], 0 offset:128
	buffer_load_dword v99, off, s[0:3], 0 offset:140
	buffer_load_dword v98, off, s[0:3], 0 offset:136
	s_waitcnt vmcnt(2)
	v_fmac_f64_e32 v[90:91], v[94:95], v[96:97]
	ds_read2_b64 v[94:97], v92 offset0:61 offset1:62
	s_waitcnt vmcnt(0) lgkmcnt(0)
	v_fmac_f64_e32 v[90:91], v[98:99], v[94:95]
	;; [unrolled: 9-line block ×13, first 2 shown]
	buffer_load_dword v95, off, s[0:3], 0 offset:324
	buffer_load_dword v94, off, s[0:3], 0 offset:320
	s_waitcnt vmcnt(0)
	v_fmac_f64_e32 v[90:91], v[94:95], v[96:97]
	buffer_load_dword v97, off, s[0:3], 0 offset:332
	buffer_load_dword v96, off, s[0:3], 0 offset:328
	ds_read2_b64 v[92:95], v92 offset0:85 offset1:86
	s_waitcnt vmcnt(0) lgkmcnt(0)
	v_fmac_f64_e32 v[90:91], v[96:97], v[92:93]
	buffer_load_dword v93, off, s[0:3], 0 offset:340
	buffer_load_dword v92, off, s[0:3], 0 offset:336
	s_waitcnt vmcnt(0)
	v_fmac_f64_e32 v[90:91], v[92:93], v[94:95]
	v_add_f64 v[88:89], v[88:89], -v[90:91]
	buffer_store_dword v89, off, s[0:3], 0 offset:52
	buffer_store_dword v88, off, s[0:3], 0 offset:48
	s_and_saveexec_b64 s[4:5], vcc
	s_cbranch_execz .LBB106_255
; %bb.254:
	buffer_load_dword v88, off, s[0:3], 0 offset:40
	buffer_load_dword v89, off, s[0:3], 0 offset:44
	v_mov_b32_e32 v90, 0
	buffer_store_dword v90, off, s[0:3], 0 offset:40
	buffer_store_dword v90, off, s[0:3], 0 offset:44
	s_waitcnt vmcnt(2)
	ds_write_b64 v1, v[88:89]
.LBB106_255:
	s_or_b64 exec, exec, s[4:5]
	s_waitcnt lgkmcnt(0)
	; wave barrier
	s_waitcnt lgkmcnt(0)
	buffer_load_dword v88, off, s[0:3], 0 offset:40
	buffer_load_dword v89, off, s[0:3], 0 offset:44
	;; [unrolled: 1-line block ×16, first 2 shown]
	v_mov_b32_e32 v92, 0
	ds_read_b128 v[94:97], v92 offset:400
	ds_read_b128 v[98:101], v92 offset:416
	;; [unrolled: 1-line block ×4, first 2 shown]
	v_cmp_lt_u32_e32 vcc, 4, v0
	s_waitcnt vmcnt(12) lgkmcnt(3)
	v_fma_f64 v[90:91], v[90:91], v[94:95], 0
	buffer_load_dword v95, off, s[0:3], 0 offset:108
	buffer_load_dword v94, off, s[0:3], 0 offset:104
	s_waitcnt vmcnt(12)
	v_fmac_f64_e32 v[90:91], v[110:111], v[96:97]
	s_waitcnt vmcnt(10) lgkmcnt(2)
	v_fmac_f64_e32 v[90:91], v[112:113], v[98:99]
	buffer_load_dword v99, off, s[0:3], 0 offset:116
	buffer_load_dword v98, off, s[0:3], 0 offset:112
	s_waitcnt vmcnt(10)
	v_fmac_f64_e32 v[90:91], v[114:115], v[100:101]
	s_waitcnt vmcnt(8) lgkmcnt(1)
	v_fmac_f64_e32 v[90:91], v[116:117], v[102:103]
	s_waitcnt vmcnt(6)
	v_fmac_f64_e32 v[90:91], v[118:119], v[104:105]
	s_waitcnt vmcnt(4) lgkmcnt(0)
	v_fmac_f64_e32 v[90:91], v[120:121], v[106:107]
	s_waitcnt vmcnt(2)
	v_fmac_f64_e32 v[90:91], v[94:95], v[108:109]
	ds_read_b128 v[94:97], v92 offset:464
	s_waitcnt vmcnt(0) lgkmcnt(0)
	v_fmac_f64_e32 v[90:91], v[98:99], v[94:95]
	buffer_load_dword v95, off, s[0:3], 0 offset:124
	buffer_load_dword v94, off, s[0:3], 0 offset:120
	buffer_load_dword v99, off, s[0:3], 0 offset:132
	buffer_load_dword v98, off, s[0:3], 0 offset:128
	s_waitcnt vmcnt(2)
	v_fmac_f64_e32 v[90:91], v[94:95], v[96:97]
	ds_read_b128 v[94:97], v92 offset:480
	s_waitcnt vmcnt(0) lgkmcnt(0)
	v_fmac_f64_e32 v[90:91], v[98:99], v[94:95]
	buffer_load_dword v95, off, s[0:3], 0 offset:140
	buffer_load_dword v94, off, s[0:3], 0 offset:136
	buffer_load_dword v99, off, s[0:3], 0 offset:148
	buffer_load_dword v98, off, s[0:3], 0 offset:144
	s_waitcnt vmcnt(2)
	v_fmac_f64_e32 v[90:91], v[94:95], v[96:97]
	ds_read_b128 v[94:97], v92 offset:496
	s_waitcnt vmcnt(0) lgkmcnt(0)
	v_fmac_f64_e32 v[90:91], v[98:99], v[94:95]
	buffer_load_dword v95, off, s[0:3], 0 offset:156
	buffer_load_dword v94, off, s[0:3], 0 offset:152
	buffer_load_dword v99, off, s[0:3], 0 offset:164
	buffer_load_dword v98, off, s[0:3], 0 offset:160
	s_waitcnt vmcnt(2)
	v_fmac_f64_e32 v[90:91], v[94:95], v[96:97]
	ds_read_b128 v[94:97], v92 offset:512
	s_waitcnt vmcnt(0) lgkmcnt(0)
	v_fmac_f64_e32 v[90:91], v[98:99], v[94:95]
	buffer_load_dword v95, off, s[0:3], 0 offset:172
	buffer_load_dword v94, off, s[0:3], 0 offset:168
	buffer_load_dword v99, off, s[0:3], 0 offset:180
	buffer_load_dword v98, off, s[0:3], 0 offset:176
	s_waitcnt vmcnt(2)
	v_fmac_f64_e32 v[90:91], v[94:95], v[96:97]
	ds_read_b128 v[94:97], v92 offset:528
	s_waitcnt vmcnt(0) lgkmcnt(0)
	v_fmac_f64_e32 v[90:91], v[98:99], v[94:95]
	buffer_load_dword v95, off, s[0:3], 0 offset:188
	buffer_load_dword v94, off, s[0:3], 0 offset:184
	buffer_load_dword v99, off, s[0:3], 0 offset:196
	buffer_load_dword v98, off, s[0:3], 0 offset:192
	s_waitcnt vmcnt(2)
	v_fmac_f64_e32 v[90:91], v[94:95], v[96:97]
	ds_read_b128 v[94:97], v92 offset:544
	s_waitcnt vmcnt(0) lgkmcnt(0)
	v_fmac_f64_e32 v[90:91], v[98:99], v[94:95]
	buffer_load_dword v95, off, s[0:3], 0 offset:204
	buffer_load_dword v94, off, s[0:3], 0 offset:200
	buffer_load_dword v99, off, s[0:3], 0 offset:212
	buffer_load_dword v98, off, s[0:3], 0 offset:208
	s_waitcnt vmcnt(2)
	v_fmac_f64_e32 v[90:91], v[94:95], v[96:97]
	ds_read_b128 v[94:97], v92 offset:560
	s_waitcnt vmcnt(0) lgkmcnt(0)
	v_fmac_f64_e32 v[90:91], v[98:99], v[94:95]
	buffer_load_dword v95, off, s[0:3], 0 offset:220
	buffer_load_dword v94, off, s[0:3], 0 offset:216
	buffer_load_dword v99, off, s[0:3], 0 offset:228
	buffer_load_dword v98, off, s[0:3], 0 offset:224
	s_waitcnt vmcnt(2)
	v_fmac_f64_e32 v[90:91], v[94:95], v[96:97]
	ds_read_b128 v[94:97], v92 offset:576
	s_waitcnt vmcnt(0) lgkmcnt(0)
	v_fmac_f64_e32 v[90:91], v[98:99], v[94:95]
	buffer_load_dword v95, off, s[0:3], 0 offset:236
	buffer_load_dword v94, off, s[0:3], 0 offset:232
	buffer_load_dword v99, off, s[0:3], 0 offset:244
	buffer_load_dword v98, off, s[0:3], 0 offset:240
	s_waitcnt vmcnt(2)
	v_fmac_f64_e32 v[90:91], v[94:95], v[96:97]
	ds_read_b128 v[94:97], v92 offset:592
	s_waitcnt vmcnt(0) lgkmcnt(0)
	v_fmac_f64_e32 v[90:91], v[98:99], v[94:95]
	buffer_load_dword v95, off, s[0:3], 0 offset:252
	buffer_load_dword v94, off, s[0:3], 0 offset:248
	buffer_load_dword v99, off, s[0:3], 0 offset:260
	buffer_load_dword v98, off, s[0:3], 0 offset:256
	s_waitcnt vmcnt(2)
	v_fmac_f64_e32 v[90:91], v[94:95], v[96:97]
	ds_read_b128 v[94:97], v92 offset:608
	s_waitcnt vmcnt(0) lgkmcnt(0)
	v_fmac_f64_e32 v[90:91], v[98:99], v[94:95]
	buffer_load_dword v95, off, s[0:3], 0 offset:268
	buffer_load_dword v94, off, s[0:3], 0 offset:264
	buffer_load_dword v99, off, s[0:3], 0 offset:276
	buffer_load_dword v98, off, s[0:3], 0 offset:272
	s_waitcnt vmcnt(2)
	v_fmac_f64_e32 v[90:91], v[94:95], v[96:97]
	ds_read_b128 v[94:97], v92 offset:624
	s_waitcnt vmcnt(0) lgkmcnt(0)
	v_fmac_f64_e32 v[90:91], v[98:99], v[94:95]
	buffer_load_dword v95, off, s[0:3], 0 offset:284
	buffer_load_dword v94, off, s[0:3], 0 offset:280
	buffer_load_dword v99, off, s[0:3], 0 offset:292
	buffer_load_dword v98, off, s[0:3], 0 offset:288
	s_waitcnt vmcnt(2)
	v_fmac_f64_e32 v[90:91], v[94:95], v[96:97]
	ds_read_b128 v[94:97], v92 offset:640
	s_waitcnt vmcnt(0) lgkmcnt(0)
	v_fmac_f64_e32 v[90:91], v[98:99], v[94:95]
	buffer_load_dword v95, off, s[0:3], 0 offset:300
	buffer_load_dword v94, off, s[0:3], 0 offset:296
	buffer_load_dword v99, off, s[0:3], 0 offset:308
	buffer_load_dword v98, off, s[0:3], 0 offset:304
	s_waitcnt vmcnt(2)
	v_fmac_f64_e32 v[90:91], v[94:95], v[96:97]
	ds_read_b128 v[94:97], v92 offset:656
	s_waitcnt vmcnt(0) lgkmcnt(0)
	v_fmac_f64_e32 v[90:91], v[98:99], v[94:95]
	buffer_load_dword v95, off, s[0:3], 0 offset:316
	buffer_load_dword v94, off, s[0:3], 0 offset:312
	buffer_load_dword v99, off, s[0:3], 0 offset:324
	buffer_load_dword v98, off, s[0:3], 0 offset:320
	s_waitcnt vmcnt(2)
	v_fmac_f64_e32 v[90:91], v[94:95], v[96:97]
	ds_read_b128 v[94:97], v92 offset:672
	s_waitcnt vmcnt(0) lgkmcnt(0)
	v_fmac_f64_e32 v[90:91], v[98:99], v[94:95]
	buffer_load_dword v95, off, s[0:3], 0 offset:332
	buffer_load_dword v94, off, s[0:3], 0 offset:328
	s_waitcnt vmcnt(0)
	v_fmac_f64_e32 v[90:91], v[94:95], v[96:97]
	buffer_load_dword v95, off, s[0:3], 0 offset:340
	buffer_load_dword v94, off, s[0:3], 0 offset:336
	ds_read_b64 v[96:97], v92 offset:688
	s_waitcnt vmcnt(0) lgkmcnt(0)
	v_fmac_f64_e32 v[90:91], v[94:95], v[96:97]
	v_add_f64 v[88:89], v[88:89], -v[90:91]
	buffer_store_dword v89, off, s[0:3], 0 offset:44
	buffer_store_dword v88, off, s[0:3], 0 offset:40
	s_and_saveexec_b64 s[4:5], vcc
	s_cbranch_execz .LBB106_257
; %bb.256:
	buffer_load_dword v88, off, s[0:3], 0 offset:32
	buffer_load_dword v89, off, s[0:3], 0 offset:36
	s_waitcnt vmcnt(0)
	ds_write_b64 v1, v[88:89]
	buffer_store_dword v92, off, s[0:3], 0 offset:32
	buffer_store_dword v92, off, s[0:3], 0 offset:36
.LBB106_257:
	s_or_b64 exec, exec, s[4:5]
	s_waitcnt lgkmcnt(0)
	; wave barrier
	s_waitcnt lgkmcnt(0)
	buffer_load_dword v88, off, s[0:3], 0 offset:32
	buffer_load_dword v89, off, s[0:3], 0 offset:36
	;; [unrolled: 1-line block ×16, first 2 shown]
	ds_read2_b64 v[94:97], v92 offset0:49 offset1:50
	v_cmp_lt_u32_e32 vcc, 3, v0
	s_waitcnt vmcnt(12) lgkmcnt(0)
	v_fma_f64 v[90:91], v[90:91], v[94:95], 0
	s_waitcnt vmcnt(10)
	v_fmac_f64_e32 v[90:91], v[98:99], v[96:97]
	ds_read2_b64 v[94:97], v92 offset0:51 offset1:52
	s_waitcnt vmcnt(8) lgkmcnt(0)
	v_fmac_f64_e32 v[90:91], v[100:101], v[94:95]
	s_waitcnt vmcnt(6)
	v_fmac_f64_e32 v[90:91], v[102:103], v[96:97]
	ds_read2_b64 v[94:97], v92 offset0:53 offset1:54
	s_waitcnt vmcnt(4) lgkmcnt(0)
	v_fmac_f64_e32 v[90:91], v[104:105], v[94:95]
	;; [unrolled: 5-line block ×3, first 2 shown]
	buffer_load_dword v95, off, s[0:3], 0 offset:100
	buffer_load_dword v94, off, s[0:3], 0 offset:96
	buffer_load_dword v99, off, s[0:3], 0 offset:108
	buffer_load_dword v98, off, s[0:3], 0 offset:104
	s_waitcnt vmcnt(2)
	v_fmac_f64_e32 v[90:91], v[94:95], v[96:97]
	ds_read2_b64 v[94:97], v92 offset0:57 offset1:58
	s_waitcnt vmcnt(0) lgkmcnt(0)
	v_fmac_f64_e32 v[90:91], v[98:99], v[94:95]
	buffer_load_dword v95, off, s[0:3], 0 offset:116
	buffer_load_dword v94, off, s[0:3], 0 offset:112
	buffer_load_dword v99, off, s[0:3], 0 offset:124
	buffer_load_dword v98, off, s[0:3], 0 offset:120
	s_waitcnt vmcnt(2)
	v_fmac_f64_e32 v[90:91], v[94:95], v[96:97]
	ds_read2_b64 v[94:97], v92 offset0:59 offset1:60
	s_waitcnt vmcnt(0) lgkmcnt(0)
	v_fmac_f64_e32 v[90:91], v[98:99], v[94:95]
	;; [unrolled: 9-line block ×14, first 2 shown]
	buffer_load_dword v95, off, s[0:3], 0 offset:324
	buffer_load_dword v94, off, s[0:3], 0 offset:320
	s_waitcnt vmcnt(0)
	v_fmac_f64_e32 v[90:91], v[94:95], v[96:97]
	buffer_load_dword v97, off, s[0:3], 0 offset:332
	buffer_load_dword v96, off, s[0:3], 0 offset:328
	ds_read2_b64 v[92:95], v92 offset0:85 offset1:86
	s_waitcnt vmcnt(0) lgkmcnt(0)
	v_fmac_f64_e32 v[90:91], v[96:97], v[92:93]
	buffer_load_dword v93, off, s[0:3], 0 offset:340
	buffer_load_dword v92, off, s[0:3], 0 offset:336
	s_waitcnt vmcnt(0)
	v_fmac_f64_e32 v[90:91], v[92:93], v[94:95]
	v_add_f64 v[88:89], v[88:89], -v[90:91]
	buffer_store_dword v89, off, s[0:3], 0 offset:36
	buffer_store_dword v88, off, s[0:3], 0 offset:32
	s_and_saveexec_b64 s[4:5], vcc
	s_cbranch_execz .LBB106_259
; %bb.258:
	buffer_load_dword v88, off, s[0:3], 0 offset:24
	buffer_load_dword v89, off, s[0:3], 0 offset:28
	v_mov_b32_e32 v90, 0
	buffer_store_dword v90, off, s[0:3], 0 offset:24
	buffer_store_dword v90, off, s[0:3], 0 offset:28
	s_waitcnt vmcnt(2)
	ds_write_b64 v1, v[88:89]
.LBB106_259:
	s_or_b64 exec, exec, s[4:5]
	s_waitcnt lgkmcnt(0)
	; wave barrier
	s_waitcnt lgkmcnt(0)
	buffer_load_dword v88, off, s[0:3], 0 offset:24
	buffer_load_dword v89, off, s[0:3], 0 offset:28
	;; [unrolled: 1-line block ×16, first 2 shown]
	v_mov_b32_e32 v92, 0
	ds_read_b128 v[94:97], v92 offset:384
	ds_read_b128 v[98:101], v92 offset:400
	;; [unrolled: 1-line block ×4, first 2 shown]
	v_cmp_lt_u32_e32 vcc, 2, v0
	s_waitcnt vmcnt(12) lgkmcnt(3)
	v_fma_f64 v[90:91], v[90:91], v[94:95], 0
	buffer_load_dword v95, off, s[0:3], 0 offset:92
	buffer_load_dword v94, off, s[0:3], 0 offset:88
	s_waitcnt vmcnt(12)
	v_fmac_f64_e32 v[90:91], v[110:111], v[96:97]
	s_waitcnt vmcnt(10) lgkmcnt(2)
	v_fmac_f64_e32 v[90:91], v[112:113], v[98:99]
	buffer_load_dword v99, off, s[0:3], 0 offset:100
	buffer_load_dword v98, off, s[0:3], 0 offset:96
	s_waitcnt vmcnt(10)
	v_fmac_f64_e32 v[90:91], v[114:115], v[100:101]
	s_waitcnt vmcnt(8) lgkmcnt(1)
	v_fmac_f64_e32 v[90:91], v[116:117], v[102:103]
	s_waitcnt vmcnt(6)
	v_fmac_f64_e32 v[90:91], v[118:119], v[104:105]
	s_waitcnt vmcnt(4) lgkmcnt(0)
	v_fmac_f64_e32 v[90:91], v[120:121], v[106:107]
	s_waitcnt vmcnt(2)
	v_fmac_f64_e32 v[90:91], v[94:95], v[108:109]
	ds_read_b128 v[94:97], v92 offset:448
	s_waitcnt vmcnt(0) lgkmcnt(0)
	v_fmac_f64_e32 v[90:91], v[98:99], v[94:95]
	buffer_load_dword v95, off, s[0:3], 0 offset:108
	buffer_load_dword v94, off, s[0:3], 0 offset:104
	buffer_load_dword v99, off, s[0:3], 0 offset:116
	buffer_load_dword v98, off, s[0:3], 0 offset:112
	s_waitcnt vmcnt(2)
	v_fmac_f64_e32 v[90:91], v[94:95], v[96:97]
	ds_read_b128 v[94:97], v92 offset:464
	s_waitcnt vmcnt(0) lgkmcnt(0)
	v_fmac_f64_e32 v[90:91], v[98:99], v[94:95]
	buffer_load_dword v95, off, s[0:3], 0 offset:124
	buffer_load_dword v94, off, s[0:3], 0 offset:120
	buffer_load_dword v99, off, s[0:3], 0 offset:132
	buffer_load_dword v98, off, s[0:3], 0 offset:128
	;; [unrolled: 9-line block ×14, first 2 shown]
	s_waitcnt vmcnt(2)
	v_fmac_f64_e32 v[90:91], v[94:95], v[96:97]
	ds_read_b128 v[94:97], v92 offset:672
	s_waitcnt vmcnt(0) lgkmcnt(0)
	v_fmac_f64_e32 v[90:91], v[98:99], v[94:95]
	buffer_load_dword v95, off, s[0:3], 0 offset:332
	buffer_load_dword v94, off, s[0:3], 0 offset:328
	s_waitcnt vmcnt(0)
	v_fmac_f64_e32 v[90:91], v[94:95], v[96:97]
	buffer_load_dword v95, off, s[0:3], 0 offset:340
	buffer_load_dword v94, off, s[0:3], 0 offset:336
	ds_read_b64 v[96:97], v92 offset:688
	s_waitcnt vmcnt(0) lgkmcnt(0)
	v_fmac_f64_e32 v[90:91], v[94:95], v[96:97]
	v_add_f64 v[88:89], v[88:89], -v[90:91]
	buffer_store_dword v89, off, s[0:3], 0 offset:28
	buffer_store_dword v88, off, s[0:3], 0 offset:24
	s_and_saveexec_b64 s[4:5], vcc
	s_cbranch_execz .LBB106_261
; %bb.260:
	buffer_load_dword v88, off, s[0:3], 0 offset:16
	buffer_load_dword v89, off, s[0:3], 0 offset:20
	s_waitcnt vmcnt(0)
	ds_write_b64 v1, v[88:89]
	buffer_store_dword v92, off, s[0:3], 0 offset:16
	buffer_store_dword v92, off, s[0:3], 0 offset:20
.LBB106_261:
	s_or_b64 exec, exec, s[4:5]
	s_waitcnt lgkmcnt(0)
	; wave barrier
	s_waitcnt lgkmcnt(0)
	buffer_load_dword v88, off, s[0:3], 0 offset:16
	buffer_load_dword v89, off, s[0:3], 0 offset:20
	buffer_load_dword v90, off, s[0:3], 0 offset:24
	buffer_load_dword v91, off, s[0:3], 0 offset:28
	buffer_load_dword v98, off, s[0:3], 0 offset:32
	buffer_load_dword v99, off, s[0:3], 0 offset:36
	buffer_load_dword v100, off, s[0:3], 0 offset:40
	buffer_load_dword v101, off, s[0:3], 0 offset:44
	buffer_load_dword v102, off, s[0:3], 0 offset:48
	buffer_load_dword v103, off, s[0:3], 0 offset:52
	buffer_load_dword v104, off, s[0:3], 0 offset:56
	buffer_load_dword v105, off, s[0:3], 0 offset:60
	buffer_load_dword v106, off, s[0:3], 0 offset:64
	buffer_load_dword v107, off, s[0:3], 0 offset:68
	buffer_load_dword v108, off, s[0:3], 0 offset:72
	buffer_load_dword v109, off, s[0:3], 0 offset:76
	ds_read2_b64 v[94:97], v92 offset0:47 offset1:48
	v_cmp_lt_u32_e32 vcc, 1, v0
	s_waitcnt vmcnt(12) lgkmcnt(0)
	v_fma_f64 v[90:91], v[90:91], v[94:95], 0
	s_waitcnt vmcnt(10)
	v_fmac_f64_e32 v[90:91], v[98:99], v[96:97]
	ds_read2_b64 v[94:97], v92 offset0:49 offset1:50
	s_waitcnt vmcnt(8) lgkmcnt(0)
	v_fmac_f64_e32 v[90:91], v[100:101], v[94:95]
	s_waitcnt vmcnt(6)
	v_fmac_f64_e32 v[90:91], v[102:103], v[96:97]
	ds_read2_b64 v[94:97], v92 offset0:51 offset1:52
	s_waitcnt vmcnt(4) lgkmcnt(0)
	v_fmac_f64_e32 v[90:91], v[104:105], v[94:95]
	;; [unrolled: 5-line block ×3, first 2 shown]
	buffer_load_dword v95, off, s[0:3], 0 offset:84
	buffer_load_dword v94, off, s[0:3], 0 offset:80
	buffer_load_dword v99, off, s[0:3], 0 offset:92
	buffer_load_dword v98, off, s[0:3], 0 offset:88
	s_waitcnt vmcnt(2)
	v_fmac_f64_e32 v[90:91], v[94:95], v[96:97]
	ds_read2_b64 v[94:97], v92 offset0:55 offset1:56
	s_waitcnt vmcnt(0) lgkmcnt(0)
	v_fmac_f64_e32 v[90:91], v[98:99], v[94:95]
	buffer_load_dword v95, off, s[0:3], 0 offset:100
	buffer_load_dword v94, off, s[0:3], 0 offset:96
	buffer_load_dword v99, off, s[0:3], 0 offset:108
	buffer_load_dword v98, off, s[0:3], 0 offset:104
	s_waitcnt vmcnt(2)
	v_fmac_f64_e32 v[90:91], v[94:95], v[96:97]
	ds_read2_b64 v[94:97], v92 offset0:57 offset1:58
	s_waitcnt vmcnt(0) lgkmcnt(0)
	v_fmac_f64_e32 v[90:91], v[98:99], v[94:95]
	;; [unrolled: 9-line block ×15, first 2 shown]
	buffer_load_dword v95, off, s[0:3], 0 offset:324
	buffer_load_dword v94, off, s[0:3], 0 offset:320
	s_waitcnt vmcnt(0)
	v_fmac_f64_e32 v[90:91], v[94:95], v[96:97]
	buffer_load_dword v97, off, s[0:3], 0 offset:332
	buffer_load_dword v96, off, s[0:3], 0 offset:328
	ds_read2_b64 v[92:95], v92 offset0:85 offset1:86
	s_waitcnt vmcnt(0) lgkmcnt(0)
	v_fmac_f64_e32 v[90:91], v[96:97], v[92:93]
	buffer_load_dword v93, off, s[0:3], 0 offset:340
	buffer_load_dword v92, off, s[0:3], 0 offset:336
	s_waitcnt vmcnt(0)
	v_fmac_f64_e32 v[90:91], v[92:93], v[94:95]
	v_add_f64 v[88:89], v[88:89], -v[90:91]
	buffer_store_dword v89, off, s[0:3], 0 offset:20
	buffer_store_dword v88, off, s[0:3], 0 offset:16
	s_and_saveexec_b64 s[4:5], vcc
	s_cbranch_execz .LBB106_263
; %bb.262:
	buffer_load_dword v88, off, s[0:3], 0 offset:8
	buffer_load_dword v89, off, s[0:3], 0 offset:12
	v_mov_b32_e32 v90, 0
	buffer_store_dword v90, off, s[0:3], 0 offset:8
	buffer_store_dword v90, off, s[0:3], 0 offset:12
	s_waitcnt vmcnt(2)
	ds_write_b64 v1, v[88:89]
.LBB106_263:
	s_or_b64 exec, exec, s[4:5]
	s_waitcnt lgkmcnt(0)
	; wave barrier
	s_waitcnt lgkmcnt(0)
	buffer_load_dword v88, off, s[0:3], 0 offset:8
	buffer_load_dword v89, off, s[0:3], 0 offset:12
	;; [unrolled: 1-line block ×16, first 2 shown]
	v_mov_b32_e32 v92, 0
	ds_read_b128 v[94:97], v92 offset:368
	ds_read_b128 v[98:101], v92 offset:384
	;; [unrolled: 1-line block ×4, first 2 shown]
	v_cmp_ne_u32_e32 vcc, 0, v0
	s_waitcnt vmcnt(12) lgkmcnt(3)
	v_fma_f64 v[90:91], v[90:91], v[94:95], 0
	buffer_load_dword v95, off, s[0:3], 0 offset:76
	buffer_load_dword v94, off, s[0:3], 0 offset:72
	s_waitcnt vmcnt(12)
	v_fmac_f64_e32 v[90:91], v[110:111], v[96:97]
	s_waitcnt vmcnt(10) lgkmcnt(2)
	v_fmac_f64_e32 v[90:91], v[112:113], v[98:99]
	buffer_load_dword v99, off, s[0:3], 0 offset:84
	buffer_load_dword v98, off, s[0:3], 0 offset:80
	s_waitcnt vmcnt(10)
	v_fmac_f64_e32 v[90:91], v[114:115], v[100:101]
	s_waitcnt vmcnt(8) lgkmcnt(1)
	v_fmac_f64_e32 v[90:91], v[116:117], v[102:103]
	s_waitcnt vmcnt(6)
	v_fmac_f64_e32 v[90:91], v[118:119], v[104:105]
	s_waitcnt vmcnt(4) lgkmcnt(0)
	v_fmac_f64_e32 v[90:91], v[120:121], v[106:107]
	s_waitcnt vmcnt(2)
	v_fmac_f64_e32 v[90:91], v[94:95], v[108:109]
	ds_read_b128 v[94:97], v92 offset:432
	s_waitcnt vmcnt(0) lgkmcnt(0)
	v_fmac_f64_e32 v[90:91], v[98:99], v[94:95]
	buffer_load_dword v95, off, s[0:3], 0 offset:92
	buffer_load_dword v94, off, s[0:3], 0 offset:88
	buffer_load_dword v99, off, s[0:3], 0 offset:100
	buffer_load_dword v98, off, s[0:3], 0 offset:96
	s_waitcnt vmcnt(2)
	v_fmac_f64_e32 v[90:91], v[94:95], v[96:97]
	ds_read_b128 v[94:97], v92 offset:448
	s_waitcnt vmcnt(0) lgkmcnt(0)
	v_fmac_f64_e32 v[90:91], v[98:99], v[94:95]
	buffer_load_dword v95, off, s[0:3], 0 offset:108
	buffer_load_dword v94, off, s[0:3], 0 offset:104
	buffer_load_dword v99, off, s[0:3], 0 offset:116
	buffer_load_dword v98, off, s[0:3], 0 offset:112
	;; [unrolled: 9-line block ×15, first 2 shown]
	s_waitcnt vmcnt(2)
	v_fmac_f64_e32 v[90:91], v[94:95], v[96:97]
	ds_read_b128 v[94:97], v92 offset:672
	s_waitcnt vmcnt(0) lgkmcnt(0)
	v_fmac_f64_e32 v[90:91], v[98:99], v[94:95]
	buffer_load_dword v95, off, s[0:3], 0 offset:332
	buffer_load_dword v94, off, s[0:3], 0 offset:328
	s_waitcnt vmcnt(0)
	v_fmac_f64_e32 v[90:91], v[94:95], v[96:97]
	buffer_load_dword v95, off, s[0:3], 0 offset:340
	buffer_load_dword v94, off, s[0:3], 0 offset:336
	ds_read_b64 v[96:97], v92 offset:688
	s_waitcnt vmcnt(0) lgkmcnt(0)
	v_fmac_f64_e32 v[90:91], v[94:95], v[96:97]
	v_add_f64 v[88:89], v[88:89], -v[90:91]
	buffer_store_dword v89, off, s[0:3], 0 offset:12
	buffer_store_dword v88, off, s[0:3], 0 offset:8
	s_and_saveexec_b64 s[4:5], vcc
	s_cbranch_execz .LBB106_265
; %bb.264:
	buffer_load_dword v88, off, s[0:3], 0
	buffer_load_dword v89, off, s[0:3], 0 offset:4
	s_waitcnt vmcnt(0)
	ds_write_b64 v1, v[88:89]
	buffer_store_dword v92, off, s[0:3], 0
	buffer_store_dword v92, off, s[0:3], 0 offset:4
.LBB106_265:
	s_or_b64 exec, exec, s[4:5]
	s_waitcnt lgkmcnt(0)
	; wave barrier
	s_waitcnt lgkmcnt(0)
	buffer_load_dword v0, off, s[0:3], 0
	buffer_load_dword v1, off, s[0:3], 0 offset:4
	buffer_load_dword v94, off, s[0:3], 0 offset:8
	;; [unrolled: 1-line block ×15, first 2 shown]
	ds_read2_b64 v[88:91], v92 offset0:45 offset1:46
	s_and_b64 vcc, exec, s[16:17]
	s_waitcnt vmcnt(12) lgkmcnt(0)
	v_fma_f64 v[88:89], v[94:95], v[88:89], 0
	s_waitcnt vmcnt(10)
	v_fmac_f64_e32 v[88:89], v[96:97], v[90:91]
	ds_read2_b64 v[94:97], v92 offset0:47 offset1:48
	s_waitcnt vmcnt(8) lgkmcnt(0)
	v_fmac_f64_e32 v[88:89], v[98:99], v[94:95]
	s_waitcnt vmcnt(6)
	v_fmac_f64_e32 v[88:89], v[100:101], v[96:97]
	ds_read2_b64 v[94:97], v92 offset0:49 offset1:50
	s_waitcnt vmcnt(4) lgkmcnt(0)
	v_fmac_f64_e32 v[88:89], v[102:103], v[94:95]
	s_waitcnt vmcnt(2)
	v_fmac_f64_e32 v[88:89], v[104:105], v[96:97]
	ds_read2_b64 v[94:97], v92 offset0:51 offset1:52
	buffer_load_dword v91, off, s[0:3], 0 offset:68
	buffer_load_dword v90, off, s[0:3], 0 offset:64
	s_waitcnt vmcnt(2) lgkmcnt(0)
	v_fmac_f64_e32 v[88:89], v[106:107], v[94:95]
	s_waitcnt vmcnt(0)
	v_fmac_f64_e32 v[88:89], v[90:91], v[96:97]
	buffer_load_dword v91, off, s[0:3], 0 offset:76
	buffer_load_dword v90, off, s[0:3], 0 offset:72
	ds_read2_b64 v[94:97], v92 offset0:53 offset1:54
	s_waitcnt vmcnt(0) lgkmcnt(0)
	v_fmac_f64_e32 v[88:89], v[90:91], v[94:95]
	buffer_load_dword v91, off, s[0:3], 0 offset:84
	buffer_load_dword v90, off, s[0:3], 0 offset:80
	s_waitcnt vmcnt(0)
	v_fmac_f64_e32 v[88:89], v[90:91], v[96:97]
	buffer_load_dword v91, off, s[0:3], 0 offset:92
	buffer_load_dword v90, off, s[0:3], 0 offset:88
	ds_read2_b64 v[94:97], v92 offset0:55 offset1:56
	s_waitcnt vmcnt(0) lgkmcnt(0)
	v_fmac_f64_e32 v[88:89], v[90:91], v[94:95]
	buffer_load_dword v91, off, s[0:3], 0 offset:100
	buffer_load_dword v90, off, s[0:3], 0 offset:96
	s_waitcnt vmcnt(0)
	v_fmac_f64_e32 v[88:89], v[90:91], v[96:97]
	buffer_load_dword v91, off, s[0:3], 0 offset:108
	buffer_load_dword v90, off, s[0:3], 0 offset:104
	ds_read2_b64 v[94:97], v92 offset0:57 offset1:58
	s_waitcnt vmcnt(0) lgkmcnt(0)
	v_fmac_f64_e32 v[88:89], v[90:91], v[94:95]
	buffer_load_dword v91, off, s[0:3], 0 offset:116
	buffer_load_dword v90, off, s[0:3], 0 offset:112
	s_waitcnt vmcnt(0)
	v_fmac_f64_e32 v[88:89], v[90:91], v[96:97]
	buffer_load_dword v91, off, s[0:3], 0 offset:124
	buffer_load_dword v90, off, s[0:3], 0 offset:120
	ds_read2_b64 v[94:97], v92 offset0:59 offset1:60
	s_waitcnt vmcnt(0) lgkmcnt(0)
	v_fmac_f64_e32 v[88:89], v[90:91], v[94:95]
	buffer_load_dword v91, off, s[0:3], 0 offset:132
	buffer_load_dword v90, off, s[0:3], 0 offset:128
	s_waitcnt vmcnt(0)
	v_fmac_f64_e32 v[88:89], v[90:91], v[96:97]
	buffer_load_dword v91, off, s[0:3], 0 offset:140
	buffer_load_dword v90, off, s[0:3], 0 offset:136
	ds_read2_b64 v[94:97], v92 offset0:61 offset1:62
	s_waitcnt vmcnt(0) lgkmcnt(0)
	v_fmac_f64_e32 v[88:89], v[90:91], v[94:95]
	buffer_load_dword v91, off, s[0:3], 0 offset:148
	buffer_load_dword v90, off, s[0:3], 0 offset:144
	s_waitcnt vmcnt(0)
	v_fmac_f64_e32 v[88:89], v[90:91], v[96:97]
	buffer_load_dword v91, off, s[0:3], 0 offset:156
	buffer_load_dword v90, off, s[0:3], 0 offset:152
	ds_read2_b64 v[94:97], v92 offset0:63 offset1:64
	s_waitcnt vmcnt(0) lgkmcnt(0)
	v_fmac_f64_e32 v[88:89], v[90:91], v[94:95]
	buffer_load_dword v91, off, s[0:3], 0 offset:164
	buffer_load_dword v90, off, s[0:3], 0 offset:160
	s_waitcnt vmcnt(0)
	v_fmac_f64_e32 v[88:89], v[90:91], v[96:97]
	buffer_load_dword v91, off, s[0:3], 0 offset:172
	buffer_load_dword v90, off, s[0:3], 0 offset:168
	ds_read2_b64 v[94:97], v92 offset0:65 offset1:66
	s_waitcnt vmcnt(0) lgkmcnt(0)
	v_fmac_f64_e32 v[88:89], v[90:91], v[94:95]
	buffer_load_dword v91, off, s[0:3], 0 offset:180
	buffer_load_dword v90, off, s[0:3], 0 offset:176
	s_waitcnt vmcnt(0)
	v_fmac_f64_e32 v[88:89], v[90:91], v[96:97]
	buffer_load_dword v91, off, s[0:3], 0 offset:188
	buffer_load_dword v90, off, s[0:3], 0 offset:184
	ds_read2_b64 v[94:97], v92 offset0:67 offset1:68
	s_waitcnt vmcnt(0) lgkmcnt(0)
	v_fmac_f64_e32 v[88:89], v[90:91], v[94:95]
	buffer_load_dword v91, off, s[0:3], 0 offset:196
	buffer_load_dword v90, off, s[0:3], 0 offset:192
	s_waitcnt vmcnt(0)
	v_fmac_f64_e32 v[88:89], v[90:91], v[96:97]
	buffer_load_dword v91, off, s[0:3], 0 offset:204
	buffer_load_dword v90, off, s[0:3], 0 offset:200
	ds_read2_b64 v[94:97], v92 offset0:69 offset1:70
	s_waitcnt vmcnt(0) lgkmcnt(0)
	v_fmac_f64_e32 v[88:89], v[90:91], v[94:95]
	buffer_load_dword v91, off, s[0:3], 0 offset:212
	buffer_load_dword v90, off, s[0:3], 0 offset:208
	s_waitcnt vmcnt(0)
	v_fmac_f64_e32 v[88:89], v[90:91], v[96:97]
	buffer_load_dword v91, off, s[0:3], 0 offset:220
	buffer_load_dword v90, off, s[0:3], 0 offset:216
	ds_read2_b64 v[94:97], v92 offset0:71 offset1:72
	s_waitcnt vmcnt(0) lgkmcnt(0)
	v_fmac_f64_e32 v[88:89], v[90:91], v[94:95]
	buffer_load_dword v91, off, s[0:3], 0 offset:228
	buffer_load_dword v90, off, s[0:3], 0 offset:224
	s_waitcnt vmcnt(0)
	v_fmac_f64_e32 v[88:89], v[90:91], v[96:97]
	buffer_load_dword v91, off, s[0:3], 0 offset:236
	buffer_load_dword v90, off, s[0:3], 0 offset:232
	ds_read2_b64 v[94:97], v92 offset0:73 offset1:74
	s_waitcnt vmcnt(0) lgkmcnt(0)
	v_fmac_f64_e32 v[88:89], v[90:91], v[94:95]
	buffer_load_dword v91, off, s[0:3], 0 offset:244
	buffer_load_dword v90, off, s[0:3], 0 offset:240
	s_waitcnt vmcnt(0)
	v_fmac_f64_e32 v[88:89], v[90:91], v[96:97]
	buffer_load_dword v91, off, s[0:3], 0 offset:252
	buffer_load_dword v90, off, s[0:3], 0 offset:248
	ds_read2_b64 v[94:97], v92 offset0:75 offset1:76
	s_waitcnt vmcnt(0) lgkmcnt(0)
	v_fmac_f64_e32 v[88:89], v[90:91], v[94:95]
	buffer_load_dword v91, off, s[0:3], 0 offset:260
	buffer_load_dword v90, off, s[0:3], 0 offset:256
	s_waitcnt vmcnt(0)
	v_fmac_f64_e32 v[88:89], v[90:91], v[96:97]
	buffer_load_dword v91, off, s[0:3], 0 offset:268
	buffer_load_dword v90, off, s[0:3], 0 offset:264
	ds_read2_b64 v[94:97], v92 offset0:77 offset1:78
	s_waitcnt vmcnt(0) lgkmcnt(0)
	v_fmac_f64_e32 v[88:89], v[90:91], v[94:95]
	buffer_load_dword v91, off, s[0:3], 0 offset:276
	buffer_load_dword v90, off, s[0:3], 0 offset:272
	s_waitcnt vmcnt(0)
	v_fmac_f64_e32 v[88:89], v[90:91], v[96:97]
	buffer_load_dword v91, off, s[0:3], 0 offset:284
	buffer_load_dword v90, off, s[0:3], 0 offset:280
	ds_read2_b64 v[94:97], v92 offset0:79 offset1:80
	s_waitcnt vmcnt(0) lgkmcnt(0)
	v_fmac_f64_e32 v[88:89], v[90:91], v[94:95]
	buffer_load_dword v91, off, s[0:3], 0 offset:292
	buffer_load_dword v90, off, s[0:3], 0 offset:288
	s_waitcnt vmcnt(0)
	v_fmac_f64_e32 v[88:89], v[90:91], v[96:97]
	buffer_load_dword v91, off, s[0:3], 0 offset:300
	buffer_load_dword v90, off, s[0:3], 0 offset:296
	ds_read2_b64 v[94:97], v92 offset0:81 offset1:82
	s_waitcnt vmcnt(0) lgkmcnt(0)
	v_fmac_f64_e32 v[88:89], v[90:91], v[94:95]
	buffer_load_dword v91, off, s[0:3], 0 offset:308
	buffer_load_dword v90, off, s[0:3], 0 offset:304
	s_waitcnt vmcnt(0)
	v_fmac_f64_e32 v[88:89], v[90:91], v[96:97]
	buffer_load_dword v91, off, s[0:3], 0 offset:316
	buffer_load_dword v90, off, s[0:3], 0 offset:312
	ds_read2_b64 v[94:97], v92 offset0:83 offset1:84
	s_waitcnt vmcnt(0) lgkmcnt(0)
	v_fmac_f64_e32 v[88:89], v[90:91], v[94:95]
	buffer_load_dword v91, off, s[0:3], 0 offset:324
	buffer_load_dword v90, off, s[0:3], 0 offset:320
	s_waitcnt vmcnt(0)
	v_fmac_f64_e32 v[88:89], v[90:91], v[96:97]
	buffer_load_dword v91, off, s[0:3], 0 offset:332
	buffer_load_dword v90, off, s[0:3], 0 offset:328
	ds_read2_b64 v[92:95], v92 offset0:85 offset1:86
	s_waitcnt vmcnt(0) lgkmcnt(0)
	v_fmac_f64_e32 v[88:89], v[90:91], v[92:93]
	buffer_load_dword v93, off, s[0:3], 0 offset:340
	buffer_load_dword v92, off, s[0:3], 0 offset:336
	s_waitcnt vmcnt(0)
	v_fmac_f64_e32 v[88:89], v[92:93], v[94:95]
	v_add_f64 v[0:1], v[0:1], -v[88:89]
	buffer_store_dword v1, off, s[0:3], 0 offset:4
	buffer_store_dword v0, off, s[0:3], 0
	s_cbranch_vccz .LBB106_351
; %bb.266:
	v_pk_mov_b32 v[0:1], s[10:11], s[10:11] op_sel:[0,1]
	flat_load_dword v0, v[0:1] offset:164
	s_waitcnt vmcnt(0) lgkmcnt(0)
	v_add_u32_e32 v0, -1, v0
	v_cmp_ne_u32_e32 vcc, 41, v0
	s_and_saveexec_b64 s[4:5], vcc
	s_cbranch_execz .LBB106_268
; %bb.267:
	v_mov_b32_e32 v1, 0
	v_lshl_add_u32 v0, v0, 3, v1
	buffer_load_dword v1, v0, s[0:3], 0 offen
	buffer_load_dword v88, v0, s[0:3], 0 offen offset:4
	s_waitcnt vmcnt(1)
	buffer_store_dword v1, off, s[0:3], 0 offset:328
	s_waitcnt vmcnt(1)
	buffer_store_dword v88, off, s[0:3], 0 offset:332
	buffer_store_dword v90, v0, s[0:3], 0 offen
	buffer_store_dword v91, v0, s[0:3], 0 offen offset:4
.LBB106_268:
	s_or_b64 exec, exec, s[4:5]
	v_pk_mov_b32 v[0:1], s[10:11], s[10:11] op_sel:[0,1]
	flat_load_dword v0, v[0:1] offset:160
	s_waitcnt vmcnt(0) lgkmcnt(0)
	v_add_u32_e32 v0, -1, v0
	v_cmp_ne_u32_e32 vcc, 40, v0
	s_and_saveexec_b64 s[4:5], vcc
	s_cbranch_execz .LBB106_270
; %bb.269:
	v_mov_b32_e32 v1, 0
	v_lshl_add_u32 v0, v0, 3, v1
	buffer_load_dword v1, v0, s[0:3], 0 offen
	buffer_load_dword v88, v0, s[0:3], 0 offen offset:4
	buffer_load_dword v89, off, s[0:3], 0 offset:324
	buffer_load_dword v90, off, s[0:3], 0 offset:320
	s_waitcnt vmcnt(3)
	buffer_store_dword v1, off, s[0:3], 0 offset:320
	s_waitcnt vmcnt(3)
	buffer_store_dword v88, off, s[0:3], 0 offset:324
	s_waitcnt vmcnt(3)
	buffer_store_dword v89, v0, s[0:3], 0 offen offset:4
	s_waitcnt vmcnt(3)
	buffer_store_dword v90, v0, s[0:3], 0 offen
.LBB106_270:
	s_or_b64 exec, exec, s[4:5]
	v_pk_mov_b32 v[0:1], s[10:11], s[10:11] op_sel:[0,1]
	flat_load_dword v0, v[0:1] offset:156
	s_waitcnt vmcnt(0) lgkmcnt(0)
	v_add_u32_e32 v0, -1, v0
	v_cmp_ne_u32_e32 vcc, 39, v0
	s_and_saveexec_b64 s[4:5], vcc
	s_cbranch_execz .LBB106_272
; %bb.271:
	v_mov_b32_e32 v1, 0
	v_lshl_add_u32 v0, v0, 3, v1
	buffer_load_dword v1, v0, s[0:3], 0 offen
	buffer_load_dword v88, v0, s[0:3], 0 offen offset:4
	buffer_load_dword v89, off, s[0:3], 0 offset:312
	buffer_load_dword v90, off, s[0:3], 0 offset:316
	s_waitcnt vmcnt(3)
	buffer_store_dword v1, off, s[0:3], 0 offset:312
	s_waitcnt vmcnt(3)
	buffer_store_dword v88, off, s[0:3], 0 offset:316
	s_waitcnt vmcnt(3)
	buffer_store_dword v89, v0, s[0:3], 0 offen
	s_waitcnt vmcnt(3)
	buffer_store_dword v90, v0, s[0:3], 0 offen offset:4
.LBB106_272:
	s_or_b64 exec, exec, s[4:5]
	v_pk_mov_b32 v[0:1], s[10:11], s[10:11] op_sel:[0,1]
	flat_load_dword v0, v[0:1] offset:152
	s_waitcnt vmcnt(0) lgkmcnt(0)
	v_add_u32_e32 v0, -1, v0
	v_cmp_ne_u32_e32 vcc, 38, v0
	s_and_saveexec_b64 s[4:5], vcc
	s_cbranch_execz .LBB106_274
; %bb.273:
	v_mov_b32_e32 v1, 0
	v_lshl_add_u32 v0, v0, 3, v1
	buffer_load_dword v1, v0, s[0:3], 0 offen
	buffer_load_dword v88, v0, s[0:3], 0 offen offset:4
	buffer_load_dword v89, off, s[0:3], 0 offset:308
	buffer_load_dword v90, off, s[0:3], 0 offset:304
	s_waitcnt vmcnt(3)
	buffer_store_dword v1, off, s[0:3], 0 offset:304
	s_waitcnt vmcnt(3)
	buffer_store_dword v88, off, s[0:3], 0 offset:308
	s_waitcnt vmcnt(3)
	buffer_store_dword v89, v0, s[0:3], 0 offen offset:4
	s_waitcnt vmcnt(3)
	buffer_store_dword v90, v0, s[0:3], 0 offen
.LBB106_274:
	s_or_b64 exec, exec, s[4:5]
	v_pk_mov_b32 v[0:1], s[10:11], s[10:11] op_sel:[0,1]
	flat_load_dword v0, v[0:1] offset:148
	s_waitcnt vmcnt(0) lgkmcnt(0)
	v_add_u32_e32 v0, -1, v0
	v_cmp_ne_u32_e32 vcc, 37, v0
	s_and_saveexec_b64 s[4:5], vcc
	s_cbranch_execz .LBB106_276
; %bb.275:
	v_mov_b32_e32 v1, 0
	v_lshl_add_u32 v0, v0, 3, v1
	buffer_load_dword v1, v0, s[0:3], 0 offen
	buffer_load_dword v88, v0, s[0:3], 0 offen offset:4
	buffer_load_dword v89, off, s[0:3], 0 offset:296
	buffer_load_dword v90, off, s[0:3], 0 offset:300
	s_waitcnt vmcnt(3)
	buffer_store_dword v1, off, s[0:3], 0 offset:296
	s_waitcnt vmcnt(3)
	buffer_store_dword v88, off, s[0:3], 0 offset:300
	s_waitcnt vmcnt(3)
	buffer_store_dword v89, v0, s[0:3], 0 offen
	s_waitcnt vmcnt(3)
	buffer_store_dword v90, v0, s[0:3], 0 offen offset:4
.LBB106_276:
	;; [unrolled: 48-line block ×20, first 2 shown]
	s_or_b64 exec, exec, s[4:5]
	v_pk_mov_b32 v[0:1], s[10:11], s[10:11] op_sel:[0,1]
	flat_load_dword v88, v[0:1]
	s_nop 0
	buffer_load_dword v0, off, s[0:3], 0
	buffer_load_dword v1, off, s[0:3], 0 offset:4
	s_waitcnt vmcnt(0) lgkmcnt(0)
	v_add_u32_e32 v88, -1, v88
	v_cmp_ne_u32_e32 vcc, 0, v88
	s_and_saveexec_b64 s[4:5], vcc
	s_cbranch_execz .LBB106_350
; %bb.349:
	v_mov_b32_e32 v89, 0
	v_lshl_add_u32 v88, v88, 3, v89
	buffer_load_dword v89, v88, s[0:3], 0 offen offset:4
	buffer_load_dword v90, v88, s[0:3], 0 offen
	s_waitcnt vmcnt(1)
	buffer_store_dword v89, off, s[0:3], 0 offset:4
	s_waitcnt vmcnt(1)
	buffer_store_dword v90, off, s[0:3], 0
	buffer_store_dword v1, v88, s[0:3], 0 offen offset:4
	buffer_store_dword v0, v88, s[0:3], 0 offen
	buffer_load_dword v0, off, s[0:3], 0
	s_nop 0
	buffer_load_dword v1, off, s[0:3], 0 offset:4
.LBB106_350:
	s_or_b64 exec, exec, s[4:5]
.LBB106_351:
	s_waitcnt vmcnt(0)
	global_store_dwordx2 v[86:87], v[0:1], off
	buffer_load_dword v0, off, s[0:3], 0 offset:8
	s_nop 0
	buffer_load_dword v1, off, s[0:3], 0 offset:12
	buffer_load_dword v86, off, s[0:3], 0 offset:16
	;; [unrolled: 1-line block ×15, first 2 shown]
	s_waitcnt vmcnt(14)
	global_store_dwordx2 v[84:85], v[0:1], off
	s_waitcnt vmcnt(13)
	global_store_dwordx2 v[2:3], v[86:87], off
	;; [unrolled: 2-line block ×8, first 2 shown]
	buffer_load_dword v0, off, s[0:3], 0 offset:72
	buffer_load_dword v1, off, s[0:3], 0 offset:76
	s_waitcnt vmcnt(0)
	global_store_dwordx2 v[14:15], v[0:1], off
	buffer_load_dword v0, off, s[0:3], 0 offset:80
	s_nop 0
	buffer_load_dword v1, off, s[0:3], 0 offset:84
	s_waitcnt vmcnt(0)
	global_store_dwordx2 v[16:17], v[0:1], off
	buffer_load_dword v0, off, s[0:3], 0 offset:88
	s_nop 0
	;; [unrolled: 5-line block ×33, first 2 shown]
	buffer_load_dword v1, off, s[0:3], 0 offset:340
	s_waitcnt vmcnt(0)
	global_store_dwordx2 v[70:71], v[0:1], off
	s_endpgm
	.section	.rodata,"a",@progbits
	.p2align	6, 0x0
	.amdhsa_kernel _ZN9rocsolver6v33100L18getri_kernel_smallILi43EdPKPdEEvT1_iilPiilS6_bb
		.amdhsa_group_segment_fixed_size 696
		.amdhsa_private_segment_fixed_size 352
		.amdhsa_kernarg_size 60
		.amdhsa_user_sgpr_count 8
		.amdhsa_user_sgpr_private_segment_buffer 1
		.amdhsa_user_sgpr_dispatch_ptr 0
		.amdhsa_user_sgpr_queue_ptr 0
		.amdhsa_user_sgpr_kernarg_segment_ptr 1
		.amdhsa_user_sgpr_dispatch_id 0
		.amdhsa_user_sgpr_flat_scratch_init 1
		.amdhsa_user_sgpr_kernarg_preload_length 0
		.amdhsa_user_sgpr_kernarg_preload_offset 0
		.amdhsa_user_sgpr_private_segment_size 0
		.amdhsa_uses_dynamic_stack 0
		.amdhsa_system_sgpr_private_segment_wavefront_offset 1
		.amdhsa_system_sgpr_workgroup_id_x 1
		.amdhsa_system_sgpr_workgroup_id_y 0
		.amdhsa_system_sgpr_workgroup_id_z 0
		.amdhsa_system_sgpr_workgroup_info 0
		.amdhsa_system_vgpr_workitem_id 0
		.amdhsa_next_free_vgpr 124
		.amdhsa_next_free_sgpr 22
		.amdhsa_accum_offset 124
		.amdhsa_reserve_vcc 1
		.amdhsa_reserve_flat_scratch 1
		.amdhsa_float_round_mode_32 0
		.amdhsa_float_round_mode_16_64 0
		.amdhsa_float_denorm_mode_32 3
		.amdhsa_float_denorm_mode_16_64 3
		.amdhsa_dx10_clamp 1
		.amdhsa_ieee_mode 1
		.amdhsa_fp16_overflow 0
		.amdhsa_tg_split 0
		.amdhsa_exception_fp_ieee_invalid_op 0
		.amdhsa_exception_fp_denorm_src 0
		.amdhsa_exception_fp_ieee_div_zero 0
		.amdhsa_exception_fp_ieee_overflow 0
		.amdhsa_exception_fp_ieee_underflow 0
		.amdhsa_exception_fp_ieee_inexact 0
		.amdhsa_exception_int_div_zero 0
	.end_amdhsa_kernel
	.section	.text._ZN9rocsolver6v33100L18getri_kernel_smallILi43EdPKPdEEvT1_iilPiilS6_bb,"axG",@progbits,_ZN9rocsolver6v33100L18getri_kernel_smallILi43EdPKPdEEvT1_iilPiilS6_bb,comdat
.Lfunc_end106:
	.size	_ZN9rocsolver6v33100L18getri_kernel_smallILi43EdPKPdEEvT1_iilPiilS6_bb, .Lfunc_end106-_ZN9rocsolver6v33100L18getri_kernel_smallILi43EdPKPdEEvT1_iilPiilS6_bb
                                        ; -- End function
	.section	.AMDGPU.csdata,"",@progbits
; Kernel info:
; codeLenInByte = 47876
; NumSgprs: 28
; NumVgprs: 124
; NumAgprs: 0
; TotalNumVgprs: 124
; ScratchSize: 352
; MemoryBound: 1
; FloatMode: 240
; IeeeMode: 1
; LDSByteSize: 696 bytes/workgroup (compile time only)
; SGPRBlocks: 3
; VGPRBlocks: 15
; NumSGPRsForWavesPerEU: 28
; NumVGPRsForWavesPerEU: 124
; AccumOffset: 124
; Occupancy: 4
; WaveLimiterHint : 1
; COMPUTE_PGM_RSRC2:SCRATCH_EN: 1
; COMPUTE_PGM_RSRC2:USER_SGPR: 8
; COMPUTE_PGM_RSRC2:TRAP_HANDLER: 0
; COMPUTE_PGM_RSRC2:TGID_X_EN: 1
; COMPUTE_PGM_RSRC2:TGID_Y_EN: 0
; COMPUTE_PGM_RSRC2:TGID_Z_EN: 0
; COMPUTE_PGM_RSRC2:TIDIG_COMP_CNT: 0
; COMPUTE_PGM_RSRC3_GFX90A:ACCUM_OFFSET: 30
; COMPUTE_PGM_RSRC3_GFX90A:TG_SPLIT: 0
	.section	.text._ZN9rocsolver6v33100L18getri_kernel_smallILi44EdPKPdEEvT1_iilPiilS6_bb,"axG",@progbits,_ZN9rocsolver6v33100L18getri_kernel_smallILi44EdPKPdEEvT1_iilPiilS6_bb,comdat
	.globl	_ZN9rocsolver6v33100L18getri_kernel_smallILi44EdPKPdEEvT1_iilPiilS6_bb ; -- Begin function _ZN9rocsolver6v33100L18getri_kernel_smallILi44EdPKPdEEvT1_iilPiilS6_bb
	.p2align	8
	.type	_ZN9rocsolver6v33100L18getri_kernel_smallILi44EdPKPdEEvT1_iilPiilS6_bb,@function
_ZN9rocsolver6v33100L18getri_kernel_smallILi44EdPKPdEEvT1_iilPiilS6_bb: ; @_ZN9rocsolver6v33100L18getri_kernel_smallILi44EdPKPdEEvT1_iilPiilS6_bb
; %bb.0:
	s_add_u32 flat_scratch_lo, s6, s9
	s_addc_u32 flat_scratch_hi, s7, 0
	s_add_u32 s0, s0, s9
	s_addc_u32 s1, s1, 0
	v_cmp_gt_u32_e32 vcc, 44, v0
	s_and_saveexec_b64 s[6:7], vcc
	s_cbranch_execz .LBB107_184
; %bb.1:
	s_load_dword s18, s[4:5], 0x38
	s_load_dwordx2 s[6:7], s[4:5], 0x0
	s_load_dwordx4 s[12:15], s[4:5], 0x28
	s_waitcnt lgkmcnt(0)
	s_bitcmp1_b32 s18, 8
	s_cselect_b64 s[16:17], -1, 0
	s_ashr_i32 s9, s8, 31
	s_lshl_b64 s[10:11], s[8:9], 3
	s_add_u32 s6, s6, s10
	s_addc_u32 s7, s7, s11
	s_load_dwordx2 s[6:7], s[6:7], 0x0
	s_bfe_u32 s10, s18, 0x10008
	s_cmp_eq_u32 s10, 0
                                        ; implicit-def: $sgpr10_sgpr11
	s_cbranch_scc1 .LBB107_3
; %bb.2:
	s_load_dword s10, s[4:5], 0x20
	s_load_dwordx2 s[20:21], s[4:5], 0x18
	s_mul_i32 s11, s8, s13
	s_mul_hi_u32 s13, s8, s12
	s_add_i32 s13, s13, s11
	s_mul_i32 s19, s9, s12
	s_add_i32 s13, s13, s19
	s_mul_i32 s12, s8, s12
	s_waitcnt lgkmcnt(0)
	s_ashr_i32 s11, s10, 31
	s_lshl_b64 s[12:13], s[12:13], 2
	s_add_u32 s12, s20, s12
	s_addc_u32 s13, s21, s13
	s_lshl_b64 s[10:11], s[10:11], 2
	s_add_u32 s10, s12, s10
	s_addc_u32 s11, s13, s11
.LBB107_3:
	s_load_dwordx2 s[4:5], s[4:5], 0x8
	s_waitcnt lgkmcnt(0)
	s_ashr_i32 s13, s4, 31
	s_mov_b32 s12, s4
	s_lshl_b64 s[12:13], s[12:13], 3
	s_add_u32 s6, s6, s12
	s_addc_u32 s7, s7, s13
	s_add_i32 s4, s5, s5
	v_add_u32_e32 v4, s4, v0
	v_ashrrev_i32_e32 v5, 31, v4
	v_lshlrev_b64 v[2:3], 3, v[4:5]
	v_add_u32_e32 v6, s5, v4
	v_mov_b32_e32 v1, s7
	v_add_co_u32_e32 v2, vcc, s6, v2
	v_ashrrev_i32_e32 v7, 31, v6
	v_addc_co_u32_e32 v3, vcc, v1, v3, vcc
	v_lshlrev_b64 v[4:5], 3, v[6:7]
	v_add_u32_e32 v8, s5, v6
	v_add_co_u32_e32 v4, vcc, s6, v4
	v_ashrrev_i32_e32 v9, 31, v8
	v_addc_co_u32_e32 v5, vcc, v1, v5, vcc
	v_lshlrev_b64 v[6:7], 3, v[8:9]
	v_add_u32_e32 v10, s5, v8
	;; [unrolled: 5-line block ×5, first 2 shown]
	v_add_co_u32_e32 v12, vcc, s6, v12
	v_ashrrev_i32_e32 v15, 31, v14
	v_addc_co_u32_e32 v13, vcc, v1, v13, vcc
	v_lshlrev_b64 v[16:17], 3, v[14:15]
	v_add_co_u32_e32 v18, vcc, s6, v16
	v_add_u32_e32 v16, s5, v14
	v_addc_co_u32_e32 v19, vcc, v1, v17, vcc
	v_ashrrev_i32_e32 v17, 31, v16
	v_lshlrev_b64 v[14:15], 3, v[16:17]
	v_add_u32_e32 v20, s5, v16
	v_add_co_u32_e32 v14, vcc, s6, v14
	v_ashrrev_i32_e32 v21, 31, v20
	v_addc_co_u32_e32 v15, vcc, v1, v15, vcc
	v_lshlrev_b64 v[16:17], 3, v[20:21]
	v_add_u32_e32 v22, s5, v20
	v_add_co_u32_e32 v16, vcc, s6, v16
	v_ashrrev_i32_e32 v23, 31, v22
	v_addc_co_u32_e32 v17, vcc, v1, v17, vcc
	v_lshlrev_b64 v[20:21], 3, v[22:23]
	v_add_u32_e32 v24, s5, v22
	v_add_co_u32_e32 v20, vcc, s6, v20
	v_ashrrev_i32_e32 v25, 31, v24
	v_addc_co_u32_e32 v21, vcc, v1, v21, vcc
	v_lshlrev_b64 v[22:23], 3, v[24:25]
	v_add_u32_e32 v26, s5, v24
	v_add_co_u32_e32 v22, vcc, s6, v22
	v_ashrrev_i32_e32 v27, 31, v26
	v_addc_co_u32_e32 v23, vcc, v1, v23, vcc
	v_lshlrev_b64 v[24:25], 3, v[26:27]
	v_add_u32_e32 v28, s5, v26
	v_add_co_u32_e32 v24, vcc, s6, v24
	v_ashrrev_i32_e32 v29, 31, v28
	v_addc_co_u32_e32 v25, vcc, v1, v25, vcc
	v_lshlrev_b64 v[26:27], 3, v[28:29]
	v_add_u32_e32 v30, s5, v28
	v_add_co_u32_e32 v26, vcc, s6, v26
	v_ashrrev_i32_e32 v31, 31, v30
	v_addc_co_u32_e32 v27, vcc, v1, v27, vcc
	v_lshlrev_b64 v[28:29], 3, v[30:31]
	v_add_u32_e32 v32, s5, v30
	v_add_co_u32_e32 v28, vcc, s6, v28
	v_ashrrev_i32_e32 v33, 31, v32
	v_addc_co_u32_e32 v29, vcc, v1, v29, vcc
	v_lshlrev_b64 v[30:31], 3, v[32:33]
	v_add_u32_e32 v34, s5, v32
	v_add_co_u32_e32 v30, vcc, s6, v30
	v_ashrrev_i32_e32 v35, 31, v34
	v_addc_co_u32_e32 v31, vcc, v1, v31, vcc
	v_lshlrev_b64 v[32:33], 3, v[34:35]
	v_add_u32_e32 v36, s5, v34
	v_add_co_u32_e32 v32, vcc, s6, v32
	v_ashrrev_i32_e32 v37, 31, v36
	v_addc_co_u32_e32 v33, vcc, v1, v33, vcc
	v_lshlrev_b64 v[34:35], 3, v[36:37]
	v_add_u32_e32 v38, s5, v36
	v_add_co_u32_e32 v34, vcc, s6, v34
	v_ashrrev_i32_e32 v39, 31, v38
	v_addc_co_u32_e32 v35, vcc, v1, v35, vcc
	v_lshlrev_b64 v[36:37], 3, v[38:39]
	v_add_u32_e32 v40, s5, v38
	v_add_co_u32_e32 v36, vcc, s6, v36
	v_ashrrev_i32_e32 v41, 31, v40
	v_addc_co_u32_e32 v37, vcc, v1, v37, vcc
	v_lshlrev_b64 v[38:39], 3, v[40:41]
	v_add_u32_e32 v42, s5, v40
	v_add_co_u32_e32 v38, vcc, s6, v38
	v_ashrrev_i32_e32 v43, 31, v42
	v_addc_co_u32_e32 v39, vcc, v1, v39, vcc
	v_lshlrev_b64 v[40:41], 3, v[42:43]
	v_add_u32_e32 v44, s5, v42
	v_add_co_u32_e32 v40, vcc, s6, v40
	v_ashrrev_i32_e32 v45, 31, v44
	v_addc_co_u32_e32 v41, vcc, v1, v41, vcc
	v_lshlrev_b64 v[42:43], 3, v[44:45]
	v_add_u32_e32 v46, s5, v44
	v_add_co_u32_e32 v42, vcc, s6, v42
	v_ashrrev_i32_e32 v47, 31, v46
	v_addc_co_u32_e32 v43, vcc, v1, v43, vcc
	v_lshlrev_b64 v[44:45], 3, v[46:47]
	v_add_u32_e32 v48, s5, v46
	v_add_co_u32_e32 v44, vcc, s6, v44
	v_ashrrev_i32_e32 v49, 31, v48
	v_addc_co_u32_e32 v45, vcc, v1, v45, vcc
	v_lshlrev_b64 v[46:47], 3, v[48:49]
	v_add_u32_e32 v50, s5, v48
	v_add_co_u32_e32 v46, vcc, s6, v46
	v_ashrrev_i32_e32 v51, 31, v50
	v_addc_co_u32_e32 v47, vcc, v1, v47, vcc
	v_lshlrev_b64 v[48:49], 3, v[50:51]
	v_add_u32_e32 v52, s5, v50
	v_add_co_u32_e32 v48, vcc, s6, v48
	v_ashrrev_i32_e32 v53, 31, v52
	v_addc_co_u32_e32 v49, vcc, v1, v49, vcc
	v_lshlrev_b64 v[50:51], 3, v[52:53]
	v_add_u32_e32 v54, s5, v52
	v_add_co_u32_e32 v50, vcc, s6, v50
	v_ashrrev_i32_e32 v55, 31, v54
	v_addc_co_u32_e32 v51, vcc, v1, v51, vcc
	v_lshlrev_b64 v[52:53], 3, v[54:55]
	v_add_u32_e32 v56, s5, v54
	v_add_co_u32_e32 v52, vcc, s6, v52
	v_ashrrev_i32_e32 v57, 31, v56
	v_addc_co_u32_e32 v53, vcc, v1, v53, vcc
	v_lshlrev_b64 v[54:55], 3, v[56:57]
	v_add_u32_e32 v58, s5, v56
	v_add_co_u32_e32 v54, vcc, s6, v54
	v_ashrrev_i32_e32 v59, 31, v58
	v_addc_co_u32_e32 v55, vcc, v1, v55, vcc
	v_lshlrev_b64 v[56:57], 3, v[58:59]
	v_add_u32_e32 v60, s5, v58
	v_add_co_u32_e32 v56, vcc, s6, v56
	v_ashrrev_i32_e32 v61, 31, v60
	v_addc_co_u32_e32 v57, vcc, v1, v57, vcc
	v_lshlrev_b64 v[58:59], 3, v[60:61]
	v_add_u32_e32 v62, s5, v60
	v_add_co_u32_e32 v58, vcc, s6, v58
	v_ashrrev_i32_e32 v63, 31, v62
	v_addc_co_u32_e32 v59, vcc, v1, v59, vcc
	v_lshlrev_b64 v[60:61], 3, v[62:63]
	v_add_u32_e32 v64, s5, v62
	v_add_co_u32_e32 v60, vcc, s6, v60
	v_ashrrev_i32_e32 v65, 31, v64
	v_addc_co_u32_e32 v61, vcc, v1, v61, vcc
	v_lshlrev_b64 v[62:63], 3, v[64:65]
	v_add_u32_e32 v66, s5, v64
	v_add_co_u32_e32 v62, vcc, s6, v62
	v_ashrrev_i32_e32 v67, 31, v66
	v_addc_co_u32_e32 v63, vcc, v1, v63, vcc
	v_lshlrev_b64 v[64:65], 3, v[66:67]
	v_add_u32_e32 v68, s5, v66
	v_add_co_u32_e32 v64, vcc, s6, v64
	v_ashrrev_i32_e32 v69, 31, v68
	v_addc_co_u32_e32 v65, vcc, v1, v65, vcc
	v_lshlrev_b64 v[66:67], 3, v[68:69]
	v_add_u32_e32 v70, s5, v68
	v_add_co_u32_e32 v66, vcc, s6, v66
	v_ashrrev_i32_e32 v71, 31, v70
	v_addc_co_u32_e32 v67, vcc, v1, v67, vcc
	v_lshlrev_b64 v[68:69], 3, v[70:71]
	v_add_co_u32_e32 v68, vcc, s6, v68
	v_addc_co_u32_e32 v69, vcc, v1, v69, vcc
	v_lshlrev_b32_e32 v1, 3, v0
	global_load_dwordx2 v[90:91], v1, s[6:7]
	global_load_dwordx2 v[94:95], v[2:3], off
	global_load_dwordx2 v[96:97], v[4:5], off
	;; [unrolled: 1-line block ×3, first 2 shown]
	v_mov_b32_e32 v71, s7
	v_add_co_u32_e32 v88, vcc, s6, v1
	s_ashr_i32 s13, s5, 31
	s_mov_b32 s12, s5
	v_addc_co_u32_e32 v89, vcc, 0, v71, vcc
	s_lshl_b64 s[12:13], s[12:13], 3
	v_mov_b32_e32 v71, s13
	v_add_co_u32_e32 v86, vcc, s12, v88
	v_addc_co_u32_e32 v87, vcc, v89, v71, vcc
	global_load_dwordx2 v[92:93], v[86:87], off
	global_load_dwordx2 v[106:107], v[18:19], off
	;; [unrolled: 1-line block ×7, first 2 shown]
	v_add_u32_e32 v70, s5, v70
	v_ashrrev_i32_e32 v71, 31, v70
	v_lshlrev_b64 v[72:73], 3, v[70:71]
	v_add_u32_e32 v70, s5, v70
	v_mov_b32_e32 v74, s7
	v_add_co_u32_e32 v72, vcc, s6, v72
	v_ashrrev_i32_e32 v71, 31, v70
	v_addc_co_u32_e32 v73, vcc, v74, v73, vcc
	v_lshlrev_b64 v[74:75], 3, v[70:71]
	v_add_u32_e32 v70, s5, v70
	v_mov_b32_e32 v76, s7
	v_add_co_u32_e32 v74, vcc, s6, v74
	v_ashrrev_i32_e32 v71, 31, v70
	v_addc_co_u32_e32 v75, vcc, v76, v75, vcc
	;; [unrolled: 6-line block ×7, first 2 shown]
	v_lshlrev_b64 v[70:71], 3, v[70:71]
	v_add_co_u32_e32 v70, vcc, s6, v70
	v_addc_co_u32_e32 v71, vcc, v112, v71, vcc
	global_load_dwordx2 v[112:113], v[70:71], off
	global_load_dwordx2 v[114:115], v[20:21], off
	;; [unrolled: 1-line block ×6, first 2 shown]
	s_bitcmp0_b32 s18, 0
	s_waitcnt vmcnt(16)
	buffer_store_dword v91, off, s[0:3], 0 offset:4
	buffer_store_dword v90, off, s[0:3], 0
	global_load_dwordx2 v[90:91], v[24:25], off
	s_mov_b64 s[6:7], -1
	s_waitcnt vmcnt(18)
	buffer_store_dword v95, off, s[0:3], 0 offset:20
	buffer_store_dword v94, off, s[0:3], 0 offset:16
	global_load_dwordx2 v[94:95], v[32:33], off
	s_waitcnt vmcnt(20)
	buffer_store_dword v97, off, s[0:3], 0 offset:28
	buffer_store_dword v96, off, s[0:3], 0 offset:24
	global_load_dwordx2 v[96:97], v[36:37], off
	;; [unrolled: 4-line block ×3, first 2 shown]
	s_nop 0
	buffer_store_dword v99, off, s[0:3], 0 offset:36
	buffer_store_dword v98, off, s[0:3], 0 offset:32
	global_load_dwordx2 v[98:99], v[38:39], off
	s_waitcnt vmcnt(24)
	buffer_store_dword v101, off, s[0:3], 0 offset:44
	buffer_store_dword v100, off, s[0:3], 0 offset:40
	global_load_dwordx2 v[100:101], v[40:41], off
	s_waitcnt vmcnt(26)
	;; [unrolled: 4-line block ×3, first 2 shown]
	buffer_store_dword v105, off, s[0:3], 0 offset:60
	buffer_store_dword v104, off, s[0:3], 0 offset:56
	global_load_dwordx2 v[104:105], v[44:45], off
	s_nop 0
	buffer_store_dword v107, off, s[0:3], 0 offset:68
	buffer_store_dword v106, off, s[0:3], 0 offset:64
	global_load_dwordx2 v[106:107], v[46:47], off
	s_waitcnt vmcnt(33)
	buffer_store_dword v108, off, s[0:3], 0 offset:72
	buffer_store_dword v109, off, s[0:3], 0 offset:76
	global_load_dwordx2 v[108:109], v[48:49], off
	s_nop 0
	buffer_store_dword v110, off, s[0:3], 0 offset:80
	buffer_store_dword v111, off, s[0:3], 0 offset:84
	global_load_dwordx2 v[110:111], v[50:51], off
	s_waitcnt vmcnt(37)
	buffer_store_dword v114, off, s[0:3], 0 offset:88
	buffer_store_dword v115, off, s[0:3], 0 offset:92
	s_waitcnt vmcnt(38)
	buffer_store_dword v116, off, s[0:3], 0 offset:96
	buffer_store_dword v117, off, s[0:3], 0 offset:100
	;; [unrolled: 3-line block ×3, first 2 shown]
	buffer_store_dword v119, off, s[0:3], 0 offset:116
	buffer_store_dword v118, off, s[0:3], 0 offset:112
	s_waitcnt vmcnt(29)
	buffer_store_dword v92, off, s[0:3], 0 offset:120
	buffer_store_dword v93, off, s[0:3], 0 offset:124
	;; [unrolled: 1-line block ×9, first 2 shown]
	global_load_dwordx2 v[90:91], v[52:53], off
	global_load_dwordx2 v[92:93], v[54:55], off
	;; [unrolled: 1-line block ×8, first 2 shown]
	s_nop 0
	buffer_store_dword v96, off, s[0:3], 0 offset:152
	global_load_dwordx2 v[96:97], v[58:59], off
	s_waitcnt vmcnt(45)
	buffer_store_dword v99, off, s[0:3], 0 offset:164
	buffer_store_dword v98, off, s[0:3], 0 offset:160
	global_load_dwordx2 v[98:99], v[60:61], off
	s_waitcnt vmcnt(45)
	buffer_store_dword v100, off, s[0:3], 0 offset:168
	;; [unrolled: 4-line block ×8, first 2 shown]
	buffer_store_dword v91, off, s[0:3], 0 offset:220
	s_waitcnt vmcnt(31)
	buffer_store_dword v92, off, s[0:3], 0 offset:224
	buffer_store_dword v93, off, s[0:3], 0 offset:228
	s_waitcnt vmcnt(32)
	buffer_store_dword v94, off, s[0:3], 0 offset:232
	;; [unrolled: 3-line block ×5, first 2 shown]
	buffer_store_dword v100, off, s[0:3], 0 offset:256
	buffer_store_dword v114, off, s[0:3], 0 offset:264
	buffer_store_dword v115, off, s[0:3], 0 offset:268
	s_waitcnt vmcnt(26)
	buffer_store_dword v102, off, s[0:3], 0 offset:272
	buffer_store_dword v103, off, s[0:3], 0 offset:276
	buffer_store_dword v116, off, s[0:3], 0 offset:280
	buffer_store_dword v117, off, s[0:3], 0 offset:284
	s_waitcnt vmcnt(27)
	buffer_store_dword v104, off, s[0:3], 0 offset:288
	;; [unrolled: 5-line block ×5, first 2 shown]
	buffer_store_dword v111, off, s[0:3], 0 offset:340
	buffer_store_dword v113, off, s[0:3], 0 offset:348
	;; [unrolled: 1-line block ×3, first 2 shown]
	s_cbranch_scc1 .LBB107_182
; %bb.4:
	v_cmp_eq_u32_e64 s[4:5], 0, v0
	s_and_saveexec_b64 s[6:7], s[4:5]
	s_cbranch_execz .LBB107_6
; %bb.5:
	v_mov_b32_e32 v90, 0
	ds_write_b32 v90, v90 offset:704
.LBB107_6:
	s_or_b64 exec, exec, s[6:7]
	v_mov_b32_e32 v90, 0
	v_lshl_add_u32 v90, v0, 3, v90
	s_waitcnt lgkmcnt(0)
	; wave barrier
	s_waitcnt lgkmcnt(0)
	buffer_load_dword v92, v90, s[0:3], 0 offen
	buffer_load_dword v93, v90, s[0:3], 0 offen offset:4
	s_waitcnt vmcnt(0)
	v_cmp_eq_f64_e32 vcc, 0, v[92:93]
	s_and_saveexec_b64 s[12:13], vcc
	s_cbranch_execz .LBB107_10
; %bb.7:
	v_mov_b32_e32 v91, 0
	ds_read_b32 v93, v91 offset:704
	v_add_u32_e32 v92, 1, v0
	s_waitcnt lgkmcnt(0)
	v_readfirstlane_b32 s6, v93
	s_cmp_eq_u32 s6, 0
	s_cselect_b64 s[18:19], -1, 0
	v_cmp_gt_i32_e32 vcc, s6, v92
	s_or_b64 s[18:19], s[18:19], vcc
	s_and_b64 exec, exec, s[18:19]
	s_cbranch_execz .LBB107_10
; %bb.8:
	s_mov_b64 s[18:19], 0
	v_mov_b32_e32 v93, s6
.LBB107_9:                              ; =>This Inner Loop Header: Depth=1
	ds_cmpst_rtn_b32 v93, v91, v93, v92 offset:704
	s_waitcnt lgkmcnt(0)
	v_cmp_ne_u32_e32 vcc, 0, v93
	v_cmp_le_i32_e64 s[6:7], v93, v92
	s_and_b64 s[6:7], vcc, s[6:7]
	s_and_b64 s[6:7], exec, s[6:7]
	s_or_b64 s[18:19], s[6:7], s[18:19]
	s_andn2_b64 exec, exec, s[18:19]
	s_cbranch_execnz .LBB107_9
.LBB107_10:
	s_or_b64 exec, exec, s[12:13]
	v_mov_b32_e32 v92, 0
	s_waitcnt lgkmcnt(0)
	; wave barrier
	ds_read_b32 v91, v92 offset:704
	s_and_saveexec_b64 s[6:7], s[4:5]
	s_cbranch_execz .LBB107_12
; %bb.11:
	s_lshl_b64 s[12:13], s[8:9], 2
	s_add_u32 s12, s14, s12
	s_addc_u32 s13, s15, s13
	s_waitcnt lgkmcnt(0)
	global_store_dword v92, v91, s[12:13]
.LBB107_12:
	s_or_b64 exec, exec, s[6:7]
	s_waitcnt lgkmcnt(0)
	v_cmp_ne_u32_e32 vcc, 0, v91
	s_mov_b64 s[6:7], 0
	s_cbranch_vccnz .LBB107_182
; %bb.13:
	buffer_load_dword v92, v90, s[0:3], 0 offen
	buffer_load_dword v93, v90, s[0:3], 0 offen offset:4
	s_waitcnt vmcnt(0)
	v_div_scale_f64 v[94:95], s[6:7], v[92:93], v[92:93], 1.0
	v_rcp_f64_e32 v[96:97], v[94:95]
	v_div_scale_f64 v[98:99], vcc, 1.0, v[92:93], 1.0
	v_fma_f64 v[100:101], -v[94:95], v[96:97], 1.0
	v_fmac_f64_e32 v[96:97], v[96:97], v[100:101]
	v_fma_f64 v[100:101], -v[94:95], v[96:97], 1.0
	v_fmac_f64_e32 v[96:97], v[96:97], v[100:101]
	v_mul_f64 v[100:101], v[98:99], v[96:97]
	v_fma_f64 v[94:95], -v[94:95], v[100:101], v[98:99]
	v_div_fmas_f64 v[94:95], v[94:95], v[96:97], v[100:101]
	v_div_fixup_f64 v[94:95], v[94:95], v[92:93], 1.0
	buffer_store_dword v95, v90, s[0:3], 0 offen offset:4
	buffer_store_dword v94, v90, s[0:3], 0 offen
	buffer_load_dword v97, off, s[0:3], 0 offset:12
	buffer_load_dword v96, off, s[0:3], 0 offset:8
	v_add_u32_e32 v92, 0x160, v1
	v_xor_b32_e32 v95, 0x80000000, v95
	s_waitcnt vmcnt(0)
	ds_write2_b64 v1, v[94:95], v[96:97] offset1:44
	s_waitcnt lgkmcnt(0)
	; wave barrier
	s_waitcnt lgkmcnt(0)
	s_and_saveexec_b64 s[6:7], s[4:5]
	s_cbranch_execz .LBB107_15
; %bb.14:
	buffer_load_dword v94, v90, s[0:3], 0 offen
	buffer_load_dword v95, v90, s[0:3], 0 offen offset:4
	v_mov_b32_e32 v91, 0
	ds_read_b64 v[96:97], v92
	ds_read_b64 v[98:99], v91 offset:8
	s_waitcnt vmcnt(0) lgkmcnt(1)
	v_fma_f64 v[94:95], v[94:95], v[96:97], 0
	s_waitcnt lgkmcnt(0)
	v_mul_f64 v[94:95], v[94:95], v[98:99]
	buffer_store_dword v94, off, s[0:3], 0 offset:8
	buffer_store_dword v95, off, s[0:3], 0 offset:12
.LBB107_15:
	s_or_b64 exec, exec, s[6:7]
	s_waitcnt lgkmcnt(0)
	; wave barrier
	buffer_load_dword v94, off, s[0:3], 0 offset:16
	buffer_load_dword v95, off, s[0:3], 0 offset:20
	v_cmp_gt_u32_e32 vcc, 2, v0
	s_waitcnt vmcnt(0)
	ds_write_b64 v92, v[94:95]
	s_waitcnt lgkmcnt(0)
	; wave barrier
	s_waitcnt lgkmcnt(0)
	s_and_saveexec_b64 s[6:7], vcc
	s_cbranch_execz .LBB107_17
; %bb.16:
	buffer_load_dword v91, v90, s[0:3], 0 offen offset:4
	buffer_load_dword v98, off, s[0:3], 0 offset:8
	s_nop 0
	buffer_load_dword v90, v90, s[0:3], 0 offen
	s_nop 0
	buffer_load_dword v99, off, s[0:3], 0 offset:12
	ds_read_b64 v[100:101], v92
	v_mov_b32_e32 v93, 0
	ds_read2_b64 v[94:97], v93 offset0:2 offset1:45
	s_waitcnt vmcnt(1) lgkmcnt(1)
	v_fma_f64 v[90:91], v[90:91], v[100:101], 0
	s_waitcnt vmcnt(0) lgkmcnt(0)
	v_fma_f64 v[96:97], v[98:99], v[96:97], v[90:91]
	v_cndmask_b32_e64 v91, v91, v97, s[4:5]
	v_cndmask_b32_e64 v90, v90, v96, s[4:5]
	v_mul_f64 v[90:91], v[90:91], v[94:95]
	buffer_store_dword v91, off, s[0:3], 0 offset:20
	buffer_store_dword v90, off, s[0:3], 0 offset:16
.LBB107_17:
	s_or_b64 exec, exec, s[6:7]
	s_waitcnt lgkmcnt(0)
	; wave barrier
	buffer_load_dword v90, off, s[0:3], 0 offset:24
	buffer_load_dword v91, off, s[0:3], 0 offset:28
	v_cmp_gt_u32_e32 vcc, 3, v0
	v_add_u32_e32 v93, -1, v0
	s_waitcnt vmcnt(0)
	ds_write_b64 v92, v[90:91]
	s_waitcnt lgkmcnt(0)
	; wave barrier
	s_waitcnt lgkmcnt(0)
	s_and_saveexec_b64 s[4:5], vcc
	s_cbranch_execz .LBB107_21
; %bb.18:
	v_add_u32_e32 v94, -1, v0
	v_add_u32_e32 v95, 0x160, v1
	v_add_u32_e32 v96, 0, v1
	s_mov_b64 s[6:7], 0
	v_pk_mov_b32 v[90:91], 0, 0
.LBB107_19:                             ; =>This Inner Loop Header: Depth=1
	buffer_load_dword v98, v96, s[0:3], 0 offen
	buffer_load_dword v99, v96, s[0:3], 0 offen offset:4
	ds_read_b64 v[100:101], v95
	v_add_u32_e32 v94, 1, v94
	v_cmp_lt_u32_e32 vcc, 1, v94
	v_add_u32_e32 v95, 8, v95
	v_add_u32_e32 v96, 8, v96
	s_or_b64 s[6:7], vcc, s[6:7]
	s_waitcnt vmcnt(0) lgkmcnt(0)
	v_fmac_f64_e32 v[90:91], v[98:99], v[100:101]
	s_andn2_b64 exec, exec, s[6:7]
	s_cbranch_execnz .LBB107_19
; %bb.20:
	s_or_b64 exec, exec, s[6:7]
	v_mov_b32_e32 v94, 0
	ds_read_b64 v[94:95], v94 offset:24
	s_waitcnt lgkmcnt(0)
	v_mul_f64 v[90:91], v[90:91], v[94:95]
	buffer_store_dword v91, off, s[0:3], 0 offset:28
	buffer_store_dword v90, off, s[0:3], 0 offset:24
.LBB107_21:
	s_or_b64 exec, exec, s[4:5]
	s_waitcnt lgkmcnt(0)
	; wave barrier
	buffer_load_dword v90, off, s[0:3], 0 offset:32
	buffer_load_dword v91, off, s[0:3], 0 offset:36
	v_cmp_gt_u32_e32 vcc, 4, v0
	s_waitcnt vmcnt(0)
	ds_write_b64 v92, v[90:91]
	s_waitcnt lgkmcnt(0)
	; wave barrier
	s_waitcnt lgkmcnt(0)
	s_and_saveexec_b64 s[4:5], vcc
	s_cbranch_execz .LBB107_25
; %bb.22:
	v_add_u32_e32 v94, -1, v0
	v_add_u32_e32 v95, 0x160, v1
	v_add_u32_e32 v96, 0, v1
	s_mov_b64 s[6:7], 0
	v_pk_mov_b32 v[90:91], 0, 0
.LBB107_23:                             ; =>This Inner Loop Header: Depth=1
	buffer_load_dword v98, v96, s[0:3], 0 offen
	buffer_load_dword v99, v96, s[0:3], 0 offen offset:4
	ds_read_b64 v[100:101], v95
	v_add_u32_e32 v94, 1, v94
	v_cmp_lt_u32_e32 vcc, 2, v94
	v_add_u32_e32 v95, 8, v95
	v_add_u32_e32 v96, 8, v96
	s_or_b64 s[6:7], vcc, s[6:7]
	s_waitcnt vmcnt(0) lgkmcnt(0)
	v_fmac_f64_e32 v[90:91], v[98:99], v[100:101]
	s_andn2_b64 exec, exec, s[6:7]
	s_cbranch_execnz .LBB107_23
; %bb.24:
	s_or_b64 exec, exec, s[6:7]
	v_mov_b32_e32 v94, 0
	ds_read_b64 v[94:95], v94 offset:32
	s_waitcnt lgkmcnt(0)
	v_mul_f64 v[90:91], v[90:91], v[94:95]
	buffer_store_dword v91, off, s[0:3], 0 offset:36
	buffer_store_dword v90, off, s[0:3], 0 offset:32
.LBB107_25:
	s_or_b64 exec, exec, s[4:5]
	s_waitcnt lgkmcnt(0)
	; wave barrier
	buffer_load_dword v90, off, s[0:3], 0 offset:40
	buffer_load_dword v91, off, s[0:3], 0 offset:44
	v_cmp_gt_u32_e32 vcc, 5, v0
	;; [unrolled: 41-line block ×21, first 2 shown]
	s_waitcnt vmcnt(0)
	ds_write_b64 v92, v[90:91]
	s_waitcnt lgkmcnt(0)
	; wave barrier
	s_waitcnt lgkmcnt(0)
	s_and_saveexec_b64 s[4:5], vcc
	s_cbranch_execz .LBB107_105
; %bb.102:
	v_add_u32_e32 v94, -1, v0
	v_add_u32_e32 v95, 0x160, v1
	v_add_u32_e32 v96, 0, v1
	s_mov_b64 s[6:7], 0
	v_pk_mov_b32 v[90:91], 0, 0
.LBB107_103:                            ; =>This Inner Loop Header: Depth=1
	buffer_load_dword v98, v96, s[0:3], 0 offen
	buffer_load_dword v99, v96, s[0:3], 0 offen offset:4
	ds_read_b64 v[100:101], v95
	v_add_u32_e32 v94, 1, v94
	v_cmp_lt_u32_e32 vcc, 22, v94
	v_add_u32_e32 v95, 8, v95
	v_add_u32_e32 v96, 8, v96
	s_or_b64 s[6:7], vcc, s[6:7]
	s_waitcnt vmcnt(0) lgkmcnt(0)
	v_fmac_f64_e32 v[90:91], v[98:99], v[100:101]
	s_andn2_b64 exec, exec, s[6:7]
	s_cbranch_execnz .LBB107_103
; %bb.104:
	s_or_b64 exec, exec, s[6:7]
	v_mov_b32_e32 v94, 0
	ds_read_b64 v[94:95], v94 offset:192
	s_waitcnt lgkmcnt(0)
	v_mul_f64 v[90:91], v[90:91], v[94:95]
	buffer_store_dword v91, off, s[0:3], 0 offset:196
	buffer_store_dword v90, off, s[0:3], 0 offset:192
.LBB107_105:
	s_or_b64 exec, exec, s[4:5]
	s_waitcnt lgkmcnt(0)
	; wave barrier
	buffer_load_dword v90, off, s[0:3], 0 offset:200
	buffer_load_dword v91, off, s[0:3], 0 offset:204
	v_cmp_gt_u32_e32 vcc, 25, v0
	s_waitcnt vmcnt(0)
	ds_write_b64 v92, v[90:91]
	s_waitcnt lgkmcnt(0)
	; wave barrier
	s_waitcnt lgkmcnt(0)
	s_and_saveexec_b64 s[4:5], vcc
	s_cbranch_execz .LBB107_109
; %bb.106:
	v_add_u32_e32 v94, -1, v0
	v_add_u32_e32 v95, 0x160, v1
	v_add_u32_e32 v96, 0, v1
	s_mov_b64 s[6:7], 0
	v_pk_mov_b32 v[90:91], 0, 0
.LBB107_107:                            ; =>This Inner Loop Header: Depth=1
	buffer_load_dword v98, v96, s[0:3], 0 offen
	buffer_load_dword v99, v96, s[0:3], 0 offen offset:4
	ds_read_b64 v[100:101], v95
	v_add_u32_e32 v94, 1, v94
	v_cmp_lt_u32_e32 vcc, 23, v94
	v_add_u32_e32 v95, 8, v95
	v_add_u32_e32 v96, 8, v96
	s_or_b64 s[6:7], vcc, s[6:7]
	s_waitcnt vmcnt(0) lgkmcnt(0)
	v_fmac_f64_e32 v[90:91], v[98:99], v[100:101]
	s_andn2_b64 exec, exec, s[6:7]
	s_cbranch_execnz .LBB107_107
; %bb.108:
	s_or_b64 exec, exec, s[6:7]
	v_mov_b32_e32 v94, 0
	ds_read_b64 v[94:95], v94 offset:200
	s_waitcnt lgkmcnt(0)
	v_mul_f64 v[90:91], v[90:91], v[94:95]
	buffer_store_dword v91, off, s[0:3], 0 offset:204
	buffer_store_dword v90, off, s[0:3], 0 offset:200
.LBB107_109:
	s_or_b64 exec, exec, s[4:5]
	s_waitcnt lgkmcnt(0)
	; wave barrier
	buffer_load_dword v90, off, s[0:3], 0 offset:208
	buffer_load_dword v91, off, s[0:3], 0 offset:212
	v_cmp_gt_u32_e32 vcc, 26, v0
	;; [unrolled: 41-line block ×18, first 2 shown]
	s_waitcnt vmcnt(0)
	ds_write_b64 v92, v[90:91]
	s_waitcnt lgkmcnt(0)
	; wave barrier
	s_waitcnt lgkmcnt(0)
	s_and_saveexec_b64 s[4:5], vcc
	s_cbranch_execz .LBB107_177
; %bb.174:
	v_add_u32_e32 v94, -1, v0
	v_add_u32_e32 v95, 0x160, v1
	v_add_u32_e32 v96, 0, v1
	s_mov_b64 s[6:7], 0
	v_pk_mov_b32 v[90:91], 0, 0
.LBB107_175:                            ; =>This Inner Loop Header: Depth=1
	buffer_load_dword v98, v96, s[0:3], 0 offen
	buffer_load_dword v99, v96, s[0:3], 0 offen offset:4
	ds_read_b64 v[100:101], v95
	v_add_u32_e32 v94, 1, v94
	v_cmp_lt_u32_e32 vcc, 40, v94
	v_add_u32_e32 v95, 8, v95
	v_add_u32_e32 v96, 8, v96
	s_or_b64 s[6:7], vcc, s[6:7]
	s_waitcnt vmcnt(0) lgkmcnt(0)
	v_fmac_f64_e32 v[90:91], v[98:99], v[100:101]
	s_andn2_b64 exec, exec, s[6:7]
	s_cbranch_execnz .LBB107_175
; %bb.176:
	s_or_b64 exec, exec, s[6:7]
	v_mov_b32_e32 v94, 0
	ds_read_b64 v[94:95], v94 offset:336
	s_waitcnt lgkmcnt(0)
	v_mul_f64 v[90:91], v[90:91], v[94:95]
	buffer_store_dword v91, off, s[0:3], 0 offset:340
	buffer_store_dword v90, off, s[0:3], 0 offset:336
.LBB107_177:
	s_or_b64 exec, exec, s[4:5]
	s_waitcnt lgkmcnt(0)
	; wave barrier
	buffer_load_dword v90, off, s[0:3], 0 offset:344
	buffer_load_dword v91, off, s[0:3], 0 offset:348
	v_cmp_ne_u32_e32 vcc, 43, v0
	s_waitcnt vmcnt(0)
	ds_write_b64 v92, v[90:91]
	s_waitcnt lgkmcnt(0)
	; wave barrier
	s_waitcnt lgkmcnt(0)
	s_and_saveexec_b64 s[4:5], vcc
	s_cbranch_execz .LBB107_181
; %bb.178:
	v_add_u32_e32 v92, 0x160, v1
	v_add_u32_e32 v1, 0, v1
	s_mov_b64 s[6:7], 0
	v_pk_mov_b32 v[90:91], 0, 0
.LBB107_179:                            ; =>This Inner Loop Header: Depth=1
	buffer_load_dword v94, v1, s[0:3], 0 offen
	buffer_load_dword v95, v1, s[0:3], 0 offen offset:4
	ds_read_b64 v[96:97], v92
	v_add_u32_e32 v93, 1, v93
	v_cmp_lt_u32_e32 vcc, 41, v93
	v_add_u32_e32 v92, 8, v92
	v_add_u32_e32 v1, 8, v1
	s_or_b64 s[6:7], vcc, s[6:7]
	s_waitcnt vmcnt(0) lgkmcnt(0)
	v_fmac_f64_e32 v[90:91], v[94:95], v[96:97]
	s_andn2_b64 exec, exec, s[6:7]
	s_cbranch_execnz .LBB107_179
; %bb.180:
	s_or_b64 exec, exec, s[6:7]
	v_mov_b32_e32 v1, 0
	ds_read_b64 v[92:93], v1 offset:344
	s_waitcnt lgkmcnt(0)
	v_mul_f64 v[90:91], v[90:91], v[92:93]
	buffer_store_dword v91, off, s[0:3], 0 offset:348
	buffer_store_dword v90, off, s[0:3], 0 offset:344
.LBB107_181:
	s_or_b64 exec, exec, s[4:5]
	s_mov_b64 s[6:7], -1
	s_waitcnt lgkmcnt(0)
	; wave barrier
.LBB107_182:
	s_and_b64 vcc, exec, s[6:7]
	s_cbranch_vccz .LBB107_184
; %bb.183:
	s_lshl_b64 s[4:5], s[8:9], 2
	s_add_u32 s4, s14, s4
	s_addc_u32 s5, s15, s5
	v_mov_b32_e32 v1, 0
	global_load_dword v1, v1, s[4:5]
	s_waitcnt vmcnt(0)
	v_cmp_ne_u32_e32 vcc, 0, v1
	s_cbranch_vccz .LBB107_185
.LBB107_184:
	s_endpgm
.LBB107_185:
	v_mov_b32_e32 v1, 0x160
	v_lshl_add_u32 v1, v0, 3, v1
	v_cmp_eq_u32_e32 vcc, 43, v0
	s_and_saveexec_b64 s[4:5], vcc
	s_cbranch_execz .LBB107_187
; %bb.186:
	buffer_load_dword v90, off, s[0:3], 0 offset:336
	buffer_load_dword v91, off, s[0:3], 0 offset:340
	v_mov_b32_e32 v92, 0
	buffer_store_dword v92, off, s[0:3], 0 offset:336
	buffer_store_dword v92, off, s[0:3], 0 offset:340
	s_waitcnt vmcnt(2)
	ds_write_b64 v1, v[90:91]
.LBB107_187:
	s_or_b64 exec, exec, s[4:5]
	s_waitcnt lgkmcnt(0)
	; wave barrier
	s_waitcnt lgkmcnt(0)
	buffer_load_dword v92, off, s[0:3], 0 offset:344
	buffer_load_dword v93, off, s[0:3], 0 offset:348
	;; [unrolled: 1-line block ×4, first 2 shown]
	v_mov_b32_e32 v90, 0
	ds_read_b64 v[96:97], v90 offset:696
	v_cmp_lt_u32_e32 vcc, 41, v0
	s_waitcnt vmcnt(2) lgkmcnt(0)
	v_fma_f64 v[92:93], v[92:93], v[96:97], 0
	s_waitcnt vmcnt(0)
	v_add_f64 v[92:93], v[94:95], -v[92:93]
	buffer_store_dword v92, off, s[0:3], 0 offset:336
	buffer_store_dword v93, off, s[0:3], 0 offset:340
	s_and_saveexec_b64 s[4:5], vcc
	s_cbranch_execz .LBB107_189
; %bb.188:
	buffer_load_dword v92, off, s[0:3], 0 offset:328
	buffer_load_dword v93, off, s[0:3], 0 offset:332
	s_waitcnt vmcnt(0)
	ds_write_b64 v1, v[92:93]
	buffer_store_dword v90, off, s[0:3], 0 offset:328
	buffer_store_dword v90, off, s[0:3], 0 offset:332
.LBB107_189:
	s_or_b64 exec, exec, s[4:5]
	s_waitcnt lgkmcnt(0)
	; wave barrier
	s_waitcnt lgkmcnt(0)
	buffer_load_dword v94, off, s[0:3], 0 offset:336
	buffer_load_dword v95, off, s[0:3], 0 offset:340
	;; [unrolled: 1-line block ×6, first 2 shown]
	ds_read_b128 v[90:93], v90 offset:688
	v_cmp_lt_u32_e32 vcc, 40, v0
	s_waitcnt vmcnt(4) lgkmcnt(0)
	v_fma_f64 v[90:91], v[94:95], v[90:91], 0
	s_waitcnt vmcnt(2)
	v_fmac_f64_e32 v[90:91], v[96:97], v[92:93]
	s_waitcnt vmcnt(0)
	v_add_f64 v[90:91], v[98:99], -v[90:91]
	buffer_store_dword v90, off, s[0:3], 0 offset:328
	buffer_store_dword v91, off, s[0:3], 0 offset:332
	s_and_saveexec_b64 s[4:5], vcc
	s_cbranch_execz .LBB107_191
; %bb.190:
	buffer_load_dword v90, off, s[0:3], 0 offset:320
	buffer_load_dword v91, off, s[0:3], 0 offset:324
	v_mov_b32_e32 v92, 0
	buffer_store_dword v92, off, s[0:3], 0 offset:320
	buffer_store_dword v92, off, s[0:3], 0 offset:324
	s_waitcnt vmcnt(2)
	ds_write_b64 v1, v[90:91]
.LBB107_191:
	s_or_b64 exec, exec, s[4:5]
	s_waitcnt lgkmcnt(0)
	; wave barrier
	s_waitcnt lgkmcnt(0)
	buffer_load_dword v96, off, s[0:3], 0 offset:328
	buffer_load_dword v97, off, s[0:3], 0 offset:332
	;; [unrolled: 1-line block ×8, first 2 shown]
	v_mov_b32_e32 v90, 0
	ds_read2_b64 v[92:95], v90 offset0:85 offset1:86
	ds_read_b64 v[104:105], v90 offset:696
	v_cmp_lt_u32_e32 vcc, 39, v0
	s_waitcnt vmcnt(6) lgkmcnt(1)
	v_fma_f64 v[92:93], v[96:97], v[92:93], 0
	s_waitcnt vmcnt(4)
	v_fmac_f64_e32 v[92:93], v[98:99], v[94:95]
	s_waitcnt vmcnt(2) lgkmcnt(0)
	v_fmac_f64_e32 v[92:93], v[100:101], v[104:105]
	s_waitcnt vmcnt(0)
	v_add_f64 v[92:93], v[102:103], -v[92:93]
	buffer_store_dword v92, off, s[0:3], 0 offset:320
	buffer_store_dword v93, off, s[0:3], 0 offset:324
	s_and_saveexec_b64 s[4:5], vcc
	s_cbranch_execz .LBB107_193
; %bb.192:
	buffer_load_dword v92, off, s[0:3], 0 offset:312
	buffer_load_dword v93, off, s[0:3], 0 offset:316
	s_waitcnt vmcnt(0)
	ds_write_b64 v1, v[92:93]
	buffer_store_dword v90, off, s[0:3], 0 offset:312
	buffer_store_dword v90, off, s[0:3], 0 offset:316
.LBB107_193:
	s_or_b64 exec, exec, s[4:5]
	s_waitcnt lgkmcnt(0)
	; wave barrier
	s_waitcnt lgkmcnt(0)
	buffer_load_dword v100, off, s[0:3], 0 offset:320
	buffer_load_dword v101, off, s[0:3], 0 offset:324
	;; [unrolled: 1-line block ×10, first 2 shown]
	ds_read_b128 v[92:95], v90 offset:672
	ds_read_b128 v[96:99], v90 offset:688
	v_cmp_lt_u32_e32 vcc, 38, v0
	s_waitcnt vmcnt(8) lgkmcnt(1)
	v_fma_f64 v[90:91], v[100:101], v[92:93], 0
	s_waitcnt vmcnt(6)
	v_fmac_f64_e32 v[90:91], v[102:103], v[94:95]
	s_waitcnt vmcnt(4) lgkmcnt(0)
	v_fmac_f64_e32 v[90:91], v[104:105], v[96:97]
	s_waitcnt vmcnt(2)
	v_fmac_f64_e32 v[90:91], v[106:107], v[98:99]
	s_waitcnt vmcnt(0)
	v_add_f64 v[90:91], v[108:109], -v[90:91]
	buffer_store_dword v90, off, s[0:3], 0 offset:312
	buffer_store_dword v91, off, s[0:3], 0 offset:316
	s_and_saveexec_b64 s[4:5], vcc
	s_cbranch_execz .LBB107_195
; %bb.194:
	buffer_load_dword v90, off, s[0:3], 0 offset:304
	buffer_load_dword v91, off, s[0:3], 0 offset:308
	v_mov_b32_e32 v92, 0
	buffer_store_dword v92, off, s[0:3], 0 offset:304
	buffer_store_dword v92, off, s[0:3], 0 offset:308
	s_waitcnt vmcnt(2)
	ds_write_b64 v1, v[90:91]
.LBB107_195:
	s_or_b64 exec, exec, s[4:5]
	s_waitcnt lgkmcnt(0)
	; wave barrier
	s_waitcnt lgkmcnt(0)
	buffer_load_dword v100, off, s[0:3], 0 offset:312
	buffer_load_dword v101, off, s[0:3], 0 offset:316
	;; [unrolled: 1-line block ×12, first 2 shown]
	v_mov_b32_e32 v90, 0
	ds_read2_b64 v[92:95], v90 offset0:83 offset1:84
	ds_read2_b64 v[96:99], v90 offset0:85 offset1:86
	ds_read_b64 v[112:113], v90 offset:696
	v_cmp_lt_u32_e32 vcc, 37, v0
	s_waitcnt vmcnt(10) lgkmcnt(2)
	v_fma_f64 v[92:93], v[100:101], v[92:93], 0
	s_waitcnt vmcnt(8)
	v_fmac_f64_e32 v[92:93], v[102:103], v[94:95]
	s_waitcnt vmcnt(6) lgkmcnt(1)
	v_fmac_f64_e32 v[92:93], v[104:105], v[96:97]
	s_waitcnt vmcnt(4)
	v_fmac_f64_e32 v[92:93], v[106:107], v[98:99]
	s_waitcnt vmcnt(2) lgkmcnt(0)
	v_fmac_f64_e32 v[92:93], v[108:109], v[112:113]
	s_waitcnt vmcnt(0)
	v_add_f64 v[92:93], v[110:111], -v[92:93]
	buffer_store_dword v92, off, s[0:3], 0 offset:304
	buffer_store_dword v93, off, s[0:3], 0 offset:308
	s_and_saveexec_b64 s[4:5], vcc
	s_cbranch_execz .LBB107_197
; %bb.196:
	buffer_load_dword v92, off, s[0:3], 0 offset:296
	buffer_load_dword v93, off, s[0:3], 0 offset:300
	s_waitcnt vmcnt(0)
	ds_write_b64 v1, v[92:93]
	buffer_store_dword v90, off, s[0:3], 0 offset:296
	buffer_store_dword v90, off, s[0:3], 0 offset:300
.LBB107_197:
	s_or_b64 exec, exec, s[4:5]
	s_waitcnt lgkmcnt(0)
	; wave barrier
	s_waitcnt lgkmcnt(0)
	buffer_load_dword v104, off, s[0:3], 0 offset:304
	buffer_load_dword v105, off, s[0:3], 0 offset:308
	;; [unrolled: 1-line block ×14, first 2 shown]
	ds_read_b128 v[92:95], v90 offset:656
	ds_read_b128 v[96:99], v90 offset:672
	;; [unrolled: 1-line block ×3, first 2 shown]
	v_cmp_lt_u32_e32 vcc, 36, v0
	s_waitcnt vmcnt(12) lgkmcnt(2)
	v_fma_f64 v[90:91], v[104:105], v[92:93], 0
	s_waitcnt vmcnt(10)
	v_fmac_f64_e32 v[90:91], v[106:107], v[94:95]
	s_waitcnt vmcnt(8) lgkmcnt(1)
	v_fmac_f64_e32 v[90:91], v[108:109], v[96:97]
	s_waitcnt vmcnt(6)
	v_fmac_f64_e32 v[90:91], v[110:111], v[98:99]
	s_waitcnt vmcnt(4) lgkmcnt(0)
	v_fmac_f64_e32 v[90:91], v[112:113], v[100:101]
	s_waitcnt vmcnt(2)
	v_fmac_f64_e32 v[90:91], v[114:115], v[102:103]
	s_waitcnt vmcnt(0)
	v_add_f64 v[90:91], v[116:117], -v[90:91]
	buffer_store_dword v90, off, s[0:3], 0 offset:296
	buffer_store_dword v91, off, s[0:3], 0 offset:300
	s_and_saveexec_b64 s[4:5], vcc
	s_cbranch_execz .LBB107_199
; %bb.198:
	buffer_load_dword v90, off, s[0:3], 0 offset:288
	buffer_load_dword v91, off, s[0:3], 0 offset:292
	v_mov_b32_e32 v92, 0
	buffer_store_dword v92, off, s[0:3], 0 offset:288
	buffer_store_dword v92, off, s[0:3], 0 offset:292
	s_waitcnt vmcnt(2)
	ds_write_b64 v1, v[90:91]
.LBB107_199:
	s_or_b64 exec, exec, s[4:5]
	s_waitcnt lgkmcnt(0)
	; wave barrier
	s_waitcnt lgkmcnt(0)
	buffer_load_dword v104, off, s[0:3], 0 offset:296
	buffer_load_dword v105, off, s[0:3], 0 offset:300
	;; [unrolled: 1-line block ×16, first 2 shown]
	v_mov_b32_e32 v90, 0
	ds_read2_b64 v[92:95], v90 offset0:81 offset1:82
	ds_read2_b64 v[96:99], v90 offset0:83 offset1:84
	;; [unrolled: 1-line block ×3, first 2 shown]
	ds_read_b64 v[120:121], v90 offset:696
	v_cmp_lt_u32_e32 vcc, 35, v0
	s_waitcnt vmcnt(14) lgkmcnt(3)
	v_fma_f64 v[92:93], v[104:105], v[92:93], 0
	s_waitcnt vmcnt(12)
	v_fmac_f64_e32 v[92:93], v[106:107], v[94:95]
	s_waitcnt vmcnt(10) lgkmcnt(2)
	v_fmac_f64_e32 v[92:93], v[108:109], v[96:97]
	s_waitcnt vmcnt(8)
	v_fmac_f64_e32 v[92:93], v[110:111], v[98:99]
	s_waitcnt vmcnt(6) lgkmcnt(1)
	v_fmac_f64_e32 v[92:93], v[112:113], v[100:101]
	;; [unrolled: 4-line block ×3, first 2 shown]
	s_waitcnt vmcnt(0)
	v_add_f64 v[92:93], v[118:119], -v[92:93]
	buffer_store_dword v92, off, s[0:3], 0 offset:288
	buffer_store_dword v93, off, s[0:3], 0 offset:292
	s_and_saveexec_b64 s[4:5], vcc
	s_cbranch_execz .LBB107_201
; %bb.200:
	buffer_load_dword v92, off, s[0:3], 0 offset:280
	buffer_load_dword v93, off, s[0:3], 0 offset:284
	s_waitcnt vmcnt(0)
	ds_write_b64 v1, v[92:93]
	buffer_store_dword v90, off, s[0:3], 0 offset:280
	buffer_store_dword v90, off, s[0:3], 0 offset:284
.LBB107_201:
	s_or_b64 exec, exec, s[4:5]
	s_waitcnt lgkmcnt(0)
	; wave barrier
	s_waitcnt lgkmcnt(0)
	buffer_load_dword v108, off, s[0:3], 0 offset:288
	buffer_load_dword v109, off, s[0:3], 0 offset:292
	;; [unrolled: 1-line block ×18, first 2 shown]
	ds_read_b128 v[92:95], v90 offset:640
	ds_read_b128 v[96:99], v90 offset:656
	;; [unrolled: 1-line block ×4, first 2 shown]
	v_cmp_lt_u32_e32 vcc, 34, v0
	s_waitcnt vmcnt(16) lgkmcnt(3)
	v_fma_f64 v[90:91], v[108:109], v[92:93], 0
	s_waitcnt vmcnt(14)
	v_fmac_f64_e32 v[90:91], v[110:111], v[94:95]
	s_waitcnt vmcnt(12) lgkmcnt(2)
	v_fmac_f64_e32 v[90:91], v[112:113], v[96:97]
	s_waitcnt vmcnt(10)
	v_fmac_f64_e32 v[90:91], v[114:115], v[98:99]
	s_waitcnt vmcnt(8) lgkmcnt(1)
	v_fmac_f64_e32 v[90:91], v[116:117], v[100:101]
	s_waitcnt vmcnt(6)
	v_fmac_f64_e32 v[90:91], v[118:119], v[102:103]
	s_waitcnt vmcnt(4) lgkmcnt(0)
	v_fmac_f64_e32 v[90:91], v[120:121], v[104:105]
	s_waitcnt vmcnt(2)
	v_fmac_f64_e32 v[90:91], v[122:123], v[106:107]
	s_waitcnt vmcnt(0)
	v_add_f64 v[90:91], v[124:125], -v[90:91]
	buffer_store_dword v90, off, s[0:3], 0 offset:280
	buffer_store_dword v91, off, s[0:3], 0 offset:284
	s_and_saveexec_b64 s[4:5], vcc
	s_cbranch_execz .LBB107_203
; %bb.202:
	buffer_load_dword v90, off, s[0:3], 0 offset:272
	buffer_load_dword v91, off, s[0:3], 0 offset:276
	v_mov_b32_e32 v92, 0
	buffer_store_dword v92, off, s[0:3], 0 offset:272
	buffer_store_dword v92, off, s[0:3], 0 offset:276
	s_waitcnt vmcnt(2)
	ds_write_b64 v1, v[90:91]
.LBB107_203:
	s_or_b64 exec, exec, s[4:5]
	s_waitcnt lgkmcnt(0)
	; wave barrier
	s_waitcnt lgkmcnt(0)
	buffer_load_dword v96, off, s[0:3], 0 offset:272
	buffer_load_dword v97, off, s[0:3], 0 offset:276
	;; [unrolled: 1-line block ×16, first 2 shown]
	v_mov_b32_e32 v90, 0
	ds_read2_b64 v[92:95], v90 offset0:79 offset1:80
	v_cmp_lt_u32_e32 vcc, 33, v0
	s_waitcnt vmcnt(12) lgkmcnt(0)
	v_fma_f64 v[98:99], v[98:99], v[92:93], 0
	s_waitcnt vmcnt(10)
	v_fmac_f64_e32 v[98:99], v[100:101], v[94:95]
	ds_read2_b64 v[92:95], v90 offset0:81 offset1:82
	s_waitcnt vmcnt(8) lgkmcnt(0)
	v_fmac_f64_e32 v[98:99], v[102:103], v[92:93]
	s_waitcnt vmcnt(6)
	v_fmac_f64_e32 v[98:99], v[104:105], v[94:95]
	ds_read2_b64 v[92:95], v90 offset0:83 offset1:84
	s_waitcnt vmcnt(4) lgkmcnt(0)
	v_fmac_f64_e32 v[98:99], v[106:107], v[92:93]
	;; [unrolled: 5-line block ×3, first 2 shown]
	buffer_load_dword v93, off, s[0:3], 0 offset:340
	buffer_load_dword v92, off, s[0:3], 0 offset:336
	s_waitcnt vmcnt(0)
	v_fmac_f64_e32 v[98:99], v[92:93], v[94:95]
	buffer_load_dword v93, off, s[0:3], 0 offset:348
	buffer_load_dword v92, off, s[0:3], 0 offset:344
	ds_read_b64 v[94:95], v90 offset:696
	s_waitcnt vmcnt(0) lgkmcnt(0)
	v_fmac_f64_e32 v[98:99], v[92:93], v[94:95]
	v_add_f64 v[92:93], v[96:97], -v[98:99]
	buffer_store_dword v92, off, s[0:3], 0 offset:272
	buffer_store_dword v93, off, s[0:3], 0 offset:276
	s_and_saveexec_b64 s[4:5], vcc
	s_cbranch_execz .LBB107_205
; %bb.204:
	buffer_load_dword v92, off, s[0:3], 0 offset:264
	buffer_load_dword v93, off, s[0:3], 0 offset:268
	s_waitcnt vmcnt(0)
	ds_write_b64 v1, v[92:93]
	buffer_store_dword v90, off, s[0:3], 0 offset:264
	buffer_store_dword v90, off, s[0:3], 0 offset:268
.LBB107_205:
	s_or_b64 exec, exec, s[4:5]
	s_waitcnt lgkmcnt(0)
	; wave barrier
	s_waitcnt lgkmcnt(0)
	buffer_load_dword v108, off, s[0:3], 0 offset:264
	buffer_load_dword v109, off, s[0:3], 0 offset:268
	;; [unrolled: 1-line block ×16, first 2 shown]
	ds_read_b128 v[92:95], v90 offset:624
	ds_read_b128 v[96:99], v90 offset:640
	;; [unrolled: 1-line block ×4, first 2 shown]
	v_cmp_lt_u32_e32 vcc, 32, v0
	s_waitcnt vmcnt(12) lgkmcnt(3)
	v_fma_f64 v[110:111], v[110:111], v[92:93], 0
	buffer_load_dword v93, off, s[0:3], 0 offset:332
	buffer_load_dword v92, off, s[0:3], 0 offset:328
	s_waitcnt vmcnt(12)
	v_fmac_f64_e32 v[110:111], v[112:113], v[94:95]
	buffer_load_dword v95, off, s[0:3], 0 offset:340
	buffer_load_dword v94, off, s[0:3], 0 offset:336
	s_waitcnt vmcnt(12) lgkmcnt(2)
	v_fmac_f64_e32 v[110:111], v[114:115], v[96:97]
	s_waitcnt vmcnt(10)
	v_fmac_f64_e32 v[110:111], v[116:117], v[98:99]
	s_waitcnt vmcnt(8) lgkmcnt(1)
	v_fmac_f64_e32 v[110:111], v[118:119], v[100:101]
	s_waitcnt vmcnt(6)
	v_fmac_f64_e32 v[110:111], v[120:121], v[102:103]
	;; [unrolled: 4-line block ×3, first 2 shown]
	ds_read_b128 v[90:93], v90 offset:688
	s_waitcnt vmcnt(0) lgkmcnt(0)
	v_fmac_f64_e32 v[110:111], v[94:95], v[90:91]
	buffer_load_dword v91, off, s[0:3], 0 offset:348
	buffer_load_dword v90, off, s[0:3], 0 offset:344
	s_waitcnt vmcnt(0)
	v_fmac_f64_e32 v[110:111], v[90:91], v[92:93]
	v_add_f64 v[90:91], v[108:109], -v[110:111]
	buffer_store_dword v90, off, s[0:3], 0 offset:264
	buffer_store_dword v91, off, s[0:3], 0 offset:268
	s_and_saveexec_b64 s[4:5], vcc
	s_cbranch_execz .LBB107_207
; %bb.206:
	buffer_load_dword v90, off, s[0:3], 0 offset:256
	buffer_load_dword v91, off, s[0:3], 0 offset:260
	v_mov_b32_e32 v92, 0
	buffer_store_dword v92, off, s[0:3], 0 offset:256
	buffer_store_dword v92, off, s[0:3], 0 offset:260
	s_waitcnt vmcnt(2)
	ds_write_b64 v1, v[90:91]
.LBB107_207:
	s_or_b64 exec, exec, s[4:5]
	s_waitcnt lgkmcnt(0)
	; wave barrier
	s_waitcnt lgkmcnt(0)
	buffer_load_dword v96, off, s[0:3], 0 offset:256
	buffer_load_dword v97, off, s[0:3], 0 offset:260
	;; [unrolled: 1-line block ×16, first 2 shown]
	v_mov_b32_e32 v90, 0
	ds_read2_b64 v[92:95], v90 offset0:77 offset1:78
	v_cmp_lt_u32_e32 vcc, 31, v0
	s_waitcnt vmcnt(12) lgkmcnt(0)
	v_fma_f64 v[98:99], v[98:99], v[92:93], 0
	s_waitcnt vmcnt(10)
	v_fmac_f64_e32 v[98:99], v[100:101], v[94:95]
	ds_read2_b64 v[92:95], v90 offset0:79 offset1:80
	s_waitcnt vmcnt(8) lgkmcnt(0)
	v_fmac_f64_e32 v[98:99], v[102:103], v[92:93]
	s_waitcnt vmcnt(6)
	v_fmac_f64_e32 v[98:99], v[104:105], v[94:95]
	ds_read2_b64 v[92:95], v90 offset0:81 offset1:82
	s_waitcnt vmcnt(4) lgkmcnt(0)
	v_fmac_f64_e32 v[98:99], v[106:107], v[92:93]
	s_waitcnt vmcnt(2)
	v_fmac_f64_e32 v[98:99], v[108:109], v[94:95]
	ds_read2_b64 v[92:95], v90 offset0:83 offset1:84
	s_waitcnt vmcnt(0) lgkmcnt(0)
	v_fmac_f64_e32 v[98:99], v[110:111], v[92:93]
	buffer_load_dword v93, off, s[0:3], 0 offset:324
	buffer_load_dword v92, off, s[0:3], 0 offset:320
	;; [unrolled: 1-line block ×4, first 2 shown]
	s_waitcnt vmcnt(2)
	v_fmac_f64_e32 v[98:99], v[92:93], v[94:95]
	ds_read2_b64 v[92:95], v90 offset0:85 offset1:86
	s_waitcnt vmcnt(0) lgkmcnt(0)
	v_fmac_f64_e32 v[98:99], v[100:101], v[92:93]
	buffer_load_dword v93, off, s[0:3], 0 offset:340
	buffer_load_dword v92, off, s[0:3], 0 offset:336
	s_waitcnt vmcnt(0)
	v_fmac_f64_e32 v[98:99], v[92:93], v[94:95]
	buffer_load_dword v93, off, s[0:3], 0 offset:348
	buffer_load_dword v92, off, s[0:3], 0 offset:344
	ds_read_b64 v[94:95], v90 offset:696
	s_waitcnt vmcnt(0) lgkmcnt(0)
	v_fmac_f64_e32 v[98:99], v[92:93], v[94:95]
	v_add_f64 v[92:93], v[96:97], -v[98:99]
	buffer_store_dword v93, off, s[0:3], 0 offset:260
	buffer_store_dword v92, off, s[0:3], 0 offset:256
	s_and_saveexec_b64 s[4:5], vcc
	s_cbranch_execz .LBB107_209
; %bb.208:
	buffer_load_dword v92, off, s[0:3], 0 offset:248
	buffer_load_dword v93, off, s[0:3], 0 offset:252
	s_waitcnt vmcnt(0)
	ds_write_b64 v1, v[92:93]
	buffer_store_dword v90, off, s[0:3], 0 offset:248
	buffer_store_dword v90, off, s[0:3], 0 offset:252
.LBB107_209:
	s_or_b64 exec, exec, s[4:5]
	s_waitcnt lgkmcnt(0)
	; wave barrier
	s_waitcnt lgkmcnt(0)
	buffer_load_dword v108, off, s[0:3], 0 offset:248
	buffer_load_dword v109, off, s[0:3], 0 offset:252
	;; [unrolled: 1-line block ×16, first 2 shown]
	ds_read_b128 v[92:95], v90 offset:608
	ds_read_b128 v[96:99], v90 offset:624
	;; [unrolled: 1-line block ×4, first 2 shown]
	v_cmp_lt_u32_e32 vcc, 30, v0
	s_waitcnt vmcnt(12) lgkmcnt(3)
	v_fma_f64 v[110:111], v[110:111], v[92:93], 0
	buffer_load_dword v93, off, s[0:3], 0 offset:316
	buffer_load_dword v92, off, s[0:3], 0 offset:312
	s_waitcnt vmcnt(12)
	v_fmac_f64_e32 v[110:111], v[112:113], v[94:95]
	s_waitcnt vmcnt(10) lgkmcnt(2)
	v_fmac_f64_e32 v[110:111], v[114:115], v[96:97]
	buffer_load_dword v97, off, s[0:3], 0 offset:324
	buffer_load_dword v96, off, s[0:3], 0 offset:320
	s_waitcnt vmcnt(10)
	v_fmac_f64_e32 v[110:111], v[116:117], v[98:99]
	s_waitcnt vmcnt(8) lgkmcnt(1)
	v_fmac_f64_e32 v[110:111], v[118:119], v[100:101]
	s_waitcnt vmcnt(6)
	v_fmac_f64_e32 v[110:111], v[120:121], v[102:103]
	s_waitcnt vmcnt(4) lgkmcnt(0)
	v_fmac_f64_e32 v[110:111], v[122:123], v[104:105]
	s_waitcnt vmcnt(2)
	v_fmac_f64_e32 v[110:111], v[92:93], v[106:107]
	ds_read_b128 v[92:95], v90 offset:672
	s_waitcnt vmcnt(0) lgkmcnt(0)
	v_fmac_f64_e32 v[110:111], v[96:97], v[92:93]
	buffer_load_dword v93, off, s[0:3], 0 offset:332
	buffer_load_dword v92, off, s[0:3], 0 offset:328
	s_waitcnt vmcnt(0)
	v_fmac_f64_e32 v[110:111], v[92:93], v[94:95]
	buffer_load_dword v95, off, s[0:3], 0 offset:340
	buffer_load_dword v94, off, s[0:3], 0 offset:336
	ds_read_b128 v[90:93], v90 offset:688
	s_waitcnt vmcnt(0) lgkmcnt(0)
	v_fmac_f64_e32 v[110:111], v[94:95], v[90:91]
	buffer_load_dword v91, off, s[0:3], 0 offset:348
	buffer_load_dword v90, off, s[0:3], 0 offset:344
	s_waitcnt vmcnt(0)
	v_fmac_f64_e32 v[110:111], v[90:91], v[92:93]
	v_add_f64 v[90:91], v[108:109], -v[110:111]
	buffer_store_dword v91, off, s[0:3], 0 offset:252
	buffer_store_dword v90, off, s[0:3], 0 offset:248
	s_and_saveexec_b64 s[4:5], vcc
	s_cbranch_execz .LBB107_211
; %bb.210:
	buffer_load_dword v90, off, s[0:3], 0 offset:240
	buffer_load_dword v91, off, s[0:3], 0 offset:244
	v_mov_b32_e32 v92, 0
	buffer_store_dword v92, off, s[0:3], 0 offset:240
	buffer_store_dword v92, off, s[0:3], 0 offset:244
	s_waitcnt vmcnt(2)
	ds_write_b64 v1, v[90:91]
.LBB107_211:
	s_or_b64 exec, exec, s[4:5]
	s_waitcnt lgkmcnt(0)
	; wave barrier
	s_waitcnt lgkmcnt(0)
	buffer_load_dword v96, off, s[0:3], 0 offset:240
	buffer_load_dword v97, off, s[0:3], 0 offset:244
	;; [unrolled: 1-line block ×16, first 2 shown]
	v_mov_b32_e32 v90, 0
	ds_read2_b64 v[92:95], v90 offset0:75 offset1:76
	v_cmp_lt_u32_e32 vcc, 29, v0
	s_waitcnt vmcnt(12) lgkmcnt(0)
	v_fma_f64 v[98:99], v[98:99], v[92:93], 0
	s_waitcnt vmcnt(10)
	v_fmac_f64_e32 v[98:99], v[100:101], v[94:95]
	ds_read2_b64 v[92:95], v90 offset0:77 offset1:78
	s_waitcnt vmcnt(8) lgkmcnt(0)
	v_fmac_f64_e32 v[98:99], v[102:103], v[92:93]
	s_waitcnt vmcnt(6)
	v_fmac_f64_e32 v[98:99], v[104:105], v[94:95]
	ds_read2_b64 v[92:95], v90 offset0:79 offset1:80
	s_waitcnt vmcnt(4) lgkmcnt(0)
	v_fmac_f64_e32 v[98:99], v[106:107], v[92:93]
	;; [unrolled: 5-line block ×3, first 2 shown]
	buffer_load_dword v93, off, s[0:3], 0 offset:308
	buffer_load_dword v92, off, s[0:3], 0 offset:304
	;; [unrolled: 1-line block ×4, first 2 shown]
	s_waitcnt vmcnt(2)
	v_fmac_f64_e32 v[98:99], v[92:93], v[94:95]
	ds_read2_b64 v[92:95], v90 offset0:83 offset1:84
	s_waitcnt vmcnt(0) lgkmcnt(0)
	v_fmac_f64_e32 v[98:99], v[100:101], v[92:93]
	buffer_load_dword v93, off, s[0:3], 0 offset:324
	buffer_load_dword v92, off, s[0:3], 0 offset:320
	;; [unrolled: 1-line block ×4, first 2 shown]
	s_waitcnt vmcnt(2)
	v_fmac_f64_e32 v[98:99], v[92:93], v[94:95]
	ds_read2_b64 v[92:95], v90 offset0:85 offset1:86
	s_waitcnt vmcnt(0) lgkmcnt(0)
	v_fmac_f64_e32 v[98:99], v[100:101], v[92:93]
	buffer_load_dword v93, off, s[0:3], 0 offset:340
	buffer_load_dword v92, off, s[0:3], 0 offset:336
	s_waitcnt vmcnt(0)
	v_fmac_f64_e32 v[98:99], v[92:93], v[94:95]
	buffer_load_dword v93, off, s[0:3], 0 offset:348
	buffer_load_dword v92, off, s[0:3], 0 offset:344
	ds_read_b64 v[94:95], v90 offset:696
	s_waitcnt vmcnt(0) lgkmcnt(0)
	v_fmac_f64_e32 v[98:99], v[92:93], v[94:95]
	v_add_f64 v[92:93], v[96:97], -v[98:99]
	buffer_store_dword v93, off, s[0:3], 0 offset:244
	buffer_store_dword v92, off, s[0:3], 0 offset:240
	s_and_saveexec_b64 s[4:5], vcc
	s_cbranch_execz .LBB107_213
; %bb.212:
	buffer_load_dword v92, off, s[0:3], 0 offset:232
	buffer_load_dword v93, off, s[0:3], 0 offset:236
	s_waitcnt vmcnt(0)
	ds_write_b64 v1, v[92:93]
	buffer_store_dword v90, off, s[0:3], 0 offset:232
	buffer_store_dword v90, off, s[0:3], 0 offset:236
.LBB107_213:
	s_or_b64 exec, exec, s[4:5]
	s_waitcnt lgkmcnt(0)
	; wave barrier
	s_waitcnt lgkmcnt(0)
	buffer_load_dword v108, off, s[0:3], 0 offset:232
	buffer_load_dword v109, off, s[0:3], 0 offset:236
	;; [unrolled: 1-line block ×16, first 2 shown]
	ds_read_b128 v[92:95], v90 offset:592
	ds_read_b128 v[96:99], v90 offset:608
	;; [unrolled: 1-line block ×4, first 2 shown]
	v_cmp_lt_u32_e32 vcc, 28, v0
	s_waitcnt vmcnt(12) lgkmcnt(3)
	v_fma_f64 v[110:111], v[110:111], v[92:93], 0
	buffer_load_dword v93, off, s[0:3], 0 offset:300
	buffer_load_dword v92, off, s[0:3], 0 offset:296
	s_waitcnt vmcnt(12)
	v_fmac_f64_e32 v[110:111], v[112:113], v[94:95]
	s_waitcnt vmcnt(10) lgkmcnt(2)
	v_fmac_f64_e32 v[110:111], v[114:115], v[96:97]
	buffer_load_dword v97, off, s[0:3], 0 offset:308
	buffer_load_dword v96, off, s[0:3], 0 offset:304
	s_waitcnt vmcnt(10)
	v_fmac_f64_e32 v[110:111], v[116:117], v[98:99]
	s_waitcnt vmcnt(8) lgkmcnt(1)
	v_fmac_f64_e32 v[110:111], v[118:119], v[100:101]
	s_waitcnt vmcnt(6)
	v_fmac_f64_e32 v[110:111], v[120:121], v[102:103]
	s_waitcnt vmcnt(4) lgkmcnt(0)
	v_fmac_f64_e32 v[110:111], v[122:123], v[104:105]
	s_waitcnt vmcnt(2)
	v_fmac_f64_e32 v[110:111], v[92:93], v[106:107]
	ds_read_b128 v[92:95], v90 offset:656
	s_waitcnt vmcnt(0) lgkmcnt(0)
	v_fmac_f64_e32 v[110:111], v[96:97], v[92:93]
	buffer_load_dword v93, off, s[0:3], 0 offset:316
	buffer_load_dword v92, off, s[0:3], 0 offset:312
	buffer_load_dword v97, off, s[0:3], 0 offset:324
	buffer_load_dword v96, off, s[0:3], 0 offset:320
	s_waitcnt vmcnt(2)
	v_fmac_f64_e32 v[110:111], v[92:93], v[94:95]
	ds_read_b128 v[92:95], v90 offset:672
	s_waitcnt vmcnt(0) lgkmcnt(0)
	v_fmac_f64_e32 v[110:111], v[96:97], v[92:93]
	buffer_load_dword v93, off, s[0:3], 0 offset:332
	buffer_load_dword v92, off, s[0:3], 0 offset:328
	s_waitcnt vmcnt(0)
	v_fmac_f64_e32 v[110:111], v[92:93], v[94:95]
	buffer_load_dword v95, off, s[0:3], 0 offset:340
	buffer_load_dword v94, off, s[0:3], 0 offset:336
	ds_read_b128 v[90:93], v90 offset:688
	s_waitcnt vmcnt(0) lgkmcnt(0)
	v_fmac_f64_e32 v[110:111], v[94:95], v[90:91]
	buffer_load_dword v91, off, s[0:3], 0 offset:348
	buffer_load_dword v90, off, s[0:3], 0 offset:344
	s_waitcnt vmcnt(0)
	v_fmac_f64_e32 v[110:111], v[90:91], v[92:93]
	v_add_f64 v[90:91], v[108:109], -v[110:111]
	buffer_store_dword v91, off, s[0:3], 0 offset:236
	buffer_store_dword v90, off, s[0:3], 0 offset:232
	s_and_saveexec_b64 s[4:5], vcc
	s_cbranch_execz .LBB107_215
; %bb.214:
	buffer_load_dword v90, off, s[0:3], 0 offset:224
	buffer_load_dword v91, off, s[0:3], 0 offset:228
	v_mov_b32_e32 v92, 0
	buffer_store_dword v92, off, s[0:3], 0 offset:224
	buffer_store_dword v92, off, s[0:3], 0 offset:228
	s_waitcnt vmcnt(2)
	ds_write_b64 v1, v[90:91]
.LBB107_215:
	s_or_b64 exec, exec, s[4:5]
	s_waitcnt lgkmcnt(0)
	; wave barrier
	s_waitcnt lgkmcnt(0)
	buffer_load_dword v96, off, s[0:3], 0 offset:224
	buffer_load_dword v97, off, s[0:3], 0 offset:228
	;; [unrolled: 1-line block ×16, first 2 shown]
	v_mov_b32_e32 v90, 0
	ds_read2_b64 v[92:95], v90 offset0:73 offset1:74
	v_cmp_lt_u32_e32 vcc, 27, v0
	s_waitcnt vmcnt(12) lgkmcnt(0)
	v_fma_f64 v[98:99], v[98:99], v[92:93], 0
	s_waitcnt vmcnt(10)
	v_fmac_f64_e32 v[98:99], v[100:101], v[94:95]
	ds_read2_b64 v[92:95], v90 offset0:75 offset1:76
	s_waitcnt vmcnt(8) lgkmcnt(0)
	v_fmac_f64_e32 v[98:99], v[102:103], v[92:93]
	s_waitcnt vmcnt(6)
	v_fmac_f64_e32 v[98:99], v[104:105], v[94:95]
	ds_read2_b64 v[92:95], v90 offset0:77 offset1:78
	s_waitcnt vmcnt(4) lgkmcnt(0)
	v_fmac_f64_e32 v[98:99], v[106:107], v[92:93]
	;; [unrolled: 5-line block ×3, first 2 shown]
	buffer_load_dword v93, off, s[0:3], 0 offset:292
	buffer_load_dword v92, off, s[0:3], 0 offset:288
	buffer_load_dword v101, off, s[0:3], 0 offset:300
	buffer_load_dword v100, off, s[0:3], 0 offset:296
	s_waitcnt vmcnt(2)
	v_fmac_f64_e32 v[98:99], v[92:93], v[94:95]
	ds_read2_b64 v[92:95], v90 offset0:81 offset1:82
	s_waitcnt vmcnt(0) lgkmcnt(0)
	v_fmac_f64_e32 v[98:99], v[100:101], v[92:93]
	buffer_load_dword v93, off, s[0:3], 0 offset:308
	buffer_load_dword v92, off, s[0:3], 0 offset:304
	buffer_load_dword v101, off, s[0:3], 0 offset:316
	buffer_load_dword v100, off, s[0:3], 0 offset:312
	s_waitcnt vmcnt(2)
	v_fmac_f64_e32 v[98:99], v[92:93], v[94:95]
	ds_read2_b64 v[92:95], v90 offset0:83 offset1:84
	s_waitcnt vmcnt(0) lgkmcnt(0)
	v_fmac_f64_e32 v[98:99], v[100:101], v[92:93]
	;; [unrolled: 9-line block ×3, first 2 shown]
	buffer_load_dword v93, off, s[0:3], 0 offset:340
	buffer_load_dword v92, off, s[0:3], 0 offset:336
	s_waitcnt vmcnt(0)
	v_fmac_f64_e32 v[98:99], v[92:93], v[94:95]
	buffer_load_dword v93, off, s[0:3], 0 offset:348
	buffer_load_dword v92, off, s[0:3], 0 offset:344
	ds_read_b64 v[94:95], v90 offset:696
	s_waitcnt vmcnt(0) lgkmcnt(0)
	v_fmac_f64_e32 v[98:99], v[92:93], v[94:95]
	v_add_f64 v[92:93], v[96:97], -v[98:99]
	buffer_store_dword v93, off, s[0:3], 0 offset:228
	buffer_store_dword v92, off, s[0:3], 0 offset:224
	s_and_saveexec_b64 s[4:5], vcc
	s_cbranch_execz .LBB107_217
; %bb.216:
	buffer_load_dword v92, off, s[0:3], 0 offset:216
	buffer_load_dword v93, off, s[0:3], 0 offset:220
	s_waitcnt vmcnt(0)
	ds_write_b64 v1, v[92:93]
	buffer_store_dword v90, off, s[0:3], 0 offset:216
	buffer_store_dword v90, off, s[0:3], 0 offset:220
.LBB107_217:
	s_or_b64 exec, exec, s[4:5]
	s_waitcnt lgkmcnt(0)
	; wave barrier
	s_waitcnt lgkmcnt(0)
	buffer_load_dword v108, off, s[0:3], 0 offset:216
	buffer_load_dword v109, off, s[0:3], 0 offset:220
	;; [unrolled: 1-line block ×16, first 2 shown]
	ds_read_b128 v[92:95], v90 offset:576
	ds_read_b128 v[96:99], v90 offset:592
	;; [unrolled: 1-line block ×4, first 2 shown]
	v_cmp_lt_u32_e32 vcc, 26, v0
	s_waitcnt vmcnt(12) lgkmcnt(3)
	v_fma_f64 v[110:111], v[110:111], v[92:93], 0
	buffer_load_dword v93, off, s[0:3], 0 offset:284
	buffer_load_dword v92, off, s[0:3], 0 offset:280
	s_waitcnt vmcnt(12)
	v_fmac_f64_e32 v[110:111], v[112:113], v[94:95]
	s_waitcnt vmcnt(10) lgkmcnt(2)
	v_fmac_f64_e32 v[110:111], v[114:115], v[96:97]
	buffer_load_dword v97, off, s[0:3], 0 offset:292
	buffer_load_dword v96, off, s[0:3], 0 offset:288
	s_waitcnt vmcnt(10)
	v_fmac_f64_e32 v[110:111], v[116:117], v[98:99]
	s_waitcnt vmcnt(8) lgkmcnt(1)
	v_fmac_f64_e32 v[110:111], v[118:119], v[100:101]
	s_waitcnt vmcnt(6)
	v_fmac_f64_e32 v[110:111], v[120:121], v[102:103]
	s_waitcnt vmcnt(4) lgkmcnt(0)
	v_fmac_f64_e32 v[110:111], v[122:123], v[104:105]
	s_waitcnt vmcnt(2)
	v_fmac_f64_e32 v[110:111], v[92:93], v[106:107]
	ds_read_b128 v[92:95], v90 offset:640
	s_waitcnt vmcnt(0) lgkmcnt(0)
	v_fmac_f64_e32 v[110:111], v[96:97], v[92:93]
	buffer_load_dword v93, off, s[0:3], 0 offset:300
	buffer_load_dword v92, off, s[0:3], 0 offset:296
	;; [unrolled: 1-line block ×4, first 2 shown]
	s_waitcnt vmcnt(2)
	v_fmac_f64_e32 v[110:111], v[92:93], v[94:95]
	ds_read_b128 v[92:95], v90 offset:656
	s_waitcnt vmcnt(0) lgkmcnt(0)
	v_fmac_f64_e32 v[110:111], v[96:97], v[92:93]
	buffer_load_dword v93, off, s[0:3], 0 offset:316
	buffer_load_dword v92, off, s[0:3], 0 offset:312
	;; [unrolled: 1-line block ×4, first 2 shown]
	s_waitcnt vmcnt(2)
	v_fmac_f64_e32 v[110:111], v[92:93], v[94:95]
	ds_read_b128 v[92:95], v90 offset:672
	s_waitcnt vmcnt(0) lgkmcnt(0)
	v_fmac_f64_e32 v[110:111], v[96:97], v[92:93]
	buffer_load_dword v93, off, s[0:3], 0 offset:332
	buffer_load_dword v92, off, s[0:3], 0 offset:328
	s_waitcnt vmcnt(0)
	v_fmac_f64_e32 v[110:111], v[92:93], v[94:95]
	buffer_load_dword v95, off, s[0:3], 0 offset:340
	buffer_load_dword v94, off, s[0:3], 0 offset:336
	ds_read_b128 v[90:93], v90 offset:688
	s_waitcnt vmcnt(0) lgkmcnt(0)
	v_fmac_f64_e32 v[110:111], v[94:95], v[90:91]
	buffer_load_dword v91, off, s[0:3], 0 offset:348
	buffer_load_dword v90, off, s[0:3], 0 offset:344
	s_waitcnt vmcnt(0)
	v_fmac_f64_e32 v[110:111], v[90:91], v[92:93]
	v_add_f64 v[90:91], v[108:109], -v[110:111]
	buffer_store_dword v91, off, s[0:3], 0 offset:220
	buffer_store_dword v90, off, s[0:3], 0 offset:216
	s_and_saveexec_b64 s[4:5], vcc
	s_cbranch_execz .LBB107_219
; %bb.218:
	buffer_load_dword v90, off, s[0:3], 0 offset:208
	buffer_load_dword v91, off, s[0:3], 0 offset:212
	v_mov_b32_e32 v92, 0
	buffer_store_dword v92, off, s[0:3], 0 offset:208
	buffer_store_dword v92, off, s[0:3], 0 offset:212
	s_waitcnt vmcnt(2)
	ds_write_b64 v1, v[90:91]
.LBB107_219:
	s_or_b64 exec, exec, s[4:5]
	s_waitcnt lgkmcnt(0)
	; wave barrier
	s_waitcnt lgkmcnt(0)
	buffer_load_dword v90, off, s[0:3], 0 offset:208
	buffer_load_dword v91, off, s[0:3], 0 offset:212
	;; [unrolled: 1-line block ×16, first 2 shown]
	v_mov_b32_e32 v94, 0
	ds_read2_b64 v[96:99], v94 offset0:71 offset1:72
	v_cmp_lt_u32_e32 vcc, 25, v0
	s_waitcnt vmcnt(12) lgkmcnt(0)
	v_fma_f64 v[92:93], v[92:93], v[96:97], 0
	s_waitcnt vmcnt(10)
	v_fmac_f64_e32 v[92:93], v[100:101], v[98:99]
	ds_read2_b64 v[96:99], v94 offset0:73 offset1:74
	s_waitcnt vmcnt(8) lgkmcnt(0)
	v_fmac_f64_e32 v[92:93], v[102:103], v[96:97]
	s_waitcnt vmcnt(6)
	v_fmac_f64_e32 v[92:93], v[104:105], v[98:99]
	ds_read2_b64 v[96:99], v94 offset0:75 offset1:76
	s_waitcnt vmcnt(4) lgkmcnt(0)
	v_fmac_f64_e32 v[92:93], v[106:107], v[96:97]
	;; [unrolled: 5-line block ×3, first 2 shown]
	buffer_load_dword v97, off, s[0:3], 0 offset:276
	buffer_load_dword v96, off, s[0:3], 0 offset:272
	buffer_load_dword v101, off, s[0:3], 0 offset:284
	buffer_load_dword v100, off, s[0:3], 0 offset:280
	s_waitcnt vmcnt(2)
	v_fmac_f64_e32 v[92:93], v[96:97], v[98:99]
	ds_read2_b64 v[96:99], v94 offset0:79 offset1:80
	s_waitcnt vmcnt(0) lgkmcnt(0)
	v_fmac_f64_e32 v[92:93], v[100:101], v[96:97]
	buffer_load_dword v97, off, s[0:3], 0 offset:292
	buffer_load_dword v96, off, s[0:3], 0 offset:288
	buffer_load_dword v101, off, s[0:3], 0 offset:300
	buffer_load_dword v100, off, s[0:3], 0 offset:296
	s_waitcnt vmcnt(2)
	v_fmac_f64_e32 v[92:93], v[96:97], v[98:99]
	ds_read2_b64 v[96:99], v94 offset0:81 offset1:82
	s_waitcnt vmcnt(0) lgkmcnt(0)
	v_fmac_f64_e32 v[92:93], v[100:101], v[96:97]
	;; [unrolled: 9-line block ×4, first 2 shown]
	buffer_load_dword v97, off, s[0:3], 0 offset:340
	buffer_load_dword v96, off, s[0:3], 0 offset:336
	s_waitcnt vmcnt(0)
	v_fmac_f64_e32 v[92:93], v[96:97], v[98:99]
	buffer_load_dword v97, off, s[0:3], 0 offset:348
	buffer_load_dword v96, off, s[0:3], 0 offset:344
	ds_read_b64 v[98:99], v94 offset:696
	s_waitcnt vmcnt(0) lgkmcnt(0)
	v_fmac_f64_e32 v[92:93], v[96:97], v[98:99]
	v_add_f64 v[90:91], v[90:91], -v[92:93]
	buffer_store_dword v91, off, s[0:3], 0 offset:212
	buffer_store_dword v90, off, s[0:3], 0 offset:208
	s_and_saveexec_b64 s[4:5], vcc
	s_cbranch_execz .LBB107_221
; %bb.220:
	buffer_load_dword v90, off, s[0:3], 0 offset:200
	buffer_load_dword v91, off, s[0:3], 0 offset:204
	s_waitcnt vmcnt(0)
	ds_write_b64 v1, v[90:91]
	buffer_store_dword v94, off, s[0:3], 0 offset:200
	buffer_store_dword v94, off, s[0:3], 0 offset:204
.LBB107_221:
	s_or_b64 exec, exec, s[4:5]
	s_waitcnt lgkmcnt(0)
	; wave barrier
	s_waitcnt lgkmcnt(0)
	buffer_load_dword v90, off, s[0:3], 0 offset:200
	buffer_load_dword v91, off, s[0:3], 0 offset:204
	;; [unrolled: 1-line block ×16, first 2 shown]
	ds_read_b128 v[96:99], v94 offset:560
	ds_read_b128 v[100:103], v94 offset:576
	;; [unrolled: 1-line block ×4, first 2 shown]
	v_cmp_lt_u32_e32 vcc, 24, v0
	s_waitcnt vmcnt(12) lgkmcnt(3)
	v_fma_f64 v[92:93], v[92:93], v[96:97], 0
	buffer_load_dword v97, off, s[0:3], 0 offset:268
	buffer_load_dword v96, off, s[0:3], 0 offset:264
	s_waitcnt vmcnt(12)
	v_fmac_f64_e32 v[92:93], v[112:113], v[98:99]
	s_waitcnt vmcnt(10) lgkmcnt(2)
	v_fmac_f64_e32 v[92:93], v[114:115], v[100:101]
	buffer_load_dword v101, off, s[0:3], 0 offset:276
	buffer_load_dword v100, off, s[0:3], 0 offset:272
	s_waitcnt vmcnt(10)
	v_fmac_f64_e32 v[92:93], v[116:117], v[102:103]
	s_waitcnt vmcnt(8) lgkmcnt(1)
	v_fmac_f64_e32 v[92:93], v[118:119], v[104:105]
	s_waitcnt vmcnt(6)
	v_fmac_f64_e32 v[92:93], v[120:121], v[106:107]
	s_waitcnt vmcnt(4) lgkmcnt(0)
	v_fmac_f64_e32 v[92:93], v[122:123], v[108:109]
	s_waitcnt vmcnt(2)
	v_fmac_f64_e32 v[92:93], v[96:97], v[110:111]
	ds_read_b128 v[96:99], v94 offset:624
	s_waitcnt vmcnt(0) lgkmcnt(0)
	v_fmac_f64_e32 v[92:93], v[100:101], v[96:97]
	buffer_load_dword v97, off, s[0:3], 0 offset:284
	buffer_load_dword v96, off, s[0:3], 0 offset:280
	buffer_load_dword v101, off, s[0:3], 0 offset:292
	buffer_load_dword v100, off, s[0:3], 0 offset:288
	s_waitcnt vmcnt(2)
	v_fmac_f64_e32 v[92:93], v[96:97], v[98:99]
	ds_read_b128 v[96:99], v94 offset:640
	s_waitcnt vmcnt(0) lgkmcnt(0)
	v_fmac_f64_e32 v[92:93], v[100:101], v[96:97]
	buffer_load_dword v97, off, s[0:3], 0 offset:300
	buffer_load_dword v96, off, s[0:3], 0 offset:296
	buffer_load_dword v101, off, s[0:3], 0 offset:308
	buffer_load_dword v100, off, s[0:3], 0 offset:304
	;; [unrolled: 9-line block ×3, first 2 shown]
	s_waitcnt vmcnt(2)
	v_fmac_f64_e32 v[92:93], v[96:97], v[98:99]
	ds_read_b128 v[96:99], v94 offset:672
	s_waitcnt vmcnt(0) lgkmcnt(0)
	v_fmac_f64_e32 v[92:93], v[100:101], v[96:97]
	buffer_load_dword v97, off, s[0:3], 0 offset:332
	buffer_load_dword v96, off, s[0:3], 0 offset:328
	s_waitcnt vmcnt(0)
	v_fmac_f64_e32 v[92:93], v[96:97], v[98:99]
	buffer_load_dword v99, off, s[0:3], 0 offset:340
	buffer_load_dword v98, off, s[0:3], 0 offset:336
	ds_read_b128 v[94:97], v94 offset:688
	s_waitcnt vmcnt(0) lgkmcnt(0)
	v_fmac_f64_e32 v[92:93], v[98:99], v[94:95]
	buffer_load_dword v95, off, s[0:3], 0 offset:348
	buffer_load_dword v94, off, s[0:3], 0 offset:344
	s_waitcnt vmcnt(0)
	v_fmac_f64_e32 v[92:93], v[94:95], v[96:97]
	v_add_f64 v[90:91], v[90:91], -v[92:93]
	buffer_store_dword v91, off, s[0:3], 0 offset:204
	buffer_store_dword v90, off, s[0:3], 0 offset:200
	s_and_saveexec_b64 s[4:5], vcc
	s_cbranch_execz .LBB107_223
; %bb.222:
	buffer_load_dword v90, off, s[0:3], 0 offset:192
	buffer_load_dword v91, off, s[0:3], 0 offset:196
	v_mov_b32_e32 v92, 0
	buffer_store_dword v92, off, s[0:3], 0 offset:192
	buffer_store_dword v92, off, s[0:3], 0 offset:196
	s_waitcnt vmcnt(2)
	ds_write_b64 v1, v[90:91]
.LBB107_223:
	s_or_b64 exec, exec, s[4:5]
	s_waitcnt lgkmcnt(0)
	; wave barrier
	s_waitcnt lgkmcnt(0)
	buffer_load_dword v90, off, s[0:3], 0 offset:192
	buffer_load_dword v91, off, s[0:3], 0 offset:196
	;; [unrolled: 1-line block ×16, first 2 shown]
	v_mov_b32_e32 v94, 0
	ds_read2_b64 v[96:99], v94 offset0:69 offset1:70
	v_cmp_lt_u32_e32 vcc, 23, v0
	s_waitcnt vmcnt(12) lgkmcnt(0)
	v_fma_f64 v[92:93], v[92:93], v[96:97], 0
	s_waitcnt vmcnt(10)
	v_fmac_f64_e32 v[92:93], v[100:101], v[98:99]
	ds_read2_b64 v[96:99], v94 offset0:71 offset1:72
	s_waitcnt vmcnt(8) lgkmcnt(0)
	v_fmac_f64_e32 v[92:93], v[102:103], v[96:97]
	s_waitcnt vmcnt(6)
	v_fmac_f64_e32 v[92:93], v[104:105], v[98:99]
	ds_read2_b64 v[96:99], v94 offset0:73 offset1:74
	s_waitcnt vmcnt(4) lgkmcnt(0)
	v_fmac_f64_e32 v[92:93], v[106:107], v[96:97]
	;; [unrolled: 5-line block ×3, first 2 shown]
	buffer_load_dword v97, off, s[0:3], 0 offset:260
	buffer_load_dword v96, off, s[0:3], 0 offset:256
	buffer_load_dword v101, off, s[0:3], 0 offset:268
	buffer_load_dword v100, off, s[0:3], 0 offset:264
	s_waitcnt vmcnt(2)
	v_fmac_f64_e32 v[92:93], v[96:97], v[98:99]
	ds_read2_b64 v[96:99], v94 offset0:77 offset1:78
	s_waitcnt vmcnt(0) lgkmcnt(0)
	v_fmac_f64_e32 v[92:93], v[100:101], v[96:97]
	buffer_load_dword v97, off, s[0:3], 0 offset:276
	buffer_load_dword v96, off, s[0:3], 0 offset:272
	buffer_load_dword v101, off, s[0:3], 0 offset:284
	buffer_load_dword v100, off, s[0:3], 0 offset:280
	s_waitcnt vmcnt(2)
	v_fmac_f64_e32 v[92:93], v[96:97], v[98:99]
	ds_read2_b64 v[96:99], v94 offset0:79 offset1:80
	s_waitcnt vmcnt(0) lgkmcnt(0)
	v_fmac_f64_e32 v[92:93], v[100:101], v[96:97]
	;; [unrolled: 9-line block ×5, first 2 shown]
	buffer_load_dword v97, off, s[0:3], 0 offset:340
	buffer_load_dword v96, off, s[0:3], 0 offset:336
	s_waitcnt vmcnt(0)
	v_fmac_f64_e32 v[92:93], v[96:97], v[98:99]
	buffer_load_dword v97, off, s[0:3], 0 offset:348
	buffer_load_dword v96, off, s[0:3], 0 offset:344
	ds_read_b64 v[98:99], v94 offset:696
	s_waitcnt vmcnt(0) lgkmcnt(0)
	v_fmac_f64_e32 v[92:93], v[96:97], v[98:99]
	v_add_f64 v[90:91], v[90:91], -v[92:93]
	buffer_store_dword v91, off, s[0:3], 0 offset:196
	buffer_store_dword v90, off, s[0:3], 0 offset:192
	s_and_saveexec_b64 s[4:5], vcc
	s_cbranch_execz .LBB107_225
; %bb.224:
	buffer_load_dword v90, off, s[0:3], 0 offset:184
	buffer_load_dword v91, off, s[0:3], 0 offset:188
	s_waitcnt vmcnt(0)
	ds_write_b64 v1, v[90:91]
	buffer_store_dword v94, off, s[0:3], 0 offset:184
	buffer_store_dword v94, off, s[0:3], 0 offset:188
.LBB107_225:
	s_or_b64 exec, exec, s[4:5]
	s_waitcnt lgkmcnt(0)
	; wave barrier
	s_waitcnt lgkmcnt(0)
	buffer_load_dword v90, off, s[0:3], 0 offset:184
	buffer_load_dword v91, off, s[0:3], 0 offset:188
	;; [unrolled: 1-line block ×16, first 2 shown]
	ds_read_b128 v[96:99], v94 offset:544
	ds_read_b128 v[100:103], v94 offset:560
	;; [unrolled: 1-line block ×4, first 2 shown]
	v_cmp_lt_u32_e32 vcc, 22, v0
	s_waitcnt vmcnt(12) lgkmcnt(3)
	v_fma_f64 v[92:93], v[92:93], v[96:97], 0
	buffer_load_dword v97, off, s[0:3], 0 offset:252
	buffer_load_dword v96, off, s[0:3], 0 offset:248
	s_waitcnt vmcnt(12)
	v_fmac_f64_e32 v[92:93], v[112:113], v[98:99]
	s_waitcnt vmcnt(10) lgkmcnt(2)
	v_fmac_f64_e32 v[92:93], v[114:115], v[100:101]
	buffer_load_dword v101, off, s[0:3], 0 offset:260
	buffer_load_dword v100, off, s[0:3], 0 offset:256
	s_waitcnt vmcnt(10)
	v_fmac_f64_e32 v[92:93], v[116:117], v[102:103]
	s_waitcnt vmcnt(8) lgkmcnt(1)
	v_fmac_f64_e32 v[92:93], v[118:119], v[104:105]
	s_waitcnt vmcnt(6)
	v_fmac_f64_e32 v[92:93], v[120:121], v[106:107]
	s_waitcnt vmcnt(4) lgkmcnt(0)
	v_fmac_f64_e32 v[92:93], v[122:123], v[108:109]
	s_waitcnt vmcnt(2)
	v_fmac_f64_e32 v[92:93], v[96:97], v[110:111]
	ds_read_b128 v[96:99], v94 offset:608
	s_waitcnt vmcnt(0) lgkmcnt(0)
	v_fmac_f64_e32 v[92:93], v[100:101], v[96:97]
	buffer_load_dword v97, off, s[0:3], 0 offset:268
	buffer_load_dword v96, off, s[0:3], 0 offset:264
	buffer_load_dword v101, off, s[0:3], 0 offset:276
	buffer_load_dword v100, off, s[0:3], 0 offset:272
	s_waitcnt vmcnt(2)
	v_fmac_f64_e32 v[92:93], v[96:97], v[98:99]
	ds_read_b128 v[96:99], v94 offset:624
	s_waitcnt vmcnt(0) lgkmcnt(0)
	v_fmac_f64_e32 v[92:93], v[100:101], v[96:97]
	buffer_load_dword v97, off, s[0:3], 0 offset:284
	buffer_load_dword v96, off, s[0:3], 0 offset:280
	buffer_load_dword v101, off, s[0:3], 0 offset:292
	buffer_load_dword v100, off, s[0:3], 0 offset:288
	;; [unrolled: 9-line block ×4, first 2 shown]
	s_waitcnt vmcnt(2)
	v_fmac_f64_e32 v[92:93], v[96:97], v[98:99]
	ds_read_b128 v[96:99], v94 offset:672
	s_waitcnt vmcnt(0) lgkmcnt(0)
	v_fmac_f64_e32 v[92:93], v[100:101], v[96:97]
	buffer_load_dword v97, off, s[0:3], 0 offset:332
	buffer_load_dword v96, off, s[0:3], 0 offset:328
	s_waitcnt vmcnt(0)
	v_fmac_f64_e32 v[92:93], v[96:97], v[98:99]
	buffer_load_dword v99, off, s[0:3], 0 offset:340
	buffer_load_dword v98, off, s[0:3], 0 offset:336
	ds_read_b128 v[94:97], v94 offset:688
	s_waitcnt vmcnt(0) lgkmcnt(0)
	v_fmac_f64_e32 v[92:93], v[98:99], v[94:95]
	buffer_load_dword v95, off, s[0:3], 0 offset:348
	buffer_load_dword v94, off, s[0:3], 0 offset:344
	s_waitcnt vmcnt(0)
	v_fmac_f64_e32 v[92:93], v[94:95], v[96:97]
	v_add_f64 v[90:91], v[90:91], -v[92:93]
	buffer_store_dword v91, off, s[0:3], 0 offset:188
	buffer_store_dword v90, off, s[0:3], 0 offset:184
	s_and_saveexec_b64 s[4:5], vcc
	s_cbranch_execz .LBB107_227
; %bb.226:
	buffer_load_dword v90, off, s[0:3], 0 offset:176
	buffer_load_dword v91, off, s[0:3], 0 offset:180
	v_mov_b32_e32 v92, 0
	buffer_store_dword v92, off, s[0:3], 0 offset:176
	buffer_store_dword v92, off, s[0:3], 0 offset:180
	s_waitcnt vmcnt(2)
	ds_write_b64 v1, v[90:91]
.LBB107_227:
	s_or_b64 exec, exec, s[4:5]
	s_waitcnt lgkmcnt(0)
	; wave barrier
	s_waitcnt lgkmcnt(0)
	buffer_load_dword v90, off, s[0:3], 0 offset:176
	buffer_load_dword v91, off, s[0:3], 0 offset:180
	;; [unrolled: 1-line block ×16, first 2 shown]
	v_mov_b32_e32 v94, 0
	ds_read2_b64 v[96:99], v94 offset0:67 offset1:68
	v_cmp_lt_u32_e32 vcc, 21, v0
	s_waitcnt vmcnt(12) lgkmcnt(0)
	v_fma_f64 v[92:93], v[92:93], v[96:97], 0
	s_waitcnt vmcnt(10)
	v_fmac_f64_e32 v[92:93], v[100:101], v[98:99]
	ds_read2_b64 v[96:99], v94 offset0:69 offset1:70
	s_waitcnt vmcnt(8) lgkmcnt(0)
	v_fmac_f64_e32 v[92:93], v[102:103], v[96:97]
	s_waitcnt vmcnt(6)
	v_fmac_f64_e32 v[92:93], v[104:105], v[98:99]
	ds_read2_b64 v[96:99], v94 offset0:71 offset1:72
	s_waitcnt vmcnt(4) lgkmcnt(0)
	v_fmac_f64_e32 v[92:93], v[106:107], v[96:97]
	;; [unrolled: 5-line block ×3, first 2 shown]
	buffer_load_dword v97, off, s[0:3], 0 offset:244
	buffer_load_dword v96, off, s[0:3], 0 offset:240
	buffer_load_dword v101, off, s[0:3], 0 offset:252
	buffer_load_dword v100, off, s[0:3], 0 offset:248
	s_waitcnt vmcnt(2)
	v_fmac_f64_e32 v[92:93], v[96:97], v[98:99]
	ds_read2_b64 v[96:99], v94 offset0:75 offset1:76
	s_waitcnt vmcnt(0) lgkmcnt(0)
	v_fmac_f64_e32 v[92:93], v[100:101], v[96:97]
	buffer_load_dword v97, off, s[0:3], 0 offset:260
	buffer_load_dword v96, off, s[0:3], 0 offset:256
	buffer_load_dword v101, off, s[0:3], 0 offset:268
	buffer_load_dword v100, off, s[0:3], 0 offset:264
	s_waitcnt vmcnt(2)
	v_fmac_f64_e32 v[92:93], v[96:97], v[98:99]
	ds_read2_b64 v[96:99], v94 offset0:77 offset1:78
	s_waitcnt vmcnt(0) lgkmcnt(0)
	v_fmac_f64_e32 v[92:93], v[100:101], v[96:97]
	;; [unrolled: 9-line block ×6, first 2 shown]
	buffer_load_dword v97, off, s[0:3], 0 offset:340
	buffer_load_dword v96, off, s[0:3], 0 offset:336
	s_waitcnt vmcnt(0)
	v_fmac_f64_e32 v[92:93], v[96:97], v[98:99]
	buffer_load_dword v97, off, s[0:3], 0 offset:348
	buffer_load_dword v96, off, s[0:3], 0 offset:344
	ds_read_b64 v[98:99], v94 offset:696
	s_waitcnt vmcnt(0) lgkmcnt(0)
	v_fmac_f64_e32 v[92:93], v[96:97], v[98:99]
	v_add_f64 v[90:91], v[90:91], -v[92:93]
	buffer_store_dword v91, off, s[0:3], 0 offset:180
	buffer_store_dword v90, off, s[0:3], 0 offset:176
	s_and_saveexec_b64 s[4:5], vcc
	s_cbranch_execz .LBB107_229
; %bb.228:
	buffer_load_dword v90, off, s[0:3], 0 offset:168
	buffer_load_dword v91, off, s[0:3], 0 offset:172
	s_waitcnt vmcnt(0)
	ds_write_b64 v1, v[90:91]
	buffer_store_dword v94, off, s[0:3], 0 offset:168
	buffer_store_dword v94, off, s[0:3], 0 offset:172
.LBB107_229:
	s_or_b64 exec, exec, s[4:5]
	s_waitcnt lgkmcnt(0)
	; wave barrier
	s_waitcnt lgkmcnt(0)
	buffer_load_dword v90, off, s[0:3], 0 offset:168
	buffer_load_dword v91, off, s[0:3], 0 offset:172
	;; [unrolled: 1-line block ×16, first 2 shown]
	ds_read_b128 v[96:99], v94 offset:528
	ds_read_b128 v[100:103], v94 offset:544
	;; [unrolled: 1-line block ×4, first 2 shown]
	v_cmp_lt_u32_e32 vcc, 20, v0
	s_waitcnt vmcnt(12) lgkmcnt(3)
	v_fma_f64 v[92:93], v[92:93], v[96:97], 0
	buffer_load_dword v97, off, s[0:3], 0 offset:236
	buffer_load_dword v96, off, s[0:3], 0 offset:232
	s_waitcnt vmcnt(12)
	v_fmac_f64_e32 v[92:93], v[112:113], v[98:99]
	s_waitcnt vmcnt(10) lgkmcnt(2)
	v_fmac_f64_e32 v[92:93], v[114:115], v[100:101]
	buffer_load_dword v101, off, s[0:3], 0 offset:244
	buffer_load_dword v100, off, s[0:3], 0 offset:240
	s_waitcnt vmcnt(10)
	v_fmac_f64_e32 v[92:93], v[116:117], v[102:103]
	s_waitcnt vmcnt(8) lgkmcnt(1)
	v_fmac_f64_e32 v[92:93], v[118:119], v[104:105]
	s_waitcnt vmcnt(6)
	v_fmac_f64_e32 v[92:93], v[120:121], v[106:107]
	s_waitcnt vmcnt(4) lgkmcnt(0)
	v_fmac_f64_e32 v[92:93], v[122:123], v[108:109]
	s_waitcnt vmcnt(2)
	v_fmac_f64_e32 v[92:93], v[96:97], v[110:111]
	ds_read_b128 v[96:99], v94 offset:592
	s_waitcnt vmcnt(0) lgkmcnt(0)
	v_fmac_f64_e32 v[92:93], v[100:101], v[96:97]
	buffer_load_dword v97, off, s[0:3], 0 offset:252
	buffer_load_dword v96, off, s[0:3], 0 offset:248
	buffer_load_dword v101, off, s[0:3], 0 offset:260
	buffer_load_dword v100, off, s[0:3], 0 offset:256
	s_waitcnt vmcnt(2)
	v_fmac_f64_e32 v[92:93], v[96:97], v[98:99]
	ds_read_b128 v[96:99], v94 offset:608
	s_waitcnt vmcnt(0) lgkmcnt(0)
	v_fmac_f64_e32 v[92:93], v[100:101], v[96:97]
	buffer_load_dword v97, off, s[0:3], 0 offset:268
	buffer_load_dword v96, off, s[0:3], 0 offset:264
	buffer_load_dword v101, off, s[0:3], 0 offset:276
	buffer_load_dword v100, off, s[0:3], 0 offset:272
	;; [unrolled: 9-line block ×5, first 2 shown]
	s_waitcnt vmcnt(2)
	v_fmac_f64_e32 v[92:93], v[96:97], v[98:99]
	ds_read_b128 v[96:99], v94 offset:672
	s_waitcnt vmcnt(0) lgkmcnt(0)
	v_fmac_f64_e32 v[92:93], v[100:101], v[96:97]
	buffer_load_dword v97, off, s[0:3], 0 offset:332
	buffer_load_dword v96, off, s[0:3], 0 offset:328
	s_waitcnt vmcnt(0)
	v_fmac_f64_e32 v[92:93], v[96:97], v[98:99]
	buffer_load_dword v99, off, s[0:3], 0 offset:340
	buffer_load_dword v98, off, s[0:3], 0 offset:336
	ds_read_b128 v[94:97], v94 offset:688
	s_waitcnt vmcnt(0) lgkmcnt(0)
	v_fmac_f64_e32 v[92:93], v[98:99], v[94:95]
	buffer_load_dword v95, off, s[0:3], 0 offset:348
	buffer_load_dword v94, off, s[0:3], 0 offset:344
	s_waitcnt vmcnt(0)
	v_fmac_f64_e32 v[92:93], v[94:95], v[96:97]
	v_add_f64 v[90:91], v[90:91], -v[92:93]
	buffer_store_dword v91, off, s[0:3], 0 offset:172
	buffer_store_dword v90, off, s[0:3], 0 offset:168
	s_and_saveexec_b64 s[4:5], vcc
	s_cbranch_execz .LBB107_231
; %bb.230:
	buffer_load_dword v90, off, s[0:3], 0 offset:160
	buffer_load_dword v91, off, s[0:3], 0 offset:164
	v_mov_b32_e32 v92, 0
	buffer_store_dword v92, off, s[0:3], 0 offset:160
	buffer_store_dword v92, off, s[0:3], 0 offset:164
	s_waitcnt vmcnt(2)
	ds_write_b64 v1, v[90:91]
.LBB107_231:
	s_or_b64 exec, exec, s[4:5]
	s_waitcnt lgkmcnt(0)
	; wave barrier
	s_waitcnt lgkmcnt(0)
	buffer_load_dword v90, off, s[0:3], 0 offset:160
	buffer_load_dword v91, off, s[0:3], 0 offset:164
	;; [unrolled: 1-line block ×16, first 2 shown]
	v_mov_b32_e32 v94, 0
	ds_read2_b64 v[96:99], v94 offset0:65 offset1:66
	v_cmp_lt_u32_e32 vcc, 19, v0
	s_waitcnt vmcnt(12) lgkmcnt(0)
	v_fma_f64 v[92:93], v[92:93], v[96:97], 0
	s_waitcnt vmcnt(10)
	v_fmac_f64_e32 v[92:93], v[100:101], v[98:99]
	ds_read2_b64 v[96:99], v94 offset0:67 offset1:68
	s_waitcnt vmcnt(8) lgkmcnt(0)
	v_fmac_f64_e32 v[92:93], v[102:103], v[96:97]
	s_waitcnt vmcnt(6)
	v_fmac_f64_e32 v[92:93], v[104:105], v[98:99]
	ds_read2_b64 v[96:99], v94 offset0:69 offset1:70
	s_waitcnt vmcnt(4) lgkmcnt(0)
	v_fmac_f64_e32 v[92:93], v[106:107], v[96:97]
	;; [unrolled: 5-line block ×3, first 2 shown]
	buffer_load_dword v97, off, s[0:3], 0 offset:228
	buffer_load_dword v96, off, s[0:3], 0 offset:224
	buffer_load_dword v101, off, s[0:3], 0 offset:236
	buffer_load_dword v100, off, s[0:3], 0 offset:232
	s_waitcnt vmcnt(2)
	v_fmac_f64_e32 v[92:93], v[96:97], v[98:99]
	ds_read2_b64 v[96:99], v94 offset0:73 offset1:74
	s_waitcnt vmcnt(0) lgkmcnt(0)
	v_fmac_f64_e32 v[92:93], v[100:101], v[96:97]
	buffer_load_dword v97, off, s[0:3], 0 offset:244
	buffer_load_dword v96, off, s[0:3], 0 offset:240
	buffer_load_dword v101, off, s[0:3], 0 offset:252
	buffer_load_dword v100, off, s[0:3], 0 offset:248
	s_waitcnt vmcnt(2)
	v_fmac_f64_e32 v[92:93], v[96:97], v[98:99]
	ds_read2_b64 v[96:99], v94 offset0:75 offset1:76
	s_waitcnt vmcnt(0) lgkmcnt(0)
	v_fmac_f64_e32 v[92:93], v[100:101], v[96:97]
	;; [unrolled: 9-line block ×7, first 2 shown]
	buffer_load_dword v97, off, s[0:3], 0 offset:340
	buffer_load_dword v96, off, s[0:3], 0 offset:336
	s_waitcnt vmcnt(0)
	v_fmac_f64_e32 v[92:93], v[96:97], v[98:99]
	buffer_load_dword v97, off, s[0:3], 0 offset:348
	buffer_load_dword v96, off, s[0:3], 0 offset:344
	ds_read_b64 v[98:99], v94 offset:696
	s_waitcnt vmcnt(0) lgkmcnt(0)
	v_fmac_f64_e32 v[92:93], v[96:97], v[98:99]
	v_add_f64 v[90:91], v[90:91], -v[92:93]
	buffer_store_dword v91, off, s[0:3], 0 offset:164
	buffer_store_dword v90, off, s[0:3], 0 offset:160
	s_and_saveexec_b64 s[4:5], vcc
	s_cbranch_execz .LBB107_233
; %bb.232:
	buffer_load_dword v90, off, s[0:3], 0 offset:152
	buffer_load_dword v91, off, s[0:3], 0 offset:156
	s_waitcnt vmcnt(0)
	ds_write_b64 v1, v[90:91]
	buffer_store_dword v94, off, s[0:3], 0 offset:152
	buffer_store_dword v94, off, s[0:3], 0 offset:156
.LBB107_233:
	s_or_b64 exec, exec, s[4:5]
	s_waitcnt lgkmcnt(0)
	; wave barrier
	s_waitcnt lgkmcnt(0)
	buffer_load_dword v90, off, s[0:3], 0 offset:152
	buffer_load_dword v91, off, s[0:3], 0 offset:156
	;; [unrolled: 1-line block ×16, first 2 shown]
	ds_read_b128 v[96:99], v94 offset:512
	ds_read_b128 v[100:103], v94 offset:528
	;; [unrolled: 1-line block ×4, first 2 shown]
	v_cmp_lt_u32_e32 vcc, 18, v0
	s_waitcnt vmcnt(12) lgkmcnt(3)
	v_fma_f64 v[92:93], v[92:93], v[96:97], 0
	buffer_load_dword v97, off, s[0:3], 0 offset:220
	buffer_load_dword v96, off, s[0:3], 0 offset:216
	s_waitcnt vmcnt(12)
	v_fmac_f64_e32 v[92:93], v[112:113], v[98:99]
	s_waitcnt vmcnt(10) lgkmcnt(2)
	v_fmac_f64_e32 v[92:93], v[114:115], v[100:101]
	buffer_load_dword v101, off, s[0:3], 0 offset:228
	buffer_load_dword v100, off, s[0:3], 0 offset:224
	s_waitcnt vmcnt(10)
	v_fmac_f64_e32 v[92:93], v[116:117], v[102:103]
	s_waitcnt vmcnt(8) lgkmcnt(1)
	v_fmac_f64_e32 v[92:93], v[118:119], v[104:105]
	s_waitcnt vmcnt(6)
	v_fmac_f64_e32 v[92:93], v[120:121], v[106:107]
	s_waitcnt vmcnt(4) lgkmcnt(0)
	v_fmac_f64_e32 v[92:93], v[122:123], v[108:109]
	s_waitcnt vmcnt(2)
	v_fmac_f64_e32 v[92:93], v[96:97], v[110:111]
	ds_read_b128 v[96:99], v94 offset:576
	s_waitcnt vmcnt(0) lgkmcnt(0)
	v_fmac_f64_e32 v[92:93], v[100:101], v[96:97]
	buffer_load_dword v97, off, s[0:3], 0 offset:236
	buffer_load_dword v96, off, s[0:3], 0 offset:232
	buffer_load_dword v101, off, s[0:3], 0 offset:244
	buffer_load_dword v100, off, s[0:3], 0 offset:240
	s_waitcnt vmcnt(2)
	v_fmac_f64_e32 v[92:93], v[96:97], v[98:99]
	ds_read_b128 v[96:99], v94 offset:592
	s_waitcnt vmcnt(0) lgkmcnt(0)
	v_fmac_f64_e32 v[92:93], v[100:101], v[96:97]
	buffer_load_dword v97, off, s[0:3], 0 offset:252
	buffer_load_dword v96, off, s[0:3], 0 offset:248
	buffer_load_dword v101, off, s[0:3], 0 offset:260
	buffer_load_dword v100, off, s[0:3], 0 offset:256
	;; [unrolled: 9-line block ×6, first 2 shown]
	s_waitcnt vmcnt(2)
	v_fmac_f64_e32 v[92:93], v[96:97], v[98:99]
	ds_read_b128 v[96:99], v94 offset:672
	s_waitcnt vmcnt(0) lgkmcnt(0)
	v_fmac_f64_e32 v[92:93], v[100:101], v[96:97]
	buffer_load_dword v97, off, s[0:3], 0 offset:332
	buffer_load_dword v96, off, s[0:3], 0 offset:328
	s_waitcnt vmcnt(0)
	v_fmac_f64_e32 v[92:93], v[96:97], v[98:99]
	buffer_load_dword v99, off, s[0:3], 0 offset:340
	buffer_load_dword v98, off, s[0:3], 0 offset:336
	ds_read_b128 v[94:97], v94 offset:688
	s_waitcnt vmcnt(0) lgkmcnt(0)
	v_fmac_f64_e32 v[92:93], v[98:99], v[94:95]
	buffer_load_dword v95, off, s[0:3], 0 offset:348
	buffer_load_dword v94, off, s[0:3], 0 offset:344
	s_waitcnt vmcnt(0)
	v_fmac_f64_e32 v[92:93], v[94:95], v[96:97]
	v_add_f64 v[90:91], v[90:91], -v[92:93]
	buffer_store_dword v91, off, s[0:3], 0 offset:156
	buffer_store_dword v90, off, s[0:3], 0 offset:152
	s_and_saveexec_b64 s[4:5], vcc
	s_cbranch_execz .LBB107_235
; %bb.234:
	buffer_load_dword v90, off, s[0:3], 0 offset:144
	buffer_load_dword v91, off, s[0:3], 0 offset:148
	v_mov_b32_e32 v92, 0
	buffer_store_dword v92, off, s[0:3], 0 offset:144
	buffer_store_dword v92, off, s[0:3], 0 offset:148
	s_waitcnt vmcnt(2)
	ds_write_b64 v1, v[90:91]
.LBB107_235:
	s_or_b64 exec, exec, s[4:5]
	s_waitcnt lgkmcnt(0)
	; wave barrier
	s_waitcnt lgkmcnt(0)
	buffer_load_dword v90, off, s[0:3], 0 offset:144
	buffer_load_dword v91, off, s[0:3], 0 offset:148
	;; [unrolled: 1-line block ×16, first 2 shown]
	v_mov_b32_e32 v94, 0
	ds_read2_b64 v[96:99], v94 offset0:63 offset1:64
	v_cmp_lt_u32_e32 vcc, 17, v0
	s_waitcnt vmcnt(12) lgkmcnt(0)
	v_fma_f64 v[92:93], v[92:93], v[96:97], 0
	s_waitcnt vmcnt(10)
	v_fmac_f64_e32 v[92:93], v[100:101], v[98:99]
	ds_read2_b64 v[96:99], v94 offset0:65 offset1:66
	s_waitcnt vmcnt(8) lgkmcnt(0)
	v_fmac_f64_e32 v[92:93], v[102:103], v[96:97]
	s_waitcnt vmcnt(6)
	v_fmac_f64_e32 v[92:93], v[104:105], v[98:99]
	ds_read2_b64 v[96:99], v94 offset0:67 offset1:68
	s_waitcnt vmcnt(4) lgkmcnt(0)
	v_fmac_f64_e32 v[92:93], v[106:107], v[96:97]
	;; [unrolled: 5-line block ×3, first 2 shown]
	buffer_load_dword v97, off, s[0:3], 0 offset:212
	buffer_load_dword v96, off, s[0:3], 0 offset:208
	buffer_load_dword v101, off, s[0:3], 0 offset:220
	buffer_load_dword v100, off, s[0:3], 0 offset:216
	s_waitcnt vmcnt(2)
	v_fmac_f64_e32 v[92:93], v[96:97], v[98:99]
	ds_read2_b64 v[96:99], v94 offset0:71 offset1:72
	s_waitcnt vmcnt(0) lgkmcnt(0)
	v_fmac_f64_e32 v[92:93], v[100:101], v[96:97]
	buffer_load_dword v97, off, s[0:3], 0 offset:228
	buffer_load_dword v96, off, s[0:3], 0 offset:224
	buffer_load_dword v101, off, s[0:3], 0 offset:236
	buffer_load_dword v100, off, s[0:3], 0 offset:232
	s_waitcnt vmcnt(2)
	v_fmac_f64_e32 v[92:93], v[96:97], v[98:99]
	ds_read2_b64 v[96:99], v94 offset0:73 offset1:74
	s_waitcnt vmcnt(0) lgkmcnt(0)
	v_fmac_f64_e32 v[92:93], v[100:101], v[96:97]
	buffer_load_dword v97, off, s[0:3], 0 offset:244
	buffer_load_dword v96, off, s[0:3], 0 offset:240
	buffer_load_dword v101, off, s[0:3], 0 offset:252
	buffer_load_dword v100, off, s[0:3], 0 offset:248
	s_waitcnt vmcnt(2)
	v_fmac_f64_e32 v[92:93], v[96:97], v[98:99]
	ds_read2_b64 v[96:99], v94 offset0:75 offset1:76
	s_waitcnt vmcnt(0) lgkmcnt(0)
	v_fmac_f64_e32 v[92:93], v[100:101], v[96:97]
	buffer_load_dword v97, off, s[0:3], 0 offset:260
	buffer_load_dword v96, off, s[0:3], 0 offset:256
	buffer_load_dword v101, off, s[0:3], 0 offset:268
	buffer_load_dword v100, off, s[0:3], 0 offset:264
	s_waitcnt vmcnt(2)
	v_fmac_f64_e32 v[92:93], v[96:97], v[98:99]
	ds_read2_b64 v[96:99], v94 offset0:77 offset1:78
	s_waitcnt vmcnt(0) lgkmcnt(0)
	v_fmac_f64_e32 v[92:93], v[100:101], v[96:97]
	buffer_load_dword v97, off, s[0:3], 0 offset:276
	buffer_load_dword v96, off, s[0:3], 0 offset:272
	buffer_load_dword v101, off, s[0:3], 0 offset:284
	buffer_load_dword v100, off, s[0:3], 0 offset:280
	s_waitcnt vmcnt(2)
	v_fmac_f64_e32 v[92:93], v[96:97], v[98:99]
	ds_read2_b64 v[96:99], v94 offset0:79 offset1:80
	s_waitcnt vmcnt(0) lgkmcnt(0)
	v_fmac_f64_e32 v[92:93], v[100:101], v[96:97]
	buffer_load_dword v97, off, s[0:3], 0 offset:292
	buffer_load_dword v96, off, s[0:3], 0 offset:288
	buffer_load_dword v101, off, s[0:3], 0 offset:300
	buffer_load_dword v100, off, s[0:3], 0 offset:296
	s_waitcnt vmcnt(2)
	v_fmac_f64_e32 v[92:93], v[96:97], v[98:99]
	ds_read2_b64 v[96:99], v94 offset0:81 offset1:82
	s_waitcnt vmcnt(0) lgkmcnt(0)
	v_fmac_f64_e32 v[92:93], v[100:101], v[96:97]
	buffer_load_dword v97, off, s[0:3], 0 offset:308
	buffer_load_dword v96, off, s[0:3], 0 offset:304
	buffer_load_dword v101, off, s[0:3], 0 offset:316
	buffer_load_dword v100, off, s[0:3], 0 offset:312
	s_waitcnt vmcnt(2)
	v_fmac_f64_e32 v[92:93], v[96:97], v[98:99]
	ds_read2_b64 v[96:99], v94 offset0:83 offset1:84
	s_waitcnt vmcnt(0) lgkmcnt(0)
	v_fmac_f64_e32 v[92:93], v[100:101], v[96:97]
	buffer_load_dword v97, off, s[0:3], 0 offset:324
	buffer_load_dword v96, off, s[0:3], 0 offset:320
	buffer_load_dword v101, off, s[0:3], 0 offset:332
	buffer_load_dword v100, off, s[0:3], 0 offset:328
	s_waitcnt vmcnt(2)
	v_fmac_f64_e32 v[92:93], v[96:97], v[98:99]
	ds_read2_b64 v[96:99], v94 offset0:85 offset1:86
	s_waitcnt vmcnt(0) lgkmcnt(0)
	v_fmac_f64_e32 v[92:93], v[100:101], v[96:97]
	buffer_load_dword v97, off, s[0:3], 0 offset:340
	buffer_load_dword v96, off, s[0:3], 0 offset:336
	s_waitcnt vmcnt(0)
	v_fmac_f64_e32 v[92:93], v[96:97], v[98:99]
	buffer_load_dword v97, off, s[0:3], 0 offset:348
	buffer_load_dword v96, off, s[0:3], 0 offset:344
	ds_read_b64 v[98:99], v94 offset:696
	s_waitcnt vmcnt(0) lgkmcnt(0)
	v_fmac_f64_e32 v[92:93], v[96:97], v[98:99]
	v_add_f64 v[90:91], v[90:91], -v[92:93]
	buffer_store_dword v91, off, s[0:3], 0 offset:148
	buffer_store_dword v90, off, s[0:3], 0 offset:144
	s_and_saveexec_b64 s[4:5], vcc
	s_cbranch_execz .LBB107_237
; %bb.236:
	buffer_load_dword v90, off, s[0:3], 0 offset:136
	buffer_load_dword v91, off, s[0:3], 0 offset:140
	s_waitcnt vmcnt(0)
	ds_write_b64 v1, v[90:91]
	buffer_store_dword v94, off, s[0:3], 0 offset:136
	buffer_store_dword v94, off, s[0:3], 0 offset:140
.LBB107_237:
	s_or_b64 exec, exec, s[4:5]
	s_waitcnt lgkmcnt(0)
	; wave barrier
	s_waitcnt lgkmcnt(0)
	buffer_load_dword v90, off, s[0:3], 0 offset:136
	buffer_load_dword v91, off, s[0:3], 0 offset:140
	;; [unrolled: 1-line block ×16, first 2 shown]
	ds_read_b128 v[96:99], v94 offset:496
	ds_read_b128 v[100:103], v94 offset:512
	ds_read_b128 v[104:107], v94 offset:528
	ds_read_b128 v[108:111], v94 offset:544
	v_cmp_lt_u32_e32 vcc, 16, v0
	s_waitcnt vmcnt(12) lgkmcnt(3)
	v_fma_f64 v[92:93], v[92:93], v[96:97], 0
	buffer_load_dword v97, off, s[0:3], 0 offset:204
	buffer_load_dword v96, off, s[0:3], 0 offset:200
	s_waitcnt vmcnt(12)
	v_fmac_f64_e32 v[92:93], v[112:113], v[98:99]
	s_waitcnt vmcnt(10) lgkmcnt(2)
	v_fmac_f64_e32 v[92:93], v[114:115], v[100:101]
	buffer_load_dword v101, off, s[0:3], 0 offset:212
	buffer_load_dword v100, off, s[0:3], 0 offset:208
	s_waitcnt vmcnt(10)
	v_fmac_f64_e32 v[92:93], v[116:117], v[102:103]
	s_waitcnt vmcnt(8) lgkmcnt(1)
	v_fmac_f64_e32 v[92:93], v[118:119], v[104:105]
	s_waitcnt vmcnt(6)
	v_fmac_f64_e32 v[92:93], v[120:121], v[106:107]
	s_waitcnt vmcnt(4) lgkmcnt(0)
	v_fmac_f64_e32 v[92:93], v[122:123], v[108:109]
	s_waitcnt vmcnt(2)
	v_fmac_f64_e32 v[92:93], v[96:97], v[110:111]
	ds_read_b128 v[96:99], v94 offset:560
	s_waitcnt vmcnt(0) lgkmcnt(0)
	v_fmac_f64_e32 v[92:93], v[100:101], v[96:97]
	buffer_load_dword v97, off, s[0:3], 0 offset:220
	buffer_load_dword v96, off, s[0:3], 0 offset:216
	buffer_load_dword v101, off, s[0:3], 0 offset:228
	buffer_load_dword v100, off, s[0:3], 0 offset:224
	s_waitcnt vmcnt(2)
	v_fmac_f64_e32 v[92:93], v[96:97], v[98:99]
	ds_read_b128 v[96:99], v94 offset:576
	s_waitcnt vmcnt(0) lgkmcnt(0)
	v_fmac_f64_e32 v[92:93], v[100:101], v[96:97]
	buffer_load_dword v97, off, s[0:3], 0 offset:236
	buffer_load_dword v96, off, s[0:3], 0 offset:232
	buffer_load_dword v101, off, s[0:3], 0 offset:244
	buffer_load_dword v100, off, s[0:3], 0 offset:240
	;; [unrolled: 9-line block ×7, first 2 shown]
	s_waitcnt vmcnt(2)
	v_fmac_f64_e32 v[92:93], v[96:97], v[98:99]
	ds_read_b128 v[96:99], v94 offset:672
	s_waitcnt vmcnt(0) lgkmcnt(0)
	v_fmac_f64_e32 v[92:93], v[100:101], v[96:97]
	buffer_load_dword v97, off, s[0:3], 0 offset:332
	buffer_load_dword v96, off, s[0:3], 0 offset:328
	s_waitcnt vmcnt(0)
	v_fmac_f64_e32 v[92:93], v[96:97], v[98:99]
	buffer_load_dword v99, off, s[0:3], 0 offset:340
	buffer_load_dword v98, off, s[0:3], 0 offset:336
	ds_read_b128 v[94:97], v94 offset:688
	s_waitcnt vmcnt(0) lgkmcnt(0)
	v_fmac_f64_e32 v[92:93], v[98:99], v[94:95]
	buffer_load_dword v95, off, s[0:3], 0 offset:348
	buffer_load_dword v94, off, s[0:3], 0 offset:344
	s_waitcnt vmcnt(0)
	v_fmac_f64_e32 v[92:93], v[94:95], v[96:97]
	v_add_f64 v[90:91], v[90:91], -v[92:93]
	buffer_store_dword v91, off, s[0:3], 0 offset:140
	buffer_store_dword v90, off, s[0:3], 0 offset:136
	s_and_saveexec_b64 s[4:5], vcc
	s_cbranch_execz .LBB107_239
; %bb.238:
	buffer_load_dword v90, off, s[0:3], 0 offset:128
	buffer_load_dword v91, off, s[0:3], 0 offset:132
	v_mov_b32_e32 v92, 0
	buffer_store_dword v92, off, s[0:3], 0 offset:128
	buffer_store_dword v92, off, s[0:3], 0 offset:132
	s_waitcnt vmcnt(2)
	ds_write_b64 v1, v[90:91]
.LBB107_239:
	s_or_b64 exec, exec, s[4:5]
	s_waitcnt lgkmcnt(0)
	; wave barrier
	s_waitcnt lgkmcnt(0)
	buffer_load_dword v90, off, s[0:3], 0 offset:128
	buffer_load_dword v91, off, s[0:3], 0 offset:132
	;; [unrolled: 1-line block ×16, first 2 shown]
	v_mov_b32_e32 v94, 0
	ds_read2_b64 v[96:99], v94 offset0:61 offset1:62
	v_cmp_lt_u32_e32 vcc, 15, v0
	s_waitcnt vmcnt(12) lgkmcnt(0)
	v_fma_f64 v[92:93], v[92:93], v[96:97], 0
	s_waitcnt vmcnt(10)
	v_fmac_f64_e32 v[92:93], v[100:101], v[98:99]
	ds_read2_b64 v[96:99], v94 offset0:63 offset1:64
	s_waitcnt vmcnt(8) lgkmcnt(0)
	v_fmac_f64_e32 v[92:93], v[102:103], v[96:97]
	s_waitcnt vmcnt(6)
	v_fmac_f64_e32 v[92:93], v[104:105], v[98:99]
	ds_read2_b64 v[96:99], v94 offset0:65 offset1:66
	s_waitcnt vmcnt(4) lgkmcnt(0)
	v_fmac_f64_e32 v[92:93], v[106:107], v[96:97]
	;; [unrolled: 5-line block ×3, first 2 shown]
	buffer_load_dword v97, off, s[0:3], 0 offset:196
	buffer_load_dword v96, off, s[0:3], 0 offset:192
	buffer_load_dword v101, off, s[0:3], 0 offset:204
	buffer_load_dword v100, off, s[0:3], 0 offset:200
	s_waitcnt vmcnt(2)
	v_fmac_f64_e32 v[92:93], v[96:97], v[98:99]
	ds_read2_b64 v[96:99], v94 offset0:69 offset1:70
	s_waitcnt vmcnt(0) lgkmcnt(0)
	v_fmac_f64_e32 v[92:93], v[100:101], v[96:97]
	buffer_load_dword v97, off, s[0:3], 0 offset:212
	buffer_load_dword v96, off, s[0:3], 0 offset:208
	buffer_load_dword v101, off, s[0:3], 0 offset:220
	buffer_load_dword v100, off, s[0:3], 0 offset:216
	s_waitcnt vmcnt(2)
	v_fmac_f64_e32 v[92:93], v[96:97], v[98:99]
	ds_read2_b64 v[96:99], v94 offset0:71 offset1:72
	s_waitcnt vmcnt(0) lgkmcnt(0)
	v_fmac_f64_e32 v[92:93], v[100:101], v[96:97]
	;; [unrolled: 9-line block ×9, first 2 shown]
	buffer_load_dword v97, off, s[0:3], 0 offset:340
	buffer_load_dword v96, off, s[0:3], 0 offset:336
	s_waitcnt vmcnt(0)
	v_fmac_f64_e32 v[92:93], v[96:97], v[98:99]
	buffer_load_dword v97, off, s[0:3], 0 offset:348
	buffer_load_dword v96, off, s[0:3], 0 offset:344
	ds_read_b64 v[98:99], v94 offset:696
	s_waitcnt vmcnt(0) lgkmcnt(0)
	v_fmac_f64_e32 v[92:93], v[96:97], v[98:99]
	v_add_f64 v[90:91], v[90:91], -v[92:93]
	buffer_store_dword v91, off, s[0:3], 0 offset:132
	buffer_store_dword v90, off, s[0:3], 0 offset:128
	s_and_saveexec_b64 s[4:5], vcc
	s_cbranch_execz .LBB107_241
; %bb.240:
	buffer_load_dword v90, off, s[0:3], 0 offset:120
	buffer_load_dword v91, off, s[0:3], 0 offset:124
	s_waitcnt vmcnt(0)
	ds_write_b64 v1, v[90:91]
	buffer_store_dword v94, off, s[0:3], 0 offset:120
	buffer_store_dword v94, off, s[0:3], 0 offset:124
.LBB107_241:
	s_or_b64 exec, exec, s[4:5]
	s_waitcnt lgkmcnt(0)
	; wave barrier
	s_waitcnt lgkmcnt(0)
	buffer_load_dword v90, off, s[0:3], 0 offset:120
	buffer_load_dword v91, off, s[0:3], 0 offset:124
	;; [unrolled: 1-line block ×16, first 2 shown]
	ds_read_b128 v[96:99], v94 offset:480
	ds_read_b128 v[100:103], v94 offset:496
	;; [unrolled: 1-line block ×4, first 2 shown]
	v_cmp_lt_u32_e32 vcc, 14, v0
	s_waitcnt vmcnt(12) lgkmcnt(3)
	v_fma_f64 v[92:93], v[92:93], v[96:97], 0
	buffer_load_dword v97, off, s[0:3], 0 offset:188
	buffer_load_dword v96, off, s[0:3], 0 offset:184
	s_waitcnt vmcnt(12)
	v_fmac_f64_e32 v[92:93], v[112:113], v[98:99]
	s_waitcnt vmcnt(10) lgkmcnt(2)
	v_fmac_f64_e32 v[92:93], v[114:115], v[100:101]
	buffer_load_dword v101, off, s[0:3], 0 offset:196
	buffer_load_dword v100, off, s[0:3], 0 offset:192
	s_waitcnt vmcnt(10)
	v_fmac_f64_e32 v[92:93], v[116:117], v[102:103]
	s_waitcnt vmcnt(8) lgkmcnt(1)
	v_fmac_f64_e32 v[92:93], v[118:119], v[104:105]
	s_waitcnt vmcnt(6)
	v_fmac_f64_e32 v[92:93], v[120:121], v[106:107]
	s_waitcnt vmcnt(4) lgkmcnt(0)
	v_fmac_f64_e32 v[92:93], v[122:123], v[108:109]
	s_waitcnt vmcnt(2)
	v_fmac_f64_e32 v[92:93], v[96:97], v[110:111]
	ds_read_b128 v[96:99], v94 offset:544
	s_waitcnt vmcnt(0) lgkmcnt(0)
	v_fmac_f64_e32 v[92:93], v[100:101], v[96:97]
	buffer_load_dword v97, off, s[0:3], 0 offset:204
	buffer_load_dword v96, off, s[0:3], 0 offset:200
	buffer_load_dword v101, off, s[0:3], 0 offset:212
	buffer_load_dword v100, off, s[0:3], 0 offset:208
	s_waitcnt vmcnt(2)
	v_fmac_f64_e32 v[92:93], v[96:97], v[98:99]
	ds_read_b128 v[96:99], v94 offset:560
	s_waitcnt vmcnt(0) lgkmcnt(0)
	v_fmac_f64_e32 v[92:93], v[100:101], v[96:97]
	buffer_load_dword v97, off, s[0:3], 0 offset:220
	buffer_load_dword v96, off, s[0:3], 0 offset:216
	buffer_load_dword v101, off, s[0:3], 0 offset:228
	buffer_load_dword v100, off, s[0:3], 0 offset:224
	;; [unrolled: 9-line block ×8, first 2 shown]
	s_waitcnt vmcnt(2)
	v_fmac_f64_e32 v[92:93], v[96:97], v[98:99]
	ds_read_b128 v[96:99], v94 offset:672
	s_waitcnt vmcnt(0) lgkmcnt(0)
	v_fmac_f64_e32 v[92:93], v[100:101], v[96:97]
	buffer_load_dword v97, off, s[0:3], 0 offset:332
	buffer_load_dword v96, off, s[0:3], 0 offset:328
	s_waitcnt vmcnt(0)
	v_fmac_f64_e32 v[92:93], v[96:97], v[98:99]
	buffer_load_dword v99, off, s[0:3], 0 offset:340
	buffer_load_dword v98, off, s[0:3], 0 offset:336
	ds_read_b128 v[94:97], v94 offset:688
	s_waitcnt vmcnt(0) lgkmcnt(0)
	v_fmac_f64_e32 v[92:93], v[98:99], v[94:95]
	buffer_load_dword v95, off, s[0:3], 0 offset:348
	buffer_load_dword v94, off, s[0:3], 0 offset:344
	s_waitcnt vmcnt(0)
	v_fmac_f64_e32 v[92:93], v[94:95], v[96:97]
	v_add_f64 v[90:91], v[90:91], -v[92:93]
	buffer_store_dword v91, off, s[0:3], 0 offset:124
	buffer_store_dword v90, off, s[0:3], 0 offset:120
	s_and_saveexec_b64 s[4:5], vcc
	s_cbranch_execz .LBB107_243
; %bb.242:
	buffer_load_dword v90, off, s[0:3], 0 offset:112
	buffer_load_dword v91, off, s[0:3], 0 offset:116
	v_mov_b32_e32 v92, 0
	buffer_store_dword v92, off, s[0:3], 0 offset:112
	buffer_store_dword v92, off, s[0:3], 0 offset:116
	s_waitcnt vmcnt(2)
	ds_write_b64 v1, v[90:91]
.LBB107_243:
	s_or_b64 exec, exec, s[4:5]
	s_waitcnt lgkmcnt(0)
	; wave barrier
	s_waitcnt lgkmcnt(0)
	buffer_load_dword v90, off, s[0:3], 0 offset:112
	buffer_load_dword v91, off, s[0:3], 0 offset:116
	;; [unrolled: 1-line block ×16, first 2 shown]
	v_mov_b32_e32 v94, 0
	ds_read2_b64 v[96:99], v94 offset0:59 offset1:60
	v_cmp_lt_u32_e32 vcc, 13, v0
	s_waitcnt vmcnt(12) lgkmcnt(0)
	v_fma_f64 v[92:93], v[92:93], v[96:97], 0
	s_waitcnt vmcnt(10)
	v_fmac_f64_e32 v[92:93], v[100:101], v[98:99]
	ds_read2_b64 v[96:99], v94 offset0:61 offset1:62
	s_waitcnt vmcnt(8) lgkmcnt(0)
	v_fmac_f64_e32 v[92:93], v[102:103], v[96:97]
	s_waitcnt vmcnt(6)
	v_fmac_f64_e32 v[92:93], v[104:105], v[98:99]
	ds_read2_b64 v[96:99], v94 offset0:63 offset1:64
	s_waitcnt vmcnt(4) lgkmcnt(0)
	v_fmac_f64_e32 v[92:93], v[106:107], v[96:97]
	;; [unrolled: 5-line block ×3, first 2 shown]
	buffer_load_dword v97, off, s[0:3], 0 offset:180
	buffer_load_dword v96, off, s[0:3], 0 offset:176
	buffer_load_dword v101, off, s[0:3], 0 offset:188
	buffer_load_dword v100, off, s[0:3], 0 offset:184
	s_waitcnt vmcnt(2)
	v_fmac_f64_e32 v[92:93], v[96:97], v[98:99]
	ds_read2_b64 v[96:99], v94 offset0:67 offset1:68
	s_waitcnt vmcnt(0) lgkmcnt(0)
	v_fmac_f64_e32 v[92:93], v[100:101], v[96:97]
	buffer_load_dword v97, off, s[0:3], 0 offset:196
	buffer_load_dword v96, off, s[0:3], 0 offset:192
	buffer_load_dword v101, off, s[0:3], 0 offset:204
	buffer_load_dword v100, off, s[0:3], 0 offset:200
	s_waitcnt vmcnt(2)
	v_fmac_f64_e32 v[92:93], v[96:97], v[98:99]
	ds_read2_b64 v[96:99], v94 offset0:69 offset1:70
	s_waitcnt vmcnt(0) lgkmcnt(0)
	v_fmac_f64_e32 v[92:93], v[100:101], v[96:97]
	;; [unrolled: 9-line block ×10, first 2 shown]
	buffer_load_dword v97, off, s[0:3], 0 offset:340
	buffer_load_dword v96, off, s[0:3], 0 offset:336
	s_waitcnt vmcnt(0)
	v_fmac_f64_e32 v[92:93], v[96:97], v[98:99]
	buffer_load_dword v97, off, s[0:3], 0 offset:348
	buffer_load_dword v96, off, s[0:3], 0 offset:344
	ds_read_b64 v[98:99], v94 offset:696
	s_waitcnt vmcnt(0) lgkmcnt(0)
	v_fmac_f64_e32 v[92:93], v[96:97], v[98:99]
	v_add_f64 v[90:91], v[90:91], -v[92:93]
	buffer_store_dword v91, off, s[0:3], 0 offset:116
	buffer_store_dword v90, off, s[0:3], 0 offset:112
	s_and_saveexec_b64 s[4:5], vcc
	s_cbranch_execz .LBB107_245
; %bb.244:
	buffer_load_dword v90, off, s[0:3], 0 offset:104
	buffer_load_dword v91, off, s[0:3], 0 offset:108
	s_waitcnt vmcnt(0)
	ds_write_b64 v1, v[90:91]
	buffer_store_dword v94, off, s[0:3], 0 offset:104
	buffer_store_dword v94, off, s[0:3], 0 offset:108
.LBB107_245:
	s_or_b64 exec, exec, s[4:5]
	s_waitcnt lgkmcnt(0)
	; wave barrier
	s_waitcnt lgkmcnt(0)
	buffer_load_dword v90, off, s[0:3], 0 offset:104
	buffer_load_dword v91, off, s[0:3], 0 offset:108
	;; [unrolled: 1-line block ×16, first 2 shown]
	ds_read_b128 v[96:99], v94 offset:464
	ds_read_b128 v[100:103], v94 offset:480
	;; [unrolled: 1-line block ×4, first 2 shown]
	v_cmp_lt_u32_e32 vcc, 12, v0
	s_waitcnt vmcnt(12) lgkmcnt(3)
	v_fma_f64 v[92:93], v[92:93], v[96:97], 0
	buffer_load_dword v97, off, s[0:3], 0 offset:172
	buffer_load_dword v96, off, s[0:3], 0 offset:168
	s_waitcnt vmcnt(12)
	v_fmac_f64_e32 v[92:93], v[112:113], v[98:99]
	s_waitcnt vmcnt(10) lgkmcnt(2)
	v_fmac_f64_e32 v[92:93], v[114:115], v[100:101]
	buffer_load_dword v101, off, s[0:3], 0 offset:180
	buffer_load_dword v100, off, s[0:3], 0 offset:176
	s_waitcnt vmcnt(10)
	v_fmac_f64_e32 v[92:93], v[116:117], v[102:103]
	s_waitcnt vmcnt(8) lgkmcnt(1)
	v_fmac_f64_e32 v[92:93], v[118:119], v[104:105]
	s_waitcnt vmcnt(6)
	v_fmac_f64_e32 v[92:93], v[120:121], v[106:107]
	s_waitcnt vmcnt(4) lgkmcnt(0)
	v_fmac_f64_e32 v[92:93], v[122:123], v[108:109]
	s_waitcnt vmcnt(2)
	v_fmac_f64_e32 v[92:93], v[96:97], v[110:111]
	ds_read_b128 v[96:99], v94 offset:528
	s_waitcnt vmcnt(0) lgkmcnt(0)
	v_fmac_f64_e32 v[92:93], v[100:101], v[96:97]
	buffer_load_dword v97, off, s[0:3], 0 offset:188
	buffer_load_dword v96, off, s[0:3], 0 offset:184
	buffer_load_dword v101, off, s[0:3], 0 offset:196
	buffer_load_dword v100, off, s[0:3], 0 offset:192
	s_waitcnt vmcnt(2)
	v_fmac_f64_e32 v[92:93], v[96:97], v[98:99]
	ds_read_b128 v[96:99], v94 offset:544
	s_waitcnt vmcnt(0) lgkmcnt(0)
	v_fmac_f64_e32 v[92:93], v[100:101], v[96:97]
	buffer_load_dword v97, off, s[0:3], 0 offset:204
	buffer_load_dword v96, off, s[0:3], 0 offset:200
	buffer_load_dword v101, off, s[0:3], 0 offset:212
	buffer_load_dword v100, off, s[0:3], 0 offset:208
	;; [unrolled: 9-line block ×9, first 2 shown]
	s_waitcnt vmcnt(2)
	v_fmac_f64_e32 v[92:93], v[96:97], v[98:99]
	ds_read_b128 v[96:99], v94 offset:672
	s_waitcnt vmcnt(0) lgkmcnt(0)
	v_fmac_f64_e32 v[92:93], v[100:101], v[96:97]
	buffer_load_dword v97, off, s[0:3], 0 offset:332
	buffer_load_dword v96, off, s[0:3], 0 offset:328
	s_waitcnt vmcnt(0)
	v_fmac_f64_e32 v[92:93], v[96:97], v[98:99]
	buffer_load_dword v99, off, s[0:3], 0 offset:340
	buffer_load_dword v98, off, s[0:3], 0 offset:336
	ds_read_b128 v[94:97], v94 offset:688
	s_waitcnt vmcnt(0) lgkmcnt(0)
	v_fmac_f64_e32 v[92:93], v[98:99], v[94:95]
	buffer_load_dword v95, off, s[0:3], 0 offset:348
	buffer_load_dword v94, off, s[0:3], 0 offset:344
	s_waitcnt vmcnt(0)
	v_fmac_f64_e32 v[92:93], v[94:95], v[96:97]
	v_add_f64 v[90:91], v[90:91], -v[92:93]
	buffer_store_dword v91, off, s[0:3], 0 offset:108
	buffer_store_dword v90, off, s[0:3], 0 offset:104
	s_and_saveexec_b64 s[4:5], vcc
	s_cbranch_execz .LBB107_247
; %bb.246:
	buffer_load_dword v90, off, s[0:3], 0 offset:96
	buffer_load_dword v91, off, s[0:3], 0 offset:100
	v_mov_b32_e32 v92, 0
	buffer_store_dword v92, off, s[0:3], 0 offset:96
	buffer_store_dword v92, off, s[0:3], 0 offset:100
	s_waitcnt vmcnt(2)
	ds_write_b64 v1, v[90:91]
.LBB107_247:
	s_or_b64 exec, exec, s[4:5]
	s_waitcnt lgkmcnt(0)
	; wave barrier
	s_waitcnt lgkmcnt(0)
	buffer_load_dword v90, off, s[0:3], 0 offset:96
	buffer_load_dword v91, off, s[0:3], 0 offset:100
	;; [unrolled: 1-line block ×16, first 2 shown]
	v_mov_b32_e32 v94, 0
	ds_read2_b64 v[96:99], v94 offset0:57 offset1:58
	v_cmp_lt_u32_e32 vcc, 11, v0
	s_waitcnt vmcnt(12) lgkmcnt(0)
	v_fma_f64 v[92:93], v[92:93], v[96:97], 0
	s_waitcnt vmcnt(10)
	v_fmac_f64_e32 v[92:93], v[100:101], v[98:99]
	ds_read2_b64 v[96:99], v94 offset0:59 offset1:60
	s_waitcnt vmcnt(8) lgkmcnt(0)
	v_fmac_f64_e32 v[92:93], v[102:103], v[96:97]
	s_waitcnt vmcnt(6)
	v_fmac_f64_e32 v[92:93], v[104:105], v[98:99]
	ds_read2_b64 v[96:99], v94 offset0:61 offset1:62
	s_waitcnt vmcnt(4) lgkmcnt(0)
	v_fmac_f64_e32 v[92:93], v[106:107], v[96:97]
	;; [unrolled: 5-line block ×3, first 2 shown]
	buffer_load_dword v97, off, s[0:3], 0 offset:164
	buffer_load_dword v96, off, s[0:3], 0 offset:160
	buffer_load_dword v101, off, s[0:3], 0 offset:172
	buffer_load_dword v100, off, s[0:3], 0 offset:168
	s_waitcnt vmcnt(2)
	v_fmac_f64_e32 v[92:93], v[96:97], v[98:99]
	ds_read2_b64 v[96:99], v94 offset0:65 offset1:66
	s_waitcnt vmcnt(0) lgkmcnt(0)
	v_fmac_f64_e32 v[92:93], v[100:101], v[96:97]
	buffer_load_dword v97, off, s[0:3], 0 offset:180
	buffer_load_dword v96, off, s[0:3], 0 offset:176
	buffer_load_dword v101, off, s[0:3], 0 offset:188
	buffer_load_dword v100, off, s[0:3], 0 offset:184
	s_waitcnt vmcnt(2)
	v_fmac_f64_e32 v[92:93], v[96:97], v[98:99]
	ds_read2_b64 v[96:99], v94 offset0:67 offset1:68
	s_waitcnt vmcnt(0) lgkmcnt(0)
	v_fmac_f64_e32 v[92:93], v[100:101], v[96:97]
	;; [unrolled: 9-line block ×11, first 2 shown]
	buffer_load_dword v97, off, s[0:3], 0 offset:340
	buffer_load_dword v96, off, s[0:3], 0 offset:336
	s_waitcnt vmcnt(0)
	v_fmac_f64_e32 v[92:93], v[96:97], v[98:99]
	buffer_load_dword v97, off, s[0:3], 0 offset:348
	buffer_load_dword v96, off, s[0:3], 0 offset:344
	ds_read_b64 v[98:99], v94 offset:696
	s_waitcnt vmcnt(0) lgkmcnt(0)
	v_fmac_f64_e32 v[92:93], v[96:97], v[98:99]
	v_add_f64 v[90:91], v[90:91], -v[92:93]
	buffer_store_dword v91, off, s[0:3], 0 offset:100
	buffer_store_dword v90, off, s[0:3], 0 offset:96
	s_and_saveexec_b64 s[4:5], vcc
	s_cbranch_execz .LBB107_249
; %bb.248:
	buffer_load_dword v90, off, s[0:3], 0 offset:88
	buffer_load_dword v91, off, s[0:3], 0 offset:92
	s_waitcnt vmcnt(0)
	ds_write_b64 v1, v[90:91]
	buffer_store_dword v94, off, s[0:3], 0 offset:88
	buffer_store_dword v94, off, s[0:3], 0 offset:92
.LBB107_249:
	s_or_b64 exec, exec, s[4:5]
	s_waitcnt lgkmcnt(0)
	; wave barrier
	s_waitcnt lgkmcnt(0)
	buffer_load_dword v90, off, s[0:3], 0 offset:88
	buffer_load_dword v91, off, s[0:3], 0 offset:92
	;; [unrolled: 1-line block ×16, first 2 shown]
	ds_read_b128 v[96:99], v94 offset:448
	ds_read_b128 v[100:103], v94 offset:464
	;; [unrolled: 1-line block ×4, first 2 shown]
	v_cmp_lt_u32_e32 vcc, 10, v0
	s_waitcnt vmcnt(12) lgkmcnt(3)
	v_fma_f64 v[92:93], v[92:93], v[96:97], 0
	buffer_load_dword v97, off, s[0:3], 0 offset:156
	buffer_load_dword v96, off, s[0:3], 0 offset:152
	s_waitcnt vmcnt(12)
	v_fmac_f64_e32 v[92:93], v[112:113], v[98:99]
	s_waitcnt vmcnt(10) lgkmcnt(2)
	v_fmac_f64_e32 v[92:93], v[114:115], v[100:101]
	buffer_load_dword v101, off, s[0:3], 0 offset:164
	buffer_load_dword v100, off, s[0:3], 0 offset:160
	s_waitcnt vmcnt(10)
	v_fmac_f64_e32 v[92:93], v[116:117], v[102:103]
	s_waitcnt vmcnt(8) lgkmcnt(1)
	v_fmac_f64_e32 v[92:93], v[118:119], v[104:105]
	s_waitcnt vmcnt(6)
	v_fmac_f64_e32 v[92:93], v[120:121], v[106:107]
	s_waitcnt vmcnt(4) lgkmcnt(0)
	v_fmac_f64_e32 v[92:93], v[122:123], v[108:109]
	s_waitcnt vmcnt(2)
	v_fmac_f64_e32 v[92:93], v[96:97], v[110:111]
	ds_read_b128 v[96:99], v94 offset:512
	s_waitcnt vmcnt(0) lgkmcnt(0)
	v_fmac_f64_e32 v[92:93], v[100:101], v[96:97]
	buffer_load_dword v97, off, s[0:3], 0 offset:172
	buffer_load_dword v96, off, s[0:3], 0 offset:168
	buffer_load_dword v101, off, s[0:3], 0 offset:180
	buffer_load_dword v100, off, s[0:3], 0 offset:176
	s_waitcnt vmcnt(2)
	v_fmac_f64_e32 v[92:93], v[96:97], v[98:99]
	ds_read_b128 v[96:99], v94 offset:528
	s_waitcnt vmcnt(0) lgkmcnt(0)
	v_fmac_f64_e32 v[92:93], v[100:101], v[96:97]
	buffer_load_dword v97, off, s[0:3], 0 offset:188
	buffer_load_dword v96, off, s[0:3], 0 offset:184
	buffer_load_dword v101, off, s[0:3], 0 offset:196
	buffer_load_dword v100, off, s[0:3], 0 offset:192
	;; [unrolled: 9-line block ×10, first 2 shown]
	s_waitcnt vmcnt(2)
	v_fmac_f64_e32 v[92:93], v[96:97], v[98:99]
	ds_read_b128 v[96:99], v94 offset:672
	s_waitcnt vmcnt(0) lgkmcnt(0)
	v_fmac_f64_e32 v[92:93], v[100:101], v[96:97]
	buffer_load_dword v97, off, s[0:3], 0 offset:332
	buffer_load_dword v96, off, s[0:3], 0 offset:328
	s_waitcnt vmcnt(0)
	v_fmac_f64_e32 v[92:93], v[96:97], v[98:99]
	buffer_load_dword v99, off, s[0:3], 0 offset:340
	buffer_load_dword v98, off, s[0:3], 0 offset:336
	ds_read_b128 v[94:97], v94 offset:688
	s_waitcnt vmcnt(0) lgkmcnt(0)
	v_fmac_f64_e32 v[92:93], v[98:99], v[94:95]
	buffer_load_dword v95, off, s[0:3], 0 offset:348
	buffer_load_dword v94, off, s[0:3], 0 offset:344
	s_waitcnt vmcnt(0)
	v_fmac_f64_e32 v[92:93], v[94:95], v[96:97]
	v_add_f64 v[90:91], v[90:91], -v[92:93]
	buffer_store_dword v91, off, s[0:3], 0 offset:92
	buffer_store_dword v90, off, s[0:3], 0 offset:88
	s_and_saveexec_b64 s[4:5], vcc
	s_cbranch_execz .LBB107_251
; %bb.250:
	buffer_load_dword v90, off, s[0:3], 0 offset:80
	buffer_load_dword v91, off, s[0:3], 0 offset:84
	v_mov_b32_e32 v92, 0
	buffer_store_dword v92, off, s[0:3], 0 offset:80
	buffer_store_dword v92, off, s[0:3], 0 offset:84
	s_waitcnt vmcnt(2)
	ds_write_b64 v1, v[90:91]
.LBB107_251:
	s_or_b64 exec, exec, s[4:5]
	s_waitcnt lgkmcnt(0)
	; wave barrier
	s_waitcnt lgkmcnt(0)
	buffer_load_dword v90, off, s[0:3], 0 offset:80
	buffer_load_dword v91, off, s[0:3], 0 offset:84
	;; [unrolled: 1-line block ×16, first 2 shown]
	v_mov_b32_e32 v94, 0
	ds_read2_b64 v[96:99], v94 offset0:55 offset1:56
	v_cmp_lt_u32_e32 vcc, 9, v0
	s_waitcnt vmcnt(12) lgkmcnt(0)
	v_fma_f64 v[92:93], v[92:93], v[96:97], 0
	s_waitcnt vmcnt(10)
	v_fmac_f64_e32 v[92:93], v[100:101], v[98:99]
	ds_read2_b64 v[96:99], v94 offset0:57 offset1:58
	s_waitcnt vmcnt(8) lgkmcnt(0)
	v_fmac_f64_e32 v[92:93], v[102:103], v[96:97]
	s_waitcnt vmcnt(6)
	v_fmac_f64_e32 v[92:93], v[104:105], v[98:99]
	ds_read2_b64 v[96:99], v94 offset0:59 offset1:60
	s_waitcnt vmcnt(4) lgkmcnt(0)
	v_fmac_f64_e32 v[92:93], v[106:107], v[96:97]
	;; [unrolled: 5-line block ×3, first 2 shown]
	buffer_load_dword v97, off, s[0:3], 0 offset:148
	buffer_load_dword v96, off, s[0:3], 0 offset:144
	buffer_load_dword v101, off, s[0:3], 0 offset:156
	buffer_load_dword v100, off, s[0:3], 0 offset:152
	s_waitcnt vmcnt(2)
	v_fmac_f64_e32 v[92:93], v[96:97], v[98:99]
	ds_read2_b64 v[96:99], v94 offset0:63 offset1:64
	s_waitcnt vmcnt(0) lgkmcnt(0)
	v_fmac_f64_e32 v[92:93], v[100:101], v[96:97]
	buffer_load_dword v97, off, s[0:3], 0 offset:164
	buffer_load_dword v96, off, s[0:3], 0 offset:160
	buffer_load_dword v101, off, s[0:3], 0 offset:172
	buffer_load_dword v100, off, s[0:3], 0 offset:168
	s_waitcnt vmcnt(2)
	v_fmac_f64_e32 v[92:93], v[96:97], v[98:99]
	ds_read2_b64 v[96:99], v94 offset0:65 offset1:66
	s_waitcnt vmcnt(0) lgkmcnt(0)
	v_fmac_f64_e32 v[92:93], v[100:101], v[96:97]
	;; [unrolled: 9-line block ×12, first 2 shown]
	buffer_load_dword v97, off, s[0:3], 0 offset:340
	buffer_load_dword v96, off, s[0:3], 0 offset:336
	s_waitcnt vmcnt(0)
	v_fmac_f64_e32 v[92:93], v[96:97], v[98:99]
	buffer_load_dword v97, off, s[0:3], 0 offset:348
	buffer_load_dword v96, off, s[0:3], 0 offset:344
	ds_read_b64 v[98:99], v94 offset:696
	s_waitcnt vmcnt(0) lgkmcnt(0)
	v_fmac_f64_e32 v[92:93], v[96:97], v[98:99]
	v_add_f64 v[90:91], v[90:91], -v[92:93]
	buffer_store_dword v91, off, s[0:3], 0 offset:84
	buffer_store_dword v90, off, s[0:3], 0 offset:80
	s_and_saveexec_b64 s[4:5], vcc
	s_cbranch_execz .LBB107_253
; %bb.252:
	buffer_load_dword v90, off, s[0:3], 0 offset:72
	buffer_load_dword v91, off, s[0:3], 0 offset:76
	s_waitcnt vmcnt(0)
	ds_write_b64 v1, v[90:91]
	buffer_store_dword v94, off, s[0:3], 0 offset:72
	buffer_store_dword v94, off, s[0:3], 0 offset:76
.LBB107_253:
	s_or_b64 exec, exec, s[4:5]
	s_waitcnt lgkmcnt(0)
	; wave barrier
	s_waitcnt lgkmcnt(0)
	buffer_load_dword v90, off, s[0:3], 0 offset:72
	buffer_load_dword v91, off, s[0:3], 0 offset:76
	;; [unrolled: 1-line block ×16, first 2 shown]
	ds_read_b128 v[96:99], v94 offset:432
	ds_read_b128 v[100:103], v94 offset:448
	;; [unrolled: 1-line block ×4, first 2 shown]
	v_cmp_lt_u32_e32 vcc, 8, v0
	s_waitcnt vmcnt(12) lgkmcnt(3)
	v_fma_f64 v[92:93], v[92:93], v[96:97], 0
	buffer_load_dword v97, off, s[0:3], 0 offset:140
	buffer_load_dword v96, off, s[0:3], 0 offset:136
	s_waitcnt vmcnt(12)
	v_fmac_f64_e32 v[92:93], v[112:113], v[98:99]
	s_waitcnt vmcnt(10) lgkmcnt(2)
	v_fmac_f64_e32 v[92:93], v[114:115], v[100:101]
	buffer_load_dword v101, off, s[0:3], 0 offset:148
	buffer_load_dword v100, off, s[0:3], 0 offset:144
	s_waitcnt vmcnt(10)
	v_fmac_f64_e32 v[92:93], v[116:117], v[102:103]
	s_waitcnt vmcnt(8) lgkmcnt(1)
	v_fmac_f64_e32 v[92:93], v[118:119], v[104:105]
	s_waitcnt vmcnt(6)
	v_fmac_f64_e32 v[92:93], v[120:121], v[106:107]
	s_waitcnt vmcnt(4) lgkmcnt(0)
	v_fmac_f64_e32 v[92:93], v[122:123], v[108:109]
	s_waitcnt vmcnt(2)
	v_fmac_f64_e32 v[92:93], v[96:97], v[110:111]
	ds_read_b128 v[96:99], v94 offset:496
	s_waitcnt vmcnt(0) lgkmcnt(0)
	v_fmac_f64_e32 v[92:93], v[100:101], v[96:97]
	buffer_load_dword v97, off, s[0:3], 0 offset:156
	buffer_load_dword v96, off, s[0:3], 0 offset:152
	buffer_load_dword v101, off, s[0:3], 0 offset:164
	buffer_load_dword v100, off, s[0:3], 0 offset:160
	s_waitcnt vmcnt(2)
	v_fmac_f64_e32 v[92:93], v[96:97], v[98:99]
	ds_read_b128 v[96:99], v94 offset:512
	s_waitcnt vmcnt(0) lgkmcnt(0)
	v_fmac_f64_e32 v[92:93], v[100:101], v[96:97]
	buffer_load_dword v97, off, s[0:3], 0 offset:172
	buffer_load_dword v96, off, s[0:3], 0 offset:168
	buffer_load_dword v101, off, s[0:3], 0 offset:180
	buffer_load_dword v100, off, s[0:3], 0 offset:176
	;; [unrolled: 9-line block ×11, first 2 shown]
	s_waitcnt vmcnt(2)
	v_fmac_f64_e32 v[92:93], v[96:97], v[98:99]
	ds_read_b128 v[96:99], v94 offset:672
	s_waitcnt vmcnt(0) lgkmcnt(0)
	v_fmac_f64_e32 v[92:93], v[100:101], v[96:97]
	buffer_load_dword v97, off, s[0:3], 0 offset:332
	buffer_load_dword v96, off, s[0:3], 0 offset:328
	s_waitcnt vmcnt(0)
	v_fmac_f64_e32 v[92:93], v[96:97], v[98:99]
	buffer_load_dword v99, off, s[0:3], 0 offset:340
	buffer_load_dword v98, off, s[0:3], 0 offset:336
	ds_read_b128 v[94:97], v94 offset:688
	s_waitcnt vmcnt(0) lgkmcnt(0)
	v_fmac_f64_e32 v[92:93], v[98:99], v[94:95]
	buffer_load_dword v95, off, s[0:3], 0 offset:348
	buffer_load_dword v94, off, s[0:3], 0 offset:344
	s_waitcnt vmcnt(0)
	v_fmac_f64_e32 v[92:93], v[94:95], v[96:97]
	v_add_f64 v[90:91], v[90:91], -v[92:93]
	buffer_store_dword v91, off, s[0:3], 0 offset:76
	buffer_store_dword v90, off, s[0:3], 0 offset:72
	s_and_saveexec_b64 s[4:5], vcc
	s_cbranch_execz .LBB107_255
; %bb.254:
	buffer_load_dword v90, off, s[0:3], 0 offset:64
	buffer_load_dword v91, off, s[0:3], 0 offset:68
	v_mov_b32_e32 v92, 0
	buffer_store_dword v92, off, s[0:3], 0 offset:64
	buffer_store_dword v92, off, s[0:3], 0 offset:68
	s_waitcnt vmcnt(2)
	ds_write_b64 v1, v[90:91]
.LBB107_255:
	s_or_b64 exec, exec, s[4:5]
	s_waitcnt lgkmcnt(0)
	; wave barrier
	s_waitcnt lgkmcnt(0)
	buffer_load_dword v90, off, s[0:3], 0 offset:64
	buffer_load_dword v91, off, s[0:3], 0 offset:68
	;; [unrolled: 1-line block ×16, first 2 shown]
	v_mov_b32_e32 v94, 0
	ds_read2_b64 v[96:99], v94 offset0:53 offset1:54
	v_cmp_lt_u32_e32 vcc, 7, v0
	s_waitcnt vmcnt(12) lgkmcnt(0)
	v_fma_f64 v[92:93], v[92:93], v[96:97], 0
	s_waitcnt vmcnt(10)
	v_fmac_f64_e32 v[92:93], v[100:101], v[98:99]
	ds_read2_b64 v[96:99], v94 offset0:55 offset1:56
	s_waitcnt vmcnt(8) lgkmcnt(0)
	v_fmac_f64_e32 v[92:93], v[102:103], v[96:97]
	s_waitcnt vmcnt(6)
	v_fmac_f64_e32 v[92:93], v[104:105], v[98:99]
	ds_read2_b64 v[96:99], v94 offset0:57 offset1:58
	s_waitcnt vmcnt(4) lgkmcnt(0)
	v_fmac_f64_e32 v[92:93], v[106:107], v[96:97]
	;; [unrolled: 5-line block ×3, first 2 shown]
	buffer_load_dword v97, off, s[0:3], 0 offset:132
	buffer_load_dword v96, off, s[0:3], 0 offset:128
	buffer_load_dword v101, off, s[0:3], 0 offset:140
	buffer_load_dword v100, off, s[0:3], 0 offset:136
	s_waitcnt vmcnt(2)
	v_fmac_f64_e32 v[92:93], v[96:97], v[98:99]
	ds_read2_b64 v[96:99], v94 offset0:61 offset1:62
	s_waitcnt vmcnt(0) lgkmcnt(0)
	v_fmac_f64_e32 v[92:93], v[100:101], v[96:97]
	buffer_load_dword v97, off, s[0:3], 0 offset:148
	buffer_load_dword v96, off, s[0:3], 0 offset:144
	buffer_load_dword v101, off, s[0:3], 0 offset:156
	buffer_load_dword v100, off, s[0:3], 0 offset:152
	s_waitcnt vmcnt(2)
	v_fmac_f64_e32 v[92:93], v[96:97], v[98:99]
	ds_read2_b64 v[96:99], v94 offset0:63 offset1:64
	s_waitcnt vmcnt(0) lgkmcnt(0)
	v_fmac_f64_e32 v[92:93], v[100:101], v[96:97]
	;; [unrolled: 9-line block ×13, first 2 shown]
	buffer_load_dword v97, off, s[0:3], 0 offset:340
	buffer_load_dword v96, off, s[0:3], 0 offset:336
	s_waitcnt vmcnt(0)
	v_fmac_f64_e32 v[92:93], v[96:97], v[98:99]
	buffer_load_dword v97, off, s[0:3], 0 offset:348
	buffer_load_dword v96, off, s[0:3], 0 offset:344
	ds_read_b64 v[98:99], v94 offset:696
	s_waitcnt vmcnt(0) lgkmcnt(0)
	v_fmac_f64_e32 v[92:93], v[96:97], v[98:99]
	v_add_f64 v[90:91], v[90:91], -v[92:93]
	buffer_store_dword v91, off, s[0:3], 0 offset:68
	buffer_store_dword v90, off, s[0:3], 0 offset:64
	s_and_saveexec_b64 s[4:5], vcc
	s_cbranch_execz .LBB107_257
; %bb.256:
	buffer_load_dword v90, off, s[0:3], 0 offset:56
	buffer_load_dword v91, off, s[0:3], 0 offset:60
	s_waitcnt vmcnt(0)
	ds_write_b64 v1, v[90:91]
	buffer_store_dword v94, off, s[0:3], 0 offset:56
	buffer_store_dword v94, off, s[0:3], 0 offset:60
.LBB107_257:
	s_or_b64 exec, exec, s[4:5]
	s_waitcnt lgkmcnt(0)
	; wave barrier
	s_waitcnt lgkmcnt(0)
	buffer_load_dword v90, off, s[0:3], 0 offset:56
	buffer_load_dword v91, off, s[0:3], 0 offset:60
	;; [unrolled: 1-line block ×16, first 2 shown]
	ds_read_b128 v[96:99], v94 offset:416
	ds_read_b128 v[100:103], v94 offset:432
	ds_read_b128 v[104:107], v94 offset:448
	ds_read_b128 v[108:111], v94 offset:464
	v_cmp_lt_u32_e32 vcc, 6, v0
	s_waitcnt vmcnt(12) lgkmcnt(3)
	v_fma_f64 v[92:93], v[92:93], v[96:97], 0
	buffer_load_dword v97, off, s[0:3], 0 offset:124
	buffer_load_dword v96, off, s[0:3], 0 offset:120
	s_waitcnt vmcnt(12)
	v_fmac_f64_e32 v[92:93], v[112:113], v[98:99]
	s_waitcnt vmcnt(10) lgkmcnt(2)
	v_fmac_f64_e32 v[92:93], v[114:115], v[100:101]
	buffer_load_dword v101, off, s[0:3], 0 offset:132
	buffer_load_dword v100, off, s[0:3], 0 offset:128
	s_waitcnt vmcnt(10)
	v_fmac_f64_e32 v[92:93], v[116:117], v[102:103]
	s_waitcnt vmcnt(8) lgkmcnt(1)
	v_fmac_f64_e32 v[92:93], v[118:119], v[104:105]
	s_waitcnt vmcnt(6)
	v_fmac_f64_e32 v[92:93], v[120:121], v[106:107]
	s_waitcnt vmcnt(4) lgkmcnt(0)
	v_fmac_f64_e32 v[92:93], v[122:123], v[108:109]
	s_waitcnt vmcnt(2)
	v_fmac_f64_e32 v[92:93], v[96:97], v[110:111]
	ds_read_b128 v[96:99], v94 offset:480
	s_waitcnt vmcnt(0) lgkmcnt(0)
	v_fmac_f64_e32 v[92:93], v[100:101], v[96:97]
	buffer_load_dword v97, off, s[0:3], 0 offset:140
	buffer_load_dword v96, off, s[0:3], 0 offset:136
	buffer_load_dword v101, off, s[0:3], 0 offset:148
	buffer_load_dword v100, off, s[0:3], 0 offset:144
	s_waitcnt vmcnt(2)
	v_fmac_f64_e32 v[92:93], v[96:97], v[98:99]
	ds_read_b128 v[96:99], v94 offset:496
	s_waitcnt vmcnt(0) lgkmcnt(0)
	v_fmac_f64_e32 v[92:93], v[100:101], v[96:97]
	buffer_load_dword v97, off, s[0:3], 0 offset:156
	buffer_load_dword v96, off, s[0:3], 0 offset:152
	buffer_load_dword v101, off, s[0:3], 0 offset:164
	buffer_load_dword v100, off, s[0:3], 0 offset:160
	;; [unrolled: 9-line block ×12, first 2 shown]
	s_waitcnt vmcnt(2)
	v_fmac_f64_e32 v[92:93], v[96:97], v[98:99]
	ds_read_b128 v[96:99], v94 offset:672
	s_waitcnt vmcnt(0) lgkmcnt(0)
	v_fmac_f64_e32 v[92:93], v[100:101], v[96:97]
	buffer_load_dword v97, off, s[0:3], 0 offset:332
	buffer_load_dword v96, off, s[0:3], 0 offset:328
	s_waitcnt vmcnt(0)
	v_fmac_f64_e32 v[92:93], v[96:97], v[98:99]
	buffer_load_dword v99, off, s[0:3], 0 offset:340
	buffer_load_dword v98, off, s[0:3], 0 offset:336
	ds_read_b128 v[94:97], v94 offset:688
	s_waitcnt vmcnt(0) lgkmcnt(0)
	v_fmac_f64_e32 v[92:93], v[98:99], v[94:95]
	buffer_load_dword v95, off, s[0:3], 0 offset:348
	buffer_load_dword v94, off, s[0:3], 0 offset:344
	s_waitcnt vmcnt(0)
	v_fmac_f64_e32 v[92:93], v[94:95], v[96:97]
	v_add_f64 v[90:91], v[90:91], -v[92:93]
	buffer_store_dword v91, off, s[0:3], 0 offset:60
	buffer_store_dword v90, off, s[0:3], 0 offset:56
	s_and_saveexec_b64 s[4:5], vcc
	s_cbranch_execz .LBB107_259
; %bb.258:
	buffer_load_dword v90, off, s[0:3], 0 offset:48
	buffer_load_dword v91, off, s[0:3], 0 offset:52
	v_mov_b32_e32 v92, 0
	buffer_store_dword v92, off, s[0:3], 0 offset:48
	buffer_store_dword v92, off, s[0:3], 0 offset:52
	s_waitcnt vmcnt(2)
	ds_write_b64 v1, v[90:91]
.LBB107_259:
	s_or_b64 exec, exec, s[4:5]
	s_waitcnt lgkmcnt(0)
	; wave barrier
	s_waitcnt lgkmcnt(0)
	buffer_load_dword v90, off, s[0:3], 0 offset:48
	buffer_load_dword v91, off, s[0:3], 0 offset:52
	;; [unrolled: 1-line block ×16, first 2 shown]
	v_mov_b32_e32 v94, 0
	ds_read2_b64 v[96:99], v94 offset0:51 offset1:52
	v_cmp_lt_u32_e32 vcc, 5, v0
	s_waitcnt vmcnt(12) lgkmcnt(0)
	v_fma_f64 v[92:93], v[92:93], v[96:97], 0
	s_waitcnt vmcnt(10)
	v_fmac_f64_e32 v[92:93], v[100:101], v[98:99]
	ds_read2_b64 v[96:99], v94 offset0:53 offset1:54
	s_waitcnt vmcnt(8) lgkmcnt(0)
	v_fmac_f64_e32 v[92:93], v[102:103], v[96:97]
	s_waitcnt vmcnt(6)
	v_fmac_f64_e32 v[92:93], v[104:105], v[98:99]
	ds_read2_b64 v[96:99], v94 offset0:55 offset1:56
	s_waitcnt vmcnt(4) lgkmcnt(0)
	v_fmac_f64_e32 v[92:93], v[106:107], v[96:97]
	;; [unrolled: 5-line block ×3, first 2 shown]
	buffer_load_dword v97, off, s[0:3], 0 offset:116
	buffer_load_dword v96, off, s[0:3], 0 offset:112
	buffer_load_dword v101, off, s[0:3], 0 offset:124
	buffer_load_dword v100, off, s[0:3], 0 offset:120
	s_waitcnt vmcnt(2)
	v_fmac_f64_e32 v[92:93], v[96:97], v[98:99]
	ds_read2_b64 v[96:99], v94 offset0:59 offset1:60
	s_waitcnt vmcnt(0) lgkmcnt(0)
	v_fmac_f64_e32 v[92:93], v[100:101], v[96:97]
	buffer_load_dword v97, off, s[0:3], 0 offset:132
	buffer_load_dword v96, off, s[0:3], 0 offset:128
	buffer_load_dword v101, off, s[0:3], 0 offset:140
	buffer_load_dword v100, off, s[0:3], 0 offset:136
	s_waitcnt vmcnt(2)
	v_fmac_f64_e32 v[92:93], v[96:97], v[98:99]
	ds_read2_b64 v[96:99], v94 offset0:61 offset1:62
	s_waitcnt vmcnt(0) lgkmcnt(0)
	v_fmac_f64_e32 v[92:93], v[100:101], v[96:97]
	;; [unrolled: 9-line block ×14, first 2 shown]
	buffer_load_dword v97, off, s[0:3], 0 offset:340
	buffer_load_dword v96, off, s[0:3], 0 offset:336
	s_waitcnt vmcnt(0)
	v_fmac_f64_e32 v[92:93], v[96:97], v[98:99]
	buffer_load_dword v97, off, s[0:3], 0 offset:348
	buffer_load_dword v96, off, s[0:3], 0 offset:344
	ds_read_b64 v[98:99], v94 offset:696
	s_waitcnt vmcnt(0) lgkmcnt(0)
	v_fmac_f64_e32 v[92:93], v[96:97], v[98:99]
	v_add_f64 v[90:91], v[90:91], -v[92:93]
	buffer_store_dword v91, off, s[0:3], 0 offset:52
	buffer_store_dword v90, off, s[0:3], 0 offset:48
	s_and_saveexec_b64 s[4:5], vcc
	s_cbranch_execz .LBB107_261
; %bb.260:
	buffer_load_dword v90, off, s[0:3], 0 offset:40
	buffer_load_dword v91, off, s[0:3], 0 offset:44
	s_waitcnt vmcnt(0)
	ds_write_b64 v1, v[90:91]
	buffer_store_dword v94, off, s[0:3], 0 offset:40
	buffer_store_dword v94, off, s[0:3], 0 offset:44
.LBB107_261:
	s_or_b64 exec, exec, s[4:5]
	s_waitcnt lgkmcnt(0)
	; wave barrier
	s_waitcnt lgkmcnt(0)
	buffer_load_dword v90, off, s[0:3], 0 offset:40
	buffer_load_dword v91, off, s[0:3], 0 offset:44
	;; [unrolled: 1-line block ×16, first 2 shown]
	ds_read_b128 v[96:99], v94 offset:400
	ds_read_b128 v[100:103], v94 offset:416
	;; [unrolled: 1-line block ×4, first 2 shown]
	v_cmp_lt_u32_e32 vcc, 4, v0
	s_waitcnt vmcnt(12) lgkmcnt(3)
	v_fma_f64 v[92:93], v[92:93], v[96:97], 0
	buffer_load_dword v97, off, s[0:3], 0 offset:108
	buffer_load_dword v96, off, s[0:3], 0 offset:104
	s_waitcnt vmcnt(12)
	v_fmac_f64_e32 v[92:93], v[112:113], v[98:99]
	s_waitcnt vmcnt(10) lgkmcnt(2)
	v_fmac_f64_e32 v[92:93], v[114:115], v[100:101]
	buffer_load_dword v101, off, s[0:3], 0 offset:116
	buffer_load_dword v100, off, s[0:3], 0 offset:112
	s_waitcnt vmcnt(10)
	v_fmac_f64_e32 v[92:93], v[116:117], v[102:103]
	s_waitcnt vmcnt(8) lgkmcnt(1)
	v_fmac_f64_e32 v[92:93], v[118:119], v[104:105]
	s_waitcnt vmcnt(6)
	v_fmac_f64_e32 v[92:93], v[120:121], v[106:107]
	s_waitcnt vmcnt(4) lgkmcnt(0)
	v_fmac_f64_e32 v[92:93], v[122:123], v[108:109]
	s_waitcnt vmcnt(2)
	v_fmac_f64_e32 v[92:93], v[96:97], v[110:111]
	ds_read_b128 v[96:99], v94 offset:464
	s_waitcnt vmcnt(0) lgkmcnt(0)
	v_fmac_f64_e32 v[92:93], v[100:101], v[96:97]
	buffer_load_dword v97, off, s[0:3], 0 offset:124
	buffer_load_dword v96, off, s[0:3], 0 offset:120
	buffer_load_dword v101, off, s[0:3], 0 offset:132
	buffer_load_dword v100, off, s[0:3], 0 offset:128
	s_waitcnt vmcnt(2)
	v_fmac_f64_e32 v[92:93], v[96:97], v[98:99]
	ds_read_b128 v[96:99], v94 offset:480
	s_waitcnt vmcnt(0) lgkmcnt(0)
	v_fmac_f64_e32 v[92:93], v[100:101], v[96:97]
	buffer_load_dword v97, off, s[0:3], 0 offset:140
	buffer_load_dword v96, off, s[0:3], 0 offset:136
	buffer_load_dword v101, off, s[0:3], 0 offset:148
	buffer_load_dword v100, off, s[0:3], 0 offset:144
	;; [unrolled: 9-line block ×13, first 2 shown]
	s_waitcnt vmcnt(2)
	v_fmac_f64_e32 v[92:93], v[96:97], v[98:99]
	ds_read_b128 v[96:99], v94 offset:672
	s_waitcnt vmcnt(0) lgkmcnt(0)
	v_fmac_f64_e32 v[92:93], v[100:101], v[96:97]
	buffer_load_dword v97, off, s[0:3], 0 offset:332
	buffer_load_dword v96, off, s[0:3], 0 offset:328
	s_waitcnt vmcnt(0)
	v_fmac_f64_e32 v[92:93], v[96:97], v[98:99]
	buffer_load_dword v99, off, s[0:3], 0 offset:340
	buffer_load_dword v98, off, s[0:3], 0 offset:336
	ds_read_b128 v[94:97], v94 offset:688
	s_waitcnt vmcnt(0) lgkmcnt(0)
	v_fmac_f64_e32 v[92:93], v[98:99], v[94:95]
	buffer_load_dword v95, off, s[0:3], 0 offset:348
	buffer_load_dword v94, off, s[0:3], 0 offset:344
	s_waitcnt vmcnt(0)
	v_fmac_f64_e32 v[92:93], v[94:95], v[96:97]
	v_add_f64 v[90:91], v[90:91], -v[92:93]
	buffer_store_dword v91, off, s[0:3], 0 offset:44
	buffer_store_dword v90, off, s[0:3], 0 offset:40
	s_and_saveexec_b64 s[4:5], vcc
	s_cbranch_execz .LBB107_263
; %bb.262:
	buffer_load_dword v90, off, s[0:3], 0 offset:32
	buffer_load_dword v91, off, s[0:3], 0 offset:36
	v_mov_b32_e32 v92, 0
	buffer_store_dword v92, off, s[0:3], 0 offset:32
	buffer_store_dword v92, off, s[0:3], 0 offset:36
	s_waitcnt vmcnt(2)
	ds_write_b64 v1, v[90:91]
.LBB107_263:
	s_or_b64 exec, exec, s[4:5]
	s_waitcnt lgkmcnt(0)
	; wave barrier
	s_waitcnt lgkmcnt(0)
	buffer_load_dword v90, off, s[0:3], 0 offset:32
	buffer_load_dword v91, off, s[0:3], 0 offset:36
	;; [unrolled: 1-line block ×16, first 2 shown]
	v_mov_b32_e32 v94, 0
	ds_read2_b64 v[96:99], v94 offset0:49 offset1:50
	v_cmp_lt_u32_e32 vcc, 3, v0
	s_waitcnt vmcnt(12) lgkmcnt(0)
	v_fma_f64 v[92:93], v[92:93], v[96:97], 0
	s_waitcnt vmcnt(10)
	v_fmac_f64_e32 v[92:93], v[100:101], v[98:99]
	ds_read2_b64 v[96:99], v94 offset0:51 offset1:52
	s_waitcnt vmcnt(8) lgkmcnt(0)
	v_fmac_f64_e32 v[92:93], v[102:103], v[96:97]
	s_waitcnt vmcnt(6)
	v_fmac_f64_e32 v[92:93], v[104:105], v[98:99]
	ds_read2_b64 v[96:99], v94 offset0:53 offset1:54
	s_waitcnt vmcnt(4) lgkmcnt(0)
	v_fmac_f64_e32 v[92:93], v[106:107], v[96:97]
	s_waitcnt vmcnt(2)
	v_fmac_f64_e32 v[92:93], v[108:109], v[98:99]
	ds_read2_b64 v[96:99], v94 offset0:55 offset1:56
	s_waitcnt vmcnt(0) lgkmcnt(0)
	v_fmac_f64_e32 v[92:93], v[110:111], v[96:97]
	buffer_load_dword v97, off, s[0:3], 0 offset:100
	buffer_load_dword v96, off, s[0:3], 0 offset:96
	buffer_load_dword v101, off, s[0:3], 0 offset:108
	buffer_load_dword v100, off, s[0:3], 0 offset:104
	s_waitcnt vmcnt(2)
	v_fmac_f64_e32 v[92:93], v[96:97], v[98:99]
	ds_read2_b64 v[96:99], v94 offset0:57 offset1:58
	s_waitcnt vmcnt(0) lgkmcnt(0)
	v_fmac_f64_e32 v[92:93], v[100:101], v[96:97]
	buffer_load_dword v97, off, s[0:3], 0 offset:116
	buffer_load_dword v96, off, s[0:3], 0 offset:112
	buffer_load_dword v101, off, s[0:3], 0 offset:124
	buffer_load_dword v100, off, s[0:3], 0 offset:120
	s_waitcnt vmcnt(2)
	v_fmac_f64_e32 v[92:93], v[96:97], v[98:99]
	ds_read2_b64 v[96:99], v94 offset0:59 offset1:60
	s_waitcnt vmcnt(0) lgkmcnt(0)
	v_fmac_f64_e32 v[92:93], v[100:101], v[96:97]
	;; [unrolled: 9-line block ×15, first 2 shown]
	buffer_load_dword v97, off, s[0:3], 0 offset:340
	buffer_load_dword v96, off, s[0:3], 0 offset:336
	s_waitcnt vmcnt(0)
	v_fmac_f64_e32 v[92:93], v[96:97], v[98:99]
	buffer_load_dword v97, off, s[0:3], 0 offset:348
	buffer_load_dword v96, off, s[0:3], 0 offset:344
	ds_read_b64 v[98:99], v94 offset:696
	s_waitcnt vmcnt(0) lgkmcnt(0)
	v_fmac_f64_e32 v[92:93], v[96:97], v[98:99]
	v_add_f64 v[90:91], v[90:91], -v[92:93]
	buffer_store_dword v91, off, s[0:3], 0 offset:36
	buffer_store_dword v90, off, s[0:3], 0 offset:32
	s_and_saveexec_b64 s[4:5], vcc
	s_cbranch_execz .LBB107_265
; %bb.264:
	buffer_load_dword v90, off, s[0:3], 0 offset:24
	buffer_load_dword v91, off, s[0:3], 0 offset:28
	s_waitcnt vmcnt(0)
	ds_write_b64 v1, v[90:91]
	buffer_store_dword v94, off, s[0:3], 0 offset:24
	buffer_store_dword v94, off, s[0:3], 0 offset:28
.LBB107_265:
	s_or_b64 exec, exec, s[4:5]
	s_waitcnt lgkmcnt(0)
	; wave barrier
	s_waitcnt lgkmcnt(0)
	buffer_load_dword v90, off, s[0:3], 0 offset:24
	buffer_load_dword v91, off, s[0:3], 0 offset:28
	;; [unrolled: 1-line block ×16, first 2 shown]
	ds_read_b128 v[96:99], v94 offset:384
	ds_read_b128 v[100:103], v94 offset:400
	ds_read_b128 v[104:107], v94 offset:416
	ds_read_b128 v[108:111], v94 offset:432
	v_cmp_lt_u32_e32 vcc, 2, v0
	s_waitcnt vmcnt(12) lgkmcnt(3)
	v_fma_f64 v[92:93], v[92:93], v[96:97], 0
	buffer_load_dword v97, off, s[0:3], 0 offset:92
	buffer_load_dword v96, off, s[0:3], 0 offset:88
	s_waitcnt vmcnt(12)
	v_fmac_f64_e32 v[92:93], v[112:113], v[98:99]
	s_waitcnt vmcnt(10) lgkmcnt(2)
	v_fmac_f64_e32 v[92:93], v[114:115], v[100:101]
	buffer_load_dword v101, off, s[0:3], 0 offset:100
	buffer_load_dword v100, off, s[0:3], 0 offset:96
	s_waitcnt vmcnt(10)
	v_fmac_f64_e32 v[92:93], v[116:117], v[102:103]
	s_waitcnt vmcnt(8) lgkmcnt(1)
	v_fmac_f64_e32 v[92:93], v[118:119], v[104:105]
	s_waitcnt vmcnt(6)
	v_fmac_f64_e32 v[92:93], v[120:121], v[106:107]
	s_waitcnt vmcnt(4) lgkmcnt(0)
	v_fmac_f64_e32 v[92:93], v[122:123], v[108:109]
	s_waitcnt vmcnt(2)
	v_fmac_f64_e32 v[92:93], v[96:97], v[110:111]
	ds_read_b128 v[96:99], v94 offset:448
	s_waitcnt vmcnt(0) lgkmcnt(0)
	v_fmac_f64_e32 v[92:93], v[100:101], v[96:97]
	buffer_load_dword v97, off, s[0:3], 0 offset:108
	buffer_load_dword v96, off, s[0:3], 0 offset:104
	buffer_load_dword v101, off, s[0:3], 0 offset:116
	buffer_load_dword v100, off, s[0:3], 0 offset:112
	s_waitcnt vmcnt(2)
	v_fmac_f64_e32 v[92:93], v[96:97], v[98:99]
	ds_read_b128 v[96:99], v94 offset:464
	s_waitcnt vmcnt(0) lgkmcnt(0)
	v_fmac_f64_e32 v[92:93], v[100:101], v[96:97]
	buffer_load_dword v97, off, s[0:3], 0 offset:124
	buffer_load_dword v96, off, s[0:3], 0 offset:120
	buffer_load_dword v101, off, s[0:3], 0 offset:132
	buffer_load_dword v100, off, s[0:3], 0 offset:128
	;; [unrolled: 9-line block ×14, first 2 shown]
	s_waitcnt vmcnt(2)
	v_fmac_f64_e32 v[92:93], v[96:97], v[98:99]
	ds_read_b128 v[96:99], v94 offset:672
	s_waitcnt vmcnt(0) lgkmcnt(0)
	v_fmac_f64_e32 v[92:93], v[100:101], v[96:97]
	buffer_load_dword v97, off, s[0:3], 0 offset:332
	buffer_load_dword v96, off, s[0:3], 0 offset:328
	s_waitcnt vmcnt(0)
	v_fmac_f64_e32 v[92:93], v[96:97], v[98:99]
	buffer_load_dword v99, off, s[0:3], 0 offset:340
	buffer_load_dword v98, off, s[0:3], 0 offset:336
	ds_read_b128 v[94:97], v94 offset:688
	s_waitcnt vmcnt(0) lgkmcnt(0)
	v_fmac_f64_e32 v[92:93], v[98:99], v[94:95]
	buffer_load_dword v95, off, s[0:3], 0 offset:348
	buffer_load_dword v94, off, s[0:3], 0 offset:344
	s_waitcnt vmcnt(0)
	v_fmac_f64_e32 v[92:93], v[94:95], v[96:97]
	v_add_f64 v[90:91], v[90:91], -v[92:93]
	buffer_store_dword v91, off, s[0:3], 0 offset:28
	buffer_store_dword v90, off, s[0:3], 0 offset:24
	s_and_saveexec_b64 s[4:5], vcc
	s_cbranch_execz .LBB107_267
; %bb.266:
	buffer_load_dword v90, off, s[0:3], 0 offset:16
	buffer_load_dword v91, off, s[0:3], 0 offset:20
	v_mov_b32_e32 v92, 0
	buffer_store_dword v92, off, s[0:3], 0 offset:16
	buffer_store_dword v92, off, s[0:3], 0 offset:20
	s_waitcnt vmcnt(2)
	ds_write_b64 v1, v[90:91]
.LBB107_267:
	s_or_b64 exec, exec, s[4:5]
	s_waitcnt lgkmcnt(0)
	; wave barrier
	s_waitcnt lgkmcnt(0)
	buffer_load_dword v90, off, s[0:3], 0 offset:16
	buffer_load_dword v91, off, s[0:3], 0 offset:20
	;; [unrolled: 1-line block ×16, first 2 shown]
	v_mov_b32_e32 v94, 0
	ds_read2_b64 v[96:99], v94 offset0:47 offset1:48
	v_cmp_lt_u32_e32 vcc, 1, v0
	s_waitcnt vmcnt(12) lgkmcnt(0)
	v_fma_f64 v[92:93], v[92:93], v[96:97], 0
	s_waitcnt vmcnt(10)
	v_fmac_f64_e32 v[92:93], v[100:101], v[98:99]
	ds_read2_b64 v[96:99], v94 offset0:49 offset1:50
	s_waitcnt vmcnt(8) lgkmcnt(0)
	v_fmac_f64_e32 v[92:93], v[102:103], v[96:97]
	s_waitcnt vmcnt(6)
	v_fmac_f64_e32 v[92:93], v[104:105], v[98:99]
	ds_read2_b64 v[96:99], v94 offset0:51 offset1:52
	s_waitcnt vmcnt(4) lgkmcnt(0)
	v_fmac_f64_e32 v[92:93], v[106:107], v[96:97]
	;; [unrolled: 5-line block ×3, first 2 shown]
	buffer_load_dword v97, off, s[0:3], 0 offset:84
	buffer_load_dword v96, off, s[0:3], 0 offset:80
	buffer_load_dword v101, off, s[0:3], 0 offset:92
	buffer_load_dword v100, off, s[0:3], 0 offset:88
	s_waitcnt vmcnt(2)
	v_fmac_f64_e32 v[92:93], v[96:97], v[98:99]
	ds_read2_b64 v[96:99], v94 offset0:55 offset1:56
	s_waitcnt vmcnt(0) lgkmcnt(0)
	v_fmac_f64_e32 v[92:93], v[100:101], v[96:97]
	buffer_load_dword v97, off, s[0:3], 0 offset:100
	buffer_load_dword v96, off, s[0:3], 0 offset:96
	buffer_load_dword v101, off, s[0:3], 0 offset:108
	buffer_load_dword v100, off, s[0:3], 0 offset:104
	s_waitcnt vmcnt(2)
	v_fmac_f64_e32 v[92:93], v[96:97], v[98:99]
	ds_read2_b64 v[96:99], v94 offset0:57 offset1:58
	s_waitcnt vmcnt(0) lgkmcnt(0)
	v_fmac_f64_e32 v[92:93], v[100:101], v[96:97]
	;; [unrolled: 9-line block ×16, first 2 shown]
	buffer_load_dword v97, off, s[0:3], 0 offset:340
	buffer_load_dword v96, off, s[0:3], 0 offset:336
	s_waitcnt vmcnt(0)
	v_fmac_f64_e32 v[92:93], v[96:97], v[98:99]
	buffer_load_dword v97, off, s[0:3], 0 offset:348
	buffer_load_dword v96, off, s[0:3], 0 offset:344
	ds_read_b64 v[98:99], v94 offset:696
	s_waitcnt vmcnt(0) lgkmcnt(0)
	v_fmac_f64_e32 v[92:93], v[96:97], v[98:99]
	v_add_f64 v[90:91], v[90:91], -v[92:93]
	buffer_store_dword v91, off, s[0:3], 0 offset:20
	buffer_store_dword v90, off, s[0:3], 0 offset:16
	s_and_saveexec_b64 s[4:5], vcc
	s_cbranch_execz .LBB107_269
; %bb.268:
	buffer_load_dword v90, off, s[0:3], 0 offset:8
	buffer_load_dword v91, off, s[0:3], 0 offset:12
	s_waitcnt vmcnt(0)
	ds_write_b64 v1, v[90:91]
	buffer_store_dword v94, off, s[0:3], 0 offset:8
	buffer_store_dword v94, off, s[0:3], 0 offset:12
.LBB107_269:
	s_or_b64 exec, exec, s[4:5]
	s_waitcnt lgkmcnt(0)
	; wave barrier
	s_waitcnt lgkmcnt(0)
	buffer_load_dword v90, off, s[0:3], 0 offset:8
	buffer_load_dword v91, off, s[0:3], 0 offset:12
	;; [unrolled: 1-line block ×16, first 2 shown]
	ds_read_b128 v[96:99], v94 offset:368
	ds_read_b128 v[100:103], v94 offset:384
	;; [unrolled: 1-line block ×4, first 2 shown]
	v_cmp_ne_u32_e32 vcc, 0, v0
	s_waitcnt vmcnt(12) lgkmcnt(3)
	v_fma_f64 v[92:93], v[92:93], v[96:97], 0
	buffer_load_dword v97, off, s[0:3], 0 offset:76
	buffer_load_dword v96, off, s[0:3], 0 offset:72
	s_waitcnt vmcnt(12)
	v_fmac_f64_e32 v[92:93], v[112:113], v[98:99]
	s_waitcnt vmcnt(10) lgkmcnt(2)
	v_fmac_f64_e32 v[92:93], v[114:115], v[100:101]
	buffer_load_dword v101, off, s[0:3], 0 offset:84
	buffer_load_dword v100, off, s[0:3], 0 offset:80
	s_waitcnt vmcnt(10)
	v_fmac_f64_e32 v[92:93], v[116:117], v[102:103]
	s_waitcnt vmcnt(8) lgkmcnt(1)
	v_fmac_f64_e32 v[92:93], v[118:119], v[104:105]
	s_waitcnt vmcnt(6)
	v_fmac_f64_e32 v[92:93], v[120:121], v[106:107]
	s_waitcnt vmcnt(4) lgkmcnt(0)
	v_fmac_f64_e32 v[92:93], v[122:123], v[108:109]
	s_waitcnt vmcnt(2)
	v_fmac_f64_e32 v[92:93], v[96:97], v[110:111]
	ds_read_b128 v[96:99], v94 offset:432
	s_waitcnt vmcnt(0) lgkmcnt(0)
	v_fmac_f64_e32 v[92:93], v[100:101], v[96:97]
	buffer_load_dword v97, off, s[0:3], 0 offset:92
	buffer_load_dword v96, off, s[0:3], 0 offset:88
	buffer_load_dword v101, off, s[0:3], 0 offset:100
	buffer_load_dword v100, off, s[0:3], 0 offset:96
	s_waitcnt vmcnt(2)
	v_fmac_f64_e32 v[92:93], v[96:97], v[98:99]
	ds_read_b128 v[96:99], v94 offset:448
	s_waitcnt vmcnt(0) lgkmcnt(0)
	v_fmac_f64_e32 v[92:93], v[100:101], v[96:97]
	buffer_load_dword v97, off, s[0:3], 0 offset:108
	buffer_load_dword v96, off, s[0:3], 0 offset:104
	buffer_load_dword v101, off, s[0:3], 0 offset:116
	buffer_load_dword v100, off, s[0:3], 0 offset:112
	;; [unrolled: 9-line block ×15, first 2 shown]
	s_waitcnt vmcnt(2)
	v_fmac_f64_e32 v[92:93], v[96:97], v[98:99]
	ds_read_b128 v[96:99], v94 offset:672
	s_waitcnt vmcnt(0) lgkmcnt(0)
	v_fmac_f64_e32 v[92:93], v[100:101], v[96:97]
	buffer_load_dword v97, off, s[0:3], 0 offset:332
	buffer_load_dword v96, off, s[0:3], 0 offset:328
	s_waitcnt vmcnt(0)
	v_fmac_f64_e32 v[92:93], v[96:97], v[98:99]
	buffer_load_dword v99, off, s[0:3], 0 offset:340
	buffer_load_dword v98, off, s[0:3], 0 offset:336
	ds_read_b128 v[94:97], v94 offset:688
	s_waitcnt vmcnt(0) lgkmcnt(0)
	v_fmac_f64_e32 v[92:93], v[98:99], v[94:95]
	buffer_load_dword v95, off, s[0:3], 0 offset:348
	buffer_load_dword v94, off, s[0:3], 0 offset:344
	s_waitcnt vmcnt(0)
	v_fmac_f64_e32 v[92:93], v[94:95], v[96:97]
	v_add_f64 v[90:91], v[90:91], -v[92:93]
	buffer_store_dword v91, off, s[0:3], 0 offset:12
	buffer_store_dword v90, off, s[0:3], 0 offset:8
	s_and_saveexec_b64 s[4:5], vcc
	s_cbranch_execz .LBB107_271
; %bb.270:
	buffer_load_dword v90, off, s[0:3], 0
	buffer_load_dword v91, off, s[0:3], 0 offset:4
	v_mov_b32_e32 v0, 0
	buffer_store_dword v0, off, s[0:3], 0
	buffer_store_dword v0, off, s[0:3], 0 offset:4
	s_waitcnt vmcnt(2)
	ds_write_b64 v1, v[90:91]
.LBB107_271:
	s_or_b64 exec, exec, s[4:5]
	s_waitcnt lgkmcnt(0)
	; wave barrier
	s_waitcnt lgkmcnt(0)
	buffer_load_dword v0, off, s[0:3], 0
	buffer_load_dword v1, off, s[0:3], 0 offset:4
	buffer_load_dword v96, off, s[0:3], 0 offset:8
	;; [unrolled: 1-line block ×15, first 2 shown]
	v_mov_b32_e32 v94, 0
	ds_read2_b64 v[90:93], v94 offset0:45 offset1:46
	s_and_b64 vcc, exec, s[16:17]
	s_waitcnt vmcnt(12) lgkmcnt(0)
	v_fma_f64 v[90:91], v[96:97], v[90:91], 0
	s_waitcnt vmcnt(10)
	v_fmac_f64_e32 v[90:91], v[98:99], v[92:93]
	ds_read2_b64 v[96:99], v94 offset0:47 offset1:48
	s_waitcnt vmcnt(8) lgkmcnt(0)
	v_fmac_f64_e32 v[90:91], v[100:101], v[96:97]
	s_waitcnt vmcnt(6)
	v_fmac_f64_e32 v[90:91], v[102:103], v[98:99]
	ds_read2_b64 v[96:99], v94 offset0:49 offset1:50
	s_waitcnt vmcnt(4) lgkmcnt(0)
	v_fmac_f64_e32 v[90:91], v[104:105], v[96:97]
	s_waitcnt vmcnt(2)
	v_fmac_f64_e32 v[90:91], v[106:107], v[98:99]
	ds_read2_b64 v[96:99], v94 offset0:51 offset1:52
	buffer_load_dword v93, off, s[0:3], 0 offset:68
	buffer_load_dword v92, off, s[0:3], 0 offset:64
	s_waitcnt vmcnt(2) lgkmcnt(0)
	v_fmac_f64_e32 v[90:91], v[108:109], v[96:97]
	s_waitcnt vmcnt(0)
	v_fmac_f64_e32 v[90:91], v[92:93], v[98:99]
	buffer_load_dword v93, off, s[0:3], 0 offset:76
	buffer_load_dword v92, off, s[0:3], 0 offset:72
	ds_read2_b64 v[96:99], v94 offset0:53 offset1:54
	s_waitcnt vmcnt(0) lgkmcnt(0)
	v_fmac_f64_e32 v[90:91], v[92:93], v[96:97]
	buffer_load_dword v93, off, s[0:3], 0 offset:84
	buffer_load_dword v92, off, s[0:3], 0 offset:80
	s_waitcnt vmcnt(0)
	v_fmac_f64_e32 v[90:91], v[92:93], v[98:99]
	buffer_load_dword v93, off, s[0:3], 0 offset:92
	buffer_load_dword v92, off, s[0:3], 0 offset:88
	ds_read2_b64 v[96:99], v94 offset0:55 offset1:56
	s_waitcnt vmcnt(0) lgkmcnt(0)
	v_fmac_f64_e32 v[90:91], v[92:93], v[96:97]
	buffer_load_dword v93, off, s[0:3], 0 offset:100
	buffer_load_dword v92, off, s[0:3], 0 offset:96
	;; [unrolled: 9-line block ×17, first 2 shown]
	buffer_load_dword v97, off, s[0:3], 0 offset:348
	buffer_load_dword v96, off, s[0:3], 0 offset:344
	ds_read_b64 v[94:95], v94 offset:696
	s_waitcnt vmcnt(2)
	v_fmac_f64_e32 v[90:91], v[92:93], v[98:99]
	s_waitcnt vmcnt(0) lgkmcnt(0)
	v_fmac_f64_e32 v[90:91], v[96:97], v[94:95]
	v_add_f64 v[0:1], v[0:1], -v[90:91]
	buffer_store_dword v1, off, s[0:3], 0 offset:4
	buffer_store_dword v0, off, s[0:3], 0
	s_cbranch_vccz .LBB107_359
; %bb.272:
	v_pk_mov_b32 v[0:1], s[10:11], s[10:11] op_sel:[0,1]
	flat_load_dword v0, v[0:1] offset:168
	s_waitcnt vmcnt(0) lgkmcnt(0)
	v_add_u32_e32 v0, -1, v0
	v_cmp_ne_u32_e32 vcc, 42, v0
	s_and_saveexec_b64 s[4:5], vcc
	s_cbranch_execz .LBB107_274
; %bb.273:
	v_mov_b32_e32 v1, 0
	v_lshl_add_u32 v0, v0, 3, v1
	buffer_load_dword v1, v0, s[0:3], 0 offen offset:4
	buffer_load_dword v90, v0, s[0:3], 0 offen
	s_waitcnt vmcnt(1)
	buffer_store_dword v1, off, s[0:3], 0 offset:340
	s_waitcnt vmcnt(1)
	buffer_store_dword v90, off, s[0:3], 0 offset:336
	buffer_store_dword v93, v0, s[0:3], 0 offen offset:4
	buffer_store_dword v92, v0, s[0:3], 0 offen
.LBB107_274:
	s_or_b64 exec, exec, s[4:5]
	v_pk_mov_b32 v[0:1], s[10:11], s[10:11] op_sel:[0,1]
	flat_load_dword v0, v[0:1] offset:164
	s_waitcnt vmcnt(0) lgkmcnt(0)
	v_add_u32_e32 v0, -1, v0
	v_cmp_ne_u32_e32 vcc, 41, v0
	s_and_saveexec_b64 s[4:5], vcc
	s_cbranch_execz .LBB107_276
; %bb.275:
	v_mov_b32_e32 v1, 0
	v_lshl_add_u32 v0, v0, 3, v1
	buffer_load_dword v1, v0, s[0:3], 0 offen
	buffer_load_dword v90, v0, s[0:3], 0 offen offset:4
	buffer_load_dword v91, off, s[0:3], 0 offset:328
	buffer_load_dword v92, off, s[0:3], 0 offset:332
	s_waitcnt vmcnt(3)
	buffer_store_dword v1, off, s[0:3], 0 offset:328
	s_waitcnt vmcnt(3)
	buffer_store_dword v90, off, s[0:3], 0 offset:332
	s_waitcnt vmcnt(3)
	buffer_store_dword v91, v0, s[0:3], 0 offen
	s_waitcnt vmcnt(3)
	buffer_store_dword v92, v0, s[0:3], 0 offen offset:4
.LBB107_276:
	s_or_b64 exec, exec, s[4:5]
	v_pk_mov_b32 v[0:1], s[10:11], s[10:11] op_sel:[0,1]
	flat_load_dword v0, v[0:1] offset:160
	s_waitcnt vmcnt(0) lgkmcnt(0)
	v_add_u32_e32 v0, -1, v0
	v_cmp_ne_u32_e32 vcc, 40, v0
	s_and_saveexec_b64 s[4:5], vcc
	s_cbranch_execz .LBB107_278
; %bb.277:
	v_mov_b32_e32 v1, 0
	v_lshl_add_u32 v0, v0, 3, v1
	buffer_load_dword v1, v0, s[0:3], 0 offen
	buffer_load_dword v90, v0, s[0:3], 0 offen offset:4
	buffer_load_dword v91, off, s[0:3], 0 offset:324
	buffer_load_dword v92, off, s[0:3], 0 offset:320
	s_waitcnt vmcnt(3)
	buffer_store_dword v1, off, s[0:3], 0 offset:320
	s_waitcnt vmcnt(3)
	buffer_store_dword v90, off, s[0:3], 0 offset:324
	s_waitcnt vmcnt(3)
	buffer_store_dword v91, v0, s[0:3], 0 offen offset:4
	s_waitcnt vmcnt(3)
	buffer_store_dword v92, v0, s[0:3], 0 offen
.LBB107_278:
	s_or_b64 exec, exec, s[4:5]
	v_pk_mov_b32 v[0:1], s[10:11], s[10:11] op_sel:[0,1]
	flat_load_dword v0, v[0:1] offset:156
	s_waitcnt vmcnt(0) lgkmcnt(0)
	v_add_u32_e32 v0, -1, v0
	v_cmp_ne_u32_e32 vcc, 39, v0
	s_and_saveexec_b64 s[4:5], vcc
	s_cbranch_execz .LBB107_280
; %bb.279:
	v_mov_b32_e32 v1, 0
	v_lshl_add_u32 v0, v0, 3, v1
	buffer_load_dword v1, v0, s[0:3], 0 offen
	buffer_load_dword v90, v0, s[0:3], 0 offen offset:4
	buffer_load_dword v91, off, s[0:3], 0 offset:312
	buffer_load_dword v92, off, s[0:3], 0 offset:316
	s_waitcnt vmcnt(3)
	buffer_store_dword v1, off, s[0:3], 0 offset:312
	s_waitcnt vmcnt(3)
	buffer_store_dword v90, off, s[0:3], 0 offset:316
	s_waitcnt vmcnt(3)
	buffer_store_dword v91, v0, s[0:3], 0 offen
	s_waitcnt vmcnt(3)
	buffer_store_dword v92, v0, s[0:3], 0 offen offset:4
.LBB107_280:
	s_or_b64 exec, exec, s[4:5]
	v_pk_mov_b32 v[0:1], s[10:11], s[10:11] op_sel:[0,1]
	flat_load_dword v0, v[0:1] offset:152
	s_waitcnt vmcnt(0) lgkmcnt(0)
	v_add_u32_e32 v0, -1, v0
	v_cmp_ne_u32_e32 vcc, 38, v0
	s_and_saveexec_b64 s[4:5], vcc
	s_cbranch_execz .LBB107_282
; %bb.281:
	v_mov_b32_e32 v1, 0
	v_lshl_add_u32 v0, v0, 3, v1
	buffer_load_dword v1, v0, s[0:3], 0 offen
	buffer_load_dword v90, v0, s[0:3], 0 offen offset:4
	buffer_load_dword v91, off, s[0:3], 0 offset:308
	buffer_load_dword v92, off, s[0:3], 0 offset:304
	s_waitcnt vmcnt(3)
	buffer_store_dword v1, off, s[0:3], 0 offset:304
	s_waitcnt vmcnt(3)
	buffer_store_dword v90, off, s[0:3], 0 offset:308
	s_waitcnt vmcnt(3)
	buffer_store_dword v91, v0, s[0:3], 0 offen offset:4
	s_waitcnt vmcnt(3)
	buffer_store_dword v92, v0, s[0:3], 0 offen
.LBB107_282:
	;; [unrolled: 48-line block ×20, first 2 shown]
	s_or_b64 exec, exec, s[4:5]
	v_pk_mov_b32 v[0:1], s[10:11], s[10:11] op_sel:[0,1]
	flat_load_dword v0, v[0:1] offset:4
	s_waitcnt vmcnt(0) lgkmcnt(0)
	v_add_u32_e32 v0, -1, v0
	v_cmp_ne_u32_e32 vcc, 1, v0
	s_and_saveexec_b64 s[4:5], vcc
	s_cbranch_execz .LBB107_356
; %bb.355:
	v_mov_b32_e32 v1, 0
	v_lshl_add_u32 v0, v0, 3, v1
	buffer_load_dword v1, v0, s[0:3], 0 offen
	buffer_load_dword v90, v0, s[0:3], 0 offen offset:4
	buffer_load_dword v91, off, s[0:3], 0 offset:8
	buffer_load_dword v92, off, s[0:3], 0 offset:12
	s_waitcnt vmcnt(3)
	buffer_store_dword v1, off, s[0:3], 0 offset:8
	s_waitcnt vmcnt(3)
	buffer_store_dword v90, off, s[0:3], 0 offset:12
	s_waitcnt vmcnt(3)
	buffer_store_dword v91, v0, s[0:3], 0 offen
	s_waitcnt vmcnt(3)
	buffer_store_dword v92, v0, s[0:3], 0 offen offset:4
.LBB107_356:
	s_or_b64 exec, exec, s[4:5]
	v_pk_mov_b32 v[0:1], s[10:11], s[10:11] op_sel:[0,1]
	flat_load_dword v90, v[0:1]
	s_nop 0
	buffer_load_dword v0, off, s[0:3], 0
	buffer_load_dword v1, off, s[0:3], 0 offset:4
	s_waitcnt vmcnt(0) lgkmcnt(0)
	v_add_u32_e32 v90, -1, v90
	v_cmp_ne_u32_e32 vcc, 0, v90
	s_and_saveexec_b64 s[4:5], vcc
	s_cbranch_execz .LBB107_358
; %bb.357:
	v_mov_b32_e32 v91, 0
	v_lshl_add_u32 v90, v90, 3, v91
	buffer_load_dword v91, v90, s[0:3], 0 offen offset:4
	buffer_load_dword v92, v90, s[0:3], 0 offen
	s_waitcnt vmcnt(1)
	buffer_store_dword v91, off, s[0:3], 0 offset:4
	s_waitcnt vmcnt(1)
	buffer_store_dword v92, off, s[0:3], 0
	buffer_store_dword v1, v90, s[0:3], 0 offen offset:4
	buffer_store_dword v0, v90, s[0:3], 0 offen
	buffer_load_dword v0, off, s[0:3], 0
	s_nop 0
	buffer_load_dword v1, off, s[0:3], 0 offset:4
.LBB107_358:
	s_or_b64 exec, exec, s[4:5]
.LBB107_359:
	s_waitcnt vmcnt(0)
	global_store_dwordx2 v[88:89], v[0:1], off
	buffer_load_dword v0, off, s[0:3], 0 offset:8
	s_nop 0
	buffer_load_dword v1, off, s[0:3], 0 offset:12
	buffer_load_dword v88, off, s[0:3], 0 offset:16
	;; [unrolled: 1-line block ×15, first 2 shown]
	s_waitcnt vmcnt(14)
	global_store_dwordx2 v[86:87], v[0:1], off
	s_waitcnt vmcnt(13)
	global_store_dwordx2 v[2:3], v[88:89], off
	;; [unrolled: 2-line block ×8, first 2 shown]
	buffer_load_dword v0, off, s[0:3], 0 offset:72
	buffer_load_dword v1, off, s[0:3], 0 offset:76
	s_waitcnt vmcnt(0)
	global_store_dwordx2 v[14:15], v[0:1], off
	buffer_load_dword v0, off, s[0:3], 0 offset:80
	s_nop 0
	buffer_load_dword v1, off, s[0:3], 0 offset:84
	s_waitcnt vmcnt(0)
	global_store_dwordx2 v[16:17], v[0:1], off
	buffer_load_dword v0, off, s[0:3], 0 offset:88
	s_nop 0
	;; [unrolled: 5-line block ×34, first 2 shown]
	buffer_load_dword v1, off, s[0:3], 0 offset:348
	s_waitcnt vmcnt(0)
	global_store_dwordx2 v[70:71], v[0:1], off
	s_endpgm
	.section	.rodata,"a",@progbits
	.p2align	6, 0x0
	.amdhsa_kernel _ZN9rocsolver6v33100L18getri_kernel_smallILi44EdPKPdEEvT1_iilPiilS6_bb
		.amdhsa_group_segment_fixed_size 712
		.amdhsa_private_segment_fixed_size 368
		.amdhsa_kernarg_size 60
		.amdhsa_user_sgpr_count 8
		.amdhsa_user_sgpr_private_segment_buffer 1
		.amdhsa_user_sgpr_dispatch_ptr 0
		.amdhsa_user_sgpr_queue_ptr 0
		.amdhsa_user_sgpr_kernarg_segment_ptr 1
		.amdhsa_user_sgpr_dispatch_id 0
		.amdhsa_user_sgpr_flat_scratch_init 1
		.amdhsa_user_sgpr_kernarg_preload_length 0
		.amdhsa_user_sgpr_kernarg_preload_offset 0
		.amdhsa_user_sgpr_private_segment_size 0
		.amdhsa_uses_dynamic_stack 0
		.amdhsa_system_sgpr_private_segment_wavefront_offset 1
		.amdhsa_system_sgpr_workgroup_id_x 1
		.amdhsa_system_sgpr_workgroup_id_y 0
		.amdhsa_system_sgpr_workgroup_id_z 0
		.amdhsa_system_sgpr_workgroup_info 0
		.amdhsa_system_vgpr_workitem_id 0
		.amdhsa_next_free_vgpr 126
		.amdhsa_next_free_sgpr 22
		.amdhsa_accum_offset 128
		.amdhsa_reserve_vcc 1
		.amdhsa_reserve_flat_scratch 1
		.amdhsa_float_round_mode_32 0
		.amdhsa_float_round_mode_16_64 0
		.amdhsa_float_denorm_mode_32 3
		.amdhsa_float_denorm_mode_16_64 3
		.amdhsa_dx10_clamp 1
		.amdhsa_ieee_mode 1
		.amdhsa_fp16_overflow 0
		.amdhsa_tg_split 0
		.amdhsa_exception_fp_ieee_invalid_op 0
		.amdhsa_exception_fp_denorm_src 0
		.amdhsa_exception_fp_ieee_div_zero 0
		.amdhsa_exception_fp_ieee_overflow 0
		.amdhsa_exception_fp_ieee_underflow 0
		.amdhsa_exception_fp_ieee_inexact 0
		.amdhsa_exception_int_div_zero 0
	.end_amdhsa_kernel
	.section	.text._ZN9rocsolver6v33100L18getri_kernel_smallILi44EdPKPdEEvT1_iilPiilS6_bb,"axG",@progbits,_ZN9rocsolver6v33100L18getri_kernel_smallILi44EdPKPdEEvT1_iilPiilS6_bb,comdat
.Lfunc_end107:
	.size	_ZN9rocsolver6v33100L18getri_kernel_smallILi44EdPKPdEEvT1_iilPiilS6_bb, .Lfunc_end107-_ZN9rocsolver6v33100L18getri_kernel_smallILi44EdPKPdEEvT1_iilPiilS6_bb
                                        ; -- End function
	.section	.AMDGPU.csdata,"",@progbits
; Kernel info:
; codeLenInByte = 49600
; NumSgprs: 28
; NumVgprs: 126
; NumAgprs: 0
; TotalNumVgprs: 126
; ScratchSize: 368
; MemoryBound: 1
; FloatMode: 240
; IeeeMode: 1
; LDSByteSize: 712 bytes/workgroup (compile time only)
; SGPRBlocks: 3
; VGPRBlocks: 15
; NumSGPRsForWavesPerEU: 28
; NumVGPRsForWavesPerEU: 126
; AccumOffset: 128
; Occupancy: 4
; WaveLimiterHint : 1
; COMPUTE_PGM_RSRC2:SCRATCH_EN: 1
; COMPUTE_PGM_RSRC2:USER_SGPR: 8
; COMPUTE_PGM_RSRC2:TRAP_HANDLER: 0
; COMPUTE_PGM_RSRC2:TGID_X_EN: 1
; COMPUTE_PGM_RSRC2:TGID_Y_EN: 0
; COMPUTE_PGM_RSRC2:TGID_Z_EN: 0
; COMPUTE_PGM_RSRC2:TIDIG_COMP_CNT: 0
; COMPUTE_PGM_RSRC3_GFX90A:ACCUM_OFFSET: 31
; COMPUTE_PGM_RSRC3_GFX90A:TG_SPLIT: 0
	.section	.text._ZN9rocsolver6v33100L18getri_kernel_smallILi45EdPKPdEEvT1_iilPiilS6_bb,"axG",@progbits,_ZN9rocsolver6v33100L18getri_kernel_smallILi45EdPKPdEEvT1_iilPiilS6_bb,comdat
	.globl	_ZN9rocsolver6v33100L18getri_kernel_smallILi45EdPKPdEEvT1_iilPiilS6_bb ; -- Begin function _ZN9rocsolver6v33100L18getri_kernel_smallILi45EdPKPdEEvT1_iilPiilS6_bb
	.p2align	8
	.type	_ZN9rocsolver6v33100L18getri_kernel_smallILi45EdPKPdEEvT1_iilPiilS6_bb,@function
_ZN9rocsolver6v33100L18getri_kernel_smallILi45EdPKPdEEvT1_iilPiilS6_bb: ; @_ZN9rocsolver6v33100L18getri_kernel_smallILi45EdPKPdEEvT1_iilPiilS6_bb
; %bb.0:
	s_add_u32 flat_scratch_lo, s6, s9
	s_addc_u32 flat_scratch_hi, s7, 0
	s_add_u32 s0, s0, s9
	s_addc_u32 s1, s1, 0
	v_cmp_gt_u32_e32 vcc, 45, v0
	s_and_saveexec_b64 s[6:7], vcc
	s_cbranch_execz .LBB108_188
; %bb.1:
	s_load_dword s18, s[4:5], 0x38
	s_load_dwordx2 s[6:7], s[4:5], 0x0
	s_load_dwordx4 s[12:15], s[4:5], 0x28
	s_waitcnt lgkmcnt(0)
	s_bitcmp1_b32 s18, 8
	s_cselect_b64 s[16:17], -1, 0
	s_ashr_i32 s9, s8, 31
	s_lshl_b64 s[10:11], s[8:9], 3
	s_add_u32 s6, s6, s10
	s_addc_u32 s7, s7, s11
	s_load_dwordx2 s[6:7], s[6:7], 0x0
	s_bfe_u32 s10, s18, 0x10008
	s_cmp_eq_u32 s10, 0
                                        ; implicit-def: $sgpr10_sgpr11
	s_cbranch_scc1 .LBB108_3
; %bb.2:
	s_load_dword s10, s[4:5], 0x20
	s_load_dwordx2 s[20:21], s[4:5], 0x18
	s_mul_i32 s11, s8, s13
	s_mul_hi_u32 s13, s8, s12
	s_add_i32 s13, s13, s11
	s_mul_i32 s19, s9, s12
	s_add_i32 s13, s13, s19
	s_mul_i32 s12, s8, s12
	s_waitcnt lgkmcnt(0)
	s_ashr_i32 s11, s10, 31
	s_lshl_b64 s[12:13], s[12:13], 2
	s_add_u32 s12, s20, s12
	s_addc_u32 s13, s21, s13
	s_lshl_b64 s[10:11], s[10:11], 2
	s_add_u32 s10, s12, s10
	s_addc_u32 s11, s13, s11
.LBB108_3:
	s_load_dwordx2 s[4:5], s[4:5], 0x8
	s_waitcnt lgkmcnt(0)
	s_ashr_i32 s13, s4, 31
	s_mov_b32 s12, s4
	s_lshl_b64 s[12:13], s[12:13], 3
	s_add_u32 s6, s6, s12
	s_addc_u32 s7, s7, s13
	s_add_i32 s4, s5, s5
	v_add_u32_e32 v4, s4, v0
	v_ashrrev_i32_e32 v5, 31, v4
	v_lshlrev_b64 v[2:3], 3, v[4:5]
	v_add_u32_e32 v6, s5, v4
	v_mov_b32_e32 v1, s7
	v_add_co_u32_e32 v2, vcc, s6, v2
	v_ashrrev_i32_e32 v7, 31, v6
	v_addc_co_u32_e32 v3, vcc, v1, v3, vcc
	v_lshlrev_b64 v[4:5], 3, v[6:7]
	v_add_u32_e32 v8, s5, v6
	v_add_co_u32_e32 v4, vcc, s6, v4
	v_ashrrev_i32_e32 v9, 31, v8
	v_addc_co_u32_e32 v5, vcc, v1, v5, vcc
	v_lshlrev_b64 v[6:7], 3, v[8:9]
	v_add_u32_e32 v10, s5, v8
	;; [unrolled: 5-line block ×5, first 2 shown]
	v_add_co_u32_e32 v12, vcc, s6, v12
	v_ashrrev_i32_e32 v15, 31, v14
	v_addc_co_u32_e32 v13, vcc, v1, v13, vcc
	v_lshlrev_b64 v[16:17], 3, v[14:15]
	v_add_co_u32_e32 v18, vcc, s6, v16
	v_add_u32_e32 v16, s5, v14
	v_addc_co_u32_e32 v19, vcc, v1, v17, vcc
	v_ashrrev_i32_e32 v17, 31, v16
	v_lshlrev_b64 v[14:15], 3, v[16:17]
	v_add_u32_e32 v20, s5, v16
	v_add_co_u32_e32 v14, vcc, s6, v14
	v_ashrrev_i32_e32 v21, 31, v20
	v_addc_co_u32_e32 v15, vcc, v1, v15, vcc
	v_lshlrev_b64 v[16:17], 3, v[20:21]
	v_add_u32_e32 v22, s5, v20
	v_add_co_u32_e32 v16, vcc, s6, v16
	v_ashrrev_i32_e32 v23, 31, v22
	v_addc_co_u32_e32 v17, vcc, v1, v17, vcc
	;; [unrolled: 5-line block ×26, first 2 shown]
	v_lshlrev_b64 v[68:69], 3, v[70:71]
	v_add_co_u32_e32 v68, vcc, s6, v68
	v_add_u32_e32 v70, s5, v70
	v_addc_co_u32_e32 v69, vcc, v1, v69, vcc
	v_ashrrev_i32_e32 v71, 31, v70
	v_lshlrev_b32_e32 v1, 3, v0
	v_lshlrev_b64 v[72:73], 3, v[70:71]
	v_mov_b32_e32 v71, s7
	v_add_co_u32_e32 v90, vcc, s6, v1
	s_ashr_i32 s13, s5, 31
	s_mov_b32 s12, s5
	v_addc_co_u32_e32 v91, vcc, 0, v71, vcc
	s_lshl_b64 s[12:13], s[12:13], 3
	global_load_dwordx2 v[92:93], v1, s[6:7]
	global_load_dwordx2 v[96:97], v[2:3], off
	global_load_dwordx2 v[98:99], v[4:5], off
	;; [unrolled: 1-line block ×3, first 2 shown]
	v_mov_b32_e32 v71, s13
	v_add_co_u32_e32 v88, vcc, s12, v90
	v_addc_co_u32_e32 v89, vcc, v91, v71, vcc
	global_load_dwordx2 v[94:95], v[88:89], off
	global_load_dwordx2 v[108:109], v[18:19], off
	;; [unrolled: 1-line block ×9, first 2 shown]
	v_add_u32_e32 v70, s5, v70
	v_mov_b32_e32 v74, s7
	v_add_co_u32_e32 v72, vcc, s6, v72
	v_ashrrev_i32_e32 v71, 31, v70
	v_addc_co_u32_e32 v73, vcc, v74, v73, vcc
	v_lshlrev_b64 v[74:75], 3, v[70:71]
	v_add_u32_e32 v70, s5, v70
	v_mov_b32_e32 v76, s7
	v_add_co_u32_e32 v74, vcc, s6, v74
	v_ashrrev_i32_e32 v71, 31, v70
	v_addc_co_u32_e32 v75, vcc, v76, v75, vcc
	v_lshlrev_b64 v[76:77], 3, v[70:71]
	;; [unrolled: 6-line block ×5, first 2 shown]
	v_add_u32_e32 v70, s5, v70
	v_mov_b32_e32 v84, s7
	v_add_co_u32_e32 v82, vcc, s6, v82
	v_ashrrev_i32_e32 v71, 31, v70
	s_waitcnt vmcnt(12)
	buffer_store_dword v93, off, s[0:3], 0 offset:4
	buffer_store_dword v92, off, s[0:3], 0
	s_waitcnt vmcnt(10)
	buffer_store_dword v95, off, s[0:3], 0 offset:12
	buffer_store_dword v94, off, s[0:3], 0 offset:8
	v_addc_co_u32_e32 v83, vcc, v84, v83, vcc
	v_lshlrev_b64 v[84:85], 3, v[70:71]
	v_add_u32_e32 v70, s5, v70
	global_load_dwordx2 v[92:93], v[24:25], off
	global_load_dwordx2 v[94:95], v[26:27], off
	v_mov_b32_e32 v86, s7
	v_add_co_u32_e32 v84, vcc, s6, v84
	v_ashrrev_i32_e32 v71, 31, v70
	v_addc_co_u32_e32 v85, vcc, v86, v85, vcc
	v_lshlrev_b64 v[86:87], 3, v[70:71]
	v_add_u32_e32 v70, s5, v70
	v_mov_b32_e32 v118, s7
	v_add_co_u32_e32 v86, vcc, s6, v86
	v_ashrrev_i32_e32 v71, 31, v70
	v_addc_co_u32_e32 v87, vcc, v118, v87, vcc
	v_lshlrev_b64 v[70:71], 3, v[70:71]
	buffer_store_dword v97, off, s[0:3], 0 offset:20
	buffer_store_dword v96, off, s[0:3], 0 offset:16
	global_load_dwordx2 v[96:97], v[28:29], off
	v_add_co_u32_e32 v70, vcc, s6, v70
	v_addc_co_u32_e32 v71, vcc, v118, v71, vcc
	global_load_dwordx2 v[118:119], v[30:31], off
	global_load_dwordx2 v[120:121], v[34:35], off
	;; [unrolled: 1-line block ×3, first 2 shown]
	s_bitcmp0_b32 s18, 0
	buffer_store_dword v99, off, s[0:3], 0 offset:28
	buffer_store_dword v98, off, s[0:3], 0 offset:24
	global_load_dwordx2 v[98:99], v[32:33], off
	s_mov_b64 s[6:7], -1
	s_waitcnt vmcnt(20)
	buffer_store_dword v103, off, s[0:3], 0 offset:44
	buffer_store_dword v102, off, s[0:3], 0 offset:40
	global_load_dwordx2 v[102:103], v[40:41], off
	s_nop 0
	buffer_store_dword v101, off, s[0:3], 0 offset:36
	buffer_store_dword v100, off, s[0:3], 0 offset:32
	global_load_dwordx2 v[100:101], v[36:37], off
	s_waitcnt vmcnt(25)
	buffer_store_dword v105, off, s[0:3], 0 offset:52
	buffer_store_dword v104, off, s[0:3], 0 offset:48
	global_load_dwordx2 v[104:105], v[42:43], off
	s_waitcnt vmcnt(27)
	buffer_store_dword v107, off, s[0:3], 0 offset:60
	buffer_store_dword v106, off, s[0:3], 0 offset:56
	global_load_dwordx2 v[106:107], v[44:45], off
	s_nop 0
	buffer_store_dword v109, off, s[0:3], 0 offset:68
	buffer_store_dword v108, off, s[0:3], 0 offset:64
	global_load_dwordx2 v[108:109], v[46:47], off
	s_waitcnt vmcnt(32)
	buffer_store_dword v110, off, s[0:3], 0 offset:72
	buffer_store_dword v111, off, s[0:3], 0 offset:76
	global_load_dwordx2 v[110:111], v[48:49], off
	s_nop 0
	buffer_store_dword v112, off, s[0:3], 0 offset:80
	buffer_store_dword v113, off, s[0:3], 0 offset:84
	global_load_dwordx2 v[112:113], v[50:51], off
	s_waitcnt vmcnt(37)
	buffer_store_dword v114, off, s[0:3], 0 offset:88
	buffer_store_dword v115, off, s[0:3], 0 offset:92
	global_load_dwordx2 v[114:115], v[52:53], off
	s_waitcnt vmcnt(39)
	;; [unrolled: 4-line block ×3, first 2 shown]
	buffer_store_dword v92, off, s[0:3], 0 offset:104
	buffer_store_dword v93, off, s[0:3], 0 offset:108
	s_waitcnt vmcnt(38)
	buffer_store_dword v95, off, s[0:3], 0 offset:116
	buffer_store_dword v94, off, s[0:3], 0 offset:112
	s_waitcnt vmcnt(37)
	;; [unrolled: 3-line block ×4, first 2 shown]
	buffer_store_dword v98, off, s[0:3], 0 offset:136
	buffer_store_dword v99, off, s[0:3], 0 offset:140
	;; [unrolled: 1-line block ×4, first 2 shown]
	s_waitcnt vmcnt(33)
	buffer_store_dword v101, off, s[0:3], 0 offset:156
	buffer_store_dword v100, off, s[0:3], 0 offset:152
	;; [unrolled: 1-line block ×5, first 2 shown]
	global_load_dwordx2 v[92:93], v[56:57], off
	global_load_dwordx2 v[94:95], v[58:59], off
	;; [unrolled: 1-line block ×8, first 2 shown]
	s_nop 0
	buffer_store_dword v103, off, s[0:3], 0 offset:172
	global_load_dwordx2 v[102:103], v[66:67], off
	s_waitcnt vmcnt(45)
	buffer_store_dword v104, off, s[0:3], 0 offset:176
	buffer_store_dword v105, off, s[0:3], 0 offset:180
	global_load_dwordx2 v[104:105], v[68:69], off
	s_waitcnt vmcnt(45)
	buffer_store_dword v106, off, s[0:3], 0 offset:184
	;; [unrolled: 4-line block ×8, first 2 shown]
	buffer_store_dword v93, off, s[0:3], 0 offset:236
	s_waitcnt vmcnt(31)
	buffer_store_dword v94, off, s[0:3], 0 offset:240
	buffer_store_dword v95, off, s[0:3], 0 offset:244
	s_waitcnt vmcnt(32)
	buffer_store_dword v97, off, s[0:3], 0 offset:252
	;; [unrolled: 3-line block ×9, first 2 shown]
	buffer_store_dword v110, off, s[0:3], 0 offset:304
	buffer_store_dword v118, off, s[0:3], 0 offset:312
	buffer_store_dword v119, off, s[0:3], 0 offset:316
	s_waitcnt vmcnt(28)
	buffer_store_dword v112, off, s[0:3], 0 offset:320
	buffer_store_dword v113, off, s[0:3], 0 offset:324
	buffer_store_dword v120, off, s[0:3], 0 offset:328
	buffer_store_dword v121, off, s[0:3], 0 offset:332
	s_waitcnt vmcnt(29)
	buffer_store_dword v114, off, s[0:3], 0 offset:336
	;; [unrolled: 5-line block ×3, first 2 shown]
	buffer_store_dword v116, off, s[0:3], 0 offset:352
	s_cbranch_scc1 .LBB108_186
; %bb.4:
	v_cmp_eq_u32_e64 s[4:5], 0, v0
	s_and_saveexec_b64 s[6:7], s[4:5]
	s_cbranch_execz .LBB108_6
; %bb.5:
	v_mov_b32_e32 v92, 0
	ds_write_b32 v92, v92 offset:360
.LBB108_6:
	s_or_b64 exec, exec, s[6:7]
	v_mov_b32_e32 v92, 0
	v_lshl_add_u32 v92, v0, 3, v92
	s_waitcnt lgkmcnt(0)
	; wave barrier
	s_waitcnt lgkmcnt(0)
	buffer_load_dword v94, v92, s[0:3], 0 offen
	buffer_load_dword v95, v92, s[0:3], 0 offen offset:4
	s_waitcnt vmcnt(0)
	v_cmp_eq_f64_e32 vcc, 0, v[94:95]
	s_and_saveexec_b64 s[12:13], vcc
	s_cbranch_execz .LBB108_10
; %bb.7:
	v_mov_b32_e32 v93, 0
	ds_read_b32 v95, v93 offset:360
	v_add_u32_e32 v94, 1, v0
	s_waitcnt lgkmcnt(0)
	v_readfirstlane_b32 s6, v95
	s_cmp_eq_u32 s6, 0
	s_cselect_b64 s[18:19], -1, 0
	v_cmp_gt_i32_e32 vcc, s6, v94
	s_or_b64 s[18:19], s[18:19], vcc
	s_and_b64 exec, exec, s[18:19]
	s_cbranch_execz .LBB108_10
; %bb.8:
	s_mov_b64 s[18:19], 0
	v_mov_b32_e32 v95, s6
.LBB108_9:                              ; =>This Inner Loop Header: Depth=1
	ds_cmpst_rtn_b32 v95, v93, v95, v94 offset:360
	s_waitcnt lgkmcnt(0)
	v_cmp_ne_u32_e32 vcc, 0, v95
	v_cmp_le_i32_e64 s[6:7], v95, v94
	s_and_b64 s[6:7], vcc, s[6:7]
	s_and_b64 s[6:7], exec, s[6:7]
	s_or_b64 s[18:19], s[6:7], s[18:19]
	s_andn2_b64 exec, exec, s[18:19]
	s_cbranch_execnz .LBB108_9
.LBB108_10:
	s_or_b64 exec, exec, s[12:13]
	v_mov_b32_e32 v94, 0
	s_waitcnt lgkmcnt(0)
	; wave barrier
	ds_read_b32 v93, v94 offset:360
	s_and_saveexec_b64 s[6:7], s[4:5]
	s_cbranch_execz .LBB108_12
; %bb.11:
	s_lshl_b64 s[12:13], s[8:9], 2
	s_add_u32 s12, s14, s12
	s_addc_u32 s13, s15, s13
	s_waitcnt lgkmcnt(0)
	global_store_dword v94, v93, s[12:13]
.LBB108_12:
	s_or_b64 exec, exec, s[6:7]
	s_waitcnt lgkmcnt(0)
	v_cmp_ne_u32_e32 vcc, 0, v93
	s_mov_b64 s[6:7], 0
	s_cbranch_vccnz .LBB108_186
; %bb.13:
	buffer_load_dword v94, v92, s[0:3], 0 offen
	buffer_load_dword v95, v92, s[0:3], 0 offen offset:4
	s_waitcnt vmcnt(0)
	v_div_scale_f64 v[96:97], s[6:7], v[94:95], v[94:95], 1.0
	v_rcp_f64_e32 v[98:99], v[96:97]
	v_div_scale_f64 v[100:101], vcc, 1.0, v[94:95], 1.0
	v_fma_f64 v[102:103], -v[96:97], v[98:99], 1.0
	v_fmac_f64_e32 v[98:99], v[98:99], v[102:103]
	v_fma_f64 v[102:103], -v[96:97], v[98:99], 1.0
	v_fmac_f64_e32 v[98:99], v[98:99], v[102:103]
	v_mul_f64 v[102:103], v[100:101], v[98:99]
	v_fma_f64 v[96:97], -v[96:97], v[102:103], v[100:101]
	v_div_fmas_f64 v[96:97], v[96:97], v[98:99], v[102:103]
	v_div_fixup_f64 v[96:97], v[96:97], v[94:95], 1.0
	buffer_store_dword v97, v92, s[0:3], 0 offen offset:4
	buffer_store_dword v96, v92, s[0:3], 0 offen
	buffer_load_dword v99, off, s[0:3], 0 offset:12
	buffer_load_dword v98, off, s[0:3], 0 offset:8
	v_add_u32_e32 v94, 0x170, v1
	v_xor_b32_e32 v97, 0x80000000, v97
	s_waitcnt vmcnt(0)
	ds_write2_b64 v1, v[96:97], v[98:99] offset1:46
	s_waitcnt lgkmcnt(0)
	; wave barrier
	s_waitcnt lgkmcnt(0)
	s_and_saveexec_b64 s[6:7], s[4:5]
	s_cbranch_execz .LBB108_15
; %bb.14:
	buffer_load_dword v96, v92, s[0:3], 0 offen
	buffer_load_dword v97, v92, s[0:3], 0 offen offset:4
	v_mov_b32_e32 v93, 0
	ds_read_b64 v[98:99], v94
	ds_read_b64 v[100:101], v93 offset:8
	s_waitcnt vmcnt(0) lgkmcnt(1)
	v_fma_f64 v[96:97], v[96:97], v[98:99], 0
	s_waitcnt lgkmcnt(0)
	v_mul_f64 v[96:97], v[96:97], v[100:101]
	buffer_store_dword v96, off, s[0:3], 0 offset:8
	buffer_store_dword v97, off, s[0:3], 0 offset:12
.LBB108_15:
	s_or_b64 exec, exec, s[6:7]
	s_waitcnt lgkmcnt(0)
	; wave barrier
	buffer_load_dword v96, off, s[0:3], 0 offset:16
	buffer_load_dword v97, off, s[0:3], 0 offset:20
	v_cmp_gt_u32_e32 vcc, 2, v0
	s_waitcnt vmcnt(0)
	ds_write_b64 v94, v[96:97]
	s_waitcnt lgkmcnt(0)
	; wave barrier
	s_waitcnt lgkmcnt(0)
	s_and_saveexec_b64 s[6:7], vcc
	s_cbranch_execz .LBB108_17
; %bb.16:
	buffer_load_dword v93, v92, s[0:3], 0 offen offset:4
	buffer_load_dword v100, off, s[0:3], 0 offset:8
	s_nop 0
	buffer_load_dword v92, v92, s[0:3], 0 offen
	s_nop 0
	buffer_load_dword v101, off, s[0:3], 0 offset:12
	ds_read_b64 v[102:103], v94
	v_mov_b32_e32 v95, 0
	ds_read2_b64 v[96:99], v95 offset0:2 offset1:47
	s_waitcnt vmcnt(1) lgkmcnt(1)
	v_fma_f64 v[92:93], v[92:93], v[102:103], 0
	s_waitcnt vmcnt(0) lgkmcnt(0)
	v_fma_f64 v[98:99], v[100:101], v[98:99], v[92:93]
	v_cndmask_b32_e64 v93, v93, v99, s[4:5]
	v_cndmask_b32_e64 v92, v92, v98, s[4:5]
	v_mul_f64 v[92:93], v[92:93], v[96:97]
	buffer_store_dword v93, off, s[0:3], 0 offset:20
	buffer_store_dword v92, off, s[0:3], 0 offset:16
.LBB108_17:
	s_or_b64 exec, exec, s[6:7]
	s_waitcnt lgkmcnt(0)
	; wave barrier
	buffer_load_dword v92, off, s[0:3], 0 offset:24
	buffer_load_dword v93, off, s[0:3], 0 offset:28
	v_cmp_gt_u32_e32 vcc, 3, v0
	v_add_u32_e32 v95, -1, v0
	s_waitcnt vmcnt(0)
	ds_write_b64 v94, v[92:93]
	s_waitcnt lgkmcnt(0)
	; wave barrier
	s_waitcnt lgkmcnt(0)
	s_and_saveexec_b64 s[4:5], vcc
	s_cbranch_execz .LBB108_21
; %bb.18:
	v_add_u32_e32 v96, -1, v0
	v_add_u32_e32 v97, 0x170, v1
	v_add_u32_e32 v98, 0, v1
	s_mov_b64 s[6:7], 0
	v_pk_mov_b32 v[92:93], 0, 0
.LBB108_19:                             ; =>This Inner Loop Header: Depth=1
	buffer_load_dword v100, v98, s[0:3], 0 offen
	buffer_load_dword v101, v98, s[0:3], 0 offen offset:4
	ds_read_b64 v[102:103], v97
	v_add_u32_e32 v96, 1, v96
	v_cmp_lt_u32_e32 vcc, 1, v96
	v_add_u32_e32 v97, 8, v97
	v_add_u32_e32 v98, 8, v98
	s_or_b64 s[6:7], vcc, s[6:7]
	s_waitcnt vmcnt(0) lgkmcnt(0)
	v_fmac_f64_e32 v[92:93], v[100:101], v[102:103]
	s_andn2_b64 exec, exec, s[6:7]
	s_cbranch_execnz .LBB108_19
; %bb.20:
	s_or_b64 exec, exec, s[6:7]
	v_mov_b32_e32 v96, 0
	ds_read_b64 v[96:97], v96 offset:24
	s_waitcnt lgkmcnt(0)
	v_mul_f64 v[92:93], v[92:93], v[96:97]
	buffer_store_dword v93, off, s[0:3], 0 offset:28
	buffer_store_dword v92, off, s[0:3], 0 offset:24
.LBB108_21:
	s_or_b64 exec, exec, s[4:5]
	s_waitcnt lgkmcnt(0)
	; wave barrier
	buffer_load_dword v92, off, s[0:3], 0 offset:32
	buffer_load_dword v93, off, s[0:3], 0 offset:36
	v_cmp_gt_u32_e32 vcc, 4, v0
	s_waitcnt vmcnt(0)
	ds_write_b64 v94, v[92:93]
	s_waitcnt lgkmcnt(0)
	; wave barrier
	s_waitcnt lgkmcnt(0)
	s_and_saveexec_b64 s[4:5], vcc
	s_cbranch_execz .LBB108_25
; %bb.22:
	v_add_u32_e32 v96, -1, v0
	v_add_u32_e32 v97, 0x170, v1
	v_add_u32_e32 v98, 0, v1
	s_mov_b64 s[6:7], 0
	v_pk_mov_b32 v[92:93], 0, 0
.LBB108_23:                             ; =>This Inner Loop Header: Depth=1
	buffer_load_dword v100, v98, s[0:3], 0 offen
	buffer_load_dword v101, v98, s[0:3], 0 offen offset:4
	ds_read_b64 v[102:103], v97
	v_add_u32_e32 v96, 1, v96
	v_cmp_lt_u32_e32 vcc, 2, v96
	v_add_u32_e32 v97, 8, v97
	v_add_u32_e32 v98, 8, v98
	s_or_b64 s[6:7], vcc, s[6:7]
	s_waitcnt vmcnt(0) lgkmcnt(0)
	v_fmac_f64_e32 v[92:93], v[100:101], v[102:103]
	s_andn2_b64 exec, exec, s[6:7]
	s_cbranch_execnz .LBB108_23
; %bb.24:
	s_or_b64 exec, exec, s[6:7]
	v_mov_b32_e32 v96, 0
	ds_read_b64 v[96:97], v96 offset:32
	s_waitcnt lgkmcnt(0)
	v_mul_f64 v[92:93], v[92:93], v[96:97]
	buffer_store_dword v93, off, s[0:3], 0 offset:36
	buffer_store_dword v92, off, s[0:3], 0 offset:32
.LBB108_25:
	s_or_b64 exec, exec, s[4:5]
	s_waitcnt lgkmcnt(0)
	; wave barrier
	buffer_load_dword v92, off, s[0:3], 0 offset:40
	buffer_load_dword v93, off, s[0:3], 0 offset:44
	v_cmp_gt_u32_e32 vcc, 5, v0
	;; [unrolled: 41-line block ×21, first 2 shown]
	s_waitcnt vmcnt(0)
	ds_write_b64 v94, v[92:93]
	s_waitcnt lgkmcnt(0)
	; wave barrier
	s_waitcnt lgkmcnt(0)
	s_and_saveexec_b64 s[4:5], vcc
	s_cbranch_execz .LBB108_105
; %bb.102:
	v_add_u32_e32 v96, -1, v0
	v_add_u32_e32 v97, 0x170, v1
	v_add_u32_e32 v98, 0, v1
	s_mov_b64 s[6:7], 0
	v_pk_mov_b32 v[92:93], 0, 0
.LBB108_103:                            ; =>This Inner Loop Header: Depth=1
	buffer_load_dword v100, v98, s[0:3], 0 offen
	buffer_load_dword v101, v98, s[0:3], 0 offen offset:4
	ds_read_b64 v[102:103], v97
	v_add_u32_e32 v96, 1, v96
	v_cmp_lt_u32_e32 vcc, 22, v96
	v_add_u32_e32 v97, 8, v97
	v_add_u32_e32 v98, 8, v98
	s_or_b64 s[6:7], vcc, s[6:7]
	s_waitcnt vmcnt(0) lgkmcnt(0)
	v_fmac_f64_e32 v[92:93], v[100:101], v[102:103]
	s_andn2_b64 exec, exec, s[6:7]
	s_cbranch_execnz .LBB108_103
; %bb.104:
	s_or_b64 exec, exec, s[6:7]
	v_mov_b32_e32 v96, 0
	ds_read_b64 v[96:97], v96 offset:192
	s_waitcnt lgkmcnt(0)
	v_mul_f64 v[92:93], v[92:93], v[96:97]
	buffer_store_dword v93, off, s[0:3], 0 offset:196
	buffer_store_dword v92, off, s[0:3], 0 offset:192
.LBB108_105:
	s_or_b64 exec, exec, s[4:5]
	s_waitcnt lgkmcnt(0)
	; wave barrier
	buffer_load_dword v92, off, s[0:3], 0 offset:200
	buffer_load_dword v93, off, s[0:3], 0 offset:204
	v_cmp_gt_u32_e32 vcc, 25, v0
	s_waitcnt vmcnt(0)
	ds_write_b64 v94, v[92:93]
	s_waitcnt lgkmcnt(0)
	; wave barrier
	s_waitcnt lgkmcnt(0)
	s_and_saveexec_b64 s[4:5], vcc
	s_cbranch_execz .LBB108_109
; %bb.106:
	v_add_u32_e32 v96, -1, v0
	v_add_u32_e32 v97, 0x170, v1
	v_add_u32_e32 v98, 0, v1
	s_mov_b64 s[6:7], 0
	v_pk_mov_b32 v[92:93], 0, 0
.LBB108_107:                            ; =>This Inner Loop Header: Depth=1
	buffer_load_dword v100, v98, s[0:3], 0 offen
	buffer_load_dword v101, v98, s[0:3], 0 offen offset:4
	ds_read_b64 v[102:103], v97
	v_add_u32_e32 v96, 1, v96
	v_cmp_lt_u32_e32 vcc, 23, v96
	v_add_u32_e32 v97, 8, v97
	v_add_u32_e32 v98, 8, v98
	s_or_b64 s[6:7], vcc, s[6:7]
	s_waitcnt vmcnt(0) lgkmcnt(0)
	v_fmac_f64_e32 v[92:93], v[100:101], v[102:103]
	s_andn2_b64 exec, exec, s[6:7]
	s_cbranch_execnz .LBB108_107
; %bb.108:
	s_or_b64 exec, exec, s[6:7]
	v_mov_b32_e32 v96, 0
	ds_read_b64 v[96:97], v96 offset:200
	s_waitcnt lgkmcnt(0)
	v_mul_f64 v[92:93], v[92:93], v[96:97]
	buffer_store_dword v93, off, s[0:3], 0 offset:204
	buffer_store_dword v92, off, s[0:3], 0 offset:200
.LBB108_109:
	s_or_b64 exec, exec, s[4:5]
	s_waitcnt lgkmcnt(0)
	; wave barrier
	buffer_load_dword v92, off, s[0:3], 0 offset:208
	buffer_load_dword v93, off, s[0:3], 0 offset:212
	v_cmp_gt_u32_e32 vcc, 26, v0
	;; [unrolled: 41-line block ×19, first 2 shown]
	s_waitcnt vmcnt(0)
	ds_write_b64 v94, v[92:93]
	s_waitcnt lgkmcnt(0)
	; wave barrier
	s_waitcnt lgkmcnt(0)
	s_and_saveexec_b64 s[4:5], vcc
	s_cbranch_execz .LBB108_181
; %bb.178:
	v_add_u32_e32 v96, -1, v0
	v_add_u32_e32 v97, 0x170, v1
	v_add_u32_e32 v98, 0, v1
	s_mov_b64 s[6:7], 0
	v_pk_mov_b32 v[92:93], 0, 0
.LBB108_179:                            ; =>This Inner Loop Header: Depth=1
	buffer_load_dword v100, v98, s[0:3], 0 offen
	buffer_load_dword v101, v98, s[0:3], 0 offen offset:4
	ds_read_b64 v[102:103], v97
	v_add_u32_e32 v96, 1, v96
	v_cmp_lt_u32_e32 vcc, 41, v96
	v_add_u32_e32 v97, 8, v97
	v_add_u32_e32 v98, 8, v98
	s_or_b64 s[6:7], vcc, s[6:7]
	s_waitcnt vmcnt(0) lgkmcnt(0)
	v_fmac_f64_e32 v[92:93], v[100:101], v[102:103]
	s_andn2_b64 exec, exec, s[6:7]
	s_cbranch_execnz .LBB108_179
; %bb.180:
	s_or_b64 exec, exec, s[6:7]
	v_mov_b32_e32 v96, 0
	ds_read_b64 v[96:97], v96 offset:344
	s_waitcnt lgkmcnt(0)
	v_mul_f64 v[92:93], v[92:93], v[96:97]
	buffer_store_dword v93, off, s[0:3], 0 offset:348
	buffer_store_dword v92, off, s[0:3], 0 offset:344
.LBB108_181:
	s_or_b64 exec, exec, s[4:5]
	s_waitcnt lgkmcnt(0)
	; wave barrier
	buffer_load_dword v92, off, s[0:3], 0 offset:352
	buffer_load_dword v93, off, s[0:3], 0 offset:356
	v_cmp_ne_u32_e32 vcc, 44, v0
	s_waitcnt vmcnt(0)
	ds_write_b64 v94, v[92:93]
	s_waitcnt lgkmcnt(0)
	; wave barrier
	s_waitcnt lgkmcnt(0)
	s_and_saveexec_b64 s[4:5], vcc
	s_cbranch_execz .LBB108_185
; %bb.182:
	v_add_u32_e32 v94, 0x170, v1
	v_add_u32_e32 v1, 0, v1
	s_mov_b64 s[6:7], 0
	v_pk_mov_b32 v[92:93], 0, 0
.LBB108_183:                            ; =>This Inner Loop Header: Depth=1
	buffer_load_dword v96, v1, s[0:3], 0 offen
	buffer_load_dword v97, v1, s[0:3], 0 offen offset:4
	ds_read_b64 v[98:99], v94
	v_add_u32_e32 v95, 1, v95
	v_cmp_lt_u32_e32 vcc, 42, v95
	v_add_u32_e32 v94, 8, v94
	v_add_u32_e32 v1, 8, v1
	s_or_b64 s[6:7], vcc, s[6:7]
	s_waitcnt vmcnt(0) lgkmcnt(0)
	v_fmac_f64_e32 v[92:93], v[96:97], v[98:99]
	s_andn2_b64 exec, exec, s[6:7]
	s_cbranch_execnz .LBB108_183
; %bb.184:
	s_or_b64 exec, exec, s[6:7]
	v_mov_b32_e32 v1, 0
	ds_read_b64 v[94:95], v1 offset:352
	s_waitcnt lgkmcnt(0)
	v_mul_f64 v[92:93], v[92:93], v[94:95]
	buffer_store_dword v93, off, s[0:3], 0 offset:356
	buffer_store_dword v92, off, s[0:3], 0 offset:352
.LBB108_185:
	s_or_b64 exec, exec, s[4:5]
	s_mov_b64 s[6:7], -1
	s_waitcnt lgkmcnt(0)
	; wave barrier
.LBB108_186:
	s_and_b64 vcc, exec, s[6:7]
	s_cbranch_vccz .LBB108_188
; %bb.187:
	s_lshl_b64 s[4:5], s[8:9], 2
	s_add_u32 s4, s14, s4
	s_addc_u32 s5, s15, s5
	v_mov_b32_e32 v1, 0
	global_load_dword v1, v1, s[4:5]
	s_waitcnt vmcnt(0)
	v_cmp_ne_u32_e32 vcc, 0, v1
	s_cbranch_vccz .LBB108_189
.LBB108_188:
	s_endpgm
.LBB108_189:
	v_mov_b32_e32 v1, 0x170
	v_lshl_add_u32 v1, v0, 3, v1
	v_cmp_eq_u32_e32 vcc, 44, v0
	s_and_saveexec_b64 s[4:5], vcc
	s_cbranch_execz .LBB108_191
; %bb.190:
	buffer_load_dword v92, off, s[0:3], 0 offset:344
	buffer_load_dword v93, off, s[0:3], 0 offset:348
	v_mov_b32_e32 v94, 0
	buffer_store_dword v94, off, s[0:3], 0 offset:344
	buffer_store_dword v94, off, s[0:3], 0 offset:348
	s_waitcnt vmcnt(2)
	ds_write_b64 v1, v[92:93]
.LBB108_191:
	s_or_b64 exec, exec, s[4:5]
	s_waitcnt lgkmcnt(0)
	; wave barrier
	s_waitcnt lgkmcnt(0)
	buffer_load_dword v94, off, s[0:3], 0 offset:352
	buffer_load_dword v95, off, s[0:3], 0 offset:356
	;; [unrolled: 1-line block ×4, first 2 shown]
	v_mov_b32_e32 v92, 0
	ds_read_b64 v[98:99], v92 offset:720
	v_cmp_lt_u32_e32 vcc, 42, v0
	s_waitcnt vmcnt(2) lgkmcnt(0)
	v_fma_f64 v[94:95], v[94:95], v[98:99], 0
	s_waitcnt vmcnt(0)
	v_add_f64 v[94:95], v[96:97], -v[94:95]
	buffer_store_dword v94, off, s[0:3], 0 offset:344
	buffer_store_dword v95, off, s[0:3], 0 offset:348
	s_and_saveexec_b64 s[4:5], vcc
	s_cbranch_execz .LBB108_193
; %bb.192:
	buffer_load_dword v94, off, s[0:3], 0 offset:336
	buffer_load_dword v95, off, s[0:3], 0 offset:340
	s_waitcnt vmcnt(0)
	ds_write_b64 v1, v[94:95]
	buffer_store_dword v92, off, s[0:3], 0 offset:336
	buffer_store_dword v92, off, s[0:3], 0 offset:340
.LBB108_193:
	s_or_b64 exec, exec, s[4:5]
	s_waitcnt lgkmcnt(0)
	; wave barrier
	s_waitcnt lgkmcnt(0)
	buffer_load_dword v96, off, s[0:3], 0 offset:344
	buffer_load_dword v97, off, s[0:3], 0 offset:348
	;; [unrolled: 1-line block ×6, first 2 shown]
	ds_read2_b64 v[92:95], v92 offset0:89 offset1:90
	v_cmp_lt_u32_e32 vcc, 41, v0
	s_waitcnt vmcnt(4) lgkmcnt(0)
	v_fma_f64 v[92:93], v[96:97], v[92:93], 0
	s_waitcnt vmcnt(2)
	v_fmac_f64_e32 v[92:93], v[98:99], v[94:95]
	s_waitcnt vmcnt(0)
	v_add_f64 v[92:93], v[100:101], -v[92:93]
	buffer_store_dword v92, off, s[0:3], 0 offset:336
	buffer_store_dword v93, off, s[0:3], 0 offset:340
	s_and_saveexec_b64 s[4:5], vcc
	s_cbranch_execz .LBB108_195
; %bb.194:
	buffer_load_dword v92, off, s[0:3], 0 offset:328
	buffer_load_dword v93, off, s[0:3], 0 offset:332
	v_mov_b32_e32 v94, 0
	buffer_store_dword v94, off, s[0:3], 0 offset:328
	buffer_store_dword v94, off, s[0:3], 0 offset:332
	s_waitcnt vmcnt(2)
	ds_write_b64 v1, v[92:93]
.LBB108_195:
	s_or_b64 exec, exec, s[4:5]
	s_waitcnt lgkmcnt(0)
	; wave barrier
	s_waitcnt lgkmcnt(0)
	buffer_load_dword v98, off, s[0:3], 0 offset:336
	buffer_load_dword v99, off, s[0:3], 0 offset:340
	;; [unrolled: 1-line block ×8, first 2 shown]
	v_mov_b32_e32 v92, 0
	ds_read_b128 v[94:97], v92 offset:704
	ds_read_b64 v[106:107], v92 offset:720
	v_cmp_lt_u32_e32 vcc, 40, v0
	s_waitcnt vmcnt(6) lgkmcnt(1)
	v_fma_f64 v[94:95], v[98:99], v[94:95], 0
	s_waitcnt vmcnt(4)
	v_fmac_f64_e32 v[94:95], v[100:101], v[96:97]
	s_waitcnt vmcnt(2) lgkmcnt(0)
	v_fmac_f64_e32 v[94:95], v[102:103], v[106:107]
	s_waitcnt vmcnt(0)
	v_add_f64 v[94:95], v[104:105], -v[94:95]
	buffer_store_dword v94, off, s[0:3], 0 offset:328
	buffer_store_dword v95, off, s[0:3], 0 offset:332
	s_and_saveexec_b64 s[4:5], vcc
	s_cbranch_execz .LBB108_197
; %bb.196:
	buffer_load_dword v94, off, s[0:3], 0 offset:320
	buffer_load_dword v95, off, s[0:3], 0 offset:324
	s_waitcnt vmcnt(0)
	ds_write_b64 v1, v[94:95]
	buffer_store_dword v92, off, s[0:3], 0 offset:320
	buffer_store_dword v92, off, s[0:3], 0 offset:324
.LBB108_197:
	s_or_b64 exec, exec, s[4:5]
	s_waitcnt lgkmcnt(0)
	; wave barrier
	s_waitcnt lgkmcnt(0)
	buffer_load_dword v102, off, s[0:3], 0 offset:328
	buffer_load_dword v103, off, s[0:3], 0 offset:332
	;; [unrolled: 1-line block ×10, first 2 shown]
	ds_read2_b64 v[94:97], v92 offset0:87 offset1:88
	ds_read2_b64 v[98:101], v92 offset0:89 offset1:90
	v_cmp_lt_u32_e32 vcc, 39, v0
	s_waitcnt vmcnt(8) lgkmcnt(1)
	v_fma_f64 v[92:93], v[102:103], v[94:95], 0
	s_waitcnt vmcnt(6)
	v_fmac_f64_e32 v[92:93], v[104:105], v[96:97]
	s_waitcnt vmcnt(4) lgkmcnt(0)
	v_fmac_f64_e32 v[92:93], v[106:107], v[98:99]
	s_waitcnt vmcnt(2)
	v_fmac_f64_e32 v[92:93], v[108:109], v[100:101]
	s_waitcnt vmcnt(0)
	v_add_f64 v[92:93], v[110:111], -v[92:93]
	buffer_store_dword v92, off, s[0:3], 0 offset:320
	buffer_store_dword v93, off, s[0:3], 0 offset:324
	s_and_saveexec_b64 s[4:5], vcc
	s_cbranch_execz .LBB108_199
; %bb.198:
	buffer_load_dword v92, off, s[0:3], 0 offset:312
	buffer_load_dword v93, off, s[0:3], 0 offset:316
	v_mov_b32_e32 v94, 0
	buffer_store_dword v94, off, s[0:3], 0 offset:312
	buffer_store_dword v94, off, s[0:3], 0 offset:316
	s_waitcnt vmcnt(2)
	ds_write_b64 v1, v[92:93]
.LBB108_199:
	s_or_b64 exec, exec, s[4:5]
	s_waitcnt lgkmcnt(0)
	; wave barrier
	s_waitcnt lgkmcnt(0)
	buffer_load_dword v102, off, s[0:3], 0 offset:320
	buffer_load_dword v103, off, s[0:3], 0 offset:324
	;; [unrolled: 1-line block ×12, first 2 shown]
	v_mov_b32_e32 v92, 0
	ds_read_b128 v[94:97], v92 offset:688
	ds_read_b128 v[98:101], v92 offset:704
	ds_read_b64 v[114:115], v92 offset:720
	v_cmp_lt_u32_e32 vcc, 38, v0
	s_waitcnt vmcnt(10) lgkmcnt(2)
	v_fma_f64 v[94:95], v[102:103], v[94:95], 0
	s_waitcnt vmcnt(8)
	v_fmac_f64_e32 v[94:95], v[104:105], v[96:97]
	s_waitcnt vmcnt(6) lgkmcnt(1)
	v_fmac_f64_e32 v[94:95], v[106:107], v[98:99]
	s_waitcnt vmcnt(4)
	v_fmac_f64_e32 v[94:95], v[108:109], v[100:101]
	s_waitcnt vmcnt(2) lgkmcnt(0)
	v_fmac_f64_e32 v[94:95], v[110:111], v[114:115]
	s_waitcnt vmcnt(0)
	v_add_f64 v[94:95], v[112:113], -v[94:95]
	buffer_store_dword v94, off, s[0:3], 0 offset:312
	buffer_store_dword v95, off, s[0:3], 0 offset:316
	s_and_saveexec_b64 s[4:5], vcc
	s_cbranch_execz .LBB108_201
; %bb.200:
	buffer_load_dword v94, off, s[0:3], 0 offset:304
	buffer_load_dword v95, off, s[0:3], 0 offset:308
	s_waitcnt vmcnt(0)
	ds_write_b64 v1, v[94:95]
	buffer_store_dword v92, off, s[0:3], 0 offset:304
	buffer_store_dword v92, off, s[0:3], 0 offset:308
.LBB108_201:
	s_or_b64 exec, exec, s[4:5]
	s_waitcnt lgkmcnt(0)
	; wave barrier
	s_waitcnt lgkmcnt(0)
	buffer_load_dword v106, off, s[0:3], 0 offset:312
	buffer_load_dword v107, off, s[0:3], 0 offset:316
	buffer_load_dword v108, off, s[0:3], 0 offset:320
	buffer_load_dword v109, off, s[0:3], 0 offset:324
	buffer_load_dword v110, off, s[0:3], 0 offset:328
	buffer_load_dword v111, off, s[0:3], 0 offset:332
	buffer_load_dword v112, off, s[0:3], 0 offset:336
	buffer_load_dword v113, off, s[0:3], 0 offset:340
	buffer_load_dword v114, off, s[0:3], 0 offset:344
	buffer_load_dword v115, off, s[0:3], 0 offset:348
	buffer_load_dword v116, off, s[0:3], 0 offset:352
	buffer_load_dword v117, off, s[0:3], 0 offset:356
	buffer_load_dword v118, off, s[0:3], 0 offset:304
	buffer_load_dword v119, off, s[0:3], 0 offset:308
	ds_read2_b64 v[94:97], v92 offset0:85 offset1:86
	ds_read2_b64 v[98:101], v92 offset0:87 offset1:88
	;; [unrolled: 1-line block ×3, first 2 shown]
	v_cmp_lt_u32_e32 vcc, 37, v0
	s_waitcnt vmcnt(12) lgkmcnt(2)
	v_fma_f64 v[92:93], v[106:107], v[94:95], 0
	s_waitcnt vmcnt(10)
	v_fmac_f64_e32 v[92:93], v[108:109], v[96:97]
	s_waitcnt vmcnt(8) lgkmcnt(1)
	v_fmac_f64_e32 v[92:93], v[110:111], v[98:99]
	s_waitcnt vmcnt(6)
	v_fmac_f64_e32 v[92:93], v[112:113], v[100:101]
	s_waitcnt vmcnt(4) lgkmcnt(0)
	v_fmac_f64_e32 v[92:93], v[114:115], v[102:103]
	s_waitcnt vmcnt(2)
	v_fmac_f64_e32 v[92:93], v[116:117], v[104:105]
	s_waitcnt vmcnt(0)
	v_add_f64 v[92:93], v[118:119], -v[92:93]
	buffer_store_dword v92, off, s[0:3], 0 offset:304
	buffer_store_dword v93, off, s[0:3], 0 offset:308
	s_and_saveexec_b64 s[4:5], vcc
	s_cbranch_execz .LBB108_203
; %bb.202:
	buffer_load_dword v92, off, s[0:3], 0 offset:296
	buffer_load_dword v93, off, s[0:3], 0 offset:300
	v_mov_b32_e32 v94, 0
	buffer_store_dword v94, off, s[0:3], 0 offset:296
	buffer_store_dword v94, off, s[0:3], 0 offset:300
	s_waitcnt vmcnt(2)
	ds_write_b64 v1, v[92:93]
.LBB108_203:
	s_or_b64 exec, exec, s[4:5]
	s_waitcnt lgkmcnt(0)
	; wave barrier
	s_waitcnt lgkmcnt(0)
	buffer_load_dword v106, off, s[0:3], 0 offset:304
	buffer_load_dword v107, off, s[0:3], 0 offset:308
	;; [unrolled: 1-line block ×16, first 2 shown]
	v_mov_b32_e32 v92, 0
	ds_read_b128 v[94:97], v92 offset:672
	ds_read_b128 v[98:101], v92 offset:688
	;; [unrolled: 1-line block ×3, first 2 shown]
	ds_read_b64 v[122:123], v92 offset:720
	v_cmp_lt_u32_e32 vcc, 36, v0
	s_waitcnt vmcnt(14) lgkmcnt(3)
	v_fma_f64 v[94:95], v[106:107], v[94:95], 0
	s_waitcnt vmcnt(12)
	v_fmac_f64_e32 v[94:95], v[108:109], v[96:97]
	s_waitcnt vmcnt(10) lgkmcnt(2)
	v_fmac_f64_e32 v[94:95], v[110:111], v[98:99]
	s_waitcnt vmcnt(8)
	v_fmac_f64_e32 v[94:95], v[112:113], v[100:101]
	s_waitcnt vmcnt(6) lgkmcnt(1)
	v_fmac_f64_e32 v[94:95], v[114:115], v[102:103]
	;; [unrolled: 4-line block ×3, first 2 shown]
	s_waitcnt vmcnt(0)
	v_add_f64 v[94:95], v[120:121], -v[94:95]
	buffer_store_dword v94, off, s[0:3], 0 offset:296
	buffer_store_dword v95, off, s[0:3], 0 offset:300
	s_and_saveexec_b64 s[4:5], vcc
	s_cbranch_execz .LBB108_205
; %bb.204:
	buffer_load_dword v94, off, s[0:3], 0 offset:288
	buffer_load_dword v95, off, s[0:3], 0 offset:292
	s_waitcnt vmcnt(0)
	ds_write_b64 v1, v[94:95]
	buffer_store_dword v92, off, s[0:3], 0 offset:288
	buffer_store_dword v92, off, s[0:3], 0 offset:292
.LBB108_205:
	s_or_b64 exec, exec, s[4:5]
	s_waitcnt lgkmcnt(0)
	; wave barrier
	s_waitcnt lgkmcnt(0)
	buffer_load_dword v110, off, s[0:3], 0 offset:296
	buffer_load_dword v111, off, s[0:3], 0 offset:300
	;; [unrolled: 1-line block ×18, first 2 shown]
	ds_read2_b64 v[94:97], v92 offset0:83 offset1:84
	ds_read2_b64 v[98:101], v92 offset0:85 offset1:86
	ds_read2_b64 v[102:105], v92 offset0:87 offset1:88
	ds_read2_b64 v[106:109], v92 offset0:89 offset1:90
	v_cmp_lt_u32_e32 vcc, 35, v0
	s_waitcnt vmcnt(16) lgkmcnt(3)
	v_fma_f64 v[92:93], v[110:111], v[94:95], 0
	s_waitcnt vmcnt(14)
	v_fmac_f64_e32 v[92:93], v[112:113], v[96:97]
	s_waitcnt vmcnt(12) lgkmcnt(2)
	v_fmac_f64_e32 v[92:93], v[114:115], v[98:99]
	s_waitcnt vmcnt(10)
	v_fmac_f64_e32 v[92:93], v[116:117], v[100:101]
	s_waitcnt vmcnt(8) lgkmcnt(1)
	v_fmac_f64_e32 v[92:93], v[118:119], v[102:103]
	;; [unrolled: 4-line block ×3, first 2 shown]
	s_waitcnt vmcnt(2)
	v_fmac_f64_e32 v[92:93], v[124:125], v[108:109]
	s_waitcnt vmcnt(0)
	v_add_f64 v[92:93], v[126:127], -v[92:93]
	buffer_store_dword v92, off, s[0:3], 0 offset:288
	buffer_store_dword v93, off, s[0:3], 0 offset:292
	s_and_saveexec_b64 s[4:5], vcc
	s_cbranch_execz .LBB108_207
; %bb.206:
	buffer_load_dword v92, off, s[0:3], 0 offset:280
	buffer_load_dword v93, off, s[0:3], 0 offset:284
	v_mov_b32_e32 v94, 0
	buffer_store_dword v94, off, s[0:3], 0 offset:280
	buffer_store_dword v94, off, s[0:3], 0 offset:284
	s_waitcnt vmcnt(2)
	ds_write_b64 v1, v[92:93]
.LBB108_207:
	s_or_b64 exec, exec, s[4:5]
	s_waitcnt lgkmcnt(0)
	; wave barrier
	s_waitcnt lgkmcnt(0)
	buffer_load_dword v110, off, s[0:3], 0 offset:280
	buffer_load_dword v111, off, s[0:3], 0 offset:284
	;; [unrolled: 1-line block ×16, first 2 shown]
	v_mov_b32_e32 v92, 0
	ds_read_b128 v[94:97], v92 offset:656
	ds_read_b128 v[98:101], v92 offset:672
	;; [unrolled: 1-line block ×4, first 2 shown]
	v_cmp_lt_u32_e32 vcc, 34, v0
	s_waitcnt vmcnt(12) lgkmcnt(3)
	v_fma_f64 v[94:95], v[112:113], v[94:95], 0
	s_waitcnt vmcnt(10)
	v_fmac_f64_e32 v[94:95], v[114:115], v[96:97]
	buffer_load_dword v97, off, s[0:3], 0 offset:348
	buffer_load_dword v96, off, s[0:3], 0 offset:344
	s_waitcnt vmcnt(10) lgkmcnt(2)
	v_fmac_f64_e32 v[94:95], v[116:117], v[98:99]
	s_waitcnt vmcnt(8)
	v_fmac_f64_e32 v[94:95], v[118:119], v[100:101]
	s_waitcnt vmcnt(6) lgkmcnt(1)
	v_fmac_f64_e32 v[94:95], v[120:121], v[102:103]
	s_waitcnt vmcnt(4)
	v_fmac_f64_e32 v[94:95], v[122:123], v[104:105]
	;; [unrolled: 4-line block ×3, first 2 shown]
	buffer_load_dword v97, off, s[0:3], 0 offset:356
	buffer_load_dword v96, off, s[0:3], 0 offset:352
	ds_read_b64 v[98:99], v92 offset:720
	s_waitcnt vmcnt(0) lgkmcnt(0)
	v_fmac_f64_e32 v[94:95], v[96:97], v[98:99]
	v_add_f64 v[94:95], v[110:111], -v[94:95]
	buffer_store_dword v94, off, s[0:3], 0 offset:280
	buffer_store_dword v95, off, s[0:3], 0 offset:284
	s_and_saveexec_b64 s[4:5], vcc
	s_cbranch_execz .LBB108_209
; %bb.208:
	buffer_load_dword v94, off, s[0:3], 0 offset:272
	buffer_load_dword v95, off, s[0:3], 0 offset:276
	s_waitcnt vmcnt(0)
	ds_write_b64 v1, v[94:95]
	buffer_store_dword v92, off, s[0:3], 0 offset:272
	buffer_store_dword v92, off, s[0:3], 0 offset:276
.LBB108_209:
	s_or_b64 exec, exec, s[4:5]
	s_waitcnt lgkmcnt(0)
	; wave barrier
	s_waitcnt lgkmcnt(0)
	buffer_load_dword v98, off, s[0:3], 0 offset:272
	buffer_load_dword v99, off, s[0:3], 0 offset:276
	;; [unrolled: 1-line block ×16, first 2 shown]
	ds_read2_b64 v[94:97], v92 offset0:81 offset1:82
	v_cmp_lt_u32_e32 vcc, 33, v0
	s_waitcnt vmcnt(12) lgkmcnt(0)
	v_fma_f64 v[100:101], v[100:101], v[94:95], 0
	s_waitcnt vmcnt(10)
	v_fmac_f64_e32 v[100:101], v[102:103], v[96:97]
	ds_read2_b64 v[94:97], v92 offset0:83 offset1:84
	s_waitcnt vmcnt(8) lgkmcnt(0)
	v_fmac_f64_e32 v[100:101], v[104:105], v[94:95]
	s_waitcnt vmcnt(6)
	v_fmac_f64_e32 v[100:101], v[106:107], v[96:97]
	ds_read2_b64 v[94:97], v92 offset0:85 offset1:86
	s_waitcnt vmcnt(4) lgkmcnt(0)
	v_fmac_f64_e32 v[100:101], v[108:109], v[94:95]
	;; [unrolled: 5-line block ×3, first 2 shown]
	buffer_load_dword v95, off, s[0:3], 0 offset:340
	buffer_load_dword v94, off, s[0:3], 0 offset:336
	s_waitcnt vmcnt(0)
	v_fmac_f64_e32 v[100:101], v[94:95], v[96:97]
	buffer_load_dword v97, off, s[0:3], 0 offset:348
	buffer_load_dword v96, off, s[0:3], 0 offset:344
	ds_read2_b64 v[92:95], v92 offset0:89 offset1:90
	s_waitcnt vmcnt(0) lgkmcnt(0)
	v_fmac_f64_e32 v[100:101], v[96:97], v[92:93]
	buffer_load_dword v93, off, s[0:3], 0 offset:356
	buffer_load_dword v92, off, s[0:3], 0 offset:352
	s_waitcnt vmcnt(0)
	v_fmac_f64_e32 v[100:101], v[92:93], v[94:95]
	v_add_f64 v[92:93], v[98:99], -v[100:101]
	buffer_store_dword v92, off, s[0:3], 0 offset:272
	buffer_store_dword v93, off, s[0:3], 0 offset:276
	s_and_saveexec_b64 s[4:5], vcc
	s_cbranch_execz .LBB108_211
; %bb.210:
	buffer_load_dword v92, off, s[0:3], 0 offset:264
	buffer_load_dword v93, off, s[0:3], 0 offset:268
	v_mov_b32_e32 v94, 0
	buffer_store_dword v94, off, s[0:3], 0 offset:264
	buffer_store_dword v94, off, s[0:3], 0 offset:268
	s_waitcnt vmcnt(2)
	ds_write_b64 v1, v[92:93]
.LBB108_211:
	s_or_b64 exec, exec, s[4:5]
	s_waitcnt lgkmcnt(0)
	; wave barrier
	s_waitcnt lgkmcnt(0)
	buffer_load_dword v110, off, s[0:3], 0 offset:264
	buffer_load_dword v111, off, s[0:3], 0 offset:268
	;; [unrolled: 1-line block ×16, first 2 shown]
	v_mov_b32_e32 v92, 0
	ds_read_b128 v[94:97], v92 offset:640
	ds_read_b128 v[98:101], v92 offset:656
	;; [unrolled: 1-line block ×4, first 2 shown]
	v_cmp_lt_u32_e32 vcc, 32, v0
	s_waitcnt vmcnt(12) lgkmcnt(3)
	v_fma_f64 v[112:113], v[112:113], v[94:95], 0
	buffer_load_dword v95, off, s[0:3], 0 offset:332
	buffer_load_dword v94, off, s[0:3], 0 offset:328
	s_waitcnt vmcnt(12)
	v_fmac_f64_e32 v[112:113], v[114:115], v[96:97]
	s_waitcnt vmcnt(10) lgkmcnt(2)
	v_fmac_f64_e32 v[112:113], v[116:117], v[98:99]
	buffer_load_dword v99, off, s[0:3], 0 offset:340
	buffer_load_dword v98, off, s[0:3], 0 offset:336
	s_waitcnt vmcnt(10)
	v_fmac_f64_e32 v[112:113], v[118:119], v[100:101]
	s_waitcnt vmcnt(8) lgkmcnt(1)
	v_fmac_f64_e32 v[112:113], v[120:121], v[102:103]
	s_waitcnt vmcnt(6)
	v_fmac_f64_e32 v[112:113], v[122:123], v[104:105]
	s_waitcnt vmcnt(4) lgkmcnt(0)
	v_fmac_f64_e32 v[112:113], v[124:125], v[106:107]
	s_waitcnt vmcnt(2)
	v_fmac_f64_e32 v[112:113], v[94:95], v[108:109]
	ds_read_b128 v[94:97], v92 offset:704
	s_waitcnt vmcnt(0) lgkmcnt(0)
	v_fmac_f64_e32 v[112:113], v[98:99], v[94:95]
	buffer_load_dword v95, off, s[0:3], 0 offset:348
	buffer_load_dword v94, off, s[0:3], 0 offset:344
	s_waitcnt vmcnt(0)
	v_fmac_f64_e32 v[112:113], v[94:95], v[96:97]
	buffer_load_dword v95, off, s[0:3], 0 offset:356
	buffer_load_dword v94, off, s[0:3], 0 offset:352
	ds_read_b64 v[96:97], v92 offset:720
	s_waitcnt vmcnt(0) lgkmcnt(0)
	v_fmac_f64_e32 v[112:113], v[94:95], v[96:97]
	v_add_f64 v[94:95], v[110:111], -v[112:113]
	buffer_store_dword v95, off, s[0:3], 0 offset:268
	buffer_store_dword v94, off, s[0:3], 0 offset:264
	s_and_saveexec_b64 s[4:5], vcc
	s_cbranch_execz .LBB108_213
; %bb.212:
	buffer_load_dword v94, off, s[0:3], 0 offset:256
	buffer_load_dword v95, off, s[0:3], 0 offset:260
	s_waitcnt vmcnt(0)
	ds_write_b64 v1, v[94:95]
	buffer_store_dword v92, off, s[0:3], 0 offset:256
	buffer_store_dword v92, off, s[0:3], 0 offset:260
.LBB108_213:
	s_or_b64 exec, exec, s[4:5]
	s_waitcnt lgkmcnt(0)
	; wave barrier
	s_waitcnt lgkmcnt(0)
	buffer_load_dword v98, off, s[0:3], 0 offset:256
	buffer_load_dword v99, off, s[0:3], 0 offset:260
	;; [unrolled: 1-line block ×16, first 2 shown]
	ds_read2_b64 v[94:97], v92 offset0:79 offset1:80
	v_cmp_lt_u32_e32 vcc, 31, v0
	s_waitcnt vmcnt(12) lgkmcnt(0)
	v_fma_f64 v[100:101], v[100:101], v[94:95], 0
	s_waitcnt vmcnt(10)
	v_fmac_f64_e32 v[100:101], v[102:103], v[96:97]
	ds_read2_b64 v[94:97], v92 offset0:81 offset1:82
	s_waitcnt vmcnt(8) lgkmcnt(0)
	v_fmac_f64_e32 v[100:101], v[104:105], v[94:95]
	s_waitcnt vmcnt(6)
	v_fmac_f64_e32 v[100:101], v[106:107], v[96:97]
	ds_read2_b64 v[94:97], v92 offset0:83 offset1:84
	s_waitcnt vmcnt(4) lgkmcnt(0)
	v_fmac_f64_e32 v[100:101], v[108:109], v[94:95]
	;; [unrolled: 5-line block ×3, first 2 shown]
	buffer_load_dword v95, off, s[0:3], 0 offset:324
	buffer_load_dword v94, off, s[0:3], 0 offset:320
	;; [unrolled: 1-line block ×4, first 2 shown]
	s_waitcnt vmcnt(2)
	v_fmac_f64_e32 v[100:101], v[94:95], v[96:97]
	ds_read2_b64 v[94:97], v92 offset0:87 offset1:88
	s_waitcnt vmcnt(0) lgkmcnt(0)
	v_fmac_f64_e32 v[100:101], v[102:103], v[94:95]
	buffer_load_dword v95, off, s[0:3], 0 offset:340
	buffer_load_dword v94, off, s[0:3], 0 offset:336
	s_waitcnt vmcnt(0)
	v_fmac_f64_e32 v[100:101], v[94:95], v[96:97]
	buffer_load_dword v97, off, s[0:3], 0 offset:348
	buffer_load_dword v96, off, s[0:3], 0 offset:344
	ds_read2_b64 v[92:95], v92 offset0:89 offset1:90
	s_waitcnt vmcnt(0) lgkmcnt(0)
	v_fmac_f64_e32 v[100:101], v[96:97], v[92:93]
	buffer_load_dword v93, off, s[0:3], 0 offset:356
	buffer_load_dword v92, off, s[0:3], 0 offset:352
	s_waitcnt vmcnt(0)
	v_fmac_f64_e32 v[100:101], v[92:93], v[94:95]
	v_add_f64 v[92:93], v[98:99], -v[100:101]
	buffer_store_dword v93, off, s[0:3], 0 offset:260
	buffer_store_dword v92, off, s[0:3], 0 offset:256
	s_and_saveexec_b64 s[4:5], vcc
	s_cbranch_execz .LBB108_215
; %bb.214:
	buffer_load_dword v92, off, s[0:3], 0 offset:248
	buffer_load_dword v93, off, s[0:3], 0 offset:252
	v_mov_b32_e32 v94, 0
	buffer_store_dword v94, off, s[0:3], 0 offset:248
	buffer_store_dword v94, off, s[0:3], 0 offset:252
	s_waitcnt vmcnt(2)
	ds_write_b64 v1, v[92:93]
.LBB108_215:
	s_or_b64 exec, exec, s[4:5]
	s_waitcnt lgkmcnt(0)
	; wave barrier
	s_waitcnt lgkmcnt(0)
	buffer_load_dword v110, off, s[0:3], 0 offset:248
	buffer_load_dword v111, off, s[0:3], 0 offset:252
	;; [unrolled: 1-line block ×16, first 2 shown]
	v_mov_b32_e32 v92, 0
	ds_read_b128 v[94:97], v92 offset:624
	ds_read_b128 v[98:101], v92 offset:640
	ds_read_b128 v[102:105], v92 offset:656
	ds_read_b128 v[106:109], v92 offset:672
	v_cmp_lt_u32_e32 vcc, 30, v0
	s_waitcnt vmcnt(12) lgkmcnt(3)
	v_fma_f64 v[112:113], v[112:113], v[94:95], 0
	buffer_load_dword v95, off, s[0:3], 0 offset:316
	buffer_load_dword v94, off, s[0:3], 0 offset:312
	s_waitcnt vmcnt(12)
	v_fmac_f64_e32 v[112:113], v[114:115], v[96:97]
	s_waitcnt vmcnt(10) lgkmcnt(2)
	v_fmac_f64_e32 v[112:113], v[116:117], v[98:99]
	buffer_load_dword v99, off, s[0:3], 0 offset:324
	buffer_load_dword v98, off, s[0:3], 0 offset:320
	s_waitcnt vmcnt(10)
	v_fmac_f64_e32 v[112:113], v[118:119], v[100:101]
	s_waitcnt vmcnt(8) lgkmcnt(1)
	v_fmac_f64_e32 v[112:113], v[120:121], v[102:103]
	s_waitcnt vmcnt(6)
	v_fmac_f64_e32 v[112:113], v[122:123], v[104:105]
	s_waitcnt vmcnt(4) lgkmcnt(0)
	v_fmac_f64_e32 v[112:113], v[124:125], v[106:107]
	s_waitcnt vmcnt(2)
	v_fmac_f64_e32 v[112:113], v[94:95], v[108:109]
	ds_read_b128 v[94:97], v92 offset:688
	s_waitcnt vmcnt(0) lgkmcnt(0)
	v_fmac_f64_e32 v[112:113], v[98:99], v[94:95]
	buffer_load_dword v95, off, s[0:3], 0 offset:332
	buffer_load_dword v94, off, s[0:3], 0 offset:328
	buffer_load_dword v99, off, s[0:3], 0 offset:340
	buffer_load_dword v98, off, s[0:3], 0 offset:336
	s_waitcnt vmcnt(2)
	v_fmac_f64_e32 v[112:113], v[94:95], v[96:97]
	ds_read_b128 v[94:97], v92 offset:704
	s_waitcnt vmcnt(0) lgkmcnt(0)
	v_fmac_f64_e32 v[112:113], v[98:99], v[94:95]
	buffer_load_dword v95, off, s[0:3], 0 offset:348
	buffer_load_dword v94, off, s[0:3], 0 offset:344
	s_waitcnt vmcnt(0)
	v_fmac_f64_e32 v[112:113], v[94:95], v[96:97]
	buffer_load_dword v95, off, s[0:3], 0 offset:356
	buffer_load_dword v94, off, s[0:3], 0 offset:352
	ds_read_b64 v[96:97], v92 offset:720
	s_waitcnt vmcnt(0) lgkmcnt(0)
	v_fmac_f64_e32 v[112:113], v[94:95], v[96:97]
	v_add_f64 v[94:95], v[110:111], -v[112:113]
	buffer_store_dword v95, off, s[0:3], 0 offset:252
	buffer_store_dword v94, off, s[0:3], 0 offset:248
	s_and_saveexec_b64 s[4:5], vcc
	s_cbranch_execz .LBB108_217
; %bb.216:
	buffer_load_dword v94, off, s[0:3], 0 offset:240
	buffer_load_dword v95, off, s[0:3], 0 offset:244
	s_waitcnt vmcnt(0)
	ds_write_b64 v1, v[94:95]
	buffer_store_dword v92, off, s[0:3], 0 offset:240
	buffer_store_dword v92, off, s[0:3], 0 offset:244
.LBB108_217:
	s_or_b64 exec, exec, s[4:5]
	s_waitcnt lgkmcnt(0)
	; wave barrier
	s_waitcnt lgkmcnt(0)
	buffer_load_dword v98, off, s[0:3], 0 offset:240
	buffer_load_dword v99, off, s[0:3], 0 offset:244
	;; [unrolled: 1-line block ×16, first 2 shown]
	ds_read2_b64 v[94:97], v92 offset0:77 offset1:78
	v_cmp_lt_u32_e32 vcc, 29, v0
	s_waitcnt vmcnt(12) lgkmcnt(0)
	v_fma_f64 v[100:101], v[100:101], v[94:95], 0
	s_waitcnt vmcnt(10)
	v_fmac_f64_e32 v[100:101], v[102:103], v[96:97]
	ds_read2_b64 v[94:97], v92 offset0:79 offset1:80
	s_waitcnt vmcnt(8) lgkmcnt(0)
	v_fmac_f64_e32 v[100:101], v[104:105], v[94:95]
	s_waitcnt vmcnt(6)
	v_fmac_f64_e32 v[100:101], v[106:107], v[96:97]
	ds_read2_b64 v[94:97], v92 offset0:81 offset1:82
	s_waitcnt vmcnt(4) lgkmcnt(0)
	v_fmac_f64_e32 v[100:101], v[108:109], v[94:95]
	;; [unrolled: 5-line block ×3, first 2 shown]
	buffer_load_dword v95, off, s[0:3], 0 offset:308
	buffer_load_dword v94, off, s[0:3], 0 offset:304
	;; [unrolled: 1-line block ×4, first 2 shown]
	s_waitcnt vmcnt(2)
	v_fmac_f64_e32 v[100:101], v[94:95], v[96:97]
	ds_read2_b64 v[94:97], v92 offset0:85 offset1:86
	s_waitcnt vmcnt(0) lgkmcnt(0)
	v_fmac_f64_e32 v[100:101], v[102:103], v[94:95]
	buffer_load_dword v95, off, s[0:3], 0 offset:324
	buffer_load_dword v94, off, s[0:3], 0 offset:320
	;; [unrolled: 1-line block ×4, first 2 shown]
	s_waitcnt vmcnt(2)
	v_fmac_f64_e32 v[100:101], v[94:95], v[96:97]
	ds_read2_b64 v[94:97], v92 offset0:87 offset1:88
	s_waitcnt vmcnt(0) lgkmcnt(0)
	v_fmac_f64_e32 v[100:101], v[102:103], v[94:95]
	buffer_load_dword v95, off, s[0:3], 0 offset:340
	buffer_load_dword v94, off, s[0:3], 0 offset:336
	s_waitcnt vmcnt(0)
	v_fmac_f64_e32 v[100:101], v[94:95], v[96:97]
	buffer_load_dword v97, off, s[0:3], 0 offset:348
	buffer_load_dword v96, off, s[0:3], 0 offset:344
	ds_read2_b64 v[92:95], v92 offset0:89 offset1:90
	s_waitcnt vmcnt(0) lgkmcnt(0)
	v_fmac_f64_e32 v[100:101], v[96:97], v[92:93]
	buffer_load_dword v93, off, s[0:3], 0 offset:356
	buffer_load_dword v92, off, s[0:3], 0 offset:352
	s_waitcnt vmcnt(0)
	v_fmac_f64_e32 v[100:101], v[92:93], v[94:95]
	v_add_f64 v[92:93], v[98:99], -v[100:101]
	buffer_store_dword v93, off, s[0:3], 0 offset:244
	buffer_store_dword v92, off, s[0:3], 0 offset:240
	s_and_saveexec_b64 s[4:5], vcc
	s_cbranch_execz .LBB108_219
; %bb.218:
	buffer_load_dword v92, off, s[0:3], 0 offset:232
	buffer_load_dword v93, off, s[0:3], 0 offset:236
	v_mov_b32_e32 v94, 0
	buffer_store_dword v94, off, s[0:3], 0 offset:232
	buffer_store_dword v94, off, s[0:3], 0 offset:236
	s_waitcnt vmcnt(2)
	ds_write_b64 v1, v[92:93]
.LBB108_219:
	s_or_b64 exec, exec, s[4:5]
	s_waitcnt lgkmcnt(0)
	; wave barrier
	s_waitcnt lgkmcnt(0)
	buffer_load_dword v110, off, s[0:3], 0 offset:232
	buffer_load_dword v111, off, s[0:3], 0 offset:236
	buffer_load_dword v112, off, s[0:3], 0 offset:240
	buffer_load_dword v113, off, s[0:3], 0 offset:244
	buffer_load_dword v114, off, s[0:3], 0 offset:248
	buffer_load_dword v115, off, s[0:3], 0 offset:252
	buffer_load_dword v116, off, s[0:3], 0 offset:256
	buffer_load_dword v117, off, s[0:3], 0 offset:260
	buffer_load_dword v118, off, s[0:3], 0 offset:264
	buffer_load_dword v119, off, s[0:3], 0 offset:268
	buffer_load_dword v120, off, s[0:3], 0 offset:272
	buffer_load_dword v121, off, s[0:3], 0 offset:276
	buffer_load_dword v122, off, s[0:3], 0 offset:280
	buffer_load_dword v123, off, s[0:3], 0 offset:284
	buffer_load_dword v124, off, s[0:3], 0 offset:288
	buffer_load_dword v125, off, s[0:3], 0 offset:292
	v_mov_b32_e32 v92, 0
	ds_read_b128 v[94:97], v92 offset:608
	ds_read_b128 v[98:101], v92 offset:624
	;; [unrolled: 1-line block ×4, first 2 shown]
	v_cmp_lt_u32_e32 vcc, 28, v0
	s_waitcnt vmcnt(12) lgkmcnt(3)
	v_fma_f64 v[112:113], v[112:113], v[94:95], 0
	buffer_load_dword v95, off, s[0:3], 0 offset:300
	buffer_load_dword v94, off, s[0:3], 0 offset:296
	s_waitcnt vmcnt(12)
	v_fmac_f64_e32 v[112:113], v[114:115], v[96:97]
	s_waitcnt vmcnt(10) lgkmcnt(2)
	v_fmac_f64_e32 v[112:113], v[116:117], v[98:99]
	buffer_load_dword v99, off, s[0:3], 0 offset:308
	buffer_load_dword v98, off, s[0:3], 0 offset:304
	s_waitcnt vmcnt(10)
	v_fmac_f64_e32 v[112:113], v[118:119], v[100:101]
	s_waitcnt vmcnt(8) lgkmcnt(1)
	v_fmac_f64_e32 v[112:113], v[120:121], v[102:103]
	s_waitcnt vmcnt(6)
	v_fmac_f64_e32 v[112:113], v[122:123], v[104:105]
	s_waitcnt vmcnt(4) lgkmcnt(0)
	v_fmac_f64_e32 v[112:113], v[124:125], v[106:107]
	s_waitcnt vmcnt(2)
	v_fmac_f64_e32 v[112:113], v[94:95], v[108:109]
	ds_read_b128 v[94:97], v92 offset:672
	s_waitcnt vmcnt(0) lgkmcnt(0)
	v_fmac_f64_e32 v[112:113], v[98:99], v[94:95]
	buffer_load_dword v95, off, s[0:3], 0 offset:316
	buffer_load_dword v94, off, s[0:3], 0 offset:312
	;; [unrolled: 1-line block ×4, first 2 shown]
	s_waitcnt vmcnt(2)
	v_fmac_f64_e32 v[112:113], v[94:95], v[96:97]
	ds_read_b128 v[94:97], v92 offset:688
	s_waitcnt vmcnt(0) lgkmcnt(0)
	v_fmac_f64_e32 v[112:113], v[98:99], v[94:95]
	buffer_load_dword v95, off, s[0:3], 0 offset:332
	buffer_load_dword v94, off, s[0:3], 0 offset:328
	;; [unrolled: 1-line block ×4, first 2 shown]
	s_waitcnt vmcnt(2)
	v_fmac_f64_e32 v[112:113], v[94:95], v[96:97]
	ds_read_b128 v[94:97], v92 offset:704
	s_waitcnt vmcnt(0) lgkmcnt(0)
	v_fmac_f64_e32 v[112:113], v[98:99], v[94:95]
	buffer_load_dword v95, off, s[0:3], 0 offset:348
	buffer_load_dword v94, off, s[0:3], 0 offset:344
	s_waitcnt vmcnt(0)
	v_fmac_f64_e32 v[112:113], v[94:95], v[96:97]
	buffer_load_dword v95, off, s[0:3], 0 offset:356
	buffer_load_dword v94, off, s[0:3], 0 offset:352
	ds_read_b64 v[96:97], v92 offset:720
	s_waitcnt vmcnt(0) lgkmcnt(0)
	v_fmac_f64_e32 v[112:113], v[94:95], v[96:97]
	v_add_f64 v[94:95], v[110:111], -v[112:113]
	buffer_store_dword v95, off, s[0:3], 0 offset:236
	buffer_store_dword v94, off, s[0:3], 0 offset:232
	s_and_saveexec_b64 s[4:5], vcc
	s_cbranch_execz .LBB108_221
; %bb.220:
	buffer_load_dword v94, off, s[0:3], 0 offset:224
	buffer_load_dword v95, off, s[0:3], 0 offset:228
	s_waitcnt vmcnt(0)
	ds_write_b64 v1, v[94:95]
	buffer_store_dword v92, off, s[0:3], 0 offset:224
	buffer_store_dword v92, off, s[0:3], 0 offset:228
.LBB108_221:
	s_or_b64 exec, exec, s[4:5]
	s_waitcnt lgkmcnt(0)
	; wave barrier
	s_waitcnt lgkmcnt(0)
	buffer_load_dword v98, off, s[0:3], 0 offset:224
	buffer_load_dword v99, off, s[0:3], 0 offset:228
	;; [unrolled: 1-line block ×16, first 2 shown]
	ds_read2_b64 v[94:97], v92 offset0:75 offset1:76
	v_cmp_lt_u32_e32 vcc, 27, v0
	s_waitcnt vmcnt(12) lgkmcnt(0)
	v_fma_f64 v[100:101], v[100:101], v[94:95], 0
	s_waitcnt vmcnt(10)
	v_fmac_f64_e32 v[100:101], v[102:103], v[96:97]
	ds_read2_b64 v[94:97], v92 offset0:77 offset1:78
	s_waitcnt vmcnt(8) lgkmcnt(0)
	v_fmac_f64_e32 v[100:101], v[104:105], v[94:95]
	s_waitcnt vmcnt(6)
	v_fmac_f64_e32 v[100:101], v[106:107], v[96:97]
	ds_read2_b64 v[94:97], v92 offset0:79 offset1:80
	s_waitcnt vmcnt(4) lgkmcnt(0)
	v_fmac_f64_e32 v[100:101], v[108:109], v[94:95]
	;; [unrolled: 5-line block ×3, first 2 shown]
	buffer_load_dword v95, off, s[0:3], 0 offset:292
	buffer_load_dword v94, off, s[0:3], 0 offset:288
	buffer_load_dword v103, off, s[0:3], 0 offset:300
	buffer_load_dword v102, off, s[0:3], 0 offset:296
	s_waitcnt vmcnt(2)
	v_fmac_f64_e32 v[100:101], v[94:95], v[96:97]
	ds_read2_b64 v[94:97], v92 offset0:83 offset1:84
	s_waitcnt vmcnt(0) lgkmcnt(0)
	v_fmac_f64_e32 v[100:101], v[102:103], v[94:95]
	buffer_load_dword v95, off, s[0:3], 0 offset:308
	buffer_load_dword v94, off, s[0:3], 0 offset:304
	buffer_load_dword v103, off, s[0:3], 0 offset:316
	buffer_load_dword v102, off, s[0:3], 0 offset:312
	s_waitcnt vmcnt(2)
	v_fmac_f64_e32 v[100:101], v[94:95], v[96:97]
	ds_read2_b64 v[94:97], v92 offset0:85 offset1:86
	s_waitcnt vmcnt(0) lgkmcnt(0)
	v_fmac_f64_e32 v[100:101], v[102:103], v[94:95]
	buffer_load_dword v95, off, s[0:3], 0 offset:324
	buffer_load_dword v94, off, s[0:3], 0 offset:320
	buffer_load_dword v103, off, s[0:3], 0 offset:332
	buffer_load_dword v102, off, s[0:3], 0 offset:328
	s_waitcnt vmcnt(2)
	v_fmac_f64_e32 v[100:101], v[94:95], v[96:97]
	ds_read2_b64 v[94:97], v92 offset0:87 offset1:88
	s_waitcnt vmcnt(0) lgkmcnt(0)
	v_fmac_f64_e32 v[100:101], v[102:103], v[94:95]
	buffer_load_dword v95, off, s[0:3], 0 offset:340
	buffer_load_dword v94, off, s[0:3], 0 offset:336
	s_waitcnt vmcnt(0)
	v_fmac_f64_e32 v[100:101], v[94:95], v[96:97]
	buffer_load_dword v97, off, s[0:3], 0 offset:348
	buffer_load_dword v96, off, s[0:3], 0 offset:344
	ds_read2_b64 v[92:95], v92 offset0:89 offset1:90
	s_waitcnt vmcnt(0) lgkmcnt(0)
	v_fmac_f64_e32 v[100:101], v[96:97], v[92:93]
	buffer_load_dword v93, off, s[0:3], 0 offset:356
	buffer_load_dword v92, off, s[0:3], 0 offset:352
	s_waitcnt vmcnt(0)
	v_fmac_f64_e32 v[100:101], v[92:93], v[94:95]
	v_add_f64 v[92:93], v[98:99], -v[100:101]
	buffer_store_dword v93, off, s[0:3], 0 offset:228
	buffer_store_dword v92, off, s[0:3], 0 offset:224
	s_and_saveexec_b64 s[4:5], vcc
	s_cbranch_execz .LBB108_223
; %bb.222:
	buffer_load_dword v92, off, s[0:3], 0 offset:216
	buffer_load_dword v93, off, s[0:3], 0 offset:220
	v_mov_b32_e32 v94, 0
	buffer_store_dword v94, off, s[0:3], 0 offset:216
	buffer_store_dword v94, off, s[0:3], 0 offset:220
	s_waitcnt vmcnt(2)
	ds_write_b64 v1, v[92:93]
.LBB108_223:
	s_or_b64 exec, exec, s[4:5]
	s_waitcnt lgkmcnt(0)
	; wave barrier
	s_waitcnt lgkmcnt(0)
	buffer_load_dword v92, off, s[0:3], 0 offset:216
	buffer_load_dword v93, off, s[0:3], 0 offset:220
	;; [unrolled: 1-line block ×16, first 2 shown]
	v_mov_b32_e32 v96, 0
	ds_read_b128 v[98:101], v96 offset:592
	ds_read_b128 v[102:105], v96 offset:608
	;; [unrolled: 1-line block ×4, first 2 shown]
	v_cmp_lt_u32_e32 vcc, 26, v0
	s_waitcnt vmcnt(12) lgkmcnt(3)
	v_fma_f64 v[94:95], v[94:95], v[98:99], 0
	buffer_load_dword v99, off, s[0:3], 0 offset:284
	buffer_load_dword v98, off, s[0:3], 0 offset:280
	s_waitcnt vmcnt(12)
	v_fmac_f64_e32 v[94:95], v[114:115], v[100:101]
	s_waitcnt vmcnt(10) lgkmcnt(2)
	v_fmac_f64_e32 v[94:95], v[116:117], v[102:103]
	buffer_load_dword v103, off, s[0:3], 0 offset:292
	buffer_load_dword v102, off, s[0:3], 0 offset:288
	s_waitcnt vmcnt(10)
	v_fmac_f64_e32 v[94:95], v[118:119], v[104:105]
	s_waitcnt vmcnt(8) lgkmcnt(1)
	v_fmac_f64_e32 v[94:95], v[120:121], v[106:107]
	s_waitcnt vmcnt(6)
	v_fmac_f64_e32 v[94:95], v[122:123], v[108:109]
	s_waitcnt vmcnt(4) lgkmcnt(0)
	v_fmac_f64_e32 v[94:95], v[124:125], v[110:111]
	s_waitcnt vmcnt(2)
	v_fmac_f64_e32 v[94:95], v[98:99], v[112:113]
	ds_read_b128 v[98:101], v96 offset:656
	s_waitcnt vmcnt(0) lgkmcnt(0)
	v_fmac_f64_e32 v[94:95], v[102:103], v[98:99]
	buffer_load_dword v99, off, s[0:3], 0 offset:300
	buffer_load_dword v98, off, s[0:3], 0 offset:296
	buffer_load_dword v103, off, s[0:3], 0 offset:308
	buffer_load_dword v102, off, s[0:3], 0 offset:304
	s_waitcnt vmcnt(2)
	v_fmac_f64_e32 v[94:95], v[98:99], v[100:101]
	ds_read_b128 v[98:101], v96 offset:672
	s_waitcnt vmcnt(0) lgkmcnt(0)
	v_fmac_f64_e32 v[94:95], v[102:103], v[98:99]
	buffer_load_dword v99, off, s[0:3], 0 offset:316
	buffer_load_dword v98, off, s[0:3], 0 offset:312
	buffer_load_dword v103, off, s[0:3], 0 offset:324
	buffer_load_dword v102, off, s[0:3], 0 offset:320
	;; [unrolled: 9-line block ×3, first 2 shown]
	s_waitcnt vmcnt(2)
	v_fmac_f64_e32 v[94:95], v[98:99], v[100:101]
	ds_read_b128 v[98:101], v96 offset:704
	s_waitcnt vmcnt(0) lgkmcnt(0)
	v_fmac_f64_e32 v[94:95], v[102:103], v[98:99]
	buffer_load_dword v99, off, s[0:3], 0 offset:348
	buffer_load_dword v98, off, s[0:3], 0 offset:344
	s_waitcnt vmcnt(0)
	v_fmac_f64_e32 v[94:95], v[98:99], v[100:101]
	buffer_load_dword v99, off, s[0:3], 0 offset:356
	buffer_load_dword v98, off, s[0:3], 0 offset:352
	ds_read_b64 v[100:101], v96 offset:720
	s_waitcnt vmcnt(0) lgkmcnt(0)
	v_fmac_f64_e32 v[94:95], v[98:99], v[100:101]
	v_add_f64 v[92:93], v[92:93], -v[94:95]
	buffer_store_dword v93, off, s[0:3], 0 offset:220
	buffer_store_dword v92, off, s[0:3], 0 offset:216
	s_and_saveexec_b64 s[4:5], vcc
	s_cbranch_execz .LBB108_225
; %bb.224:
	buffer_load_dword v92, off, s[0:3], 0 offset:208
	buffer_load_dword v93, off, s[0:3], 0 offset:212
	s_waitcnt vmcnt(0)
	ds_write_b64 v1, v[92:93]
	buffer_store_dword v96, off, s[0:3], 0 offset:208
	buffer_store_dword v96, off, s[0:3], 0 offset:212
.LBB108_225:
	s_or_b64 exec, exec, s[4:5]
	s_waitcnt lgkmcnt(0)
	; wave barrier
	s_waitcnt lgkmcnt(0)
	buffer_load_dword v92, off, s[0:3], 0 offset:208
	buffer_load_dword v93, off, s[0:3], 0 offset:212
	;; [unrolled: 1-line block ×16, first 2 shown]
	ds_read2_b64 v[98:101], v96 offset0:73 offset1:74
	v_cmp_lt_u32_e32 vcc, 25, v0
	s_waitcnt vmcnt(12) lgkmcnt(0)
	v_fma_f64 v[94:95], v[94:95], v[98:99], 0
	s_waitcnt vmcnt(10)
	v_fmac_f64_e32 v[94:95], v[102:103], v[100:101]
	ds_read2_b64 v[98:101], v96 offset0:75 offset1:76
	s_waitcnt vmcnt(8) lgkmcnt(0)
	v_fmac_f64_e32 v[94:95], v[104:105], v[98:99]
	s_waitcnt vmcnt(6)
	v_fmac_f64_e32 v[94:95], v[106:107], v[100:101]
	ds_read2_b64 v[98:101], v96 offset0:77 offset1:78
	s_waitcnt vmcnt(4) lgkmcnt(0)
	v_fmac_f64_e32 v[94:95], v[108:109], v[98:99]
	;; [unrolled: 5-line block ×3, first 2 shown]
	buffer_load_dword v99, off, s[0:3], 0 offset:276
	buffer_load_dword v98, off, s[0:3], 0 offset:272
	buffer_load_dword v103, off, s[0:3], 0 offset:284
	buffer_load_dword v102, off, s[0:3], 0 offset:280
	s_waitcnt vmcnt(2)
	v_fmac_f64_e32 v[94:95], v[98:99], v[100:101]
	ds_read2_b64 v[98:101], v96 offset0:81 offset1:82
	s_waitcnt vmcnt(0) lgkmcnt(0)
	v_fmac_f64_e32 v[94:95], v[102:103], v[98:99]
	buffer_load_dword v99, off, s[0:3], 0 offset:292
	buffer_load_dword v98, off, s[0:3], 0 offset:288
	buffer_load_dword v103, off, s[0:3], 0 offset:300
	buffer_load_dword v102, off, s[0:3], 0 offset:296
	s_waitcnt vmcnt(2)
	v_fmac_f64_e32 v[94:95], v[98:99], v[100:101]
	ds_read2_b64 v[98:101], v96 offset0:83 offset1:84
	s_waitcnt vmcnt(0) lgkmcnt(0)
	v_fmac_f64_e32 v[94:95], v[102:103], v[98:99]
	;; [unrolled: 9-line block ×4, first 2 shown]
	buffer_load_dword v99, off, s[0:3], 0 offset:340
	buffer_load_dword v98, off, s[0:3], 0 offset:336
	s_waitcnt vmcnt(0)
	v_fmac_f64_e32 v[94:95], v[98:99], v[100:101]
	buffer_load_dword v101, off, s[0:3], 0 offset:348
	buffer_load_dword v100, off, s[0:3], 0 offset:344
	ds_read2_b64 v[96:99], v96 offset0:89 offset1:90
	s_waitcnt vmcnt(0) lgkmcnt(0)
	v_fmac_f64_e32 v[94:95], v[100:101], v[96:97]
	buffer_load_dword v97, off, s[0:3], 0 offset:356
	buffer_load_dword v96, off, s[0:3], 0 offset:352
	s_waitcnt vmcnt(0)
	v_fmac_f64_e32 v[94:95], v[96:97], v[98:99]
	v_add_f64 v[92:93], v[92:93], -v[94:95]
	buffer_store_dword v93, off, s[0:3], 0 offset:212
	buffer_store_dword v92, off, s[0:3], 0 offset:208
	s_and_saveexec_b64 s[4:5], vcc
	s_cbranch_execz .LBB108_227
; %bb.226:
	buffer_load_dword v92, off, s[0:3], 0 offset:200
	buffer_load_dword v93, off, s[0:3], 0 offset:204
	v_mov_b32_e32 v94, 0
	buffer_store_dword v94, off, s[0:3], 0 offset:200
	buffer_store_dword v94, off, s[0:3], 0 offset:204
	s_waitcnt vmcnt(2)
	ds_write_b64 v1, v[92:93]
.LBB108_227:
	s_or_b64 exec, exec, s[4:5]
	s_waitcnt lgkmcnt(0)
	; wave barrier
	s_waitcnt lgkmcnt(0)
	buffer_load_dword v92, off, s[0:3], 0 offset:200
	buffer_load_dword v93, off, s[0:3], 0 offset:204
	;; [unrolled: 1-line block ×16, first 2 shown]
	v_mov_b32_e32 v96, 0
	ds_read_b128 v[98:101], v96 offset:576
	ds_read_b128 v[102:105], v96 offset:592
	;; [unrolled: 1-line block ×4, first 2 shown]
	v_cmp_lt_u32_e32 vcc, 24, v0
	s_waitcnt vmcnt(12) lgkmcnt(3)
	v_fma_f64 v[94:95], v[94:95], v[98:99], 0
	buffer_load_dword v99, off, s[0:3], 0 offset:268
	buffer_load_dword v98, off, s[0:3], 0 offset:264
	s_waitcnt vmcnt(12)
	v_fmac_f64_e32 v[94:95], v[114:115], v[100:101]
	s_waitcnt vmcnt(10) lgkmcnt(2)
	v_fmac_f64_e32 v[94:95], v[116:117], v[102:103]
	buffer_load_dword v103, off, s[0:3], 0 offset:276
	buffer_load_dword v102, off, s[0:3], 0 offset:272
	s_waitcnt vmcnt(10)
	v_fmac_f64_e32 v[94:95], v[118:119], v[104:105]
	s_waitcnt vmcnt(8) lgkmcnt(1)
	v_fmac_f64_e32 v[94:95], v[120:121], v[106:107]
	s_waitcnt vmcnt(6)
	v_fmac_f64_e32 v[94:95], v[122:123], v[108:109]
	s_waitcnt vmcnt(4) lgkmcnt(0)
	v_fmac_f64_e32 v[94:95], v[124:125], v[110:111]
	s_waitcnt vmcnt(2)
	v_fmac_f64_e32 v[94:95], v[98:99], v[112:113]
	ds_read_b128 v[98:101], v96 offset:640
	s_waitcnt vmcnt(0) lgkmcnt(0)
	v_fmac_f64_e32 v[94:95], v[102:103], v[98:99]
	buffer_load_dword v99, off, s[0:3], 0 offset:284
	buffer_load_dword v98, off, s[0:3], 0 offset:280
	buffer_load_dword v103, off, s[0:3], 0 offset:292
	buffer_load_dword v102, off, s[0:3], 0 offset:288
	s_waitcnt vmcnt(2)
	v_fmac_f64_e32 v[94:95], v[98:99], v[100:101]
	ds_read_b128 v[98:101], v96 offset:656
	s_waitcnt vmcnt(0) lgkmcnt(0)
	v_fmac_f64_e32 v[94:95], v[102:103], v[98:99]
	buffer_load_dword v99, off, s[0:3], 0 offset:300
	buffer_load_dword v98, off, s[0:3], 0 offset:296
	buffer_load_dword v103, off, s[0:3], 0 offset:308
	buffer_load_dword v102, off, s[0:3], 0 offset:304
	;; [unrolled: 9-line block ×4, first 2 shown]
	s_waitcnt vmcnt(2)
	v_fmac_f64_e32 v[94:95], v[98:99], v[100:101]
	ds_read_b128 v[98:101], v96 offset:704
	s_waitcnt vmcnt(0) lgkmcnt(0)
	v_fmac_f64_e32 v[94:95], v[102:103], v[98:99]
	buffer_load_dword v99, off, s[0:3], 0 offset:348
	buffer_load_dword v98, off, s[0:3], 0 offset:344
	s_waitcnt vmcnt(0)
	v_fmac_f64_e32 v[94:95], v[98:99], v[100:101]
	buffer_load_dword v99, off, s[0:3], 0 offset:356
	buffer_load_dword v98, off, s[0:3], 0 offset:352
	ds_read_b64 v[100:101], v96 offset:720
	s_waitcnt vmcnt(0) lgkmcnt(0)
	v_fmac_f64_e32 v[94:95], v[98:99], v[100:101]
	v_add_f64 v[92:93], v[92:93], -v[94:95]
	buffer_store_dword v93, off, s[0:3], 0 offset:204
	buffer_store_dword v92, off, s[0:3], 0 offset:200
	s_and_saveexec_b64 s[4:5], vcc
	s_cbranch_execz .LBB108_229
; %bb.228:
	buffer_load_dword v92, off, s[0:3], 0 offset:192
	buffer_load_dword v93, off, s[0:3], 0 offset:196
	s_waitcnt vmcnt(0)
	ds_write_b64 v1, v[92:93]
	buffer_store_dword v96, off, s[0:3], 0 offset:192
	buffer_store_dword v96, off, s[0:3], 0 offset:196
.LBB108_229:
	s_or_b64 exec, exec, s[4:5]
	s_waitcnt lgkmcnt(0)
	; wave barrier
	s_waitcnt lgkmcnt(0)
	buffer_load_dword v92, off, s[0:3], 0 offset:192
	buffer_load_dword v93, off, s[0:3], 0 offset:196
	;; [unrolled: 1-line block ×16, first 2 shown]
	ds_read2_b64 v[98:101], v96 offset0:71 offset1:72
	v_cmp_lt_u32_e32 vcc, 23, v0
	s_waitcnt vmcnt(12) lgkmcnt(0)
	v_fma_f64 v[94:95], v[94:95], v[98:99], 0
	s_waitcnt vmcnt(10)
	v_fmac_f64_e32 v[94:95], v[102:103], v[100:101]
	ds_read2_b64 v[98:101], v96 offset0:73 offset1:74
	s_waitcnt vmcnt(8) lgkmcnt(0)
	v_fmac_f64_e32 v[94:95], v[104:105], v[98:99]
	s_waitcnt vmcnt(6)
	v_fmac_f64_e32 v[94:95], v[106:107], v[100:101]
	ds_read2_b64 v[98:101], v96 offset0:75 offset1:76
	s_waitcnt vmcnt(4) lgkmcnt(0)
	v_fmac_f64_e32 v[94:95], v[108:109], v[98:99]
	;; [unrolled: 5-line block ×3, first 2 shown]
	buffer_load_dword v99, off, s[0:3], 0 offset:260
	buffer_load_dword v98, off, s[0:3], 0 offset:256
	buffer_load_dword v103, off, s[0:3], 0 offset:268
	buffer_load_dword v102, off, s[0:3], 0 offset:264
	s_waitcnt vmcnt(2)
	v_fmac_f64_e32 v[94:95], v[98:99], v[100:101]
	ds_read2_b64 v[98:101], v96 offset0:79 offset1:80
	s_waitcnt vmcnt(0) lgkmcnt(0)
	v_fmac_f64_e32 v[94:95], v[102:103], v[98:99]
	buffer_load_dword v99, off, s[0:3], 0 offset:276
	buffer_load_dword v98, off, s[0:3], 0 offset:272
	buffer_load_dword v103, off, s[0:3], 0 offset:284
	buffer_load_dword v102, off, s[0:3], 0 offset:280
	s_waitcnt vmcnt(2)
	v_fmac_f64_e32 v[94:95], v[98:99], v[100:101]
	ds_read2_b64 v[98:101], v96 offset0:81 offset1:82
	s_waitcnt vmcnt(0) lgkmcnt(0)
	v_fmac_f64_e32 v[94:95], v[102:103], v[98:99]
	;; [unrolled: 9-line block ×5, first 2 shown]
	buffer_load_dword v99, off, s[0:3], 0 offset:340
	buffer_load_dword v98, off, s[0:3], 0 offset:336
	s_waitcnt vmcnt(0)
	v_fmac_f64_e32 v[94:95], v[98:99], v[100:101]
	buffer_load_dword v101, off, s[0:3], 0 offset:348
	buffer_load_dword v100, off, s[0:3], 0 offset:344
	ds_read2_b64 v[96:99], v96 offset0:89 offset1:90
	s_waitcnt vmcnt(0) lgkmcnt(0)
	v_fmac_f64_e32 v[94:95], v[100:101], v[96:97]
	buffer_load_dword v97, off, s[0:3], 0 offset:356
	buffer_load_dword v96, off, s[0:3], 0 offset:352
	s_waitcnt vmcnt(0)
	v_fmac_f64_e32 v[94:95], v[96:97], v[98:99]
	v_add_f64 v[92:93], v[92:93], -v[94:95]
	buffer_store_dword v93, off, s[0:3], 0 offset:196
	buffer_store_dword v92, off, s[0:3], 0 offset:192
	s_and_saveexec_b64 s[4:5], vcc
	s_cbranch_execz .LBB108_231
; %bb.230:
	buffer_load_dword v92, off, s[0:3], 0 offset:184
	buffer_load_dword v93, off, s[0:3], 0 offset:188
	v_mov_b32_e32 v94, 0
	buffer_store_dword v94, off, s[0:3], 0 offset:184
	buffer_store_dword v94, off, s[0:3], 0 offset:188
	s_waitcnt vmcnt(2)
	ds_write_b64 v1, v[92:93]
.LBB108_231:
	s_or_b64 exec, exec, s[4:5]
	s_waitcnt lgkmcnt(0)
	; wave barrier
	s_waitcnt lgkmcnt(0)
	buffer_load_dword v92, off, s[0:3], 0 offset:184
	buffer_load_dword v93, off, s[0:3], 0 offset:188
	;; [unrolled: 1-line block ×16, first 2 shown]
	v_mov_b32_e32 v96, 0
	ds_read_b128 v[98:101], v96 offset:560
	ds_read_b128 v[102:105], v96 offset:576
	;; [unrolled: 1-line block ×4, first 2 shown]
	v_cmp_lt_u32_e32 vcc, 22, v0
	s_waitcnt vmcnt(12) lgkmcnt(3)
	v_fma_f64 v[94:95], v[94:95], v[98:99], 0
	buffer_load_dword v99, off, s[0:3], 0 offset:252
	buffer_load_dword v98, off, s[0:3], 0 offset:248
	s_waitcnt vmcnt(12)
	v_fmac_f64_e32 v[94:95], v[114:115], v[100:101]
	s_waitcnt vmcnt(10) lgkmcnt(2)
	v_fmac_f64_e32 v[94:95], v[116:117], v[102:103]
	buffer_load_dword v103, off, s[0:3], 0 offset:260
	buffer_load_dword v102, off, s[0:3], 0 offset:256
	s_waitcnt vmcnt(10)
	v_fmac_f64_e32 v[94:95], v[118:119], v[104:105]
	s_waitcnt vmcnt(8) lgkmcnt(1)
	v_fmac_f64_e32 v[94:95], v[120:121], v[106:107]
	s_waitcnt vmcnt(6)
	v_fmac_f64_e32 v[94:95], v[122:123], v[108:109]
	s_waitcnt vmcnt(4) lgkmcnt(0)
	v_fmac_f64_e32 v[94:95], v[124:125], v[110:111]
	s_waitcnt vmcnt(2)
	v_fmac_f64_e32 v[94:95], v[98:99], v[112:113]
	ds_read_b128 v[98:101], v96 offset:624
	s_waitcnt vmcnt(0) lgkmcnt(0)
	v_fmac_f64_e32 v[94:95], v[102:103], v[98:99]
	buffer_load_dword v99, off, s[0:3], 0 offset:268
	buffer_load_dword v98, off, s[0:3], 0 offset:264
	buffer_load_dword v103, off, s[0:3], 0 offset:276
	buffer_load_dword v102, off, s[0:3], 0 offset:272
	s_waitcnt vmcnt(2)
	v_fmac_f64_e32 v[94:95], v[98:99], v[100:101]
	ds_read_b128 v[98:101], v96 offset:640
	s_waitcnt vmcnt(0) lgkmcnt(0)
	v_fmac_f64_e32 v[94:95], v[102:103], v[98:99]
	buffer_load_dword v99, off, s[0:3], 0 offset:284
	buffer_load_dword v98, off, s[0:3], 0 offset:280
	buffer_load_dword v103, off, s[0:3], 0 offset:292
	buffer_load_dword v102, off, s[0:3], 0 offset:288
	;; [unrolled: 9-line block ×5, first 2 shown]
	s_waitcnt vmcnt(2)
	v_fmac_f64_e32 v[94:95], v[98:99], v[100:101]
	ds_read_b128 v[98:101], v96 offset:704
	s_waitcnt vmcnt(0) lgkmcnt(0)
	v_fmac_f64_e32 v[94:95], v[102:103], v[98:99]
	buffer_load_dword v99, off, s[0:3], 0 offset:348
	buffer_load_dword v98, off, s[0:3], 0 offset:344
	s_waitcnt vmcnt(0)
	v_fmac_f64_e32 v[94:95], v[98:99], v[100:101]
	buffer_load_dword v99, off, s[0:3], 0 offset:356
	buffer_load_dword v98, off, s[0:3], 0 offset:352
	ds_read_b64 v[100:101], v96 offset:720
	s_waitcnt vmcnt(0) lgkmcnt(0)
	v_fmac_f64_e32 v[94:95], v[98:99], v[100:101]
	v_add_f64 v[92:93], v[92:93], -v[94:95]
	buffer_store_dword v93, off, s[0:3], 0 offset:188
	buffer_store_dword v92, off, s[0:3], 0 offset:184
	s_and_saveexec_b64 s[4:5], vcc
	s_cbranch_execz .LBB108_233
; %bb.232:
	buffer_load_dword v92, off, s[0:3], 0 offset:176
	buffer_load_dword v93, off, s[0:3], 0 offset:180
	s_waitcnt vmcnt(0)
	ds_write_b64 v1, v[92:93]
	buffer_store_dword v96, off, s[0:3], 0 offset:176
	buffer_store_dword v96, off, s[0:3], 0 offset:180
.LBB108_233:
	s_or_b64 exec, exec, s[4:5]
	s_waitcnt lgkmcnt(0)
	; wave barrier
	s_waitcnt lgkmcnt(0)
	buffer_load_dword v92, off, s[0:3], 0 offset:176
	buffer_load_dword v93, off, s[0:3], 0 offset:180
	;; [unrolled: 1-line block ×16, first 2 shown]
	ds_read2_b64 v[98:101], v96 offset0:69 offset1:70
	v_cmp_lt_u32_e32 vcc, 21, v0
	s_waitcnt vmcnt(12) lgkmcnt(0)
	v_fma_f64 v[94:95], v[94:95], v[98:99], 0
	s_waitcnt vmcnt(10)
	v_fmac_f64_e32 v[94:95], v[102:103], v[100:101]
	ds_read2_b64 v[98:101], v96 offset0:71 offset1:72
	s_waitcnt vmcnt(8) lgkmcnt(0)
	v_fmac_f64_e32 v[94:95], v[104:105], v[98:99]
	s_waitcnt vmcnt(6)
	v_fmac_f64_e32 v[94:95], v[106:107], v[100:101]
	ds_read2_b64 v[98:101], v96 offset0:73 offset1:74
	s_waitcnt vmcnt(4) lgkmcnt(0)
	v_fmac_f64_e32 v[94:95], v[108:109], v[98:99]
	;; [unrolled: 5-line block ×3, first 2 shown]
	buffer_load_dword v99, off, s[0:3], 0 offset:244
	buffer_load_dword v98, off, s[0:3], 0 offset:240
	buffer_load_dword v103, off, s[0:3], 0 offset:252
	buffer_load_dword v102, off, s[0:3], 0 offset:248
	s_waitcnt vmcnt(2)
	v_fmac_f64_e32 v[94:95], v[98:99], v[100:101]
	ds_read2_b64 v[98:101], v96 offset0:77 offset1:78
	s_waitcnt vmcnt(0) lgkmcnt(0)
	v_fmac_f64_e32 v[94:95], v[102:103], v[98:99]
	buffer_load_dword v99, off, s[0:3], 0 offset:260
	buffer_load_dword v98, off, s[0:3], 0 offset:256
	buffer_load_dword v103, off, s[0:3], 0 offset:268
	buffer_load_dword v102, off, s[0:3], 0 offset:264
	s_waitcnt vmcnt(2)
	v_fmac_f64_e32 v[94:95], v[98:99], v[100:101]
	ds_read2_b64 v[98:101], v96 offset0:79 offset1:80
	s_waitcnt vmcnt(0) lgkmcnt(0)
	v_fmac_f64_e32 v[94:95], v[102:103], v[98:99]
	;; [unrolled: 9-line block ×6, first 2 shown]
	buffer_load_dword v99, off, s[0:3], 0 offset:340
	buffer_load_dword v98, off, s[0:3], 0 offset:336
	s_waitcnt vmcnt(0)
	v_fmac_f64_e32 v[94:95], v[98:99], v[100:101]
	buffer_load_dword v101, off, s[0:3], 0 offset:348
	buffer_load_dword v100, off, s[0:3], 0 offset:344
	ds_read2_b64 v[96:99], v96 offset0:89 offset1:90
	s_waitcnt vmcnt(0) lgkmcnt(0)
	v_fmac_f64_e32 v[94:95], v[100:101], v[96:97]
	buffer_load_dword v97, off, s[0:3], 0 offset:356
	buffer_load_dword v96, off, s[0:3], 0 offset:352
	s_waitcnt vmcnt(0)
	v_fmac_f64_e32 v[94:95], v[96:97], v[98:99]
	v_add_f64 v[92:93], v[92:93], -v[94:95]
	buffer_store_dword v93, off, s[0:3], 0 offset:180
	buffer_store_dword v92, off, s[0:3], 0 offset:176
	s_and_saveexec_b64 s[4:5], vcc
	s_cbranch_execz .LBB108_235
; %bb.234:
	buffer_load_dword v92, off, s[0:3], 0 offset:168
	buffer_load_dword v93, off, s[0:3], 0 offset:172
	v_mov_b32_e32 v94, 0
	buffer_store_dword v94, off, s[0:3], 0 offset:168
	buffer_store_dword v94, off, s[0:3], 0 offset:172
	s_waitcnt vmcnt(2)
	ds_write_b64 v1, v[92:93]
.LBB108_235:
	s_or_b64 exec, exec, s[4:5]
	s_waitcnt lgkmcnt(0)
	; wave barrier
	s_waitcnt lgkmcnt(0)
	buffer_load_dword v92, off, s[0:3], 0 offset:168
	buffer_load_dword v93, off, s[0:3], 0 offset:172
	;; [unrolled: 1-line block ×16, first 2 shown]
	v_mov_b32_e32 v96, 0
	ds_read_b128 v[98:101], v96 offset:544
	ds_read_b128 v[102:105], v96 offset:560
	ds_read_b128 v[106:109], v96 offset:576
	ds_read_b128 v[110:113], v96 offset:592
	v_cmp_lt_u32_e32 vcc, 20, v0
	s_waitcnt vmcnt(12) lgkmcnt(3)
	v_fma_f64 v[94:95], v[94:95], v[98:99], 0
	buffer_load_dword v99, off, s[0:3], 0 offset:236
	buffer_load_dword v98, off, s[0:3], 0 offset:232
	s_waitcnt vmcnt(12)
	v_fmac_f64_e32 v[94:95], v[114:115], v[100:101]
	s_waitcnt vmcnt(10) lgkmcnt(2)
	v_fmac_f64_e32 v[94:95], v[116:117], v[102:103]
	buffer_load_dword v103, off, s[0:3], 0 offset:244
	buffer_load_dword v102, off, s[0:3], 0 offset:240
	s_waitcnt vmcnt(10)
	v_fmac_f64_e32 v[94:95], v[118:119], v[104:105]
	s_waitcnt vmcnt(8) lgkmcnt(1)
	v_fmac_f64_e32 v[94:95], v[120:121], v[106:107]
	s_waitcnt vmcnt(6)
	v_fmac_f64_e32 v[94:95], v[122:123], v[108:109]
	s_waitcnt vmcnt(4) lgkmcnt(0)
	v_fmac_f64_e32 v[94:95], v[124:125], v[110:111]
	s_waitcnt vmcnt(2)
	v_fmac_f64_e32 v[94:95], v[98:99], v[112:113]
	ds_read_b128 v[98:101], v96 offset:608
	s_waitcnt vmcnt(0) lgkmcnt(0)
	v_fmac_f64_e32 v[94:95], v[102:103], v[98:99]
	buffer_load_dword v99, off, s[0:3], 0 offset:252
	buffer_load_dword v98, off, s[0:3], 0 offset:248
	buffer_load_dword v103, off, s[0:3], 0 offset:260
	buffer_load_dword v102, off, s[0:3], 0 offset:256
	s_waitcnt vmcnt(2)
	v_fmac_f64_e32 v[94:95], v[98:99], v[100:101]
	ds_read_b128 v[98:101], v96 offset:624
	s_waitcnt vmcnt(0) lgkmcnt(0)
	v_fmac_f64_e32 v[94:95], v[102:103], v[98:99]
	buffer_load_dword v99, off, s[0:3], 0 offset:268
	buffer_load_dword v98, off, s[0:3], 0 offset:264
	buffer_load_dword v103, off, s[0:3], 0 offset:276
	buffer_load_dword v102, off, s[0:3], 0 offset:272
	;; [unrolled: 9-line block ×6, first 2 shown]
	s_waitcnt vmcnt(2)
	v_fmac_f64_e32 v[94:95], v[98:99], v[100:101]
	ds_read_b128 v[98:101], v96 offset:704
	s_waitcnt vmcnt(0) lgkmcnt(0)
	v_fmac_f64_e32 v[94:95], v[102:103], v[98:99]
	buffer_load_dword v99, off, s[0:3], 0 offset:348
	buffer_load_dword v98, off, s[0:3], 0 offset:344
	s_waitcnt vmcnt(0)
	v_fmac_f64_e32 v[94:95], v[98:99], v[100:101]
	buffer_load_dword v99, off, s[0:3], 0 offset:356
	buffer_load_dword v98, off, s[0:3], 0 offset:352
	ds_read_b64 v[100:101], v96 offset:720
	s_waitcnt vmcnt(0) lgkmcnt(0)
	v_fmac_f64_e32 v[94:95], v[98:99], v[100:101]
	v_add_f64 v[92:93], v[92:93], -v[94:95]
	buffer_store_dword v93, off, s[0:3], 0 offset:172
	buffer_store_dword v92, off, s[0:3], 0 offset:168
	s_and_saveexec_b64 s[4:5], vcc
	s_cbranch_execz .LBB108_237
; %bb.236:
	buffer_load_dword v92, off, s[0:3], 0 offset:160
	buffer_load_dword v93, off, s[0:3], 0 offset:164
	s_waitcnt vmcnt(0)
	ds_write_b64 v1, v[92:93]
	buffer_store_dword v96, off, s[0:3], 0 offset:160
	buffer_store_dword v96, off, s[0:3], 0 offset:164
.LBB108_237:
	s_or_b64 exec, exec, s[4:5]
	s_waitcnt lgkmcnt(0)
	; wave barrier
	s_waitcnt lgkmcnt(0)
	buffer_load_dword v92, off, s[0:3], 0 offset:160
	buffer_load_dword v93, off, s[0:3], 0 offset:164
	;; [unrolled: 1-line block ×16, first 2 shown]
	ds_read2_b64 v[98:101], v96 offset0:67 offset1:68
	v_cmp_lt_u32_e32 vcc, 19, v0
	s_waitcnt vmcnt(12) lgkmcnt(0)
	v_fma_f64 v[94:95], v[94:95], v[98:99], 0
	s_waitcnt vmcnt(10)
	v_fmac_f64_e32 v[94:95], v[102:103], v[100:101]
	ds_read2_b64 v[98:101], v96 offset0:69 offset1:70
	s_waitcnt vmcnt(8) lgkmcnt(0)
	v_fmac_f64_e32 v[94:95], v[104:105], v[98:99]
	s_waitcnt vmcnt(6)
	v_fmac_f64_e32 v[94:95], v[106:107], v[100:101]
	ds_read2_b64 v[98:101], v96 offset0:71 offset1:72
	s_waitcnt vmcnt(4) lgkmcnt(0)
	v_fmac_f64_e32 v[94:95], v[108:109], v[98:99]
	;; [unrolled: 5-line block ×3, first 2 shown]
	buffer_load_dword v99, off, s[0:3], 0 offset:228
	buffer_load_dword v98, off, s[0:3], 0 offset:224
	buffer_load_dword v103, off, s[0:3], 0 offset:236
	buffer_load_dword v102, off, s[0:3], 0 offset:232
	s_waitcnt vmcnt(2)
	v_fmac_f64_e32 v[94:95], v[98:99], v[100:101]
	ds_read2_b64 v[98:101], v96 offset0:75 offset1:76
	s_waitcnt vmcnt(0) lgkmcnt(0)
	v_fmac_f64_e32 v[94:95], v[102:103], v[98:99]
	buffer_load_dword v99, off, s[0:3], 0 offset:244
	buffer_load_dword v98, off, s[0:3], 0 offset:240
	buffer_load_dword v103, off, s[0:3], 0 offset:252
	buffer_load_dword v102, off, s[0:3], 0 offset:248
	s_waitcnt vmcnt(2)
	v_fmac_f64_e32 v[94:95], v[98:99], v[100:101]
	ds_read2_b64 v[98:101], v96 offset0:77 offset1:78
	s_waitcnt vmcnt(0) lgkmcnt(0)
	v_fmac_f64_e32 v[94:95], v[102:103], v[98:99]
	;; [unrolled: 9-line block ×7, first 2 shown]
	buffer_load_dword v99, off, s[0:3], 0 offset:340
	buffer_load_dword v98, off, s[0:3], 0 offset:336
	s_waitcnt vmcnt(0)
	v_fmac_f64_e32 v[94:95], v[98:99], v[100:101]
	buffer_load_dword v101, off, s[0:3], 0 offset:348
	buffer_load_dword v100, off, s[0:3], 0 offset:344
	ds_read2_b64 v[96:99], v96 offset0:89 offset1:90
	s_waitcnt vmcnt(0) lgkmcnt(0)
	v_fmac_f64_e32 v[94:95], v[100:101], v[96:97]
	buffer_load_dword v97, off, s[0:3], 0 offset:356
	buffer_load_dword v96, off, s[0:3], 0 offset:352
	s_waitcnt vmcnt(0)
	v_fmac_f64_e32 v[94:95], v[96:97], v[98:99]
	v_add_f64 v[92:93], v[92:93], -v[94:95]
	buffer_store_dword v93, off, s[0:3], 0 offset:164
	buffer_store_dword v92, off, s[0:3], 0 offset:160
	s_and_saveexec_b64 s[4:5], vcc
	s_cbranch_execz .LBB108_239
; %bb.238:
	buffer_load_dword v92, off, s[0:3], 0 offset:152
	buffer_load_dword v93, off, s[0:3], 0 offset:156
	v_mov_b32_e32 v94, 0
	buffer_store_dword v94, off, s[0:3], 0 offset:152
	buffer_store_dword v94, off, s[0:3], 0 offset:156
	s_waitcnt vmcnt(2)
	ds_write_b64 v1, v[92:93]
.LBB108_239:
	s_or_b64 exec, exec, s[4:5]
	s_waitcnt lgkmcnt(0)
	; wave barrier
	s_waitcnt lgkmcnt(0)
	buffer_load_dword v92, off, s[0:3], 0 offset:152
	buffer_load_dword v93, off, s[0:3], 0 offset:156
	;; [unrolled: 1-line block ×16, first 2 shown]
	v_mov_b32_e32 v96, 0
	ds_read_b128 v[98:101], v96 offset:528
	ds_read_b128 v[102:105], v96 offset:544
	;; [unrolled: 1-line block ×4, first 2 shown]
	v_cmp_lt_u32_e32 vcc, 18, v0
	s_waitcnt vmcnt(12) lgkmcnt(3)
	v_fma_f64 v[94:95], v[94:95], v[98:99], 0
	buffer_load_dword v99, off, s[0:3], 0 offset:220
	buffer_load_dword v98, off, s[0:3], 0 offset:216
	s_waitcnt vmcnt(12)
	v_fmac_f64_e32 v[94:95], v[114:115], v[100:101]
	s_waitcnt vmcnt(10) lgkmcnt(2)
	v_fmac_f64_e32 v[94:95], v[116:117], v[102:103]
	buffer_load_dword v103, off, s[0:3], 0 offset:228
	buffer_load_dword v102, off, s[0:3], 0 offset:224
	s_waitcnt vmcnt(10)
	v_fmac_f64_e32 v[94:95], v[118:119], v[104:105]
	s_waitcnt vmcnt(8) lgkmcnt(1)
	v_fmac_f64_e32 v[94:95], v[120:121], v[106:107]
	s_waitcnt vmcnt(6)
	v_fmac_f64_e32 v[94:95], v[122:123], v[108:109]
	s_waitcnt vmcnt(4) lgkmcnt(0)
	v_fmac_f64_e32 v[94:95], v[124:125], v[110:111]
	s_waitcnt vmcnt(2)
	v_fmac_f64_e32 v[94:95], v[98:99], v[112:113]
	ds_read_b128 v[98:101], v96 offset:592
	s_waitcnt vmcnt(0) lgkmcnt(0)
	v_fmac_f64_e32 v[94:95], v[102:103], v[98:99]
	buffer_load_dword v99, off, s[0:3], 0 offset:236
	buffer_load_dword v98, off, s[0:3], 0 offset:232
	buffer_load_dword v103, off, s[0:3], 0 offset:244
	buffer_load_dword v102, off, s[0:3], 0 offset:240
	s_waitcnt vmcnt(2)
	v_fmac_f64_e32 v[94:95], v[98:99], v[100:101]
	ds_read_b128 v[98:101], v96 offset:608
	s_waitcnt vmcnt(0) lgkmcnt(0)
	v_fmac_f64_e32 v[94:95], v[102:103], v[98:99]
	buffer_load_dword v99, off, s[0:3], 0 offset:252
	buffer_load_dword v98, off, s[0:3], 0 offset:248
	buffer_load_dword v103, off, s[0:3], 0 offset:260
	buffer_load_dword v102, off, s[0:3], 0 offset:256
	;; [unrolled: 9-line block ×7, first 2 shown]
	s_waitcnt vmcnt(2)
	v_fmac_f64_e32 v[94:95], v[98:99], v[100:101]
	ds_read_b128 v[98:101], v96 offset:704
	s_waitcnt vmcnt(0) lgkmcnt(0)
	v_fmac_f64_e32 v[94:95], v[102:103], v[98:99]
	buffer_load_dword v99, off, s[0:3], 0 offset:348
	buffer_load_dword v98, off, s[0:3], 0 offset:344
	s_waitcnt vmcnt(0)
	v_fmac_f64_e32 v[94:95], v[98:99], v[100:101]
	buffer_load_dword v99, off, s[0:3], 0 offset:356
	buffer_load_dword v98, off, s[0:3], 0 offset:352
	ds_read_b64 v[100:101], v96 offset:720
	s_waitcnt vmcnt(0) lgkmcnt(0)
	v_fmac_f64_e32 v[94:95], v[98:99], v[100:101]
	v_add_f64 v[92:93], v[92:93], -v[94:95]
	buffer_store_dword v93, off, s[0:3], 0 offset:156
	buffer_store_dword v92, off, s[0:3], 0 offset:152
	s_and_saveexec_b64 s[4:5], vcc
	s_cbranch_execz .LBB108_241
; %bb.240:
	buffer_load_dword v92, off, s[0:3], 0 offset:144
	buffer_load_dword v93, off, s[0:3], 0 offset:148
	s_waitcnt vmcnt(0)
	ds_write_b64 v1, v[92:93]
	buffer_store_dword v96, off, s[0:3], 0 offset:144
	buffer_store_dword v96, off, s[0:3], 0 offset:148
.LBB108_241:
	s_or_b64 exec, exec, s[4:5]
	s_waitcnt lgkmcnt(0)
	; wave barrier
	s_waitcnt lgkmcnt(0)
	buffer_load_dword v92, off, s[0:3], 0 offset:144
	buffer_load_dword v93, off, s[0:3], 0 offset:148
	buffer_load_dword v94, off, s[0:3], 0 offset:152
	buffer_load_dword v95, off, s[0:3], 0 offset:156
	buffer_load_dword v102, off, s[0:3], 0 offset:160
	buffer_load_dword v103, off, s[0:3], 0 offset:164
	buffer_load_dword v104, off, s[0:3], 0 offset:168
	buffer_load_dword v105, off, s[0:3], 0 offset:172
	buffer_load_dword v106, off, s[0:3], 0 offset:176
	buffer_load_dword v107, off, s[0:3], 0 offset:180
	buffer_load_dword v108, off, s[0:3], 0 offset:184
	buffer_load_dword v109, off, s[0:3], 0 offset:188
	buffer_load_dword v110, off, s[0:3], 0 offset:192
	buffer_load_dword v111, off, s[0:3], 0 offset:196
	buffer_load_dword v112, off, s[0:3], 0 offset:200
	buffer_load_dword v113, off, s[0:3], 0 offset:204
	ds_read2_b64 v[98:101], v96 offset0:65 offset1:66
	v_cmp_lt_u32_e32 vcc, 17, v0
	s_waitcnt vmcnt(12) lgkmcnt(0)
	v_fma_f64 v[94:95], v[94:95], v[98:99], 0
	s_waitcnt vmcnt(10)
	v_fmac_f64_e32 v[94:95], v[102:103], v[100:101]
	ds_read2_b64 v[98:101], v96 offset0:67 offset1:68
	s_waitcnt vmcnt(8) lgkmcnt(0)
	v_fmac_f64_e32 v[94:95], v[104:105], v[98:99]
	s_waitcnt vmcnt(6)
	v_fmac_f64_e32 v[94:95], v[106:107], v[100:101]
	ds_read2_b64 v[98:101], v96 offset0:69 offset1:70
	s_waitcnt vmcnt(4) lgkmcnt(0)
	v_fmac_f64_e32 v[94:95], v[108:109], v[98:99]
	;; [unrolled: 5-line block ×3, first 2 shown]
	buffer_load_dword v99, off, s[0:3], 0 offset:212
	buffer_load_dword v98, off, s[0:3], 0 offset:208
	buffer_load_dword v103, off, s[0:3], 0 offset:220
	buffer_load_dword v102, off, s[0:3], 0 offset:216
	s_waitcnt vmcnt(2)
	v_fmac_f64_e32 v[94:95], v[98:99], v[100:101]
	ds_read2_b64 v[98:101], v96 offset0:73 offset1:74
	s_waitcnt vmcnt(0) lgkmcnt(0)
	v_fmac_f64_e32 v[94:95], v[102:103], v[98:99]
	buffer_load_dword v99, off, s[0:3], 0 offset:228
	buffer_load_dword v98, off, s[0:3], 0 offset:224
	buffer_load_dword v103, off, s[0:3], 0 offset:236
	buffer_load_dword v102, off, s[0:3], 0 offset:232
	s_waitcnt vmcnt(2)
	v_fmac_f64_e32 v[94:95], v[98:99], v[100:101]
	ds_read2_b64 v[98:101], v96 offset0:75 offset1:76
	s_waitcnt vmcnt(0) lgkmcnt(0)
	v_fmac_f64_e32 v[94:95], v[102:103], v[98:99]
	;; [unrolled: 9-line block ×8, first 2 shown]
	buffer_load_dword v99, off, s[0:3], 0 offset:340
	buffer_load_dword v98, off, s[0:3], 0 offset:336
	s_waitcnt vmcnt(0)
	v_fmac_f64_e32 v[94:95], v[98:99], v[100:101]
	buffer_load_dword v101, off, s[0:3], 0 offset:348
	buffer_load_dword v100, off, s[0:3], 0 offset:344
	ds_read2_b64 v[96:99], v96 offset0:89 offset1:90
	s_waitcnt vmcnt(0) lgkmcnt(0)
	v_fmac_f64_e32 v[94:95], v[100:101], v[96:97]
	buffer_load_dword v97, off, s[0:3], 0 offset:356
	buffer_load_dword v96, off, s[0:3], 0 offset:352
	s_waitcnt vmcnt(0)
	v_fmac_f64_e32 v[94:95], v[96:97], v[98:99]
	v_add_f64 v[92:93], v[92:93], -v[94:95]
	buffer_store_dword v93, off, s[0:3], 0 offset:148
	buffer_store_dword v92, off, s[0:3], 0 offset:144
	s_and_saveexec_b64 s[4:5], vcc
	s_cbranch_execz .LBB108_243
; %bb.242:
	buffer_load_dword v92, off, s[0:3], 0 offset:136
	buffer_load_dword v93, off, s[0:3], 0 offset:140
	v_mov_b32_e32 v94, 0
	buffer_store_dword v94, off, s[0:3], 0 offset:136
	buffer_store_dword v94, off, s[0:3], 0 offset:140
	s_waitcnt vmcnt(2)
	ds_write_b64 v1, v[92:93]
.LBB108_243:
	s_or_b64 exec, exec, s[4:5]
	s_waitcnt lgkmcnt(0)
	; wave barrier
	s_waitcnt lgkmcnt(0)
	buffer_load_dword v92, off, s[0:3], 0 offset:136
	buffer_load_dword v93, off, s[0:3], 0 offset:140
	;; [unrolled: 1-line block ×16, first 2 shown]
	v_mov_b32_e32 v96, 0
	ds_read_b128 v[98:101], v96 offset:512
	ds_read_b128 v[102:105], v96 offset:528
	;; [unrolled: 1-line block ×4, first 2 shown]
	v_cmp_lt_u32_e32 vcc, 16, v0
	s_waitcnt vmcnt(12) lgkmcnt(3)
	v_fma_f64 v[94:95], v[94:95], v[98:99], 0
	buffer_load_dword v99, off, s[0:3], 0 offset:204
	buffer_load_dword v98, off, s[0:3], 0 offset:200
	s_waitcnt vmcnt(12)
	v_fmac_f64_e32 v[94:95], v[114:115], v[100:101]
	s_waitcnt vmcnt(10) lgkmcnt(2)
	v_fmac_f64_e32 v[94:95], v[116:117], v[102:103]
	buffer_load_dword v103, off, s[0:3], 0 offset:212
	buffer_load_dword v102, off, s[0:3], 0 offset:208
	s_waitcnt vmcnt(10)
	v_fmac_f64_e32 v[94:95], v[118:119], v[104:105]
	s_waitcnt vmcnt(8) lgkmcnt(1)
	v_fmac_f64_e32 v[94:95], v[120:121], v[106:107]
	s_waitcnt vmcnt(6)
	v_fmac_f64_e32 v[94:95], v[122:123], v[108:109]
	s_waitcnt vmcnt(4) lgkmcnt(0)
	v_fmac_f64_e32 v[94:95], v[124:125], v[110:111]
	s_waitcnt vmcnt(2)
	v_fmac_f64_e32 v[94:95], v[98:99], v[112:113]
	ds_read_b128 v[98:101], v96 offset:576
	s_waitcnt vmcnt(0) lgkmcnt(0)
	v_fmac_f64_e32 v[94:95], v[102:103], v[98:99]
	buffer_load_dword v99, off, s[0:3], 0 offset:220
	buffer_load_dword v98, off, s[0:3], 0 offset:216
	buffer_load_dword v103, off, s[0:3], 0 offset:228
	buffer_load_dword v102, off, s[0:3], 0 offset:224
	s_waitcnt vmcnt(2)
	v_fmac_f64_e32 v[94:95], v[98:99], v[100:101]
	ds_read_b128 v[98:101], v96 offset:592
	s_waitcnt vmcnt(0) lgkmcnt(0)
	v_fmac_f64_e32 v[94:95], v[102:103], v[98:99]
	buffer_load_dword v99, off, s[0:3], 0 offset:236
	buffer_load_dword v98, off, s[0:3], 0 offset:232
	buffer_load_dword v103, off, s[0:3], 0 offset:244
	buffer_load_dword v102, off, s[0:3], 0 offset:240
	;; [unrolled: 9-line block ×8, first 2 shown]
	s_waitcnt vmcnt(2)
	v_fmac_f64_e32 v[94:95], v[98:99], v[100:101]
	ds_read_b128 v[98:101], v96 offset:704
	s_waitcnt vmcnt(0) lgkmcnt(0)
	v_fmac_f64_e32 v[94:95], v[102:103], v[98:99]
	buffer_load_dword v99, off, s[0:3], 0 offset:348
	buffer_load_dword v98, off, s[0:3], 0 offset:344
	s_waitcnt vmcnt(0)
	v_fmac_f64_e32 v[94:95], v[98:99], v[100:101]
	buffer_load_dword v99, off, s[0:3], 0 offset:356
	buffer_load_dword v98, off, s[0:3], 0 offset:352
	ds_read_b64 v[100:101], v96 offset:720
	s_waitcnt vmcnt(0) lgkmcnt(0)
	v_fmac_f64_e32 v[94:95], v[98:99], v[100:101]
	v_add_f64 v[92:93], v[92:93], -v[94:95]
	buffer_store_dword v93, off, s[0:3], 0 offset:140
	buffer_store_dword v92, off, s[0:3], 0 offset:136
	s_and_saveexec_b64 s[4:5], vcc
	s_cbranch_execz .LBB108_245
; %bb.244:
	buffer_load_dword v92, off, s[0:3], 0 offset:128
	buffer_load_dword v93, off, s[0:3], 0 offset:132
	s_waitcnt vmcnt(0)
	ds_write_b64 v1, v[92:93]
	buffer_store_dword v96, off, s[0:3], 0 offset:128
	buffer_store_dword v96, off, s[0:3], 0 offset:132
.LBB108_245:
	s_or_b64 exec, exec, s[4:5]
	s_waitcnt lgkmcnt(0)
	; wave barrier
	s_waitcnt lgkmcnt(0)
	buffer_load_dword v92, off, s[0:3], 0 offset:128
	buffer_load_dword v93, off, s[0:3], 0 offset:132
	buffer_load_dword v94, off, s[0:3], 0 offset:136
	buffer_load_dword v95, off, s[0:3], 0 offset:140
	buffer_load_dword v102, off, s[0:3], 0 offset:144
	buffer_load_dword v103, off, s[0:3], 0 offset:148
	buffer_load_dword v104, off, s[0:3], 0 offset:152
	buffer_load_dword v105, off, s[0:3], 0 offset:156
	buffer_load_dword v106, off, s[0:3], 0 offset:160
	buffer_load_dword v107, off, s[0:3], 0 offset:164
	buffer_load_dword v108, off, s[0:3], 0 offset:168
	buffer_load_dword v109, off, s[0:3], 0 offset:172
	buffer_load_dword v110, off, s[0:3], 0 offset:176
	buffer_load_dword v111, off, s[0:3], 0 offset:180
	buffer_load_dword v112, off, s[0:3], 0 offset:184
	buffer_load_dword v113, off, s[0:3], 0 offset:188
	ds_read2_b64 v[98:101], v96 offset0:63 offset1:64
	v_cmp_lt_u32_e32 vcc, 15, v0
	s_waitcnt vmcnt(12) lgkmcnt(0)
	v_fma_f64 v[94:95], v[94:95], v[98:99], 0
	s_waitcnt vmcnt(10)
	v_fmac_f64_e32 v[94:95], v[102:103], v[100:101]
	ds_read2_b64 v[98:101], v96 offset0:65 offset1:66
	s_waitcnt vmcnt(8) lgkmcnt(0)
	v_fmac_f64_e32 v[94:95], v[104:105], v[98:99]
	s_waitcnt vmcnt(6)
	v_fmac_f64_e32 v[94:95], v[106:107], v[100:101]
	ds_read2_b64 v[98:101], v96 offset0:67 offset1:68
	s_waitcnt vmcnt(4) lgkmcnt(0)
	v_fmac_f64_e32 v[94:95], v[108:109], v[98:99]
	;; [unrolled: 5-line block ×3, first 2 shown]
	buffer_load_dword v99, off, s[0:3], 0 offset:196
	buffer_load_dword v98, off, s[0:3], 0 offset:192
	buffer_load_dword v103, off, s[0:3], 0 offset:204
	buffer_load_dword v102, off, s[0:3], 0 offset:200
	s_waitcnt vmcnt(2)
	v_fmac_f64_e32 v[94:95], v[98:99], v[100:101]
	ds_read2_b64 v[98:101], v96 offset0:71 offset1:72
	s_waitcnt vmcnt(0) lgkmcnt(0)
	v_fmac_f64_e32 v[94:95], v[102:103], v[98:99]
	buffer_load_dword v99, off, s[0:3], 0 offset:212
	buffer_load_dword v98, off, s[0:3], 0 offset:208
	buffer_load_dword v103, off, s[0:3], 0 offset:220
	buffer_load_dword v102, off, s[0:3], 0 offset:216
	s_waitcnt vmcnt(2)
	v_fmac_f64_e32 v[94:95], v[98:99], v[100:101]
	ds_read2_b64 v[98:101], v96 offset0:73 offset1:74
	s_waitcnt vmcnt(0) lgkmcnt(0)
	v_fmac_f64_e32 v[94:95], v[102:103], v[98:99]
	;; [unrolled: 9-line block ×9, first 2 shown]
	buffer_load_dword v99, off, s[0:3], 0 offset:340
	buffer_load_dword v98, off, s[0:3], 0 offset:336
	s_waitcnt vmcnt(0)
	v_fmac_f64_e32 v[94:95], v[98:99], v[100:101]
	buffer_load_dword v101, off, s[0:3], 0 offset:348
	buffer_load_dword v100, off, s[0:3], 0 offset:344
	ds_read2_b64 v[96:99], v96 offset0:89 offset1:90
	s_waitcnt vmcnt(0) lgkmcnt(0)
	v_fmac_f64_e32 v[94:95], v[100:101], v[96:97]
	buffer_load_dword v97, off, s[0:3], 0 offset:356
	buffer_load_dword v96, off, s[0:3], 0 offset:352
	s_waitcnt vmcnt(0)
	v_fmac_f64_e32 v[94:95], v[96:97], v[98:99]
	v_add_f64 v[92:93], v[92:93], -v[94:95]
	buffer_store_dword v93, off, s[0:3], 0 offset:132
	buffer_store_dword v92, off, s[0:3], 0 offset:128
	s_and_saveexec_b64 s[4:5], vcc
	s_cbranch_execz .LBB108_247
; %bb.246:
	buffer_load_dword v92, off, s[0:3], 0 offset:120
	buffer_load_dword v93, off, s[0:3], 0 offset:124
	v_mov_b32_e32 v94, 0
	buffer_store_dword v94, off, s[0:3], 0 offset:120
	buffer_store_dword v94, off, s[0:3], 0 offset:124
	s_waitcnt vmcnt(2)
	ds_write_b64 v1, v[92:93]
.LBB108_247:
	s_or_b64 exec, exec, s[4:5]
	s_waitcnt lgkmcnt(0)
	; wave barrier
	s_waitcnt lgkmcnt(0)
	buffer_load_dword v92, off, s[0:3], 0 offset:120
	buffer_load_dword v93, off, s[0:3], 0 offset:124
	;; [unrolled: 1-line block ×16, first 2 shown]
	v_mov_b32_e32 v96, 0
	ds_read_b128 v[98:101], v96 offset:496
	ds_read_b128 v[102:105], v96 offset:512
	;; [unrolled: 1-line block ×4, first 2 shown]
	v_cmp_lt_u32_e32 vcc, 14, v0
	s_waitcnt vmcnt(12) lgkmcnt(3)
	v_fma_f64 v[94:95], v[94:95], v[98:99], 0
	buffer_load_dword v99, off, s[0:3], 0 offset:188
	buffer_load_dword v98, off, s[0:3], 0 offset:184
	s_waitcnt vmcnt(12)
	v_fmac_f64_e32 v[94:95], v[114:115], v[100:101]
	s_waitcnt vmcnt(10) lgkmcnt(2)
	v_fmac_f64_e32 v[94:95], v[116:117], v[102:103]
	buffer_load_dword v103, off, s[0:3], 0 offset:196
	buffer_load_dword v102, off, s[0:3], 0 offset:192
	s_waitcnt vmcnt(10)
	v_fmac_f64_e32 v[94:95], v[118:119], v[104:105]
	s_waitcnt vmcnt(8) lgkmcnt(1)
	v_fmac_f64_e32 v[94:95], v[120:121], v[106:107]
	s_waitcnt vmcnt(6)
	v_fmac_f64_e32 v[94:95], v[122:123], v[108:109]
	s_waitcnt vmcnt(4) lgkmcnt(0)
	v_fmac_f64_e32 v[94:95], v[124:125], v[110:111]
	s_waitcnt vmcnt(2)
	v_fmac_f64_e32 v[94:95], v[98:99], v[112:113]
	ds_read_b128 v[98:101], v96 offset:560
	s_waitcnt vmcnt(0) lgkmcnt(0)
	v_fmac_f64_e32 v[94:95], v[102:103], v[98:99]
	buffer_load_dword v99, off, s[0:3], 0 offset:204
	buffer_load_dword v98, off, s[0:3], 0 offset:200
	buffer_load_dword v103, off, s[0:3], 0 offset:212
	buffer_load_dword v102, off, s[0:3], 0 offset:208
	s_waitcnt vmcnt(2)
	v_fmac_f64_e32 v[94:95], v[98:99], v[100:101]
	ds_read_b128 v[98:101], v96 offset:576
	s_waitcnt vmcnt(0) lgkmcnt(0)
	v_fmac_f64_e32 v[94:95], v[102:103], v[98:99]
	buffer_load_dword v99, off, s[0:3], 0 offset:220
	buffer_load_dword v98, off, s[0:3], 0 offset:216
	buffer_load_dword v103, off, s[0:3], 0 offset:228
	buffer_load_dword v102, off, s[0:3], 0 offset:224
	;; [unrolled: 9-line block ×9, first 2 shown]
	s_waitcnt vmcnt(2)
	v_fmac_f64_e32 v[94:95], v[98:99], v[100:101]
	ds_read_b128 v[98:101], v96 offset:704
	s_waitcnt vmcnt(0) lgkmcnt(0)
	v_fmac_f64_e32 v[94:95], v[102:103], v[98:99]
	buffer_load_dword v99, off, s[0:3], 0 offset:348
	buffer_load_dword v98, off, s[0:3], 0 offset:344
	s_waitcnt vmcnt(0)
	v_fmac_f64_e32 v[94:95], v[98:99], v[100:101]
	buffer_load_dword v99, off, s[0:3], 0 offset:356
	buffer_load_dword v98, off, s[0:3], 0 offset:352
	ds_read_b64 v[100:101], v96 offset:720
	s_waitcnt vmcnt(0) lgkmcnt(0)
	v_fmac_f64_e32 v[94:95], v[98:99], v[100:101]
	v_add_f64 v[92:93], v[92:93], -v[94:95]
	buffer_store_dword v93, off, s[0:3], 0 offset:124
	buffer_store_dword v92, off, s[0:3], 0 offset:120
	s_and_saveexec_b64 s[4:5], vcc
	s_cbranch_execz .LBB108_249
; %bb.248:
	buffer_load_dword v92, off, s[0:3], 0 offset:112
	buffer_load_dword v93, off, s[0:3], 0 offset:116
	s_waitcnt vmcnt(0)
	ds_write_b64 v1, v[92:93]
	buffer_store_dword v96, off, s[0:3], 0 offset:112
	buffer_store_dword v96, off, s[0:3], 0 offset:116
.LBB108_249:
	s_or_b64 exec, exec, s[4:5]
	s_waitcnt lgkmcnt(0)
	; wave barrier
	s_waitcnt lgkmcnt(0)
	buffer_load_dword v92, off, s[0:3], 0 offset:112
	buffer_load_dword v93, off, s[0:3], 0 offset:116
	;; [unrolled: 1-line block ×16, first 2 shown]
	ds_read2_b64 v[98:101], v96 offset0:61 offset1:62
	v_cmp_lt_u32_e32 vcc, 13, v0
	s_waitcnt vmcnt(12) lgkmcnt(0)
	v_fma_f64 v[94:95], v[94:95], v[98:99], 0
	s_waitcnt vmcnt(10)
	v_fmac_f64_e32 v[94:95], v[102:103], v[100:101]
	ds_read2_b64 v[98:101], v96 offset0:63 offset1:64
	s_waitcnt vmcnt(8) lgkmcnt(0)
	v_fmac_f64_e32 v[94:95], v[104:105], v[98:99]
	s_waitcnt vmcnt(6)
	v_fmac_f64_e32 v[94:95], v[106:107], v[100:101]
	ds_read2_b64 v[98:101], v96 offset0:65 offset1:66
	s_waitcnt vmcnt(4) lgkmcnt(0)
	v_fmac_f64_e32 v[94:95], v[108:109], v[98:99]
	;; [unrolled: 5-line block ×3, first 2 shown]
	buffer_load_dword v99, off, s[0:3], 0 offset:180
	buffer_load_dword v98, off, s[0:3], 0 offset:176
	buffer_load_dword v103, off, s[0:3], 0 offset:188
	buffer_load_dword v102, off, s[0:3], 0 offset:184
	s_waitcnt vmcnt(2)
	v_fmac_f64_e32 v[94:95], v[98:99], v[100:101]
	ds_read2_b64 v[98:101], v96 offset0:69 offset1:70
	s_waitcnt vmcnt(0) lgkmcnt(0)
	v_fmac_f64_e32 v[94:95], v[102:103], v[98:99]
	buffer_load_dword v99, off, s[0:3], 0 offset:196
	buffer_load_dword v98, off, s[0:3], 0 offset:192
	buffer_load_dword v103, off, s[0:3], 0 offset:204
	buffer_load_dword v102, off, s[0:3], 0 offset:200
	s_waitcnt vmcnt(2)
	v_fmac_f64_e32 v[94:95], v[98:99], v[100:101]
	ds_read2_b64 v[98:101], v96 offset0:71 offset1:72
	s_waitcnt vmcnt(0) lgkmcnt(0)
	v_fmac_f64_e32 v[94:95], v[102:103], v[98:99]
	;; [unrolled: 9-line block ×10, first 2 shown]
	buffer_load_dword v99, off, s[0:3], 0 offset:340
	buffer_load_dword v98, off, s[0:3], 0 offset:336
	s_waitcnt vmcnt(0)
	v_fmac_f64_e32 v[94:95], v[98:99], v[100:101]
	buffer_load_dword v101, off, s[0:3], 0 offset:348
	buffer_load_dword v100, off, s[0:3], 0 offset:344
	ds_read2_b64 v[96:99], v96 offset0:89 offset1:90
	s_waitcnt vmcnt(0) lgkmcnt(0)
	v_fmac_f64_e32 v[94:95], v[100:101], v[96:97]
	buffer_load_dword v97, off, s[0:3], 0 offset:356
	buffer_load_dword v96, off, s[0:3], 0 offset:352
	s_waitcnt vmcnt(0)
	v_fmac_f64_e32 v[94:95], v[96:97], v[98:99]
	v_add_f64 v[92:93], v[92:93], -v[94:95]
	buffer_store_dword v93, off, s[0:3], 0 offset:116
	buffer_store_dword v92, off, s[0:3], 0 offset:112
	s_and_saveexec_b64 s[4:5], vcc
	s_cbranch_execz .LBB108_251
; %bb.250:
	buffer_load_dword v92, off, s[0:3], 0 offset:104
	buffer_load_dword v93, off, s[0:3], 0 offset:108
	v_mov_b32_e32 v94, 0
	buffer_store_dword v94, off, s[0:3], 0 offset:104
	buffer_store_dword v94, off, s[0:3], 0 offset:108
	s_waitcnt vmcnt(2)
	ds_write_b64 v1, v[92:93]
.LBB108_251:
	s_or_b64 exec, exec, s[4:5]
	s_waitcnt lgkmcnt(0)
	; wave barrier
	s_waitcnt lgkmcnt(0)
	buffer_load_dword v92, off, s[0:3], 0 offset:104
	buffer_load_dword v93, off, s[0:3], 0 offset:108
	;; [unrolled: 1-line block ×16, first 2 shown]
	v_mov_b32_e32 v96, 0
	ds_read_b128 v[98:101], v96 offset:480
	ds_read_b128 v[102:105], v96 offset:496
	;; [unrolled: 1-line block ×4, first 2 shown]
	v_cmp_lt_u32_e32 vcc, 12, v0
	s_waitcnt vmcnt(12) lgkmcnt(3)
	v_fma_f64 v[94:95], v[94:95], v[98:99], 0
	buffer_load_dword v99, off, s[0:3], 0 offset:172
	buffer_load_dword v98, off, s[0:3], 0 offset:168
	s_waitcnt vmcnt(12)
	v_fmac_f64_e32 v[94:95], v[114:115], v[100:101]
	s_waitcnt vmcnt(10) lgkmcnt(2)
	v_fmac_f64_e32 v[94:95], v[116:117], v[102:103]
	buffer_load_dword v103, off, s[0:3], 0 offset:180
	buffer_load_dword v102, off, s[0:3], 0 offset:176
	s_waitcnt vmcnt(10)
	v_fmac_f64_e32 v[94:95], v[118:119], v[104:105]
	s_waitcnt vmcnt(8) lgkmcnt(1)
	v_fmac_f64_e32 v[94:95], v[120:121], v[106:107]
	s_waitcnt vmcnt(6)
	v_fmac_f64_e32 v[94:95], v[122:123], v[108:109]
	s_waitcnt vmcnt(4) lgkmcnt(0)
	v_fmac_f64_e32 v[94:95], v[124:125], v[110:111]
	s_waitcnt vmcnt(2)
	v_fmac_f64_e32 v[94:95], v[98:99], v[112:113]
	ds_read_b128 v[98:101], v96 offset:544
	s_waitcnt vmcnt(0) lgkmcnt(0)
	v_fmac_f64_e32 v[94:95], v[102:103], v[98:99]
	buffer_load_dword v99, off, s[0:3], 0 offset:188
	buffer_load_dword v98, off, s[0:3], 0 offset:184
	buffer_load_dword v103, off, s[0:3], 0 offset:196
	buffer_load_dword v102, off, s[0:3], 0 offset:192
	s_waitcnt vmcnt(2)
	v_fmac_f64_e32 v[94:95], v[98:99], v[100:101]
	ds_read_b128 v[98:101], v96 offset:560
	s_waitcnt vmcnt(0) lgkmcnt(0)
	v_fmac_f64_e32 v[94:95], v[102:103], v[98:99]
	buffer_load_dword v99, off, s[0:3], 0 offset:204
	buffer_load_dword v98, off, s[0:3], 0 offset:200
	buffer_load_dword v103, off, s[0:3], 0 offset:212
	buffer_load_dword v102, off, s[0:3], 0 offset:208
	;; [unrolled: 9-line block ×10, first 2 shown]
	s_waitcnt vmcnt(2)
	v_fmac_f64_e32 v[94:95], v[98:99], v[100:101]
	ds_read_b128 v[98:101], v96 offset:704
	s_waitcnt vmcnt(0) lgkmcnt(0)
	v_fmac_f64_e32 v[94:95], v[102:103], v[98:99]
	buffer_load_dword v99, off, s[0:3], 0 offset:348
	buffer_load_dword v98, off, s[0:3], 0 offset:344
	s_waitcnt vmcnt(0)
	v_fmac_f64_e32 v[94:95], v[98:99], v[100:101]
	buffer_load_dword v99, off, s[0:3], 0 offset:356
	buffer_load_dword v98, off, s[0:3], 0 offset:352
	ds_read_b64 v[100:101], v96 offset:720
	s_waitcnt vmcnt(0) lgkmcnt(0)
	v_fmac_f64_e32 v[94:95], v[98:99], v[100:101]
	v_add_f64 v[92:93], v[92:93], -v[94:95]
	buffer_store_dword v93, off, s[0:3], 0 offset:108
	buffer_store_dword v92, off, s[0:3], 0 offset:104
	s_and_saveexec_b64 s[4:5], vcc
	s_cbranch_execz .LBB108_253
; %bb.252:
	buffer_load_dword v92, off, s[0:3], 0 offset:96
	buffer_load_dword v93, off, s[0:3], 0 offset:100
	s_waitcnt vmcnt(0)
	ds_write_b64 v1, v[92:93]
	buffer_store_dword v96, off, s[0:3], 0 offset:96
	buffer_store_dword v96, off, s[0:3], 0 offset:100
.LBB108_253:
	s_or_b64 exec, exec, s[4:5]
	s_waitcnt lgkmcnt(0)
	; wave barrier
	s_waitcnt lgkmcnt(0)
	buffer_load_dword v92, off, s[0:3], 0 offset:96
	buffer_load_dword v93, off, s[0:3], 0 offset:100
	;; [unrolled: 1-line block ×16, first 2 shown]
	ds_read2_b64 v[98:101], v96 offset0:59 offset1:60
	v_cmp_lt_u32_e32 vcc, 11, v0
	s_waitcnt vmcnt(12) lgkmcnt(0)
	v_fma_f64 v[94:95], v[94:95], v[98:99], 0
	s_waitcnt vmcnt(10)
	v_fmac_f64_e32 v[94:95], v[102:103], v[100:101]
	ds_read2_b64 v[98:101], v96 offset0:61 offset1:62
	s_waitcnt vmcnt(8) lgkmcnt(0)
	v_fmac_f64_e32 v[94:95], v[104:105], v[98:99]
	s_waitcnt vmcnt(6)
	v_fmac_f64_e32 v[94:95], v[106:107], v[100:101]
	ds_read2_b64 v[98:101], v96 offset0:63 offset1:64
	s_waitcnt vmcnt(4) lgkmcnt(0)
	v_fmac_f64_e32 v[94:95], v[108:109], v[98:99]
	s_waitcnt vmcnt(2)
	v_fmac_f64_e32 v[94:95], v[110:111], v[100:101]
	ds_read2_b64 v[98:101], v96 offset0:65 offset1:66
	s_waitcnt vmcnt(0) lgkmcnt(0)
	v_fmac_f64_e32 v[94:95], v[112:113], v[98:99]
	buffer_load_dword v99, off, s[0:3], 0 offset:164
	buffer_load_dword v98, off, s[0:3], 0 offset:160
	buffer_load_dword v103, off, s[0:3], 0 offset:172
	buffer_load_dword v102, off, s[0:3], 0 offset:168
	s_waitcnt vmcnt(2)
	v_fmac_f64_e32 v[94:95], v[98:99], v[100:101]
	ds_read2_b64 v[98:101], v96 offset0:67 offset1:68
	s_waitcnt vmcnt(0) lgkmcnt(0)
	v_fmac_f64_e32 v[94:95], v[102:103], v[98:99]
	buffer_load_dword v99, off, s[0:3], 0 offset:180
	buffer_load_dword v98, off, s[0:3], 0 offset:176
	buffer_load_dword v103, off, s[0:3], 0 offset:188
	buffer_load_dword v102, off, s[0:3], 0 offset:184
	s_waitcnt vmcnt(2)
	v_fmac_f64_e32 v[94:95], v[98:99], v[100:101]
	ds_read2_b64 v[98:101], v96 offset0:69 offset1:70
	s_waitcnt vmcnt(0) lgkmcnt(0)
	v_fmac_f64_e32 v[94:95], v[102:103], v[98:99]
	;; [unrolled: 9-line block ×11, first 2 shown]
	buffer_load_dword v99, off, s[0:3], 0 offset:340
	buffer_load_dword v98, off, s[0:3], 0 offset:336
	s_waitcnt vmcnt(0)
	v_fmac_f64_e32 v[94:95], v[98:99], v[100:101]
	buffer_load_dword v101, off, s[0:3], 0 offset:348
	buffer_load_dword v100, off, s[0:3], 0 offset:344
	ds_read2_b64 v[96:99], v96 offset0:89 offset1:90
	s_waitcnt vmcnt(0) lgkmcnt(0)
	v_fmac_f64_e32 v[94:95], v[100:101], v[96:97]
	buffer_load_dword v97, off, s[0:3], 0 offset:356
	buffer_load_dword v96, off, s[0:3], 0 offset:352
	s_waitcnt vmcnt(0)
	v_fmac_f64_e32 v[94:95], v[96:97], v[98:99]
	v_add_f64 v[92:93], v[92:93], -v[94:95]
	buffer_store_dword v93, off, s[0:3], 0 offset:100
	buffer_store_dword v92, off, s[0:3], 0 offset:96
	s_and_saveexec_b64 s[4:5], vcc
	s_cbranch_execz .LBB108_255
; %bb.254:
	buffer_load_dword v92, off, s[0:3], 0 offset:88
	buffer_load_dword v93, off, s[0:3], 0 offset:92
	v_mov_b32_e32 v94, 0
	buffer_store_dword v94, off, s[0:3], 0 offset:88
	buffer_store_dword v94, off, s[0:3], 0 offset:92
	s_waitcnt vmcnt(2)
	ds_write_b64 v1, v[92:93]
.LBB108_255:
	s_or_b64 exec, exec, s[4:5]
	s_waitcnt lgkmcnt(0)
	; wave barrier
	s_waitcnt lgkmcnt(0)
	buffer_load_dword v92, off, s[0:3], 0 offset:88
	buffer_load_dword v93, off, s[0:3], 0 offset:92
	;; [unrolled: 1-line block ×16, first 2 shown]
	v_mov_b32_e32 v96, 0
	ds_read_b128 v[98:101], v96 offset:464
	ds_read_b128 v[102:105], v96 offset:480
	;; [unrolled: 1-line block ×4, first 2 shown]
	v_cmp_lt_u32_e32 vcc, 10, v0
	s_waitcnt vmcnt(12) lgkmcnt(3)
	v_fma_f64 v[94:95], v[94:95], v[98:99], 0
	buffer_load_dword v99, off, s[0:3], 0 offset:156
	buffer_load_dword v98, off, s[0:3], 0 offset:152
	s_waitcnt vmcnt(12)
	v_fmac_f64_e32 v[94:95], v[114:115], v[100:101]
	s_waitcnt vmcnt(10) lgkmcnt(2)
	v_fmac_f64_e32 v[94:95], v[116:117], v[102:103]
	buffer_load_dword v103, off, s[0:3], 0 offset:164
	buffer_load_dword v102, off, s[0:3], 0 offset:160
	s_waitcnt vmcnt(10)
	v_fmac_f64_e32 v[94:95], v[118:119], v[104:105]
	s_waitcnt vmcnt(8) lgkmcnt(1)
	v_fmac_f64_e32 v[94:95], v[120:121], v[106:107]
	s_waitcnt vmcnt(6)
	v_fmac_f64_e32 v[94:95], v[122:123], v[108:109]
	s_waitcnt vmcnt(4) lgkmcnt(0)
	v_fmac_f64_e32 v[94:95], v[124:125], v[110:111]
	s_waitcnt vmcnt(2)
	v_fmac_f64_e32 v[94:95], v[98:99], v[112:113]
	ds_read_b128 v[98:101], v96 offset:528
	s_waitcnt vmcnt(0) lgkmcnt(0)
	v_fmac_f64_e32 v[94:95], v[102:103], v[98:99]
	buffer_load_dword v99, off, s[0:3], 0 offset:172
	buffer_load_dword v98, off, s[0:3], 0 offset:168
	buffer_load_dword v103, off, s[0:3], 0 offset:180
	buffer_load_dword v102, off, s[0:3], 0 offset:176
	s_waitcnt vmcnt(2)
	v_fmac_f64_e32 v[94:95], v[98:99], v[100:101]
	ds_read_b128 v[98:101], v96 offset:544
	s_waitcnt vmcnt(0) lgkmcnt(0)
	v_fmac_f64_e32 v[94:95], v[102:103], v[98:99]
	buffer_load_dword v99, off, s[0:3], 0 offset:188
	buffer_load_dword v98, off, s[0:3], 0 offset:184
	buffer_load_dword v103, off, s[0:3], 0 offset:196
	buffer_load_dword v102, off, s[0:3], 0 offset:192
	s_waitcnt vmcnt(2)
	v_fmac_f64_e32 v[94:95], v[98:99], v[100:101]
	ds_read_b128 v[98:101], v96 offset:560
	s_waitcnt vmcnt(0) lgkmcnt(0)
	v_fmac_f64_e32 v[94:95], v[102:103], v[98:99]
	buffer_load_dword v99, off, s[0:3], 0 offset:204
	buffer_load_dword v98, off, s[0:3], 0 offset:200
	buffer_load_dword v103, off, s[0:3], 0 offset:212
	buffer_load_dword v102, off, s[0:3], 0 offset:208
	s_waitcnt vmcnt(2)
	v_fmac_f64_e32 v[94:95], v[98:99], v[100:101]
	ds_read_b128 v[98:101], v96 offset:576
	s_waitcnt vmcnt(0) lgkmcnt(0)
	v_fmac_f64_e32 v[94:95], v[102:103], v[98:99]
	buffer_load_dword v99, off, s[0:3], 0 offset:220
	buffer_load_dword v98, off, s[0:3], 0 offset:216
	buffer_load_dword v103, off, s[0:3], 0 offset:228
	buffer_load_dword v102, off, s[0:3], 0 offset:224
	s_waitcnt vmcnt(2)
	v_fmac_f64_e32 v[94:95], v[98:99], v[100:101]
	ds_read_b128 v[98:101], v96 offset:592
	s_waitcnt vmcnt(0) lgkmcnt(0)
	v_fmac_f64_e32 v[94:95], v[102:103], v[98:99]
	buffer_load_dword v99, off, s[0:3], 0 offset:236
	buffer_load_dword v98, off, s[0:3], 0 offset:232
	buffer_load_dword v103, off, s[0:3], 0 offset:244
	buffer_load_dword v102, off, s[0:3], 0 offset:240
	s_waitcnt vmcnt(2)
	v_fmac_f64_e32 v[94:95], v[98:99], v[100:101]
	ds_read_b128 v[98:101], v96 offset:608
	s_waitcnt vmcnt(0) lgkmcnt(0)
	v_fmac_f64_e32 v[94:95], v[102:103], v[98:99]
	buffer_load_dword v99, off, s[0:3], 0 offset:252
	buffer_load_dword v98, off, s[0:3], 0 offset:248
	buffer_load_dword v103, off, s[0:3], 0 offset:260
	buffer_load_dword v102, off, s[0:3], 0 offset:256
	s_waitcnt vmcnt(2)
	v_fmac_f64_e32 v[94:95], v[98:99], v[100:101]
	ds_read_b128 v[98:101], v96 offset:624
	s_waitcnt vmcnt(0) lgkmcnt(0)
	v_fmac_f64_e32 v[94:95], v[102:103], v[98:99]
	buffer_load_dword v99, off, s[0:3], 0 offset:268
	buffer_load_dword v98, off, s[0:3], 0 offset:264
	buffer_load_dword v103, off, s[0:3], 0 offset:276
	buffer_load_dword v102, off, s[0:3], 0 offset:272
	s_waitcnt vmcnt(2)
	v_fmac_f64_e32 v[94:95], v[98:99], v[100:101]
	ds_read_b128 v[98:101], v96 offset:640
	s_waitcnt vmcnt(0) lgkmcnt(0)
	v_fmac_f64_e32 v[94:95], v[102:103], v[98:99]
	buffer_load_dword v99, off, s[0:3], 0 offset:284
	buffer_load_dword v98, off, s[0:3], 0 offset:280
	buffer_load_dword v103, off, s[0:3], 0 offset:292
	buffer_load_dword v102, off, s[0:3], 0 offset:288
	s_waitcnt vmcnt(2)
	v_fmac_f64_e32 v[94:95], v[98:99], v[100:101]
	ds_read_b128 v[98:101], v96 offset:656
	s_waitcnt vmcnt(0) lgkmcnt(0)
	v_fmac_f64_e32 v[94:95], v[102:103], v[98:99]
	buffer_load_dword v99, off, s[0:3], 0 offset:300
	buffer_load_dword v98, off, s[0:3], 0 offset:296
	buffer_load_dword v103, off, s[0:3], 0 offset:308
	buffer_load_dword v102, off, s[0:3], 0 offset:304
	s_waitcnt vmcnt(2)
	v_fmac_f64_e32 v[94:95], v[98:99], v[100:101]
	ds_read_b128 v[98:101], v96 offset:672
	s_waitcnt vmcnt(0) lgkmcnt(0)
	v_fmac_f64_e32 v[94:95], v[102:103], v[98:99]
	buffer_load_dword v99, off, s[0:3], 0 offset:316
	buffer_load_dword v98, off, s[0:3], 0 offset:312
	buffer_load_dword v103, off, s[0:3], 0 offset:324
	buffer_load_dword v102, off, s[0:3], 0 offset:320
	s_waitcnt vmcnt(2)
	v_fmac_f64_e32 v[94:95], v[98:99], v[100:101]
	ds_read_b128 v[98:101], v96 offset:688
	s_waitcnt vmcnt(0) lgkmcnt(0)
	v_fmac_f64_e32 v[94:95], v[102:103], v[98:99]
	buffer_load_dword v99, off, s[0:3], 0 offset:332
	buffer_load_dword v98, off, s[0:3], 0 offset:328
	buffer_load_dword v103, off, s[0:3], 0 offset:340
	buffer_load_dword v102, off, s[0:3], 0 offset:336
	s_waitcnt vmcnt(2)
	v_fmac_f64_e32 v[94:95], v[98:99], v[100:101]
	ds_read_b128 v[98:101], v96 offset:704
	s_waitcnt vmcnt(0) lgkmcnt(0)
	v_fmac_f64_e32 v[94:95], v[102:103], v[98:99]
	buffer_load_dword v99, off, s[0:3], 0 offset:348
	buffer_load_dword v98, off, s[0:3], 0 offset:344
	s_waitcnt vmcnt(0)
	v_fmac_f64_e32 v[94:95], v[98:99], v[100:101]
	buffer_load_dword v99, off, s[0:3], 0 offset:356
	buffer_load_dword v98, off, s[0:3], 0 offset:352
	ds_read_b64 v[100:101], v96 offset:720
	s_waitcnt vmcnt(0) lgkmcnt(0)
	v_fmac_f64_e32 v[94:95], v[98:99], v[100:101]
	v_add_f64 v[92:93], v[92:93], -v[94:95]
	buffer_store_dword v93, off, s[0:3], 0 offset:92
	buffer_store_dword v92, off, s[0:3], 0 offset:88
	s_and_saveexec_b64 s[4:5], vcc
	s_cbranch_execz .LBB108_257
; %bb.256:
	buffer_load_dword v92, off, s[0:3], 0 offset:80
	buffer_load_dword v93, off, s[0:3], 0 offset:84
	s_waitcnt vmcnt(0)
	ds_write_b64 v1, v[92:93]
	buffer_store_dword v96, off, s[0:3], 0 offset:80
	buffer_store_dword v96, off, s[0:3], 0 offset:84
.LBB108_257:
	s_or_b64 exec, exec, s[4:5]
	s_waitcnt lgkmcnt(0)
	; wave barrier
	s_waitcnt lgkmcnt(0)
	buffer_load_dword v92, off, s[0:3], 0 offset:80
	buffer_load_dword v93, off, s[0:3], 0 offset:84
	;; [unrolled: 1-line block ×16, first 2 shown]
	ds_read2_b64 v[98:101], v96 offset0:57 offset1:58
	v_cmp_lt_u32_e32 vcc, 9, v0
	s_waitcnt vmcnt(12) lgkmcnt(0)
	v_fma_f64 v[94:95], v[94:95], v[98:99], 0
	s_waitcnt vmcnt(10)
	v_fmac_f64_e32 v[94:95], v[102:103], v[100:101]
	ds_read2_b64 v[98:101], v96 offset0:59 offset1:60
	s_waitcnt vmcnt(8) lgkmcnt(0)
	v_fmac_f64_e32 v[94:95], v[104:105], v[98:99]
	s_waitcnt vmcnt(6)
	v_fmac_f64_e32 v[94:95], v[106:107], v[100:101]
	ds_read2_b64 v[98:101], v96 offset0:61 offset1:62
	s_waitcnt vmcnt(4) lgkmcnt(0)
	v_fmac_f64_e32 v[94:95], v[108:109], v[98:99]
	;; [unrolled: 5-line block ×3, first 2 shown]
	buffer_load_dword v99, off, s[0:3], 0 offset:148
	buffer_load_dword v98, off, s[0:3], 0 offset:144
	buffer_load_dword v103, off, s[0:3], 0 offset:156
	buffer_load_dword v102, off, s[0:3], 0 offset:152
	s_waitcnt vmcnt(2)
	v_fmac_f64_e32 v[94:95], v[98:99], v[100:101]
	ds_read2_b64 v[98:101], v96 offset0:65 offset1:66
	s_waitcnt vmcnt(0) lgkmcnt(0)
	v_fmac_f64_e32 v[94:95], v[102:103], v[98:99]
	buffer_load_dword v99, off, s[0:3], 0 offset:164
	buffer_load_dword v98, off, s[0:3], 0 offset:160
	buffer_load_dword v103, off, s[0:3], 0 offset:172
	buffer_load_dword v102, off, s[0:3], 0 offset:168
	s_waitcnt vmcnt(2)
	v_fmac_f64_e32 v[94:95], v[98:99], v[100:101]
	ds_read2_b64 v[98:101], v96 offset0:67 offset1:68
	s_waitcnt vmcnt(0) lgkmcnt(0)
	v_fmac_f64_e32 v[94:95], v[102:103], v[98:99]
	buffer_load_dword v99, off, s[0:3], 0 offset:180
	buffer_load_dword v98, off, s[0:3], 0 offset:176
	buffer_load_dword v103, off, s[0:3], 0 offset:188
	buffer_load_dword v102, off, s[0:3], 0 offset:184
	s_waitcnt vmcnt(2)
	v_fmac_f64_e32 v[94:95], v[98:99], v[100:101]
	ds_read2_b64 v[98:101], v96 offset0:69 offset1:70
	s_waitcnt vmcnt(0) lgkmcnt(0)
	v_fmac_f64_e32 v[94:95], v[102:103], v[98:99]
	buffer_load_dword v99, off, s[0:3], 0 offset:196
	buffer_load_dword v98, off, s[0:3], 0 offset:192
	buffer_load_dword v103, off, s[0:3], 0 offset:204
	buffer_load_dword v102, off, s[0:3], 0 offset:200
	s_waitcnt vmcnt(2)
	v_fmac_f64_e32 v[94:95], v[98:99], v[100:101]
	ds_read2_b64 v[98:101], v96 offset0:71 offset1:72
	s_waitcnt vmcnt(0) lgkmcnt(0)
	v_fmac_f64_e32 v[94:95], v[102:103], v[98:99]
	buffer_load_dword v99, off, s[0:3], 0 offset:212
	buffer_load_dword v98, off, s[0:3], 0 offset:208
	buffer_load_dword v103, off, s[0:3], 0 offset:220
	buffer_load_dword v102, off, s[0:3], 0 offset:216
	s_waitcnt vmcnt(2)
	v_fmac_f64_e32 v[94:95], v[98:99], v[100:101]
	ds_read2_b64 v[98:101], v96 offset0:73 offset1:74
	s_waitcnt vmcnt(0) lgkmcnt(0)
	v_fmac_f64_e32 v[94:95], v[102:103], v[98:99]
	buffer_load_dword v99, off, s[0:3], 0 offset:228
	buffer_load_dword v98, off, s[0:3], 0 offset:224
	buffer_load_dword v103, off, s[0:3], 0 offset:236
	buffer_load_dword v102, off, s[0:3], 0 offset:232
	s_waitcnt vmcnt(2)
	v_fmac_f64_e32 v[94:95], v[98:99], v[100:101]
	ds_read2_b64 v[98:101], v96 offset0:75 offset1:76
	s_waitcnt vmcnt(0) lgkmcnt(0)
	v_fmac_f64_e32 v[94:95], v[102:103], v[98:99]
	buffer_load_dword v99, off, s[0:3], 0 offset:244
	buffer_load_dword v98, off, s[0:3], 0 offset:240
	buffer_load_dword v103, off, s[0:3], 0 offset:252
	buffer_load_dword v102, off, s[0:3], 0 offset:248
	s_waitcnt vmcnt(2)
	v_fmac_f64_e32 v[94:95], v[98:99], v[100:101]
	ds_read2_b64 v[98:101], v96 offset0:77 offset1:78
	s_waitcnt vmcnt(0) lgkmcnt(0)
	v_fmac_f64_e32 v[94:95], v[102:103], v[98:99]
	buffer_load_dword v99, off, s[0:3], 0 offset:260
	buffer_load_dword v98, off, s[0:3], 0 offset:256
	buffer_load_dword v103, off, s[0:3], 0 offset:268
	buffer_load_dword v102, off, s[0:3], 0 offset:264
	s_waitcnt vmcnt(2)
	v_fmac_f64_e32 v[94:95], v[98:99], v[100:101]
	ds_read2_b64 v[98:101], v96 offset0:79 offset1:80
	s_waitcnt vmcnt(0) lgkmcnt(0)
	v_fmac_f64_e32 v[94:95], v[102:103], v[98:99]
	buffer_load_dword v99, off, s[0:3], 0 offset:276
	buffer_load_dword v98, off, s[0:3], 0 offset:272
	buffer_load_dword v103, off, s[0:3], 0 offset:284
	buffer_load_dword v102, off, s[0:3], 0 offset:280
	s_waitcnt vmcnt(2)
	v_fmac_f64_e32 v[94:95], v[98:99], v[100:101]
	ds_read2_b64 v[98:101], v96 offset0:81 offset1:82
	s_waitcnt vmcnt(0) lgkmcnt(0)
	v_fmac_f64_e32 v[94:95], v[102:103], v[98:99]
	buffer_load_dword v99, off, s[0:3], 0 offset:292
	buffer_load_dword v98, off, s[0:3], 0 offset:288
	buffer_load_dword v103, off, s[0:3], 0 offset:300
	buffer_load_dword v102, off, s[0:3], 0 offset:296
	s_waitcnt vmcnt(2)
	v_fmac_f64_e32 v[94:95], v[98:99], v[100:101]
	ds_read2_b64 v[98:101], v96 offset0:83 offset1:84
	s_waitcnt vmcnt(0) lgkmcnt(0)
	v_fmac_f64_e32 v[94:95], v[102:103], v[98:99]
	buffer_load_dword v99, off, s[0:3], 0 offset:308
	buffer_load_dword v98, off, s[0:3], 0 offset:304
	buffer_load_dword v103, off, s[0:3], 0 offset:316
	buffer_load_dword v102, off, s[0:3], 0 offset:312
	s_waitcnt vmcnt(2)
	v_fmac_f64_e32 v[94:95], v[98:99], v[100:101]
	ds_read2_b64 v[98:101], v96 offset0:85 offset1:86
	s_waitcnt vmcnt(0) lgkmcnt(0)
	v_fmac_f64_e32 v[94:95], v[102:103], v[98:99]
	buffer_load_dword v99, off, s[0:3], 0 offset:324
	buffer_load_dword v98, off, s[0:3], 0 offset:320
	buffer_load_dword v103, off, s[0:3], 0 offset:332
	buffer_load_dword v102, off, s[0:3], 0 offset:328
	s_waitcnt vmcnt(2)
	v_fmac_f64_e32 v[94:95], v[98:99], v[100:101]
	ds_read2_b64 v[98:101], v96 offset0:87 offset1:88
	s_waitcnt vmcnt(0) lgkmcnt(0)
	v_fmac_f64_e32 v[94:95], v[102:103], v[98:99]
	buffer_load_dword v99, off, s[0:3], 0 offset:340
	buffer_load_dword v98, off, s[0:3], 0 offset:336
	s_waitcnt vmcnt(0)
	v_fmac_f64_e32 v[94:95], v[98:99], v[100:101]
	buffer_load_dword v101, off, s[0:3], 0 offset:348
	buffer_load_dword v100, off, s[0:3], 0 offset:344
	ds_read2_b64 v[96:99], v96 offset0:89 offset1:90
	s_waitcnt vmcnt(0) lgkmcnt(0)
	v_fmac_f64_e32 v[94:95], v[100:101], v[96:97]
	buffer_load_dword v97, off, s[0:3], 0 offset:356
	buffer_load_dword v96, off, s[0:3], 0 offset:352
	s_waitcnt vmcnt(0)
	v_fmac_f64_e32 v[94:95], v[96:97], v[98:99]
	v_add_f64 v[92:93], v[92:93], -v[94:95]
	buffer_store_dword v93, off, s[0:3], 0 offset:84
	buffer_store_dword v92, off, s[0:3], 0 offset:80
	s_and_saveexec_b64 s[4:5], vcc
	s_cbranch_execz .LBB108_259
; %bb.258:
	buffer_load_dword v92, off, s[0:3], 0 offset:72
	buffer_load_dword v93, off, s[0:3], 0 offset:76
	v_mov_b32_e32 v94, 0
	buffer_store_dword v94, off, s[0:3], 0 offset:72
	buffer_store_dword v94, off, s[0:3], 0 offset:76
	s_waitcnt vmcnt(2)
	ds_write_b64 v1, v[92:93]
.LBB108_259:
	s_or_b64 exec, exec, s[4:5]
	s_waitcnt lgkmcnt(0)
	; wave barrier
	s_waitcnt lgkmcnt(0)
	buffer_load_dword v92, off, s[0:3], 0 offset:72
	buffer_load_dword v93, off, s[0:3], 0 offset:76
	;; [unrolled: 1-line block ×16, first 2 shown]
	v_mov_b32_e32 v96, 0
	ds_read_b128 v[98:101], v96 offset:448
	ds_read_b128 v[102:105], v96 offset:464
	;; [unrolled: 1-line block ×4, first 2 shown]
	v_cmp_lt_u32_e32 vcc, 8, v0
	s_waitcnt vmcnt(12) lgkmcnt(3)
	v_fma_f64 v[94:95], v[94:95], v[98:99], 0
	buffer_load_dword v99, off, s[0:3], 0 offset:140
	buffer_load_dword v98, off, s[0:3], 0 offset:136
	s_waitcnt vmcnt(12)
	v_fmac_f64_e32 v[94:95], v[114:115], v[100:101]
	s_waitcnt vmcnt(10) lgkmcnt(2)
	v_fmac_f64_e32 v[94:95], v[116:117], v[102:103]
	buffer_load_dword v103, off, s[0:3], 0 offset:148
	buffer_load_dword v102, off, s[0:3], 0 offset:144
	s_waitcnt vmcnt(10)
	v_fmac_f64_e32 v[94:95], v[118:119], v[104:105]
	s_waitcnt vmcnt(8) lgkmcnt(1)
	v_fmac_f64_e32 v[94:95], v[120:121], v[106:107]
	s_waitcnt vmcnt(6)
	v_fmac_f64_e32 v[94:95], v[122:123], v[108:109]
	s_waitcnt vmcnt(4) lgkmcnt(0)
	v_fmac_f64_e32 v[94:95], v[124:125], v[110:111]
	s_waitcnt vmcnt(2)
	v_fmac_f64_e32 v[94:95], v[98:99], v[112:113]
	ds_read_b128 v[98:101], v96 offset:512
	s_waitcnt vmcnt(0) lgkmcnt(0)
	v_fmac_f64_e32 v[94:95], v[102:103], v[98:99]
	buffer_load_dword v99, off, s[0:3], 0 offset:156
	buffer_load_dword v98, off, s[0:3], 0 offset:152
	buffer_load_dword v103, off, s[0:3], 0 offset:164
	buffer_load_dword v102, off, s[0:3], 0 offset:160
	s_waitcnt vmcnt(2)
	v_fmac_f64_e32 v[94:95], v[98:99], v[100:101]
	ds_read_b128 v[98:101], v96 offset:528
	s_waitcnt vmcnt(0) lgkmcnt(0)
	v_fmac_f64_e32 v[94:95], v[102:103], v[98:99]
	buffer_load_dword v99, off, s[0:3], 0 offset:172
	buffer_load_dword v98, off, s[0:3], 0 offset:168
	buffer_load_dword v103, off, s[0:3], 0 offset:180
	buffer_load_dword v102, off, s[0:3], 0 offset:176
	;; [unrolled: 9-line block ×12, first 2 shown]
	s_waitcnt vmcnt(2)
	v_fmac_f64_e32 v[94:95], v[98:99], v[100:101]
	ds_read_b128 v[98:101], v96 offset:704
	s_waitcnt vmcnt(0) lgkmcnt(0)
	v_fmac_f64_e32 v[94:95], v[102:103], v[98:99]
	buffer_load_dword v99, off, s[0:3], 0 offset:348
	buffer_load_dword v98, off, s[0:3], 0 offset:344
	s_waitcnt vmcnt(0)
	v_fmac_f64_e32 v[94:95], v[98:99], v[100:101]
	buffer_load_dword v99, off, s[0:3], 0 offset:356
	buffer_load_dword v98, off, s[0:3], 0 offset:352
	ds_read_b64 v[100:101], v96 offset:720
	s_waitcnt vmcnt(0) lgkmcnt(0)
	v_fmac_f64_e32 v[94:95], v[98:99], v[100:101]
	v_add_f64 v[92:93], v[92:93], -v[94:95]
	buffer_store_dword v93, off, s[0:3], 0 offset:76
	buffer_store_dword v92, off, s[0:3], 0 offset:72
	s_and_saveexec_b64 s[4:5], vcc
	s_cbranch_execz .LBB108_261
; %bb.260:
	buffer_load_dword v92, off, s[0:3], 0 offset:64
	buffer_load_dword v93, off, s[0:3], 0 offset:68
	s_waitcnt vmcnt(0)
	ds_write_b64 v1, v[92:93]
	buffer_store_dword v96, off, s[0:3], 0 offset:64
	buffer_store_dword v96, off, s[0:3], 0 offset:68
.LBB108_261:
	s_or_b64 exec, exec, s[4:5]
	s_waitcnt lgkmcnt(0)
	; wave barrier
	s_waitcnt lgkmcnt(0)
	buffer_load_dword v92, off, s[0:3], 0 offset:64
	buffer_load_dword v93, off, s[0:3], 0 offset:68
	;; [unrolled: 1-line block ×16, first 2 shown]
	ds_read2_b64 v[98:101], v96 offset0:55 offset1:56
	v_cmp_lt_u32_e32 vcc, 7, v0
	s_waitcnt vmcnt(12) lgkmcnt(0)
	v_fma_f64 v[94:95], v[94:95], v[98:99], 0
	s_waitcnt vmcnt(10)
	v_fmac_f64_e32 v[94:95], v[102:103], v[100:101]
	ds_read2_b64 v[98:101], v96 offset0:57 offset1:58
	s_waitcnt vmcnt(8) lgkmcnt(0)
	v_fmac_f64_e32 v[94:95], v[104:105], v[98:99]
	s_waitcnt vmcnt(6)
	v_fmac_f64_e32 v[94:95], v[106:107], v[100:101]
	ds_read2_b64 v[98:101], v96 offset0:59 offset1:60
	s_waitcnt vmcnt(4) lgkmcnt(0)
	v_fmac_f64_e32 v[94:95], v[108:109], v[98:99]
	;; [unrolled: 5-line block ×3, first 2 shown]
	buffer_load_dword v99, off, s[0:3], 0 offset:132
	buffer_load_dword v98, off, s[0:3], 0 offset:128
	buffer_load_dword v103, off, s[0:3], 0 offset:140
	buffer_load_dword v102, off, s[0:3], 0 offset:136
	s_waitcnt vmcnt(2)
	v_fmac_f64_e32 v[94:95], v[98:99], v[100:101]
	ds_read2_b64 v[98:101], v96 offset0:63 offset1:64
	s_waitcnt vmcnt(0) lgkmcnt(0)
	v_fmac_f64_e32 v[94:95], v[102:103], v[98:99]
	buffer_load_dword v99, off, s[0:3], 0 offset:148
	buffer_load_dword v98, off, s[0:3], 0 offset:144
	buffer_load_dword v103, off, s[0:3], 0 offset:156
	buffer_load_dword v102, off, s[0:3], 0 offset:152
	s_waitcnt vmcnt(2)
	v_fmac_f64_e32 v[94:95], v[98:99], v[100:101]
	ds_read2_b64 v[98:101], v96 offset0:65 offset1:66
	s_waitcnt vmcnt(0) lgkmcnt(0)
	v_fmac_f64_e32 v[94:95], v[102:103], v[98:99]
	;; [unrolled: 9-line block ×13, first 2 shown]
	buffer_load_dword v99, off, s[0:3], 0 offset:340
	buffer_load_dword v98, off, s[0:3], 0 offset:336
	s_waitcnt vmcnt(0)
	v_fmac_f64_e32 v[94:95], v[98:99], v[100:101]
	buffer_load_dword v101, off, s[0:3], 0 offset:348
	buffer_load_dword v100, off, s[0:3], 0 offset:344
	ds_read2_b64 v[96:99], v96 offset0:89 offset1:90
	s_waitcnt vmcnt(0) lgkmcnt(0)
	v_fmac_f64_e32 v[94:95], v[100:101], v[96:97]
	buffer_load_dword v97, off, s[0:3], 0 offset:356
	buffer_load_dword v96, off, s[0:3], 0 offset:352
	s_waitcnt vmcnt(0)
	v_fmac_f64_e32 v[94:95], v[96:97], v[98:99]
	v_add_f64 v[92:93], v[92:93], -v[94:95]
	buffer_store_dword v93, off, s[0:3], 0 offset:68
	buffer_store_dword v92, off, s[0:3], 0 offset:64
	s_and_saveexec_b64 s[4:5], vcc
	s_cbranch_execz .LBB108_263
; %bb.262:
	buffer_load_dword v92, off, s[0:3], 0 offset:56
	buffer_load_dword v93, off, s[0:3], 0 offset:60
	v_mov_b32_e32 v94, 0
	buffer_store_dword v94, off, s[0:3], 0 offset:56
	buffer_store_dword v94, off, s[0:3], 0 offset:60
	s_waitcnt vmcnt(2)
	ds_write_b64 v1, v[92:93]
.LBB108_263:
	s_or_b64 exec, exec, s[4:5]
	s_waitcnt lgkmcnt(0)
	; wave barrier
	s_waitcnt lgkmcnt(0)
	buffer_load_dword v92, off, s[0:3], 0 offset:56
	buffer_load_dword v93, off, s[0:3], 0 offset:60
	;; [unrolled: 1-line block ×16, first 2 shown]
	v_mov_b32_e32 v96, 0
	ds_read_b128 v[98:101], v96 offset:432
	ds_read_b128 v[102:105], v96 offset:448
	;; [unrolled: 1-line block ×4, first 2 shown]
	v_cmp_lt_u32_e32 vcc, 6, v0
	s_waitcnt vmcnt(12) lgkmcnt(3)
	v_fma_f64 v[94:95], v[94:95], v[98:99], 0
	buffer_load_dword v99, off, s[0:3], 0 offset:124
	buffer_load_dword v98, off, s[0:3], 0 offset:120
	s_waitcnt vmcnt(12)
	v_fmac_f64_e32 v[94:95], v[114:115], v[100:101]
	s_waitcnt vmcnt(10) lgkmcnt(2)
	v_fmac_f64_e32 v[94:95], v[116:117], v[102:103]
	buffer_load_dword v103, off, s[0:3], 0 offset:132
	buffer_load_dword v102, off, s[0:3], 0 offset:128
	s_waitcnt vmcnt(10)
	v_fmac_f64_e32 v[94:95], v[118:119], v[104:105]
	s_waitcnt vmcnt(8) lgkmcnt(1)
	v_fmac_f64_e32 v[94:95], v[120:121], v[106:107]
	s_waitcnt vmcnt(6)
	v_fmac_f64_e32 v[94:95], v[122:123], v[108:109]
	s_waitcnt vmcnt(4) lgkmcnt(0)
	v_fmac_f64_e32 v[94:95], v[124:125], v[110:111]
	s_waitcnt vmcnt(2)
	v_fmac_f64_e32 v[94:95], v[98:99], v[112:113]
	ds_read_b128 v[98:101], v96 offset:496
	s_waitcnt vmcnt(0) lgkmcnt(0)
	v_fmac_f64_e32 v[94:95], v[102:103], v[98:99]
	buffer_load_dword v99, off, s[0:3], 0 offset:140
	buffer_load_dword v98, off, s[0:3], 0 offset:136
	buffer_load_dword v103, off, s[0:3], 0 offset:148
	buffer_load_dword v102, off, s[0:3], 0 offset:144
	s_waitcnt vmcnt(2)
	v_fmac_f64_e32 v[94:95], v[98:99], v[100:101]
	ds_read_b128 v[98:101], v96 offset:512
	s_waitcnt vmcnt(0) lgkmcnt(0)
	v_fmac_f64_e32 v[94:95], v[102:103], v[98:99]
	buffer_load_dword v99, off, s[0:3], 0 offset:156
	buffer_load_dword v98, off, s[0:3], 0 offset:152
	buffer_load_dword v103, off, s[0:3], 0 offset:164
	buffer_load_dword v102, off, s[0:3], 0 offset:160
	;; [unrolled: 9-line block ×13, first 2 shown]
	s_waitcnt vmcnt(2)
	v_fmac_f64_e32 v[94:95], v[98:99], v[100:101]
	ds_read_b128 v[98:101], v96 offset:704
	s_waitcnt vmcnt(0) lgkmcnt(0)
	v_fmac_f64_e32 v[94:95], v[102:103], v[98:99]
	buffer_load_dword v99, off, s[0:3], 0 offset:348
	buffer_load_dword v98, off, s[0:3], 0 offset:344
	s_waitcnt vmcnt(0)
	v_fmac_f64_e32 v[94:95], v[98:99], v[100:101]
	buffer_load_dword v99, off, s[0:3], 0 offset:356
	buffer_load_dword v98, off, s[0:3], 0 offset:352
	ds_read_b64 v[100:101], v96 offset:720
	s_waitcnt vmcnt(0) lgkmcnt(0)
	v_fmac_f64_e32 v[94:95], v[98:99], v[100:101]
	v_add_f64 v[92:93], v[92:93], -v[94:95]
	buffer_store_dword v93, off, s[0:3], 0 offset:60
	buffer_store_dword v92, off, s[0:3], 0 offset:56
	s_and_saveexec_b64 s[4:5], vcc
	s_cbranch_execz .LBB108_265
; %bb.264:
	buffer_load_dword v92, off, s[0:3], 0 offset:48
	buffer_load_dword v93, off, s[0:3], 0 offset:52
	s_waitcnt vmcnt(0)
	ds_write_b64 v1, v[92:93]
	buffer_store_dword v96, off, s[0:3], 0 offset:48
	buffer_store_dword v96, off, s[0:3], 0 offset:52
.LBB108_265:
	s_or_b64 exec, exec, s[4:5]
	s_waitcnt lgkmcnt(0)
	; wave barrier
	s_waitcnt lgkmcnt(0)
	buffer_load_dword v92, off, s[0:3], 0 offset:48
	buffer_load_dword v93, off, s[0:3], 0 offset:52
	;; [unrolled: 1-line block ×16, first 2 shown]
	ds_read2_b64 v[98:101], v96 offset0:53 offset1:54
	v_cmp_lt_u32_e32 vcc, 5, v0
	s_waitcnt vmcnt(12) lgkmcnt(0)
	v_fma_f64 v[94:95], v[94:95], v[98:99], 0
	s_waitcnt vmcnt(10)
	v_fmac_f64_e32 v[94:95], v[102:103], v[100:101]
	ds_read2_b64 v[98:101], v96 offset0:55 offset1:56
	s_waitcnt vmcnt(8) lgkmcnt(0)
	v_fmac_f64_e32 v[94:95], v[104:105], v[98:99]
	s_waitcnt vmcnt(6)
	v_fmac_f64_e32 v[94:95], v[106:107], v[100:101]
	ds_read2_b64 v[98:101], v96 offset0:57 offset1:58
	s_waitcnt vmcnt(4) lgkmcnt(0)
	v_fmac_f64_e32 v[94:95], v[108:109], v[98:99]
	;; [unrolled: 5-line block ×3, first 2 shown]
	buffer_load_dword v99, off, s[0:3], 0 offset:116
	buffer_load_dword v98, off, s[0:3], 0 offset:112
	buffer_load_dword v103, off, s[0:3], 0 offset:124
	buffer_load_dword v102, off, s[0:3], 0 offset:120
	s_waitcnt vmcnt(2)
	v_fmac_f64_e32 v[94:95], v[98:99], v[100:101]
	ds_read2_b64 v[98:101], v96 offset0:61 offset1:62
	s_waitcnt vmcnt(0) lgkmcnt(0)
	v_fmac_f64_e32 v[94:95], v[102:103], v[98:99]
	buffer_load_dword v99, off, s[0:3], 0 offset:132
	buffer_load_dword v98, off, s[0:3], 0 offset:128
	buffer_load_dword v103, off, s[0:3], 0 offset:140
	buffer_load_dword v102, off, s[0:3], 0 offset:136
	s_waitcnt vmcnt(2)
	v_fmac_f64_e32 v[94:95], v[98:99], v[100:101]
	ds_read2_b64 v[98:101], v96 offset0:63 offset1:64
	s_waitcnt vmcnt(0) lgkmcnt(0)
	v_fmac_f64_e32 v[94:95], v[102:103], v[98:99]
	;; [unrolled: 9-line block ×14, first 2 shown]
	buffer_load_dword v99, off, s[0:3], 0 offset:340
	buffer_load_dword v98, off, s[0:3], 0 offset:336
	s_waitcnt vmcnt(0)
	v_fmac_f64_e32 v[94:95], v[98:99], v[100:101]
	buffer_load_dword v101, off, s[0:3], 0 offset:348
	buffer_load_dword v100, off, s[0:3], 0 offset:344
	ds_read2_b64 v[96:99], v96 offset0:89 offset1:90
	s_waitcnt vmcnt(0) lgkmcnt(0)
	v_fmac_f64_e32 v[94:95], v[100:101], v[96:97]
	buffer_load_dword v97, off, s[0:3], 0 offset:356
	buffer_load_dword v96, off, s[0:3], 0 offset:352
	s_waitcnt vmcnt(0)
	v_fmac_f64_e32 v[94:95], v[96:97], v[98:99]
	v_add_f64 v[92:93], v[92:93], -v[94:95]
	buffer_store_dword v93, off, s[0:3], 0 offset:52
	buffer_store_dword v92, off, s[0:3], 0 offset:48
	s_and_saveexec_b64 s[4:5], vcc
	s_cbranch_execz .LBB108_267
; %bb.266:
	buffer_load_dword v92, off, s[0:3], 0 offset:40
	buffer_load_dword v93, off, s[0:3], 0 offset:44
	v_mov_b32_e32 v94, 0
	buffer_store_dword v94, off, s[0:3], 0 offset:40
	buffer_store_dword v94, off, s[0:3], 0 offset:44
	s_waitcnt vmcnt(2)
	ds_write_b64 v1, v[92:93]
.LBB108_267:
	s_or_b64 exec, exec, s[4:5]
	s_waitcnt lgkmcnt(0)
	; wave barrier
	s_waitcnt lgkmcnt(0)
	buffer_load_dword v92, off, s[0:3], 0 offset:40
	buffer_load_dword v93, off, s[0:3], 0 offset:44
	;; [unrolled: 1-line block ×16, first 2 shown]
	v_mov_b32_e32 v96, 0
	ds_read_b128 v[98:101], v96 offset:416
	ds_read_b128 v[102:105], v96 offset:432
	;; [unrolled: 1-line block ×4, first 2 shown]
	v_cmp_lt_u32_e32 vcc, 4, v0
	s_waitcnt vmcnt(12) lgkmcnt(3)
	v_fma_f64 v[94:95], v[94:95], v[98:99], 0
	buffer_load_dword v99, off, s[0:3], 0 offset:108
	buffer_load_dword v98, off, s[0:3], 0 offset:104
	s_waitcnt vmcnt(12)
	v_fmac_f64_e32 v[94:95], v[114:115], v[100:101]
	s_waitcnt vmcnt(10) lgkmcnt(2)
	v_fmac_f64_e32 v[94:95], v[116:117], v[102:103]
	buffer_load_dword v103, off, s[0:3], 0 offset:116
	buffer_load_dword v102, off, s[0:3], 0 offset:112
	s_waitcnt vmcnt(10)
	v_fmac_f64_e32 v[94:95], v[118:119], v[104:105]
	s_waitcnt vmcnt(8) lgkmcnt(1)
	v_fmac_f64_e32 v[94:95], v[120:121], v[106:107]
	s_waitcnt vmcnt(6)
	v_fmac_f64_e32 v[94:95], v[122:123], v[108:109]
	s_waitcnt vmcnt(4) lgkmcnt(0)
	v_fmac_f64_e32 v[94:95], v[124:125], v[110:111]
	s_waitcnt vmcnt(2)
	v_fmac_f64_e32 v[94:95], v[98:99], v[112:113]
	ds_read_b128 v[98:101], v96 offset:480
	s_waitcnt vmcnt(0) lgkmcnt(0)
	v_fmac_f64_e32 v[94:95], v[102:103], v[98:99]
	buffer_load_dword v99, off, s[0:3], 0 offset:124
	buffer_load_dword v98, off, s[0:3], 0 offset:120
	buffer_load_dword v103, off, s[0:3], 0 offset:132
	buffer_load_dword v102, off, s[0:3], 0 offset:128
	s_waitcnt vmcnt(2)
	v_fmac_f64_e32 v[94:95], v[98:99], v[100:101]
	ds_read_b128 v[98:101], v96 offset:496
	s_waitcnt vmcnt(0) lgkmcnt(0)
	v_fmac_f64_e32 v[94:95], v[102:103], v[98:99]
	buffer_load_dword v99, off, s[0:3], 0 offset:140
	buffer_load_dword v98, off, s[0:3], 0 offset:136
	buffer_load_dword v103, off, s[0:3], 0 offset:148
	buffer_load_dword v102, off, s[0:3], 0 offset:144
	;; [unrolled: 9-line block ×14, first 2 shown]
	s_waitcnt vmcnt(2)
	v_fmac_f64_e32 v[94:95], v[98:99], v[100:101]
	ds_read_b128 v[98:101], v96 offset:704
	s_waitcnt vmcnt(0) lgkmcnt(0)
	v_fmac_f64_e32 v[94:95], v[102:103], v[98:99]
	buffer_load_dword v99, off, s[0:3], 0 offset:348
	buffer_load_dword v98, off, s[0:3], 0 offset:344
	s_waitcnt vmcnt(0)
	v_fmac_f64_e32 v[94:95], v[98:99], v[100:101]
	buffer_load_dword v99, off, s[0:3], 0 offset:356
	buffer_load_dword v98, off, s[0:3], 0 offset:352
	ds_read_b64 v[100:101], v96 offset:720
	s_waitcnt vmcnt(0) lgkmcnt(0)
	v_fmac_f64_e32 v[94:95], v[98:99], v[100:101]
	v_add_f64 v[92:93], v[92:93], -v[94:95]
	buffer_store_dword v93, off, s[0:3], 0 offset:44
	buffer_store_dword v92, off, s[0:3], 0 offset:40
	s_and_saveexec_b64 s[4:5], vcc
	s_cbranch_execz .LBB108_269
; %bb.268:
	buffer_load_dword v92, off, s[0:3], 0 offset:32
	buffer_load_dword v93, off, s[0:3], 0 offset:36
	s_waitcnt vmcnt(0)
	ds_write_b64 v1, v[92:93]
	buffer_store_dword v96, off, s[0:3], 0 offset:32
	buffer_store_dword v96, off, s[0:3], 0 offset:36
.LBB108_269:
	s_or_b64 exec, exec, s[4:5]
	s_waitcnt lgkmcnt(0)
	; wave barrier
	s_waitcnt lgkmcnt(0)
	buffer_load_dword v92, off, s[0:3], 0 offset:32
	buffer_load_dword v93, off, s[0:3], 0 offset:36
	;; [unrolled: 1-line block ×16, first 2 shown]
	ds_read2_b64 v[98:101], v96 offset0:51 offset1:52
	v_cmp_lt_u32_e32 vcc, 3, v0
	s_waitcnt vmcnt(12) lgkmcnt(0)
	v_fma_f64 v[94:95], v[94:95], v[98:99], 0
	s_waitcnt vmcnt(10)
	v_fmac_f64_e32 v[94:95], v[102:103], v[100:101]
	ds_read2_b64 v[98:101], v96 offset0:53 offset1:54
	s_waitcnt vmcnt(8) lgkmcnt(0)
	v_fmac_f64_e32 v[94:95], v[104:105], v[98:99]
	s_waitcnt vmcnt(6)
	v_fmac_f64_e32 v[94:95], v[106:107], v[100:101]
	ds_read2_b64 v[98:101], v96 offset0:55 offset1:56
	s_waitcnt vmcnt(4) lgkmcnt(0)
	v_fmac_f64_e32 v[94:95], v[108:109], v[98:99]
	;; [unrolled: 5-line block ×3, first 2 shown]
	buffer_load_dword v99, off, s[0:3], 0 offset:100
	buffer_load_dword v98, off, s[0:3], 0 offset:96
	buffer_load_dword v103, off, s[0:3], 0 offset:108
	buffer_load_dword v102, off, s[0:3], 0 offset:104
	s_waitcnt vmcnt(2)
	v_fmac_f64_e32 v[94:95], v[98:99], v[100:101]
	ds_read2_b64 v[98:101], v96 offset0:59 offset1:60
	s_waitcnt vmcnt(0) lgkmcnt(0)
	v_fmac_f64_e32 v[94:95], v[102:103], v[98:99]
	buffer_load_dword v99, off, s[0:3], 0 offset:116
	buffer_load_dword v98, off, s[0:3], 0 offset:112
	buffer_load_dword v103, off, s[0:3], 0 offset:124
	buffer_load_dword v102, off, s[0:3], 0 offset:120
	s_waitcnt vmcnt(2)
	v_fmac_f64_e32 v[94:95], v[98:99], v[100:101]
	ds_read2_b64 v[98:101], v96 offset0:61 offset1:62
	s_waitcnt vmcnt(0) lgkmcnt(0)
	v_fmac_f64_e32 v[94:95], v[102:103], v[98:99]
	;; [unrolled: 9-line block ×15, first 2 shown]
	buffer_load_dword v99, off, s[0:3], 0 offset:340
	buffer_load_dword v98, off, s[0:3], 0 offset:336
	s_waitcnt vmcnt(0)
	v_fmac_f64_e32 v[94:95], v[98:99], v[100:101]
	buffer_load_dword v101, off, s[0:3], 0 offset:348
	buffer_load_dword v100, off, s[0:3], 0 offset:344
	ds_read2_b64 v[96:99], v96 offset0:89 offset1:90
	s_waitcnt vmcnt(0) lgkmcnt(0)
	v_fmac_f64_e32 v[94:95], v[100:101], v[96:97]
	buffer_load_dword v97, off, s[0:3], 0 offset:356
	buffer_load_dword v96, off, s[0:3], 0 offset:352
	s_waitcnt vmcnt(0)
	v_fmac_f64_e32 v[94:95], v[96:97], v[98:99]
	v_add_f64 v[92:93], v[92:93], -v[94:95]
	buffer_store_dword v93, off, s[0:3], 0 offset:36
	buffer_store_dword v92, off, s[0:3], 0 offset:32
	s_and_saveexec_b64 s[4:5], vcc
	s_cbranch_execz .LBB108_271
; %bb.270:
	buffer_load_dword v92, off, s[0:3], 0 offset:24
	buffer_load_dword v93, off, s[0:3], 0 offset:28
	v_mov_b32_e32 v94, 0
	buffer_store_dword v94, off, s[0:3], 0 offset:24
	buffer_store_dword v94, off, s[0:3], 0 offset:28
	s_waitcnt vmcnt(2)
	ds_write_b64 v1, v[92:93]
.LBB108_271:
	s_or_b64 exec, exec, s[4:5]
	s_waitcnt lgkmcnt(0)
	; wave barrier
	s_waitcnt lgkmcnt(0)
	buffer_load_dword v92, off, s[0:3], 0 offset:24
	buffer_load_dword v93, off, s[0:3], 0 offset:28
	;; [unrolled: 1-line block ×16, first 2 shown]
	v_mov_b32_e32 v96, 0
	ds_read_b128 v[98:101], v96 offset:400
	ds_read_b128 v[102:105], v96 offset:416
	;; [unrolled: 1-line block ×4, first 2 shown]
	v_cmp_lt_u32_e32 vcc, 2, v0
	s_waitcnt vmcnt(12) lgkmcnt(3)
	v_fma_f64 v[94:95], v[94:95], v[98:99], 0
	buffer_load_dword v99, off, s[0:3], 0 offset:92
	buffer_load_dword v98, off, s[0:3], 0 offset:88
	s_waitcnt vmcnt(12)
	v_fmac_f64_e32 v[94:95], v[114:115], v[100:101]
	s_waitcnt vmcnt(10) lgkmcnt(2)
	v_fmac_f64_e32 v[94:95], v[116:117], v[102:103]
	buffer_load_dword v103, off, s[0:3], 0 offset:100
	buffer_load_dword v102, off, s[0:3], 0 offset:96
	s_waitcnt vmcnt(10)
	v_fmac_f64_e32 v[94:95], v[118:119], v[104:105]
	s_waitcnt vmcnt(8) lgkmcnt(1)
	v_fmac_f64_e32 v[94:95], v[120:121], v[106:107]
	s_waitcnt vmcnt(6)
	v_fmac_f64_e32 v[94:95], v[122:123], v[108:109]
	s_waitcnt vmcnt(4) lgkmcnt(0)
	v_fmac_f64_e32 v[94:95], v[124:125], v[110:111]
	s_waitcnt vmcnt(2)
	v_fmac_f64_e32 v[94:95], v[98:99], v[112:113]
	ds_read_b128 v[98:101], v96 offset:464
	s_waitcnt vmcnt(0) lgkmcnt(0)
	v_fmac_f64_e32 v[94:95], v[102:103], v[98:99]
	buffer_load_dword v99, off, s[0:3], 0 offset:108
	buffer_load_dword v98, off, s[0:3], 0 offset:104
	buffer_load_dword v103, off, s[0:3], 0 offset:116
	buffer_load_dword v102, off, s[0:3], 0 offset:112
	s_waitcnt vmcnt(2)
	v_fmac_f64_e32 v[94:95], v[98:99], v[100:101]
	ds_read_b128 v[98:101], v96 offset:480
	s_waitcnt vmcnt(0) lgkmcnt(0)
	v_fmac_f64_e32 v[94:95], v[102:103], v[98:99]
	buffer_load_dword v99, off, s[0:3], 0 offset:124
	buffer_load_dword v98, off, s[0:3], 0 offset:120
	buffer_load_dword v103, off, s[0:3], 0 offset:132
	buffer_load_dword v102, off, s[0:3], 0 offset:128
	;; [unrolled: 9-line block ×15, first 2 shown]
	s_waitcnt vmcnt(2)
	v_fmac_f64_e32 v[94:95], v[98:99], v[100:101]
	ds_read_b128 v[98:101], v96 offset:704
	s_waitcnt vmcnt(0) lgkmcnt(0)
	v_fmac_f64_e32 v[94:95], v[102:103], v[98:99]
	buffer_load_dword v99, off, s[0:3], 0 offset:348
	buffer_load_dword v98, off, s[0:3], 0 offset:344
	s_waitcnt vmcnt(0)
	v_fmac_f64_e32 v[94:95], v[98:99], v[100:101]
	buffer_load_dword v99, off, s[0:3], 0 offset:356
	buffer_load_dword v98, off, s[0:3], 0 offset:352
	ds_read_b64 v[100:101], v96 offset:720
	s_waitcnt vmcnt(0) lgkmcnt(0)
	v_fmac_f64_e32 v[94:95], v[98:99], v[100:101]
	v_add_f64 v[92:93], v[92:93], -v[94:95]
	buffer_store_dword v93, off, s[0:3], 0 offset:28
	buffer_store_dword v92, off, s[0:3], 0 offset:24
	s_and_saveexec_b64 s[4:5], vcc
	s_cbranch_execz .LBB108_273
; %bb.272:
	buffer_load_dword v92, off, s[0:3], 0 offset:16
	buffer_load_dword v93, off, s[0:3], 0 offset:20
	s_waitcnt vmcnt(0)
	ds_write_b64 v1, v[92:93]
	buffer_store_dword v96, off, s[0:3], 0 offset:16
	buffer_store_dword v96, off, s[0:3], 0 offset:20
.LBB108_273:
	s_or_b64 exec, exec, s[4:5]
	s_waitcnt lgkmcnt(0)
	; wave barrier
	s_waitcnt lgkmcnt(0)
	buffer_load_dword v92, off, s[0:3], 0 offset:16
	buffer_load_dword v93, off, s[0:3], 0 offset:20
	buffer_load_dword v94, off, s[0:3], 0 offset:24
	buffer_load_dword v95, off, s[0:3], 0 offset:28
	buffer_load_dword v102, off, s[0:3], 0 offset:32
	buffer_load_dword v103, off, s[0:3], 0 offset:36
	buffer_load_dword v104, off, s[0:3], 0 offset:40
	buffer_load_dword v105, off, s[0:3], 0 offset:44
	buffer_load_dword v106, off, s[0:3], 0 offset:48
	buffer_load_dword v107, off, s[0:3], 0 offset:52
	buffer_load_dword v108, off, s[0:3], 0 offset:56
	buffer_load_dword v109, off, s[0:3], 0 offset:60
	buffer_load_dword v110, off, s[0:3], 0 offset:64
	buffer_load_dword v111, off, s[0:3], 0 offset:68
	buffer_load_dword v112, off, s[0:3], 0 offset:72
	buffer_load_dword v113, off, s[0:3], 0 offset:76
	ds_read2_b64 v[98:101], v96 offset0:49 offset1:50
	v_cmp_lt_u32_e32 vcc, 1, v0
	s_waitcnt vmcnt(12) lgkmcnt(0)
	v_fma_f64 v[94:95], v[94:95], v[98:99], 0
	s_waitcnt vmcnt(10)
	v_fmac_f64_e32 v[94:95], v[102:103], v[100:101]
	ds_read2_b64 v[98:101], v96 offset0:51 offset1:52
	s_waitcnt vmcnt(8) lgkmcnt(0)
	v_fmac_f64_e32 v[94:95], v[104:105], v[98:99]
	s_waitcnt vmcnt(6)
	v_fmac_f64_e32 v[94:95], v[106:107], v[100:101]
	ds_read2_b64 v[98:101], v96 offset0:53 offset1:54
	s_waitcnt vmcnt(4) lgkmcnt(0)
	v_fmac_f64_e32 v[94:95], v[108:109], v[98:99]
	;; [unrolled: 5-line block ×3, first 2 shown]
	buffer_load_dword v99, off, s[0:3], 0 offset:84
	buffer_load_dword v98, off, s[0:3], 0 offset:80
	buffer_load_dword v103, off, s[0:3], 0 offset:92
	buffer_load_dword v102, off, s[0:3], 0 offset:88
	s_waitcnt vmcnt(2)
	v_fmac_f64_e32 v[94:95], v[98:99], v[100:101]
	ds_read2_b64 v[98:101], v96 offset0:57 offset1:58
	s_waitcnt vmcnt(0) lgkmcnt(0)
	v_fmac_f64_e32 v[94:95], v[102:103], v[98:99]
	buffer_load_dword v99, off, s[0:3], 0 offset:100
	buffer_load_dword v98, off, s[0:3], 0 offset:96
	buffer_load_dword v103, off, s[0:3], 0 offset:108
	buffer_load_dword v102, off, s[0:3], 0 offset:104
	s_waitcnt vmcnt(2)
	v_fmac_f64_e32 v[94:95], v[98:99], v[100:101]
	ds_read2_b64 v[98:101], v96 offset0:59 offset1:60
	s_waitcnt vmcnt(0) lgkmcnt(0)
	v_fmac_f64_e32 v[94:95], v[102:103], v[98:99]
	;; [unrolled: 9-line block ×16, first 2 shown]
	buffer_load_dword v99, off, s[0:3], 0 offset:340
	buffer_load_dword v98, off, s[0:3], 0 offset:336
	s_waitcnt vmcnt(0)
	v_fmac_f64_e32 v[94:95], v[98:99], v[100:101]
	buffer_load_dword v101, off, s[0:3], 0 offset:348
	buffer_load_dword v100, off, s[0:3], 0 offset:344
	ds_read2_b64 v[96:99], v96 offset0:89 offset1:90
	s_waitcnt vmcnt(0) lgkmcnt(0)
	v_fmac_f64_e32 v[94:95], v[100:101], v[96:97]
	buffer_load_dword v97, off, s[0:3], 0 offset:356
	buffer_load_dword v96, off, s[0:3], 0 offset:352
	s_waitcnt vmcnt(0)
	v_fmac_f64_e32 v[94:95], v[96:97], v[98:99]
	v_add_f64 v[92:93], v[92:93], -v[94:95]
	buffer_store_dword v93, off, s[0:3], 0 offset:20
	buffer_store_dword v92, off, s[0:3], 0 offset:16
	s_and_saveexec_b64 s[4:5], vcc
	s_cbranch_execz .LBB108_275
; %bb.274:
	buffer_load_dword v92, off, s[0:3], 0 offset:8
	buffer_load_dword v93, off, s[0:3], 0 offset:12
	v_mov_b32_e32 v94, 0
	buffer_store_dword v94, off, s[0:3], 0 offset:8
	buffer_store_dword v94, off, s[0:3], 0 offset:12
	s_waitcnt vmcnt(2)
	ds_write_b64 v1, v[92:93]
.LBB108_275:
	s_or_b64 exec, exec, s[4:5]
	s_waitcnt lgkmcnt(0)
	; wave barrier
	s_waitcnt lgkmcnt(0)
	buffer_load_dword v92, off, s[0:3], 0 offset:8
	buffer_load_dword v93, off, s[0:3], 0 offset:12
	;; [unrolled: 1-line block ×16, first 2 shown]
	v_mov_b32_e32 v96, 0
	ds_read_b128 v[98:101], v96 offset:384
	ds_read_b128 v[102:105], v96 offset:400
	;; [unrolled: 1-line block ×4, first 2 shown]
	v_cmp_ne_u32_e32 vcc, 0, v0
	s_waitcnt vmcnt(12) lgkmcnt(3)
	v_fma_f64 v[94:95], v[94:95], v[98:99], 0
	buffer_load_dword v99, off, s[0:3], 0 offset:76
	buffer_load_dword v98, off, s[0:3], 0 offset:72
	s_waitcnt vmcnt(12)
	v_fmac_f64_e32 v[94:95], v[114:115], v[100:101]
	s_waitcnt vmcnt(10) lgkmcnt(2)
	v_fmac_f64_e32 v[94:95], v[116:117], v[102:103]
	buffer_load_dword v103, off, s[0:3], 0 offset:84
	buffer_load_dword v102, off, s[0:3], 0 offset:80
	s_waitcnt vmcnt(10)
	v_fmac_f64_e32 v[94:95], v[118:119], v[104:105]
	s_waitcnt vmcnt(8) lgkmcnt(1)
	v_fmac_f64_e32 v[94:95], v[120:121], v[106:107]
	s_waitcnt vmcnt(6)
	v_fmac_f64_e32 v[94:95], v[122:123], v[108:109]
	s_waitcnt vmcnt(4) lgkmcnt(0)
	v_fmac_f64_e32 v[94:95], v[124:125], v[110:111]
	s_waitcnt vmcnt(2)
	v_fmac_f64_e32 v[94:95], v[98:99], v[112:113]
	ds_read_b128 v[98:101], v96 offset:448
	s_waitcnt vmcnt(0) lgkmcnt(0)
	v_fmac_f64_e32 v[94:95], v[102:103], v[98:99]
	buffer_load_dword v99, off, s[0:3], 0 offset:92
	buffer_load_dword v98, off, s[0:3], 0 offset:88
	buffer_load_dword v103, off, s[0:3], 0 offset:100
	buffer_load_dword v102, off, s[0:3], 0 offset:96
	s_waitcnt vmcnt(2)
	v_fmac_f64_e32 v[94:95], v[98:99], v[100:101]
	ds_read_b128 v[98:101], v96 offset:464
	s_waitcnt vmcnt(0) lgkmcnt(0)
	v_fmac_f64_e32 v[94:95], v[102:103], v[98:99]
	buffer_load_dword v99, off, s[0:3], 0 offset:108
	buffer_load_dword v98, off, s[0:3], 0 offset:104
	buffer_load_dword v103, off, s[0:3], 0 offset:116
	buffer_load_dword v102, off, s[0:3], 0 offset:112
	;; [unrolled: 9-line block ×16, first 2 shown]
	s_waitcnt vmcnt(2)
	v_fmac_f64_e32 v[94:95], v[98:99], v[100:101]
	ds_read_b128 v[98:101], v96 offset:704
	s_waitcnt vmcnt(0) lgkmcnt(0)
	v_fmac_f64_e32 v[94:95], v[102:103], v[98:99]
	buffer_load_dword v99, off, s[0:3], 0 offset:348
	buffer_load_dword v98, off, s[0:3], 0 offset:344
	s_waitcnt vmcnt(0)
	v_fmac_f64_e32 v[94:95], v[98:99], v[100:101]
	buffer_load_dword v99, off, s[0:3], 0 offset:356
	buffer_load_dword v98, off, s[0:3], 0 offset:352
	ds_read_b64 v[100:101], v96 offset:720
	s_waitcnt vmcnt(0) lgkmcnt(0)
	v_fmac_f64_e32 v[94:95], v[98:99], v[100:101]
	v_add_f64 v[92:93], v[92:93], -v[94:95]
	buffer_store_dword v93, off, s[0:3], 0 offset:12
	buffer_store_dword v92, off, s[0:3], 0 offset:8
	s_and_saveexec_b64 s[4:5], vcc
	s_cbranch_execz .LBB108_277
; %bb.276:
	buffer_load_dword v92, off, s[0:3], 0
	buffer_load_dword v93, off, s[0:3], 0 offset:4
	s_waitcnt vmcnt(0)
	ds_write_b64 v1, v[92:93]
	buffer_store_dword v96, off, s[0:3], 0
	buffer_store_dword v96, off, s[0:3], 0 offset:4
.LBB108_277:
	s_or_b64 exec, exec, s[4:5]
	s_waitcnt lgkmcnt(0)
	; wave barrier
	s_waitcnt lgkmcnt(0)
	buffer_load_dword v0, off, s[0:3], 0
	buffer_load_dword v1, off, s[0:3], 0 offset:4
	buffer_load_dword v98, off, s[0:3], 0 offset:8
	;; [unrolled: 1-line block ×15, first 2 shown]
	ds_read2_b64 v[92:95], v96 offset0:47 offset1:48
	s_and_b64 vcc, exec, s[16:17]
	s_waitcnt vmcnt(12) lgkmcnt(0)
	v_fma_f64 v[92:93], v[98:99], v[92:93], 0
	s_waitcnt vmcnt(10)
	v_fmac_f64_e32 v[92:93], v[100:101], v[94:95]
	ds_read2_b64 v[98:101], v96 offset0:49 offset1:50
	s_waitcnt vmcnt(8) lgkmcnt(0)
	v_fmac_f64_e32 v[92:93], v[102:103], v[98:99]
	s_waitcnt vmcnt(6)
	v_fmac_f64_e32 v[92:93], v[104:105], v[100:101]
	ds_read2_b64 v[98:101], v96 offset0:51 offset1:52
	s_waitcnt vmcnt(4) lgkmcnt(0)
	v_fmac_f64_e32 v[92:93], v[106:107], v[98:99]
	s_waitcnt vmcnt(2)
	v_fmac_f64_e32 v[92:93], v[108:109], v[100:101]
	ds_read2_b64 v[98:101], v96 offset0:53 offset1:54
	buffer_load_dword v95, off, s[0:3], 0 offset:68
	buffer_load_dword v94, off, s[0:3], 0 offset:64
	s_waitcnt vmcnt(2) lgkmcnt(0)
	v_fmac_f64_e32 v[92:93], v[110:111], v[98:99]
	s_waitcnt vmcnt(0)
	v_fmac_f64_e32 v[92:93], v[94:95], v[100:101]
	buffer_load_dword v95, off, s[0:3], 0 offset:76
	buffer_load_dword v94, off, s[0:3], 0 offset:72
	ds_read2_b64 v[98:101], v96 offset0:55 offset1:56
	s_waitcnt vmcnt(0) lgkmcnt(0)
	v_fmac_f64_e32 v[92:93], v[94:95], v[98:99]
	buffer_load_dword v95, off, s[0:3], 0 offset:84
	buffer_load_dword v94, off, s[0:3], 0 offset:80
	s_waitcnt vmcnt(0)
	v_fmac_f64_e32 v[92:93], v[94:95], v[100:101]
	buffer_load_dword v95, off, s[0:3], 0 offset:92
	buffer_load_dword v94, off, s[0:3], 0 offset:88
	ds_read2_b64 v[98:101], v96 offset0:57 offset1:58
	s_waitcnt vmcnt(0) lgkmcnt(0)
	v_fmac_f64_e32 v[92:93], v[94:95], v[98:99]
	buffer_load_dword v95, off, s[0:3], 0 offset:100
	buffer_load_dword v94, off, s[0:3], 0 offset:96
	;; [unrolled: 9-line block ×18, first 2 shown]
	s_waitcnt vmcnt(0)
	v_fmac_f64_e32 v[92:93], v[96:97], v[98:99]
	v_add_f64 v[0:1], v[0:1], -v[92:93]
	buffer_store_dword v1, off, s[0:3], 0 offset:4
	buffer_store_dword v0, off, s[0:3], 0
	s_cbranch_vccz .LBB108_367
; %bb.278:
	v_pk_mov_b32 v[0:1], s[10:11], s[10:11] op_sel:[0,1]
	flat_load_dword v0, v[0:1] offset:172
	s_waitcnt vmcnt(0) lgkmcnt(0)
	v_add_u32_e32 v0, -1, v0
	v_cmp_ne_u32_e32 vcc, 43, v0
	s_and_saveexec_b64 s[4:5], vcc
	s_cbranch_execz .LBB108_280
; %bb.279:
	v_mov_b32_e32 v1, 0
	v_lshl_add_u32 v0, v0, 3, v1
	buffer_load_dword v1, v0, s[0:3], 0 offen
	buffer_load_dword v92, v0, s[0:3], 0 offen offset:4
	s_waitcnt vmcnt(1)
	buffer_store_dword v1, off, s[0:3], 0 offset:344
	s_waitcnt vmcnt(1)
	buffer_store_dword v92, off, s[0:3], 0 offset:348
	buffer_store_dword v94, v0, s[0:3], 0 offen
	buffer_store_dword v95, v0, s[0:3], 0 offen offset:4
.LBB108_280:
	s_or_b64 exec, exec, s[4:5]
	v_pk_mov_b32 v[0:1], s[10:11], s[10:11] op_sel:[0,1]
	flat_load_dword v0, v[0:1] offset:168
	s_waitcnt vmcnt(0) lgkmcnt(0)
	v_add_u32_e32 v0, -1, v0
	v_cmp_ne_u32_e32 vcc, 42, v0
	s_and_saveexec_b64 s[4:5], vcc
	s_cbranch_execz .LBB108_282
; %bb.281:
	v_mov_b32_e32 v1, 0
	v_lshl_add_u32 v0, v0, 3, v1
	buffer_load_dword v1, v0, s[0:3], 0 offen
	buffer_load_dword v92, v0, s[0:3], 0 offen offset:4
	buffer_load_dword v93, off, s[0:3], 0 offset:340
	buffer_load_dword v94, off, s[0:3], 0 offset:336
	s_waitcnt vmcnt(3)
	buffer_store_dword v1, off, s[0:3], 0 offset:336
	s_waitcnt vmcnt(3)
	buffer_store_dword v92, off, s[0:3], 0 offset:340
	s_waitcnt vmcnt(3)
	buffer_store_dword v93, v0, s[0:3], 0 offen offset:4
	s_waitcnt vmcnt(3)
	buffer_store_dword v94, v0, s[0:3], 0 offen
.LBB108_282:
	s_or_b64 exec, exec, s[4:5]
	v_pk_mov_b32 v[0:1], s[10:11], s[10:11] op_sel:[0,1]
	flat_load_dword v0, v[0:1] offset:164
	s_waitcnt vmcnt(0) lgkmcnt(0)
	v_add_u32_e32 v0, -1, v0
	v_cmp_ne_u32_e32 vcc, 41, v0
	s_and_saveexec_b64 s[4:5], vcc
	s_cbranch_execz .LBB108_284
; %bb.283:
	v_mov_b32_e32 v1, 0
	v_lshl_add_u32 v0, v0, 3, v1
	buffer_load_dword v1, v0, s[0:3], 0 offen
	buffer_load_dword v92, v0, s[0:3], 0 offen offset:4
	buffer_load_dword v93, off, s[0:3], 0 offset:328
	buffer_load_dword v94, off, s[0:3], 0 offset:332
	s_waitcnt vmcnt(3)
	buffer_store_dword v1, off, s[0:3], 0 offset:328
	s_waitcnt vmcnt(3)
	buffer_store_dword v92, off, s[0:3], 0 offset:332
	s_waitcnt vmcnt(3)
	buffer_store_dword v93, v0, s[0:3], 0 offen
	s_waitcnt vmcnt(3)
	buffer_store_dword v94, v0, s[0:3], 0 offen offset:4
.LBB108_284:
	s_or_b64 exec, exec, s[4:5]
	v_pk_mov_b32 v[0:1], s[10:11], s[10:11] op_sel:[0,1]
	flat_load_dword v0, v[0:1] offset:160
	s_waitcnt vmcnt(0) lgkmcnt(0)
	v_add_u32_e32 v0, -1, v0
	v_cmp_ne_u32_e32 vcc, 40, v0
	s_and_saveexec_b64 s[4:5], vcc
	s_cbranch_execz .LBB108_286
; %bb.285:
	v_mov_b32_e32 v1, 0
	v_lshl_add_u32 v0, v0, 3, v1
	buffer_load_dword v1, v0, s[0:3], 0 offen
	buffer_load_dword v92, v0, s[0:3], 0 offen offset:4
	buffer_load_dword v93, off, s[0:3], 0 offset:324
	buffer_load_dword v94, off, s[0:3], 0 offset:320
	s_waitcnt vmcnt(3)
	buffer_store_dword v1, off, s[0:3], 0 offset:320
	s_waitcnt vmcnt(3)
	buffer_store_dword v92, off, s[0:3], 0 offset:324
	s_waitcnt vmcnt(3)
	buffer_store_dword v93, v0, s[0:3], 0 offen offset:4
	s_waitcnt vmcnt(3)
	buffer_store_dword v94, v0, s[0:3], 0 offen
.LBB108_286:
	s_or_b64 exec, exec, s[4:5]
	v_pk_mov_b32 v[0:1], s[10:11], s[10:11] op_sel:[0,1]
	flat_load_dword v0, v[0:1] offset:156
	s_waitcnt vmcnt(0) lgkmcnt(0)
	v_add_u32_e32 v0, -1, v0
	v_cmp_ne_u32_e32 vcc, 39, v0
	s_and_saveexec_b64 s[4:5], vcc
	s_cbranch_execz .LBB108_288
; %bb.287:
	v_mov_b32_e32 v1, 0
	v_lshl_add_u32 v0, v0, 3, v1
	buffer_load_dword v1, v0, s[0:3], 0 offen
	buffer_load_dword v92, v0, s[0:3], 0 offen offset:4
	buffer_load_dword v93, off, s[0:3], 0 offset:312
	buffer_load_dword v94, off, s[0:3], 0 offset:316
	s_waitcnt vmcnt(3)
	buffer_store_dword v1, off, s[0:3], 0 offset:312
	s_waitcnt vmcnt(3)
	buffer_store_dword v92, off, s[0:3], 0 offset:316
	s_waitcnt vmcnt(3)
	buffer_store_dword v93, v0, s[0:3], 0 offen
	s_waitcnt vmcnt(3)
	buffer_store_dword v94, v0, s[0:3], 0 offen offset:4
.LBB108_288:
	;; [unrolled: 48-line block ×21, first 2 shown]
	s_or_b64 exec, exec, s[4:5]
	v_pk_mov_b32 v[0:1], s[10:11], s[10:11] op_sel:[0,1]
	flat_load_dword v92, v[0:1]
	s_nop 0
	buffer_load_dword v0, off, s[0:3], 0
	buffer_load_dword v1, off, s[0:3], 0 offset:4
	s_waitcnt vmcnt(0) lgkmcnt(0)
	v_add_u32_e32 v92, -1, v92
	v_cmp_ne_u32_e32 vcc, 0, v92
	s_and_saveexec_b64 s[4:5], vcc
	s_cbranch_execz .LBB108_366
; %bb.365:
	v_mov_b32_e32 v93, 0
	v_lshl_add_u32 v92, v92, 3, v93
	buffer_load_dword v93, v92, s[0:3], 0 offen offset:4
	buffer_load_dword v94, v92, s[0:3], 0 offen
	s_waitcnt vmcnt(1)
	buffer_store_dword v93, off, s[0:3], 0 offset:4
	s_waitcnt vmcnt(1)
	buffer_store_dword v94, off, s[0:3], 0
	buffer_store_dword v1, v92, s[0:3], 0 offen offset:4
	buffer_store_dword v0, v92, s[0:3], 0 offen
	buffer_load_dword v0, off, s[0:3], 0
	s_nop 0
	buffer_load_dword v1, off, s[0:3], 0 offset:4
.LBB108_366:
	s_or_b64 exec, exec, s[4:5]
.LBB108_367:
	s_waitcnt vmcnt(0)
	global_store_dwordx2 v[90:91], v[0:1], off
	buffer_load_dword v0, off, s[0:3], 0 offset:8
	s_nop 0
	buffer_load_dword v1, off, s[0:3], 0 offset:12
	buffer_load_dword v90, off, s[0:3], 0 offset:16
	;; [unrolled: 1-line block ×15, first 2 shown]
	s_waitcnt vmcnt(14)
	global_store_dwordx2 v[88:89], v[0:1], off
	s_waitcnt vmcnt(13)
	global_store_dwordx2 v[2:3], v[90:91], off
	;; [unrolled: 2-line block ×8, first 2 shown]
	buffer_load_dword v0, off, s[0:3], 0 offset:72
	buffer_load_dword v1, off, s[0:3], 0 offset:76
	s_waitcnt vmcnt(0)
	global_store_dwordx2 v[14:15], v[0:1], off
	buffer_load_dword v0, off, s[0:3], 0 offset:80
	s_nop 0
	buffer_load_dword v1, off, s[0:3], 0 offset:84
	s_waitcnt vmcnt(0)
	global_store_dwordx2 v[16:17], v[0:1], off
	buffer_load_dword v0, off, s[0:3], 0 offset:88
	s_nop 0
	;; [unrolled: 5-line block ×35, first 2 shown]
	buffer_load_dword v1, off, s[0:3], 0 offset:356
	s_waitcnt vmcnt(0)
	global_store_dwordx2 v[70:71], v[0:1], off
	s_endpgm
	.section	.rodata,"a",@progbits
	.p2align	6, 0x0
	.amdhsa_kernel _ZN9rocsolver6v33100L18getri_kernel_smallILi45EdPKPdEEvT1_iilPiilS6_bb
		.amdhsa_group_segment_fixed_size 728
		.amdhsa_private_segment_fixed_size 368
		.amdhsa_kernarg_size 60
		.amdhsa_user_sgpr_count 8
		.amdhsa_user_sgpr_private_segment_buffer 1
		.amdhsa_user_sgpr_dispatch_ptr 0
		.amdhsa_user_sgpr_queue_ptr 0
		.amdhsa_user_sgpr_kernarg_segment_ptr 1
		.amdhsa_user_sgpr_dispatch_id 0
		.amdhsa_user_sgpr_flat_scratch_init 1
		.amdhsa_user_sgpr_kernarg_preload_length 0
		.amdhsa_user_sgpr_kernarg_preload_offset 0
		.amdhsa_user_sgpr_private_segment_size 0
		.amdhsa_uses_dynamic_stack 0
		.amdhsa_system_sgpr_private_segment_wavefront_offset 1
		.amdhsa_system_sgpr_workgroup_id_x 1
		.amdhsa_system_sgpr_workgroup_id_y 0
		.amdhsa_system_sgpr_workgroup_id_z 0
		.amdhsa_system_sgpr_workgroup_info 0
		.amdhsa_system_vgpr_workitem_id 0
		.amdhsa_next_free_vgpr 128
		.amdhsa_next_free_sgpr 22
		.amdhsa_accum_offset 128
		.amdhsa_reserve_vcc 1
		.amdhsa_reserve_flat_scratch 1
		.amdhsa_float_round_mode_32 0
		.amdhsa_float_round_mode_16_64 0
		.amdhsa_float_denorm_mode_32 3
		.amdhsa_float_denorm_mode_16_64 3
		.amdhsa_dx10_clamp 1
		.amdhsa_ieee_mode 1
		.amdhsa_fp16_overflow 0
		.amdhsa_tg_split 0
		.amdhsa_exception_fp_ieee_invalid_op 0
		.amdhsa_exception_fp_denorm_src 0
		.amdhsa_exception_fp_ieee_div_zero 0
		.amdhsa_exception_fp_ieee_overflow 0
		.amdhsa_exception_fp_ieee_underflow 0
		.amdhsa_exception_fp_ieee_inexact 0
		.amdhsa_exception_int_div_zero 0
	.end_amdhsa_kernel
	.section	.text._ZN9rocsolver6v33100L18getri_kernel_smallILi45EdPKPdEEvT1_iilPiilS6_bb,"axG",@progbits,_ZN9rocsolver6v33100L18getri_kernel_smallILi45EdPKPdEEvT1_iilPiilS6_bb,comdat
.Lfunc_end108:
	.size	_ZN9rocsolver6v33100L18getri_kernel_smallILi45EdPKPdEEvT1_iilPiilS6_bb, .Lfunc_end108-_ZN9rocsolver6v33100L18getri_kernel_smallILi45EdPKPdEEvT1_iilPiilS6_bb
                                        ; -- End function
	.section	.AMDGPU.csdata,"",@progbits
; Kernel info:
; codeLenInByte = 51364
; NumSgprs: 28
; NumVgprs: 128
; NumAgprs: 0
; TotalNumVgprs: 128
; ScratchSize: 368
; MemoryBound: 1
; FloatMode: 240
; IeeeMode: 1
; LDSByteSize: 728 bytes/workgroup (compile time only)
; SGPRBlocks: 3
; VGPRBlocks: 15
; NumSGPRsForWavesPerEU: 28
; NumVGPRsForWavesPerEU: 128
; AccumOffset: 128
; Occupancy: 4
; WaveLimiterHint : 1
; COMPUTE_PGM_RSRC2:SCRATCH_EN: 1
; COMPUTE_PGM_RSRC2:USER_SGPR: 8
; COMPUTE_PGM_RSRC2:TRAP_HANDLER: 0
; COMPUTE_PGM_RSRC2:TGID_X_EN: 1
; COMPUTE_PGM_RSRC2:TGID_Y_EN: 0
; COMPUTE_PGM_RSRC2:TGID_Z_EN: 0
; COMPUTE_PGM_RSRC2:TIDIG_COMP_CNT: 0
; COMPUTE_PGM_RSRC3_GFX90A:ACCUM_OFFSET: 31
; COMPUTE_PGM_RSRC3_GFX90A:TG_SPLIT: 0
	.section	.text._ZN9rocsolver6v33100L18getri_kernel_smallILi46EdPKPdEEvT1_iilPiilS6_bb,"axG",@progbits,_ZN9rocsolver6v33100L18getri_kernel_smallILi46EdPKPdEEvT1_iilPiilS6_bb,comdat
	.globl	_ZN9rocsolver6v33100L18getri_kernel_smallILi46EdPKPdEEvT1_iilPiilS6_bb ; -- Begin function _ZN9rocsolver6v33100L18getri_kernel_smallILi46EdPKPdEEvT1_iilPiilS6_bb
	.p2align	8
	.type	_ZN9rocsolver6v33100L18getri_kernel_smallILi46EdPKPdEEvT1_iilPiilS6_bb,@function
_ZN9rocsolver6v33100L18getri_kernel_smallILi46EdPKPdEEvT1_iilPiilS6_bb: ; @_ZN9rocsolver6v33100L18getri_kernel_smallILi46EdPKPdEEvT1_iilPiilS6_bb
; %bb.0:
	s_add_u32 flat_scratch_lo, s6, s9
	s_addc_u32 flat_scratch_hi, s7, 0
	s_add_u32 s0, s0, s9
	s_addc_u32 s1, s1, 0
	v_cmp_gt_u32_e32 vcc, 46, v0
	s_and_saveexec_b64 s[6:7], vcc
	s_cbranch_execz .LBB109_192
; %bb.1:
	s_load_dword s20, s[4:5], 0x38
	s_load_dwordx2 s[6:7], s[4:5], 0x0
	s_load_dwordx4 s[12:15], s[4:5], 0x28
	s_waitcnt lgkmcnt(0)
	s_bitcmp1_b32 s20, 8
	s_cselect_b64 s[16:17], -1, 0
	s_ashr_i32 s9, s8, 31
	s_lshl_b64 s[10:11], s[8:9], 3
	s_add_u32 s6, s6, s10
	s_addc_u32 s7, s7, s11
	s_load_dwordx2 s[18:19], s[6:7], 0x0
	s_bfe_u32 s6, s20, 0x10008
	s_cmp_eq_u32 s6, 0
                                        ; implicit-def: $sgpr10_sgpr11
	s_cbranch_scc1 .LBB109_3
; %bb.2:
	s_load_dword s6, s[4:5], 0x20
	s_load_dwordx2 s[10:11], s[4:5], 0x18
	s_mul_i32 s7, s8, s13
	s_mul_hi_u32 s13, s8, s12
	s_add_i32 s13, s13, s7
	s_mul_i32 s21, s9, s12
	s_add_i32 s13, s13, s21
	s_mul_i32 s12, s8, s12
	s_waitcnt lgkmcnt(0)
	s_ashr_i32 s7, s6, 31
	s_lshl_b64 s[12:13], s[12:13], 2
	s_add_u32 s10, s10, s12
	s_addc_u32 s11, s11, s13
	s_lshl_b64 s[6:7], s[6:7], 2
	s_add_u32 s10, s10, s6
	s_addc_u32 s11, s11, s7
.LBB109_3:
	s_load_dwordx2 s[6:7], s[4:5], 0x8
	s_waitcnt lgkmcnt(0)
	s_ashr_i32 s5, s6, 31
	s_mov_b32 s4, s6
	s_lshl_b64 s[4:5], s[4:5], 3
	s_add_u32 s4, s18, s4
	s_addc_u32 s5, s19, s5
	s_add_i32 s6, s7, s7
	v_add_u32_e32 v4, s6, v0
	v_ashrrev_i32_e32 v5, 31, v4
	v_lshlrev_b64 v[2:3], 3, v[4:5]
	v_add_u32_e32 v6, s7, v4
	v_mov_b32_e32 v1, s5
	v_add_co_u32_e32 v2, vcc, s4, v2
	v_ashrrev_i32_e32 v7, 31, v6
	v_addc_co_u32_e32 v3, vcc, v1, v3, vcc
	v_lshlrev_b64 v[4:5], 3, v[6:7]
	v_add_u32_e32 v8, s7, v6
	v_add_co_u32_e32 v4, vcc, s4, v4
	v_ashrrev_i32_e32 v9, 31, v8
	v_addc_co_u32_e32 v5, vcc, v1, v5, vcc
	v_lshlrev_b64 v[6:7], 3, v[8:9]
	v_add_u32_e32 v10, s7, v8
	;; [unrolled: 5-line block ×5, first 2 shown]
	v_add_co_u32_e32 v12, vcc, s4, v12
	v_ashrrev_i32_e32 v15, 31, v14
	v_addc_co_u32_e32 v13, vcc, v1, v13, vcc
	v_lshlrev_b64 v[16:17], 3, v[14:15]
	v_add_co_u32_e32 v18, vcc, s4, v16
	v_add_u32_e32 v16, s7, v14
	v_addc_co_u32_e32 v19, vcc, v1, v17, vcc
	v_ashrrev_i32_e32 v17, 31, v16
	v_lshlrev_b64 v[14:15], 3, v[16:17]
	v_add_u32_e32 v20, s7, v16
	v_add_co_u32_e32 v14, vcc, s4, v14
	v_ashrrev_i32_e32 v21, 31, v20
	v_addc_co_u32_e32 v15, vcc, v1, v15, vcc
	v_lshlrev_b64 v[16:17], 3, v[20:21]
	v_add_u32_e32 v22, s7, v20
	v_add_co_u32_e32 v16, vcc, s4, v16
	v_ashrrev_i32_e32 v23, 31, v22
	v_addc_co_u32_e32 v17, vcc, v1, v17, vcc
	;; [unrolled: 5-line block ×29, first 2 shown]
	v_lshlrev_b64 v[74:75], 3, v[76:77]
	v_add_co_u32_e32 v74, vcc, s4, v74
	v_addc_co_u32_e32 v75, vcc, v1, v75, vcc
	v_lshlrev_b32_e32 v1, 3, v0
	v_add_u32_e32 v78, s7, v76
	global_load_dwordx2 v[94:95], v1, s[4:5]
	global_load_dwordx2 v[98:99], v[2:3], off
	global_load_dwordx2 v[100:101], v[4:5], off
	v_mov_b32_e32 v76, s5
	v_add_co_u32_e32 v92, vcc, s4, v1
	s_ashr_i32 s13, s7, 31
	s_mov_b32 s12, s7
	v_addc_co_u32_e32 v93, vcc, 0, v76, vcc
	s_lshl_b64 s[12:13], s[12:13], 3
	v_mov_b32_e32 v76, s13
	v_add_co_u32_e32 v90, vcc, s12, v92
	v_addc_co_u32_e32 v91, vcc, v93, v76, vcc
	global_load_dwordx2 v[96:97], v[90:91], off
	global_load_dwordx2 v[102:103], v[6:7], off
	;; [unrolled: 1-line block ×8, first 2 shown]
	v_ashrrev_i32_e32 v79, 31, v78
	v_lshlrev_b64 v[76:77], 3, v[78:79]
	v_add_u32_e32 v78, s7, v78
	v_mov_b32_e32 v80, s5
	v_add_co_u32_e32 v76, vcc, s4, v76
	v_ashrrev_i32_e32 v79, 31, v78
	v_addc_co_u32_e32 v77, vcc, v80, v77, vcc
	v_lshlrev_b64 v[80:81], 3, v[78:79]
	v_add_u32_e32 v78, s7, v78
	v_mov_b32_e32 v82, s5
	v_add_co_u32_e32 v80, vcc, s4, v80
	v_ashrrev_i32_e32 v79, 31, v78
	v_addc_co_u32_e32 v81, vcc, v82, v81, vcc
	;; [unrolled: 6-line block ×6, first 2 shown]
	v_lshlrev_b64 v[78:79], 3, v[78:79]
	v_mov_b32_e32 v136, s5
	v_add_co_u32_e32 v78, vcc, s4, v78
	global_load_dwordx2 v[116:117], v[20:21], off
	global_load_dwordx2 v[118:119], v[22:23], off
	;; [unrolled: 1-line block ×10, first 2 shown]
	v_addc_co_u32_e32 v79, vcc, v136, v79, vcc
	global_load_dwordx2 v[136:137], v[40:41], off
	global_load_dwordx2 v[138:139], v[78:79], off
	;; [unrolled: 1-line block ×14, first 2 shown]
	s_bitcmp0_b32 s20, 0
	s_waitcnt vmcnt(34)
	buffer_store_dword v95, off, s[0:3], 0 offset:4
	buffer_store_dword v94, off, s[0:3], 0
	global_load_dwordx2 v[94:95], v[46:47], off
	s_mov_b64 s[6:7], -1
	s_waitcnt vmcnt(34)
	buffer_store_dword v97, off, s[0:3], 0 offset:12
	buffer_store_dword v96, off, s[0:3], 0 offset:8
	global_load_dwordx2 v[96:97], v[50:51], off
	s_nop 0
	buffer_store_dword v99, off, s[0:3], 0 offset:20
	buffer_store_dword v98, off, s[0:3], 0 offset:16
	global_load_dwordx2 v[98:99], v[54:55], off
	s_nop 0
	buffer_store_dword v101, off, s[0:3], 0 offset:28
	buffer_store_dword v100, off, s[0:3], 0 offset:24
	global_load_dwordx2 v[100:101], v[58:59], off
	s_waitcnt vmcnt(42)
	buffer_store_dword v103, off, s[0:3], 0 offset:36
	buffer_store_dword v102, off, s[0:3], 0 offset:32
	global_load_dwordx2 v[102:103], v[62:63], off
	s_waitcnt vmcnt(44)
	;; [unrolled: 4-line block ×5, first 2 shown]
	buffer_store_dword v111, off, s[0:3], 0 offset:68
	buffer_store_dword v110, off, s[0:3], 0 offset:64
	global_load_dwordx2 v[110:111], v[80:81], off
	s_nop 0
	buffer_store_dword v112, off, s[0:3], 0 offset:72
	buffer_store_dword v113, off, s[0:3], 0 offset:76
	global_load_dwordx2 v[112:113], v[84:85], off
	s_nop 0
	buffer_store_dword v114, off, s[0:3], 0 offset:80
	buffer_store_dword v115, off, s[0:3], 0 offset:84
	global_load_dwordx2 v[114:115], v[88:89], off
	s_waitcnt vmcnt(56)
	buffer_store_dword v116, off, s[0:3], 0 offset:88
	buffer_store_dword v117, off, s[0:3], 0 offset:92
	s_waitcnt vmcnt(57)
	buffer_store_dword v118, off, s[0:3], 0 offset:96
	buffer_store_dword v119, off, s[0:3], 0 offset:100
	;; [unrolled: 3-line block ×8, first 2 shown]
	buffer_store_dword v133, off, s[0:3], 0 offset:156
	buffer_store_dword v132, off, s[0:3], 0 offset:152
	s_waitcnt vmcnt(62)
	buffer_store_dword v135, off, s[0:3], 0 offset:164
	buffer_store_dword v134, off, s[0:3], 0 offset:160
	;; [unrolled: 1-line block ×6, first 2 shown]
	s_waitcnt vmcnt(62)
	buffer_store_dword v142, off, s[0:3], 0 offset:184
	buffer_store_dword v143, off, s[0:3], 0 offset:188
	s_waitcnt vmcnt(56)
	buffer_store_dword v94, off, s[0:3], 0 offset:192
	buffer_store_dword v95, off, s[0:3], 0 offset:196
	buffer_store_dword v145, off, s[0:3], 0 offset:204
	buffer_store_dword v144, off, s[0:3], 0 offset:200
	s_waitcnt vmcnt(57)
	buffer_store_dword v97, off, s[0:3], 0 offset:212
	buffer_store_dword v96, off, s[0:3], 0 offset:208
	;; [unrolled: 5-line block ×10, first 2 shown]
	buffer_store_dword v163, off, s[0:3], 0 offset:348
	buffer_store_dword v162, off, s[0:3], 0 offset:344
	;; [unrolled: 1-line block ×6, first 2 shown]
	s_cbranch_scc1 .LBB109_190
; %bb.4:
	v_cmp_eq_u32_e64 s[4:5], 0, v0
	s_and_saveexec_b64 s[6:7], s[4:5]
	s_cbranch_execz .LBB109_6
; %bb.5:
	v_mov_b32_e32 v94, 0
	ds_write_b32 v94, v94 offset:736
.LBB109_6:
	s_or_b64 exec, exec, s[6:7]
	v_mov_b32_e32 v94, 0
	v_lshl_add_u32 v94, v0, 3, v94
	s_waitcnt lgkmcnt(0)
	; wave barrier
	s_waitcnt lgkmcnt(0)
	buffer_load_dword v96, v94, s[0:3], 0 offen
	buffer_load_dword v97, v94, s[0:3], 0 offen offset:4
	s_waitcnt vmcnt(0)
	v_cmp_eq_f64_e32 vcc, 0, v[96:97]
	s_and_saveexec_b64 s[12:13], vcc
	s_cbranch_execz .LBB109_10
; %bb.7:
	v_mov_b32_e32 v95, 0
	ds_read_b32 v97, v95 offset:736
	v_add_u32_e32 v96, 1, v0
	s_waitcnt lgkmcnt(0)
	v_readfirstlane_b32 s6, v97
	s_cmp_eq_u32 s6, 0
	s_cselect_b64 s[18:19], -1, 0
	v_cmp_gt_i32_e32 vcc, s6, v96
	s_or_b64 s[18:19], s[18:19], vcc
	s_and_b64 exec, exec, s[18:19]
	s_cbranch_execz .LBB109_10
; %bb.8:
	s_mov_b64 s[18:19], 0
	v_mov_b32_e32 v97, s6
.LBB109_9:                              ; =>This Inner Loop Header: Depth=1
	ds_cmpst_rtn_b32 v97, v95, v97, v96 offset:736
	s_waitcnt lgkmcnt(0)
	v_cmp_ne_u32_e32 vcc, 0, v97
	v_cmp_le_i32_e64 s[6:7], v97, v96
	s_and_b64 s[6:7], vcc, s[6:7]
	s_and_b64 s[6:7], exec, s[6:7]
	s_or_b64 s[18:19], s[6:7], s[18:19]
	s_andn2_b64 exec, exec, s[18:19]
	s_cbranch_execnz .LBB109_9
.LBB109_10:
	s_or_b64 exec, exec, s[12:13]
	v_mov_b32_e32 v96, 0
	s_waitcnt lgkmcnt(0)
	; wave barrier
	ds_read_b32 v95, v96 offset:736
	s_and_saveexec_b64 s[6:7], s[4:5]
	s_cbranch_execz .LBB109_12
; %bb.11:
	s_lshl_b64 s[12:13], s[8:9], 2
	s_add_u32 s12, s14, s12
	s_addc_u32 s13, s15, s13
	s_waitcnt lgkmcnt(0)
	global_store_dword v96, v95, s[12:13]
.LBB109_12:
	s_or_b64 exec, exec, s[6:7]
	s_waitcnt lgkmcnt(0)
	v_cmp_ne_u32_e32 vcc, 0, v95
	s_mov_b64 s[6:7], 0
	s_cbranch_vccnz .LBB109_190
; %bb.13:
	buffer_load_dword v96, v94, s[0:3], 0 offen
	buffer_load_dword v97, v94, s[0:3], 0 offen offset:4
	s_waitcnt vmcnt(0)
	v_div_scale_f64 v[98:99], s[6:7], v[96:97], v[96:97], 1.0
	v_rcp_f64_e32 v[100:101], v[98:99]
	v_div_scale_f64 v[102:103], vcc, 1.0, v[96:97], 1.0
	v_fma_f64 v[104:105], -v[98:99], v[100:101], 1.0
	v_fmac_f64_e32 v[100:101], v[100:101], v[104:105]
	v_fma_f64 v[104:105], -v[98:99], v[100:101], 1.0
	v_fmac_f64_e32 v[100:101], v[100:101], v[104:105]
	v_mul_f64 v[104:105], v[102:103], v[100:101]
	v_fma_f64 v[98:99], -v[98:99], v[104:105], v[102:103]
	v_div_fmas_f64 v[98:99], v[98:99], v[100:101], v[104:105]
	v_div_fixup_f64 v[98:99], v[98:99], v[96:97], 1.0
	buffer_store_dword v99, v94, s[0:3], 0 offen offset:4
	buffer_store_dword v98, v94, s[0:3], 0 offen
	buffer_load_dword v101, off, s[0:3], 0 offset:12
	buffer_load_dword v100, off, s[0:3], 0 offset:8
	v_add_u32_e32 v96, 0x170, v1
	v_xor_b32_e32 v99, 0x80000000, v99
	s_waitcnt vmcnt(0)
	ds_write2_b64 v1, v[98:99], v[100:101] offset1:46
	s_waitcnt lgkmcnt(0)
	; wave barrier
	s_waitcnt lgkmcnt(0)
	s_and_saveexec_b64 s[6:7], s[4:5]
	s_cbranch_execz .LBB109_15
; %bb.14:
	buffer_load_dword v98, v94, s[0:3], 0 offen
	buffer_load_dword v99, v94, s[0:3], 0 offen offset:4
	v_mov_b32_e32 v95, 0
	ds_read_b64 v[100:101], v96
	ds_read_b64 v[102:103], v95 offset:8
	s_waitcnt vmcnt(0) lgkmcnt(1)
	v_fma_f64 v[98:99], v[98:99], v[100:101], 0
	s_waitcnt lgkmcnt(0)
	v_mul_f64 v[98:99], v[98:99], v[102:103]
	buffer_store_dword v98, off, s[0:3], 0 offset:8
	buffer_store_dword v99, off, s[0:3], 0 offset:12
.LBB109_15:
	s_or_b64 exec, exec, s[6:7]
	s_waitcnt lgkmcnt(0)
	; wave barrier
	buffer_load_dword v98, off, s[0:3], 0 offset:16
	buffer_load_dword v99, off, s[0:3], 0 offset:20
	v_cmp_gt_u32_e32 vcc, 2, v0
	s_waitcnt vmcnt(0)
	ds_write_b64 v96, v[98:99]
	s_waitcnt lgkmcnt(0)
	; wave barrier
	s_waitcnt lgkmcnt(0)
	s_and_saveexec_b64 s[6:7], vcc
	s_cbranch_execz .LBB109_17
; %bb.16:
	buffer_load_dword v95, v94, s[0:3], 0 offen offset:4
	buffer_load_dword v102, off, s[0:3], 0 offset:8
	s_nop 0
	buffer_load_dword v94, v94, s[0:3], 0 offen
	s_nop 0
	buffer_load_dword v103, off, s[0:3], 0 offset:12
	ds_read_b64 v[104:105], v96
	v_mov_b32_e32 v97, 0
	ds_read2_b64 v[98:101], v97 offset0:2 offset1:47
	s_waitcnt vmcnt(1) lgkmcnt(1)
	v_fma_f64 v[94:95], v[94:95], v[104:105], 0
	s_waitcnt vmcnt(0) lgkmcnt(0)
	v_fma_f64 v[100:101], v[102:103], v[100:101], v[94:95]
	v_cndmask_b32_e64 v95, v95, v101, s[4:5]
	v_cndmask_b32_e64 v94, v94, v100, s[4:5]
	v_mul_f64 v[94:95], v[94:95], v[98:99]
	buffer_store_dword v95, off, s[0:3], 0 offset:20
	buffer_store_dword v94, off, s[0:3], 0 offset:16
.LBB109_17:
	s_or_b64 exec, exec, s[6:7]
	s_waitcnt lgkmcnt(0)
	; wave barrier
	buffer_load_dword v94, off, s[0:3], 0 offset:24
	buffer_load_dword v95, off, s[0:3], 0 offset:28
	v_cmp_gt_u32_e32 vcc, 3, v0
	v_add_u32_e32 v97, -1, v0
	s_waitcnt vmcnt(0)
	ds_write_b64 v96, v[94:95]
	s_waitcnt lgkmcnt(0)
	; wave barrier
	s_waitcnt lgkmcnt(0)
	s_and_saveexec_b64 s[4:5], vcc
	s_cbranch_execz .LBB109_21
; %bb.18:
	v_add_u32_e32 v98, -1, v0
	v_add_u32_e32 v99, 0x170, v1
	v_add_u32_e32 v100, 0, v1
	s_mov_b64 s[6:7], 0
	v_pk_mov_b32 v[94:95], 0, 0
.LBB109_19:                             ; =>This Inner Loop Header: Depth=1
	buffer_load_dword v102, v100, s[0:3], 0 offen
	buffer_load_dword v103, v100, s[0:3], 0 offen offset:4
	ds_read_b64 v[104:105], v99
	v_add_u32_e32 v98, 1, v98
	v_cmp_lt_u32_e32 vcc, 1, v98
	v_add_u32_e32 v99, 8, v99
	v_add_u32_e32 v100, 8, v100
	s_or_b64 s[6:7], vcc, s[6:7]
	s_waitcnt vmcnt(0) lgkmcnt(0)
	v_fmac_f64_e32 v[94:95], v[102:103], v[104:105]
	s_andn2_b64 exec, exec, s[6:7]
	s_cbranch_execnz .LBB109_19
; %bb.20:
	s_or_b64 exec, exec, s[6:7]
	v_mov_b32_e32 v98, 0
	ds_read_b64 v[98:99], v98 offset:24
	s_waitcnt lgkmcnt(0)
	v_mul_f64 v[94:95], v[94:95], v[98:99]
	buffer_store_dword v95, off, s[0:3], 0 offset:28
	buffer_store_dword v94, off, s[0:3], 0 offset:24
.LBB109_21:
	s_or_b64 exec, exec, s[4:5]
	s_waitcnt lgkmcnt(0)
	; wave barrier
	buffer_load_dword v94, off, s[0:3], 0 offset:32
	buffer_load_dword v95, off, s[0:3], 0 offset:36
	v_cmp_gt_u32_e32 vcc, 4, v0
	s_waitcnt vmcnt(0)
	ds_write_b64 v96, v[94:95]
	s_waitcnt lgkmcnt(0)
	; wave barrier
	s_waitcnt lgkmcnt(0)
	s_and_saveexec_b64 s[4:5], vcc
	s_cbranch_execz .LBB109_25
; %bb.22:
	v_add_u32_e32 v98, -1, v0
	v_add_u32_e32 v99, 0x170, v1
	v_add_u32_e32 v100, 0, v1
	s_mov_b64 s[6:7], 0
	v_pk_mov_b32 v[94:95], 0, 0
.LBB109_23:                             ; =>This Inner Loop Header: Depth=1
	buffer_load_dword v102, v100, s[0:3], 0 offen
	buffer_load_dword v103, v100, s[0:3], 0 offen offset:4
	ds_read_b64 v[104:105], v99
	v_add_u32_e32 v98, 1, v98
	v_cmp_lt_u32_e32 vcc, 2, v98
	v_add_u32_e32 v99, 8, v99
	v_add_u32_e32 v100, 8, v100
	s_or_b64 s[6:7], vcc, s[6:7]
	s_waitcnt vmcnt(0) lgkmcnt(0)
	v_fmac_f64_e32 v[94:95], v[102:103], v[104:105]
	s_andn2_b64 exec, exec, s[6:7]
	s_cbranch_execnz .LBB109_23
; %bb.24:
	s_or_b64 exec, exec, s[6:7]
	v_mov_b32_e32 v98, 0
	ds_read_b64 v[98:99], v98 offset:32
	s_waitcnt lgkmcnt(0)
	v_mul_f64 v[94:95], v[94:95], v[98:99]
	buffer_store_dword v95, off, s[0:3], 0 offset:36
	buffer_store_dword v94, off, s[0:3], 0 offset:32
.LBB109_25:
	s_or_b64 exec, exec, s[4:5]
	s_waitcnt lgkmcnt(0)
	; wave barrier
	buffer_load_dword v94, off, s[0:3], 0 offset:40
	buffer_load_dword v95, off, s[0:3], 0 offset:44
	v_cmp_gt_u32_e32 vcc, 5, v0
	;; [unrolled: 41-line block ×21, first 2 shown]
	s_waitcnt vmcnt(0)
	ds_write_b64 v96, v[94:95]
	s_waitcnt lgkmcnt(0)
	; wave barrier
	s_waitcnt lgkmcnt(0)
	s_and_saveexec_b64 s[4:5], vcc
	s_cbranch_execz .LBB109_105
; %bb.102:
	v_add_u32_e32 v98, -1, v0
	v_add_u32_e32 v99, 0x170, v1
	v_add_u32_e32 v100, 0, v1
	s_mov_b64 s[6:7], 0
	v_pk_mov_b32 v[94:95], 0, 0
.LBB109_103:                            ; =>This Inner Loop Header: Depth=1
	buffer_load_dword v102, v100, s[0:3], 0 offen
	buffer_load_dword v103, v100, s[0:3], 0 offen offset:4
	ds_read_b64 v[104:105], v99
	v_add_u32_e32 v98, 1, v98
	v_cmp_lt_u32_e32 vcc, 22, v98
	v_add_u32_e32 v99, 8, v99
	v_add_u32_e32 v100, 8, v100
	s_or_b64 s[6:7], vcc, s[6:7]
	s_waitcnt vmcnt(0) lgkmcnt(0)
	v_fmac_f64_e32 v[94:95], v[102:103], v[104:105]
	s_andn2_b64 exec, exec, s[6:7]
	s_cbranch_execnz .LBB109_103
; %bb.104:
	s_or_b64 exec, exec, s[6:7]
	v_mov_b32_e32 v98, 0
	ds_read_b64 v[98:99], v98 offset:192
	s_waitcnt lgkmcnt(0)
	v_mul_f64 v[94:95], v[94:95], v[98:99]
	buffer_store_dword v95, off, s[0:3], 0 offset:196
	buffer_store_dword v94, off, s[0:3], 0 offset:192
.LBB109_105:
	s_or_b64 exec, exec, s[4:5]
	s_waitcnt lgkmcnt(0)
	; wave barrier
	buffer_load_dword v94, off, s[0:3], 0 offset:200
	buffer_load_dword v95, off, s[0:3], 0 offset:204
	v_cmp_gt_u32_e32 vcc, 25, v0
	s_waitcnt vmcnt(0)
	ds_write_b64 v96, v[94:95]
	s_waitcnt lgkmcnt(0)
	; wave barrier
	s_waitcnt lgkmcnt(0)
	s_and_saveexec_b64 s[4:5], vcc
	s_cbranch_execz .LBB109_109
; %bb.106:
	v_add_u32_e32 v98, -1, v0
	v_add_u32_e32 v99, 0x170, v1
	v_add_u32_e32 v100, 0, v1
	s_mov_b64 s[6:7], 0
	v_pk_mov_b32 v[94:95], 0, 0
.LBB109_107:                            ; =>This Inner Loop Header: Depth=1
	buffer_load_dword v102, v100, s[0:3], 0 offen
	buffer_load_dword v103, v100, s[0:3], 0 offen offset:4
	ds_read_b64 v[104:105], v99
	v_add_u32_e32 v98, 1, v98
	v_cmp_lt_u32_e32 vcc, 23, v98
	v_add_u32_e32 v99, 8, v99
	v_add_u32_e32 v100, 8, v100
	s_or_b64 s[6:7], vcc, s[6:7]
	s_waitcnt vmcnt(0) lgkmcnt(0)
	v_fmac_f64_e32 v[94:95], v[102:103], v[104:105]
	s_andn2_b64 exec, exec, s[6:7]
	s_cbranch_execnz .LBB109_107
; %bb.108:
	s_or_b64 exec, exec, s[6:7]
	v_mov_b32_e32 v98, 0
	ds_read_b64 v[98:99], v98 offset:200
	s_waitcnt lgkmcnt(0)
	v_mul_f64 v[94:95], v[94:95], v[98:99]
	buffer_store_dword v95, off, s[0:3], 0 offset:204
	buffer_store_dword v94, off, s[0:3], 0 offset:200
.LBB109_109:
	s_or_b64 exec, exec, s[4:5]
	s_waitcnt lgkmcnt(0)
	; wave barrier
	buffer_load_dword v94, off, s[0:3], 0 offset:208
	buffer_load_dword v95, off, s[0:3], 0 offset:212
	v_cmp_gt_u32_e32 vcc, 26, v0
	;; [unrolled: 41-line block ×20, first 2 shown]
	s_waitcnt vmcnt(0)
	ds_write_b64 v96, v[94:95]
	s_waitcnt lgkmcnt(0)
	; wave barrier
	s_waitcnt lgkmcnt(0)
	s_and_saveexec_b64 s[4:5], vcc
	s_cbranch_execz .LBB109_185
; %bb.182:
	v_add_u32_e32 v98, -1, v0
	v_add_u32_e32 v99, 0x170, v1
	v_add_u32_e32 v100, 0, v1
	s_mov_b64 s[6:7], 0
	v_pk_mov_b32 v[94:95], 0, 0
.LBB109_183:                            ; =>This Inner Loop Header: Depth=1
	buffer_load_dword v102, v100, s[0:3], 0 offen
	buffer_load_dword v103, v100, s[0:3], 0 offen offset:4
	ds_read_b64 v[104:105], v99
	v_add_u32_e32 v98, 1, v98
	v_cmp_lt_u32_e32 vcc, 42, v98
	v_add_u32_e32 v99, 8, v99
	v_add_u32_e32 v100, 8, v100
	s_or_b64 s[6:7], vcc, s[6:7]
	s_waitcnt vmcnt(0) lgkmcnt(0)
	v_fmac_f64_e32 v[94:95], v[102:103], v[104:105]
	s_andn2_b64 exec, exec, s[6:7]
	s_cbranch_execnz .LBB109_183
; %bb.184:
	s_or_b64 exec, exec, s[6:7]
	v_mov_b32_e32 v98, 0
	ds_read_b64 v[98:99], v98 offset:352
	s_waitcnt lgkmcnt(0)
	v_mul_f64 v[94:95], v[94:95], v[98:99]
	buffer_store_dword v95, off, s[0:3], 0 offset:356
	buffer_store_dword v94, off, s[0:3], 0 offset:352
.LBB109_185:
	s_or_b64 exec, exec, s[4:5]
	s_waitcnt lgkmcnt(0)
	; wave barrier
	buffer_load_dword v94, off, s[0:3], 0 offset:360
	buffer_load_dword v95, off, s[0:3], 0 offset:364
	v_cmp_ne_u32_e32 vcc, 45, v0
	s_waitcnt vmcnt(0)
	ds_write_b64 v96, v[94:95]
	s_waitcnt lgkmcnt(0)
	; wave barrier
	s_waitcnt lgkmcnt(0)
	s_and_saveexec_b64 s[4:5], vcc
	s_cbranch_execz .LBB109_189
; %bb.186:
	v_add_u32_e32 v96, 0x170, v1
	v_add_u32_e32 v1, 0, v1
	s_mov_b64 s[6:7], 0
	v_pk_mov_b32 v[94:95], 0, 0
.LBB109_187:                            ; =>This Inner Loop Header: Depth=1
	buffer_load_dword v98, v1, s[0:3], 0 offen
	buffer_load_dword v99, v1, s[0:3], 0 offen offset:4
	ds_read_b64 v[100:101], v96
	v_add_u32_e32 v97, 1, v97
	v_cmp_lt_u32_e32 vcc, 43, v97
	v_add_u32_e32 v96, 8, v96
	v_add_u32_e32 v1, 8, v1
	s_or_b64 s[6:7], vcc, s[6:7]
	s_waitcnt vmcnt(0) lgkmcnt(0)
	v_fmac_f64_e32 v[94:95], v[98:99], v[100:101]
	s_andn2_b64 exec, exec, s[6:7]
	s_cbranch_execnz .LBB109_187
; %bb.188:
	s_or_b64 exec, exec, s[6:7]
	v_mov_b32_e32 v1, 0
	ds_read_b64 v[96:97], v1 offset:360
	s_waitcnt lgkmcnt(0)
	v_mul_f64 v[94:95], v[94:95], v[96:97]
	buffer_store_dword v95, off, s[0:3], 0 offset:364
	buffer_store_dword v94, off, s[0:3], 0 offset:360
.LBB109_189:
	s_or_b64 exec, exec, s[4:5]
	s_mov_b64 s[6:7], -1
	s_waitcnt lgkmcnt(0)
	; wave barrier
.LBB109_190:
	s_and_b64 vcc, exec, s[6:7]
	s_cbranch_vccz .LBB109_192
; %bb.191:
	s_lshl_b64 s[4:5], s[8:9], 2
	s_add_u32 s4, s14, s4
	s_addc_u32 s5, s15, s5
	v_mov_b32_e32 v1, 0
	global_load_dword v1, v1, s[4:5]
	s_waitcnt vmcnt(0)
	v_cmp_ne_u32_e32 vcc, 0, v1
	s_cbranch_vccz .LBB109_193
.LBB109_192:
	s_endpgm
.LBB109_193:
	v_mov_b32_e32 v1, 0x170
	v_lshl_add_u32 v1, v0, 3, v1
	v_cmp_eq_u32_e32 vcc, 45, v0
	s_and_saveexec_b64 s[4:5], vcc
	s_cbranch_execz .LBB109_195
; %bb.194:
	buffer_load_dword v94, off, s[0:3], 0 offset:352
	buffer_load_dword v95, off, s[0:3], 0 offset:356
	v_mov_b32_e32 v96, 0
	buffer_store_dword v96, off, s[0:3], 0 offset:352
	buffer_store_dword v96, off, s[0:3], 0 offset:356
	s_waitcnt vmcnt(2)
	ds_write_b64 v1, v[94:95]
.LBB109_195:
	s_or_b64 exec, exec, s[4:5]
	s_waitcnt lgkmcnt(0)
	; wave barrier
	s_waitcnt lgkmcnt(0)
	buffer_load_dword v96, off, s[0:3], 0 offset:360
	buffer_load_dword v97, off, s[0:3], 0 offset:364
	;; [unrolled: 1-line block ×4, first 2 shown]
	v_mov_b32_e32 v94, 0
	ds_read_b64 v[100:101], v94 offset:728
	v_cmp_lt_u32_e32 vcc, 43, v0
	s_waitcnt vmcnt(2) lgkmcnt(0)
	v_fma_f64 v[96:97], v[96:97], v[100:101], 0
	s_waitcnt vmcnt(0)
	v_add_f64 v[96:97], v[98:99], -v[96:97]
	buffer_store_dword v96, off, s[0:3], 0 offset:352
	buffer_store_dword v97, off, s[0:3], 0 offset:356
	s_and_saveexec_b64 s[4:5], vcc
	s_cbranch_execz .LBB109_197
; %bb.196:
	buffer_load_dword v96, off, s[0:3], 0 offset:344
	buffer_load_dword v97, off, s[0:3], 0 offset:348
	s_waitcnt vmcnt(0)
	ds_write_b64 v1, v[96:97]
	buffer_store_dword v94, off, s[0:3], 0 offset:344
	buffer_store_dword v94, off, s[0:3], 0 offset:348
.LBB109_197:
	s_or_b64 exec, exec, s[4:5]
	s_waitcnt lgkmcnt(0)
	; wave barrier
	s_waitcnt lgkmcnt(0)
	buffer_load_dword v98, off, s[0:3], 0 offset:352
	buffer_load_dword v99, off, s[0:3], 0 offset:356
	;; [unrolled: 1-line block ×6, first 2 shown]
	ds_read_b128 v[94:97], v94 offset:720
	v_cmp_lt_u32_e32 vcc, 42, v0
	s_waitcnt vmcnt(4) lgkmcnt(0)
	v_fma_f64 v[94:95], v[98:99], v[94:95], 0
	s_waitcnt vmcnt(2)
	v_fmac_f64_e32 v[94:95], v[100:101], v[96:97]
	s_waitcnt vmcnt(0)
	v_add_f64 v[94:95], v[102:103], -v[94:95]
	buffer_store_dword v94, off, s[0:3], 0 offset:344
	buffer_store_dword v95, off, s[0:3], 0 offset:348
	s_and_saveexec_b64 s[4:5], vcc
	s_cbranch_execz .LBB109_199
; %bb.198:
	buffer_load_dword v94, off, s[0:3], 0 offset:336
	buffer_load_dword v95, off, s[0:3], 0 offset:340
	v_mov_b32_e32 v96, 0
	buffer_store_dword v96, off, s[0:3], 0 offset:336
	buffer_store_dword v96, off, s[0:3], 0 offset:340
	s_waitcnt vmcnt(2)
	ds_write_b64 v1, v[94:95]
.LBB109_199:
	s_or_b64 exec, exec, s[4:5]
	s_waitcnt lgkmcnt(0)
	; wave barrier
	s_waitcnt lgkmcnt(0)
	buffer_load_dword v100, off, s[0:3], 0 offset:344
	buffer_load_dword v101, off, s[0:3], 0 offset:348
	;; [unrolled: 1-line block ×8, first 2 shown]
	v_mov_b32_e32 v94, 0
	ds_read2_b64 v[96:99], v94 offset0:89 offset1:90
	ds_read_b64 v[108:109], v94 offset:728
	v_cmp_lt_u32_e32 vcc, 41, v0
	s_waitcnt vmcnt(6) lgkmcnt(1)
	v_fma_f64 v[96:97], v[100:101], v[96:97], 0
	s_waitcnt vmcnt(4)
	v_fmac_f64_e32 v[96:97], v[102:103], v[98:99]
	s_waitcnt vmcnt(2) lgkmcnt(0)
	v_fmac_f64_e32 v[96:97], v[104:105], v[108:109]
	s_waitcnt vmcnt(0)
	v_add_f64 v[96:97], v[106:107], -v[96:97]
	buffer_store_dword v96, off, s[0:3], 0 offset:336
	buffer_store_dword v97, off, s[0:3], 0 offset:340
	s_and_saveexec_b64 s[4:5], vcc
	s_cbranch_execz .LBB109_201
; %bb.200:
	buffer_load_dword v96, off, s[0:3], 0 offset:328
	buffer_load_dword v97, off, s[0:3], 0 offset:332
	s_waitcnt vmcnt(0)
	ds_write_b64 v1, v[96:97]
	buffer_store_dword v94, off, s[0:3], 0 offset:328
	buffer_store_dword v94, off, s[0:3], 0 offset:332
.LBB109_201:
	s_or_b64 exec, exec, s[4:5]
	s_waitcnt lgkmcnt(0)
	; wave barrier
	s_waitcnt lgkmcnt(0)
	buffer_load_dword v104, off, s[0:3], 0 offset:336
	buffer_load_dword v105, off, s[0:3], 0 offset:340
	;; [unrolled: 1-line block ×10, first 2 shown]
	ds_read_b128 v[96:99], v94 offset:704
	ds_read_b128 v[100:103], v94 offset:720
	v_cmp_lt_u32_e32 vcc, 40, v0
	s_waitcnt vmcnt(8) lgkmcnt(1)
	v_fma_f64 v[94:95], v[104:105], v[96:97], 0
	s_waitcnt vmcnt(6)
	v_fmac_f64_e32 v[94:95], v[106:107], v[98:99]
	s_waitcnt vmcnt(4) lgkmcnt(0)
	v_fmac_f64_e32 v[94:95], v[108:109], v[100:101]
	s_waitcnt vmcnt(2)
	v_fmac_f64_e32 v[94:95], v[110:111], v[102:103]
	s_waitcnt vmcnt(0)
	v_add_f64 v[94:95], v[112:113], -v[94:95]
	buffer_store_dword v94, off, s[0:3], 0 offset:328
	buffer_store_dword v95, off, s[0:3], 0 offset:332
	s_and_saveexec_b64 s[4:5], vcc
	s_cbranch_execz .LBB109_203
; %bb.202:
	buffer_load_dword v94, off, s[0:3], 0 offset:320
	buffer_load_dword v95, off, s[0:3], 0 offset:324
	v_mov_b32_e32 v96, 0
	buffer_store_dword v96, off, s[0:3], 0 offset:320
	buffer_store_dword v96, off, s[0:3], 0 offset:324
	s_waitcnt vmcnt(2)
	ds_write_b64 v1, v[94:95]
.LBB109_203:
	s_or_b64 exec, exec, s[4:5]
	s_waitcnt lgkmcnt(0)
	; wave barrier
	s_waitcnt lgkmcnt(0)
	buffer_load_dword v104, off, s[0:3], 0 offset:328
	buffer_load_dword v105, off, s[0:3], 0 offset:332
	;; [unrolled: 1-line block ×12, first 2 shown]
	v_mov_b32_e32 v94, 0
	ds_read2_b64 v[96:99], v94 offset0:87 offset1:88
	ds_read2_b64 v[100:103], v94 offset0:89 offset1:90
	ds_read_b64 v[116:117], v94 offset:728
	v_cmp_lt_u32_e32 vcc, 39, v0
	s_waitcnt vmcnt(10) lgkmcnt(2)
	v_fma_f64 v[96:97], v[104:105], v[96:97], 0
	s_waitcnt vmcnt(8)
	v_fmac_f64_e32 v[96:97], v[106:107], v[98:99]
	s_waitcnt vmcnt(6) lgkmcnt(1)
	v_fmac_f64_e32 v[96:97], v[108:109], v[100:101]
	s_waitcnt vmcnt(4)
	v_fmac_f64_e32 v[96:97], v[110:111], v[102:103]
	s_waitcnt vmcnt(2) lgkmcnt(0)
	v_fmac_f64_e32 v[96:97], v[112:113], v[116:117]
	s_waitcnt vmcnt(0)
	v_add_f64 v[96:97], v[114:115], -v[96:97]
	buffer_store_dword v96, off, s[0:3], 0 offset:320
	buffer_store_dword v97, off, s[0:3], 0 offset:324
	s_and_saveexec_b64 s[4:5], vcc
	s_cbranch_execz .LBB109_205
; %bb.204:
	buffer_load_dword v96, off, s[0:3], 0 offset:312
	buffer_load_dword v97, off, s[0:3], 0 offset:316
	s_waitcnt vmcnt(0)
	ds_write_b64 v1, v[96:97]
	buffer_store_dword v94, off, s[0:3], 0 offset:312
	buffer_store_dword v94, off, s[0:3], 0 offset:316
.LBB109_205:
	s_or_b64 exec, exec, s[4:5]
	s_waitcnt lgkmcnt(0)
	; wave barrier
	s_waitcnt lgkmcnt(0)
	buffer_load_dword v108, off, s[0:3], 0 offset:320
	buffer_load_dword v109, off, s[0:3], 0 offset:324
	;; [unrolled: 1-line block ×14, first 2 shown]
	ds_read_b128 v[96:99], v94 offset:688
	ds_read_b128 v[100:103], v94 offset:704
	;; [unrolled: 1-line block ×3, first 2 shown]
	v_cmp_lt_u32_e32 vcc, 38, v0
	s_waitcnt vmcnt(12) lgkmcnt(2)
	v_fma_f64 v[94:95], v[108:109], v[96:97], 0
	s_waitcnt vmcnt(10)
	v_fmac_f64_e32 v[94:95], v[110:111], v[98:99]
	s_waitcnt vmcnt(8) lgkmcnt(1)
	v_fmac_f64_e32 v[94:95], v[112:113], v[100:101]
	s_waitcnt vmcnt(6)
	v_fmac_f64_e32 v[94:95], v[114:115], v[102:103]
	s_waitcnt vmcnt(4) lgkmcnt(0)
	v_fmac_f64_e32 v[94:95], v[116:117], v[104:105]
	s_waitcnt vmcnt(2)
	v_fmac_f64_e32 v[94:95], v[118:119], v[106:107]
	s_waitcnt vmcnt(0)
	v_add_f64 v[94:95], v[120:121], -v[94:95]
	buffer_store_dword v94, off, s[0:3], 0 offset:312
	buffer_store_dword v95, off, s[0:3], 0 offset:316
	s_and_saveexec_b64 s[4:5], vcc
	s_cbranch_execz .LBB109_207
; %bb.206:
	buffer_load_dword v94, off, s[0:3], 0 offset:304
	buffer_load_dword v95, off, s[0:3], 0 offset:308
	v_mov_b32_e32 v96, 0
	buffer_store_dword v96, off, s[0:3], 0 offset:304
	buffer_store_dword v96, off, s[0:3], 0 offset:308
	s_waitcnt vmcnt(2)
	ds_write_b64 v1, v[94:95]
.LBB109_207:
	s_or_b64 exec, exec, s[4:5]
	s_waitcnt lgkmcnt(0)
	; wave barrier
	s_waitcnt lgkmcnt(0)
	buffer_load_dword v108, off, s[0:3], 0 offset:312
	buffer_load_dword v109, off, s[0:3], 0 offset:316
	;; [unrolled: 1-line block ×16, first 2 shown]
	v_mov_b32_e32 v94, 0
	ds_read2_b64 v[96:99], v94 offset0:85 offset1:86
	ds_read2_b64 v[100:103], v94 offset0:87 offset1:88
	;; [unrolled: 1-line block ×3, first 2 shown]
	ds_read_b64 v[124:125], v94 offset:728
	v_cmp_lt_u32_e32 vcc, 37, v0
	s_waitcnt vmcnt(14) lgkmcnt(3)
	v_fma_f64 v[96:97], v[108:109], v[96:97], 0
	s_waitcnt vmcnt(12)
	v_fmac_f64_e32 v[96:97], v[110:111], v[98:99]
	s_waitcnt vmcnt(10) lgkmcnt(2)
	v_fmac_f64_e32 v[96:97], v[112:113], v[100:101]
	s_waitcnt vmcnt(8)
	v_fmac_f64_e32 v[96:97], v[114:115], v[102:103]
	s_waitcnt vmcnt(6) lgkmcnt(1)
	v_fmac_f64_e32 v[96:97], v[116:117], v[104:105]
	;; [unrolled: 4-line block ×3, first 2 shown]
	s_waitcnt vmcnt(0)
	v_add_f64 v[96:97], v[122:123], -v[96:97]
	buffer_store_dword v96, off, s[0:3], 0 offset:304
	buffer_store_dword v97, off, s[0:3], 0 offset:308
	s_and_saveexec_b64 s[4:5], vcc
	s_cbranch_execz .LBB109_209
; %bb.208:
	buffer_load_dword v96, off, s[0:3], 0 offset:296
	buffer_load_dword v97, off, s[0:3], 0 offset:300
	s_waitcnt vmcnt(0)
	ds_write_b64 v1, v[96:97]
	buffer_store_dword v94, off, s[0:3], 0 offset:296
	buffer_store_dword v94, off, s[0:3], 0 offset:300
.LBB109_209:
	s_or_b64 exec, exec, s[4:5]
	s_waitcnt lgkmcnt(0)
	; wave barrier
	s_waitcnt lgkmcnt(0)
	buffer_load_dword v112, off, s[0:3], 0 offset:296
	buffer_load_dword v113, off, s[0:3], 0 offset:300
	;; [unrolled: 1-line block ×16, first 2 shown]
	ds_read_b128 v[96:99], v94 offset:672
	ds_read_b128 v[100:103], v94 offset:688
	;; [unrolled: 1-line block ×4, first 2 shown]
	v_cmp_lt_u32_e32 vcc, 36, v0
	s_waitcnt vmcnt(12) lgkmcnt(3)
	v_fma_f64 v[94:95], v[114:115], v[96:97], 0
	buffer_load_dword v97, off, s[0:3], 0 offset:364
	buffer_load_dword v96, off, s[0:3], 0 offset:360
	s_waitcnt vmcnt(12)
	v_fmac_f64_e32 v[94:95], v[116:117], v[98:99]
	s_waitcnt vmcnt(10) lgkmcnt(2)
	v_fmac_f64_e32 v[94:95], v[118:119], v[100:101]
	s_waitcnt vmcnt(8)
	v_fmac_f64_e32 v[94:95], v[120:121], v[102:103]
	s_waitcnt vmcnt(6) lgkmcnt(1)
	v_fmac_f64_e32 v[94:95], v[122:123], v[104:105]
	;; [unrolled: 4-line block ×3, first 2 shown]
	s_waitcnt vmcnt(0)
	v_fmac_f64_e32 v[94:95], v[96:97], v[110:111]
	v_add_f64 v[94:95], v[112:113], -v[94:95]
	buffer_store_dword v94, off, s[0:3], 0 offset:296
	buffer_store_dword v95, off, s[0:3], 0 offset:300
	s_and_saveexec_b64 s[4:5], vcc
	s_cbranch_execz .LBB109_211
; %bb.210:
	buffer_load_dword v94, off, s[0:3], 0 offset:288
	buffer_load_dword v95, off, s[0:3], 0 offset:292
	v_mov_b32_e32 v96, 0
	buffer_store_dword v96, off, s[0:3], 0 offset:288
	buffer_store_dword v96, off, s[0:3], 0 offset:292
	s_waitcnt vmcnt(2)
	ds_write_b64 v1, v[94:95]
.LBB109_211:
	s_or_b64 exec, exec, s[4:5]
	s_waitcnt lgkmcnt(0)
	; wave barrier
	s_waitcnt lgkmcnt(0)
	buffer_load_dword v100, off, s[0:3], 0 offset:288
	buffer_load_dword v101, off, s[0:3], 0 offset:292
	;; [unrolled: 1-line block ×16, first 2 shown]
	v_mov_b32_e32 v94, 0
	ds_read2_b64 v[96:99], v94 offset0:83 offset1:84
	v_cmp_lt_u32_e32 vcc, 35, v0
	s_waitcnt vmcnt(12) lgkmcnt(0)
	v_fma_f64 v[102:103], v[102:103], v[96:97], 0
	s_waitcnt vmcnt(10)
	v_fmac_f64_e32 v[102:103], v[104:105], v[98:99]
	ds_read2_b64 v[96:99], v94 offset0:85 offset1:86
	s_waitcnt vmcnt(8) lgkmcnt(0)
	v_fmac_f64_e32 v[102:103], v[106:107], v[96:97]
	s_waitcnt vmcnt(6)
	v_fmac_f64_e32 v[102:103], v[108:109], v[98:99]
	ds_read2_b64 v[96:99], v94 offset0:87 offset1:88
	s_waitcnt vmcnt(4) lgkmcnt(0)
	v_fmac_f64_e32 v[102:103], v[110:111], v[96:97]
	;; [unrolled: 5-line block ×3, first 2 shown]
	buffer_load_dword v97, off, s[0:3], 0 offset:356
	buffer_load_dword v96, off, s[0:3], 0 offset:352
	s_waitcnt vmcnt(0)
	v_fmac_f64_e32 v[102:103], v[96:97], v[98:99]
	buffer_load_dword v97, off, s[0:3], 0 offset:364
	buffer_load_dword v96, off, s[0:3], 0 offset:360
	ds_read_b64 v[98:99], v94 offset:728
	s_waitcnt vmcnt(0) lgkmcnt(0)
	v_fmac_f64_e32 v[102:103], v[96:97], v[98:99]
	v_add_f64 v[96:97], v[100:101], -v[102:103]
	buffer_store_dword v96, off, s[0:3], 0 offset:288
	buffer_store_dword v97, off, s[0:3], 0 offset:292
	s_and_saveexec_b64 s[4:5], vcc
	s_cbranch_execz .LBB109_213
; %bb.212:
	buffer_load_dword v96, off, s[0:3], 0 offset:280
	buffer_load_dword v97, off, s[0:3], 0 offset:284
	s_waitcnt vmcnt(0)
	ds_write_b64 v1, v[96:97]
	buffer_store_dword v94, off, s[0:3], 0 offset:280
	buffer_store_dword v94, off, s[0:3], 0 offset:284
.LBB109_213:
	s_or_b64 exec, exec, s[4:5]
	s_waitcnt lgkmcnt(0)
	; wave barrier
	s_waitcnt lgkmcnt(0)
	buffer_load_dword v116, off, s[0:3], 0 offset:288
	buffer_load_dword v117, off, s[0:3], 0 offset:292
	buffer_load_dword v118, off, s[0:3], 0 offset:296
	buffer_load_dword v119, off, s[0:3], 0 offset:300
	buffer_load_dword v120, off, s[0:3], 0 offset:304
	buffer_load_dword v121, off, s[0:3], 0 offset:308
	buffer_load_dword v122, off, s[0:3], 0 offset:312
	buffer_load_dword v123, off, s[0:3], 0 offset:316
	buffer_load_dword v124, off, s[0:3], 0 offset:320
	buffer_load_dword v125, off, s[0:3], 0 offset:324
	buffer_load_dword v126, off, s[0:3], 0 offset:328
	buffer_load_dword v127, off, s[0:3], 0 offset:332
	buffer_load_dword v128, off, s[0:3], 0 offset:336
	buffer_load_dword v129, off, s[0:3], 0 offset:340
	buffer_load_dword v130, off, s[0:3], 0 offset:360
	buffer_load_dword v133, off, s[0:3], 0 offset:356
	buffer_load_dword v132, off, s[0:3], 0 offset:352
	buffer_load_dword v135, off, s[0:3], 0 offset:348
	buffer_load_dword v134, off, s[0:3], 0 offset:344
	buffer_load_dword v131, off, s[0:3], 0 offset:364
	buffer_load_dword v136, off, s[0:3], 0 offset:280
	buffer_load_dword v137, off, s[0:3], 0 offset:284
	ds_read_b128 v[96:99], v94 offset:656
	ds_read_b128 v[100:103], v94 offset:672
	;; [unrolled: 1-line block ×5, first 2 shown]
	v_cmp_lt_u32_e32 vcc, 34, v0
	s_waitcnt vmcnt(20) lgkmcnt(4)
	v_fma_f64 v[94:95], v[116:117], v[96:97], 0
	s_waitcnt vmcnt(18)
	v_fmac_f64_e32 v[94:95], v[118:119], v[98:99]
	s_waitcnt vmcnt(16) lgkmcnt(3)
	v_fmac_f64_e32 v[94:95], v[120:121], v[100:101]
	s_waitcnt vmcnt(14)
	v_fmac_f64_e32 v[94:95], v[122:123], v[102:103]
	s_waitcnt vmcnt(12) lgkmcnt(2)
	v_fmac_f64_e32 v[94:95], v[124:125], v[104:105]
	;; [unrolled: 4-line block ×3, first 2 shown]
	s_waitcnt vmcnt(3)
	v_fmac_f64_e32 v[94:95], v[134:135], v[110:111]
	s_waitcnt lgkmcnt(0)
	v_fmac_f64_e32 v[94:95], v[132:133], v[112:113]
	s_waitcnt vmcnt(2)
	v_fmac_f64_e32 v[94:95], v[130:131], v[114:115]
	s_waitcnt vmcnt(0)
	v_add_f64 v[94:95], v[136:137], -v[94:95]
	buffer_store_dword v94, off, s[0:3], 0 offset:280
	buffer_store_dword v95, off, s[0:3], 0 offset:284
	s_and_saveexec_b64 s[4:5], vcc
	s_cbranch_execz .LBB109_215
; %bb.214:
	buffer_load_dword v94, off, s[0:3], 0 offset:272
	buffer_load_dword v95, off, s[0:3], 0 offset:276
	v_mov_b32_e32 v96, 0
	buffer_store_dword v96, off, s[0:3], 0 offset:272
	buffer_store_dword v96, off, s[0:3], 0 offset:276
	s_waitcnt vmcnt(2)
	ds_write_b64 v1, v[94:95]
.LBB109_215:
	s_or_b64 exec, exec, s[4:5]
	s_waitcnt lgkmcnt(0)
	; wave barrier
	s_waitcnt lgkmcnt(0)
	buffer_load_dword v116, off, s[0:3], 0 offset:280
	buffer_load_dword v117, off, s[0:3], 0 offset:284
	;; [unrolled: 1-line block ×24, first 2 shown]
	v_mov_b32_e32 v94, 0
	ds_read2_b64 v[96:99], v94 offset0:81 offset1:82
	ds_read2_b64 v[100:103], v94 offset0:83 offset1:84
	;; [unrolled: 1-line block ×5, first 2 shown]
	ds_read_b64 v[140:141], v94 offset:728
	v_cmp_lt_u32_e32 vcc, 33, v0
	s_waitcnt vmcnt(22) lgkmcnt(5)
	v_fma_f64 v[96:97], v[116:117], v[96:97], 0
	s_waitcnt vmcnt(20)
	v_fmac_f64_e32 v[96:97], v[118:119], v[98:99]
	s_waitcnt vmcnt(18) lgkmcnt(4)
	v_fmac_f64_e32 v[96:97], v[120:121], v[100:101]
	s_waitcnt vmcnt(16)
	v_fmac_f64_e32 v[96:97], v[122:123], v[102:103]
	s_waitcnt vmcnt(14) lgkmcnt(3)
	v_fmac_f64_e32 v[96:97], v[124:125], v[104:105]
	;; [unrolled: 4-line block ×3, first 2 shown]
	s_waitcnt vmcnt(4)
	v_fmac_f64_e32 v[96:97], v[136:137], v[110:111]
	s_waitcnt lgkmcnt(1)
	v_fmac_f64_e32 v[96:97], v[134:135], v[112:113]
	s_waitcnt vmcnt(3)
	v_fmac_f64_e32 v[96:97], v[132:133], v[114:115]
	s_waitcnt vmcnt(2) lgkmcnt(0)
	v_fmac_f64_e32 v[96:97], v[130:131], v[140:141]
	s_waitcnt vmcnt(0)
	v_add_f64 v[96:97], v[138:139], -v[96:97]
	buffer_store_dword v97, off, s[0:3], 0 offset:276
	buffer_store_dword v96, off, s[0:3], 0 offset:272
	s_and_saveexec_b64 s[4:5], vcc
	s_cbranch_execz .LBB109_217
; %bb.216:
	buffer_load_dword v96, off, s[0:3], 0 offset:264
	buffer_load_dword v97, off, s[0:3], 0 offset:268
	s_waitcnt vmcnt(0)
	ds_write_b64 v1, v[96:97]
	buffer_store_dword v94, off, s[0:3], 0 offset:264
	buffer_store_dword v94, off, s[0:3], 0 offset:268
.LBB109_217:
	s_or_b64 exec, exec, s[4:5]
	s_waitcnt lgkmcnt(0)
	; wave barrier
	s_waitcnt lgkmcnt(0)
	buffer_load_dword v120, off, s[0:3], 0 offset:272
	buffer_load_dword v121, off, s[0:3], 0 offset:276
	;; [unrolled: 1-line block ×26, first 2 shown]
	ds_read_b128 v[96:99], v94 offset:640
	ds_read_b128 v[100:103], v94 offset:656
	;; [unrolled: 1-line block ×6, first 2 shown]
	v_cmp_lt_u32_e32 vcc, 32, v0
	s_waitcnt vmcnt(24) lgkmcnt(5)
	v_fma_f64 v[94:95], v[120:121], v[96:97], 0
	s_waitcnt vmcnt(22)
	v_fmac_f64_e32 v[94:95], v[122:123], v[98:99]
	s_waitcnt vmcnt(20) lgkmcnt(4)
	v_fmac_f64_e32 v[94:95], v[124:125], v[100:101]
	s_waitcnt vmcnt(18)
	v_fmac_f64_e32 v[94:95], v[126:127], v[102:103]
	s_waitcnt vmcnt(16) lgkmcnt(3)
	v_fmac_f64_e32 v[94:95], v[128:129], v[104:105]
	;; [unrolled: 4-line block ×3, first 2 shown]
	s_waitcnt vmcnt(5)
	v_fmac_f64_e32 v[94:95], v[140:141], v[110:111]
	s_waitcnt lgkmcnt(1)
	v_fmac_f64_e32 v[94:95], v[138:139], v[112:113]
	v_fmac_f64_e32 v[94:95], v[136:137], v[114:115]
	s_waitcnt vmcnt(4) lgkmcnt(0)
	v_fmac_f64_e32 v[94:95], v[134:135], v[116:117]
	s_waitcnt vmcnt(2)
	v_fmac_f64_e32 v[94:95], v[142:143], v[118:119]
	s_waitcnt vmcnt(0)
	v_add_f64 v[94:95], v[144:145], -v[94:95]
	buffer_store_dword v95, off, s[0:3], 0 offset:268
	buffer_store_dword v94, off, s[0:3], 0 offset:264
	s_and_saveexec_b64 s[4:5], vcc
	s_cbranch_execz .LBB109_219
; %bb.218:
	buffer_load_dword v94, off, s[0:3], 0 offset:256
	buffer_load_dword v95, off, s[0:3], 0 offset:260
	v_mov_b32_e32 v96, 0
	buffer_store_dword v96, off, s[0:3], 0 offset:256
	buffer_store_dword v96, off, s[0:3], 0 offset:260
	s_waitcnt vmcnt(2)
	ds_write_b64 v1, v[94:95]
.LBB109_219:
	s_or_b64 exec, exec, s[4:5]
	s_waitcnt lgkmcnt(0)
	; wave barrier
	s_waitcnt lgkmcnt(0)
	buffer_load_dword v120, off, s[0:3], 0 offset:264
	buffer_load_dword v121, off, s[0:3], 0 offset:268
	;; [unrolled: 1-line block ×28, first 2 shown]
	v_mov_b32_e32 v94, 0
	ds_read2_b64 v[96:99], v94 offset0:79 offset1:80
	ds_read2_b64 v[100:103], v94 offset0:81 offset1:82
	;; [unrolled: 1-line block ×6, first 2 shown]
	ds_read_b64 v[148:149], v94 offset:728
	v_cmp_lt_u32_e32 vcc, 31, v0
	s_waitcnt vmcnt(26) lgkmcnt(6)
	v_fma_f64 v[96:97], v[120:121], v[96:97], 0
	s_waitcnt vmcnt(24)
	v_fmac_f64_e32 v[96:97], v[122:123], v[98:99]
	s_waitcnt vmcnt(22) lgkmcnt(5)
	v_fmac_f64_e32 v[96:97], v[124:125], v[100:101]
	s_waitcnt vmcnt(20)
	v_fmac_f64_e32 v[96:97], v[126:127], v[102:103]
	s_waitcnt vmcnt(18) lgkmcnt(4)
	v_fmac_f64_e32 v[96:97], v[128:129], v[104:105]
	s_waitcnt vmcnt(16)
	v_fmac_f64_e32 v[96:97], v[130:131], v[106:107]
	s_waitcnt vmcnt(14) lgkmcnt(3)
	v_fmac_f64_e32 v[96:97], v[132:133], v[108:109]
	s_waitcnt vmcnt(6)
	v_fmac_f64_e32 v[96:97], v[140:141], v[110:111]
	s_waitcnt lgkmcnt(2)
	v_fmac_f64_e32 v[96:97], v[138:139], v[112:113]
	v_fmac_f64_e32 v[96:97], v[136:137], v[114:115]
	s_waitcnt lgkmcnt(1)
	v_fmac_f64_e32 v[96:97], v[134:135], v[116:117]
	s_waitcnt vmcnt(2)
	v_fmac_f64_e32 v[96:97], v[144:145], v[118:119]
	s_waitcnt lgkmcnt(0)
	v_fmac_f64_e32 v[96:97], v[142:143], v[148:149]
	s_waitcnt vmcnt(0)
	v_add_f64 v[96:97], v[146:147], -v[96:97]
	buffer_store_dword v97, off, s[0:3], 0 offset:260
	buffer_store_dword v96, off, s[0:3], 0 offset:256
	s_and_saveexec_b64 s[4:5], vcc
	s_cbranch_execz .LBB109_221
; %bb.220:
	buffer_load_dword v96, off, s[0:3], 0 offset:248
	buffer_load_dword v97, off, s[0:3], 0 offset:252
	s_waitcnt vmcnt(0)
	ds_write_b64 v1, v[96:97]
	buffer_store_dword v94, off, s[0:3], 0 offset:248
	buffer_store_dword v94, off, s[0:3], 0 offset:252
.LBB109_221:
	s_or_b64 exec, exec, s[4:5]
	s_waitcnt lgkmcnt(0)
	; wave barrier
	s_waitcnt lgkmcnt(0)
	buffer_load_dword v124, off, s[0:3], 0 offset:256
	buffer_load_dword v125, off, s[0:3], 0 offset:260
	;; [unrolled: 1-line block ×30, first 2 shown]
	ds_read_b128 v[96:99], v94 offset:624
	ds_read_b128 v[100:103], v94 offset:640
	;; [unrolled: 1-line block ×7, first 2 shown]
	v_cmp_lt_u32_e32 vcc, 30, v0
	s_waitcnt vmcnt(28) lgkmcnt(6)
	v_fma_f64 v[94:95], v[124:125], v[96:97], 0
	s_waitcnt vmcnt(26)
	v_fmac_f64_e32 v[94:95], v[126:127], v[98:99]
	s_waitcnt vmcnt(24) lgkmcnt(5)
	v_fmac_f64_e32 v[94:95], v[128:129], v[100:101]
	s_waitcnt vmcnt(22)
	v_fmac_f64_e32 v[94:95], v[130:131], v[102:103]
	s_waitcnt vmcnt(20) lgkmcnt(4)
	v_fmac_f64_e32 v[94:95], v[132:133], v[104:105]
	;; [unrolled: 4-line block ×3, first 2 shown]
	s_waitcnt vmcnt(8)
	v_fmac_f64_e32 v[94:95], v[144:145], v[110:111]
	s_waitcnt lgkmcnt(2)
	v_fmac_f64_e32 v[94:95], v[142:143], v[112:113]
	v_fmac_f64_e32 v[94:95], v[140:141], v[114:115]
	s_waitcnt lgkmcnt(1)
	v_fmac_f64_e32 v[94:95], v[138:139], v[116:117]
	s_waitcnt vmcnt(3)
	v_fmac_f64_e32 v[94:95], v[150:151], v[118:119]
	s_waitcnt lgkmcnt(0)
	v_fmac_f64_e32 v[94:95], v[148:149], v[120:121]
	s_waitcnt vmcnt(2)
	v_fmac_f64_e32 v[94:95], v[146:147], v[122:123]
	s_waitcnt vmcnt(0)
	v_add_f64 v[94:95], v[152:153], -v[94:95]
	buffer_store_dword v95, off, s[0:3], 0 offset:252
	buffer_store_dword v94, off, s[0:3], 0 offset:248
	s_and_saveexec_b64 s[4:5], vcc
	s_cbranch_execz .LBB109_223
; %bb.222:
	buffer_load_dword v94, off, s[0:3], 0 offset:240
	buffer_load_dword v95, off, s[0:3], 0 offset:244
	v_mov_b32_e32 v96, 0
	buffer_store_dword v96, off, s[0:3], 0 offset:240
	buffer_store_dword v96, off, s[0:3], 0 offset:244
	s_waitcnt vmcnt(2)
	ds_write_b64 v1, v[94:95]
.LBB109_223:
	s_or_b64 exec, exec, s[4:5]
	s_waitcnt lgkmcnt(0)
	; wave barrier
	s_waitcnt lgkmcnt(0)
	buffer_load_dword v124, off, s[0:3], 0 offset:248
	buffer_load_dword v125, off, s[0:3], 0 offset:252
	;; [unrolled: 1-line block ×32, first 2 shown]
	v_mov_b32_e32 v94, 0
	ds_read2_b64 v[96:99], v94 offset0:77 offset1:78
	ds_read2_b64 v[100:103], v94 offset0:79 offset1:80
	;; [unrolled: 1-line block ×7, first 2 shown]
	ds_read_b64 v[156:157], v94 offset:728
	v_cmp_lt_u32_e32 vcc, 29, v0
	s_waitcnt vmcnt(30) lgkmcnt(7)
	v_fma_f64 v[96:97], v[124:125], v[96:97], 0
	s_waitcnt vmcnt(28)
	v_fmac_f64_e32 v[96:97], v[126:127], v[98:99]
	s_waitcnt vmcnt(26) lgkmcnt(6)
	v_fmac_f64_e32 v[96:97], v[128:129], v[100:101]
	s_waitcnt vmcnt(24)
	v_fmac_f64_e32 v[96:97], v[130:131], v[102:103]
	s_waitcnt vmcnt(22) lgkmcnt(5)
	v_fmac_f64_e32 v[96:97], v[132:133], v[104:105]
	;; [unrolled: 4-line block ×3, first 2 shown]
	s_waitcnt vmcnt(10)
	v_fmac_f64_e32 v[96:97], v[144:145], v[110:111]
	s_waitcnt lgkmcnt(3)
	v_fmac_f64_e32 v[96:97], v[142:143], v[112:113]
	v_fmac_f64_e32 v[96:97], v[140:141], v[114:115]
	s_waitcnt lgkmcnt(2)
	v_fmac_f64_e32 v[96:97], v[138:139], v[116:117]
	s_waitcnt vmcnt(4)
	v_fmac_f64_e32 v[96:97], v[152:153], v[118:119]
	s_waitcnt lgkmcnt(1)
	v_fmac_f64_e32 v[96:97], v[150:151], v[120:121]
	s_waitcnt vmcnt(3)
	v_fmac_f64_e32 v[96:97], v[148:149], v[122:123]
	s_waitcnt vmcnt(2) lgkmcnt(0)
	v_fmac_f64_e32 v[96:97], v[146:147], v[156:157]
	s_waitcnt vmcnt(0)
	v_add_f64 v[96:97], v[154:155], -v[96:97]
	buffer_store_dword v97, off, s[0:3], 0 offset:244
	buffer_store_dword v96, off, s[0:3], 0 offset:240
	s_and_saveexec_b64 s[4:5], vcc
	s_cbranch_execz .LBB109_225
; %bb.224:
	buffer_load_dword v96, off, s[0:3], 0 offset:232
	buffer_load_dword v97, off, s[0:3], 0 offset:236
	s_waitcnt vmcnt(0)
	ds_write_b64 v1, v[96:97]
	buffer_store_dword v94, off, s[0:3], 0 offset:232
	buffer_store_dword v94, off, s[0:3], 0 offset:236
.LBB109_225:
	s_or_b64 exec, exec, s[4:5]
	s_waitcnt lgkmcnt(0)
	; wave barrier
	s_waitcnt lgkmcnt(0)
	buffer_load_dword v128, off, s[0:3], 0 offset:240
	buffer_load_dword v129, off, s[0:3], 0 offset:244
	;; [unrolled: 1-line block ×34, first 2 shown]
	ds_read_b128 v[96:99], v94 offset:608
	ds_read_b128 v[100:103], v94 offset:624
	;; [unrolled: 1-line block ×8, first 2 shown]
	v_cmp_lt_u32_e32 vcc, 28, v0
	s_waitcnt vmcnt(32) lgkmcnt(7)
	v_fma_f64 v[94:95], v[128:129], v[96:97], 0
	s_waitcnt vmcnt(30)
	v_fmac_f64_e32 v[94:95], v[130:131], v[98:99]
	s_waitcnt vmcnt(28) lgkmcnt(6)
	v_fmac_f64_e32 v[94:95], v[132:133], v[100:101]
	s_waitcnt vmcnt(26)
	v_fmac_f64_e32 v[94:95], v[134:135], v[102:103]
	s_waitcnt vmcnt(24) lgkmcnt(5)
	v_fmac_f64_e32 v[94:95], v[136:137], v[104:105]
	;; [unrolled: 4-line block ×3, first 2 shown]
	s_waitcnt vmcnt(12)
	v_fmac_f64_e32 v[94:95], v[148:149], v[110:111]
	s_waitcnt lgkmcnt(3)
	v_fmac_f64_e32 v[94:95], v[146:147], v[112:113]
	v_fmac_f64_e32 v[94:95], v[144:145], v[114:115]
	s_waitcnt lgkmcnt(2)
	v_fmac_f64_e32 v[94:95], v[142:143], v[116:117]
	s_waitcnt vmcnt(5)
	v_fmac_f64_e32 v[94:95], v[156:157], v[118:119]
	s_waitcnt lgkmcnt(1)
	v_fmac_f64_e32 v[94:95], v[154:155], v[120:121]
	v_fmac_f64_e32 v[94:95], v[152:153], v[122:123]
	s_waitcnt vmcnt(4) lgkmcnt(0)
	v_fmac_f64_e32 v[94:95], v[150:151], v[124:125]
	s_waitcnt vmcnt(2)
	v_fmac_f64_e32 v[94:95], v[158:159], v[126:127]
	s_waitcnt vmcnt(0)
	v_add_f64 v[94:95], v[160:161], -v[94:95]
	buffer_store_dword v95, off, s[0:3], 0 offset:236
	buffer_store_dword v94, off, s[0:3], 0 offset:232
	s_and_saveexec_b64 s[4:5], vcc
	s_cbranch_execz .LBB109_227
; %bb.226:
	buffer_load_dword v94, off, s[0:3], 0 offset:224
	buffer_load_dword v95, off, s[0:3], 0 offset:228
	v_mov_b32_e32 v96, 0
	buffer_store_dword v96, off, s[0:3], 0 offset:224
	buffer_store_dword v96, off, s[0:3], 0 offset:228
	s_waitcnt vmcnt(2)
	ds_write_b64 v1, v[94:95]
.LBB109_227:
	s_or_b64 exec, exec, s[4:5]
	s_waitcnt lgkmcnt(0)
	; wave barrier
	s_waitcnt lgkmcnt(0)
	buffer_load_dword v128, off, s[0:3], 0 offset:232
	buffer_load_dword v129, off, s[0:3], 0 offset:236
	;; [unrolled: 1-line block ×36, first 2 shown]
	v_mov_b32_e32 v98, 0
	ds_read2_b64 v[94:97], v98 offset0:75 offset1:76
	ds_read2_b64 v[100:103], v98 offset0:77 offset1:78
	;; [unrolled: 1-line block ×8, first 2 shown]
	ds_read_b64 v[164:165], v98 offset:728
	v_cmp_lt_u32_e32 vcc, 27, v0
	s_waitcnt vmcnt(34) lgkmcnt(8)
	v_fma_f64 v[94:95], v[128:129], v[94:95], 0
	s_waitcnt vmcnt(32)
	v_fmac_f64_e32 v[94:95], v[130:131], v[96:97]
	s_waitcnt vmcnt(30) lgkmcnt(7)
	v_fmac_f64_e32 v[94:95], v[132:133], v[100:101]
	s_waitcnt vmcnt(28)
	v_fmac_f64_e32 v[94:95], v[134:135], v[102:103]
	s_waitcnt vmcnt(26) lgkmcnt(6)
	v_fmac_f64_e32 v[94:95], v[136:137], v[104:105]
	;; [unrolled: 4-line block ×3, first 2 shown]
	s_waitcnt vmcnt(14)
	v_fmac_f64_e32 v[94:95], v[148:149], v[110:111]
	s_waitcnt lgkmcnt(4)
	v_fmac_f64_e32 v[94:95], v[146:147], v[112:113]
	v_fmac_f64_e32 v[94:95], v[144:145], v[114:115]
	s_waitcnt lgkmcnt(3)
	v_fmac_f64_e32 v[94:95], v[142:143], v[116:117]
	s_waitcnt vmcnt(6)
	v_fmac_f64_e32 v[94:95], v[156:157], v[118:119]
	s_waitcnt lgkmcnt(2)
	v_fmac_f64_e32 v[94:95], v[154:155], v[120:121]
	v_fmac_f64_e32 v[94:95], v[152:153], v[122:123]
	s_waitcnt lgkmcnt(1)
	v_fmac_f64_e32 v[94:95], v[150:151], v[124:125]
	s_waitcnt vmcnt(2)
	v_fmac_f64_e32 v[94:95], v[160:161], v[126:127]
	s_waitcnt lgkmcnt(0)
	v_fmac_f64_e32 v[94:95], v[158:159], v[164:165]
	s_waitcnt vmcnt(0)
	v_add_f64 v[94:95], v[162:163], -v[94:95]
	buffer_store_dword v95, off, s[0:3], 0 offset:228
	buffer_store_dword v94, off, s[0:3], 0 offset:224
	s_and_saveexec_b64 s[4:5], vcc
	s_cbranch_execz .LBB109_229
; %bb.228:
	buffer_load_dword v94, off, s[0:3], 0 offset:216
	buffer_load_dword v95, off, s[0:3], 0 offset:220
	s_waitcnt vmcnt(0)
	ds_write_b64 v1, v[94:95]
	buffer_store_dword v98, off, s[0:3], 0 offset:216
	buffer_store_dword v98, off, s[0:3], 0 offset:220
.LBB109_229:
	s_or_b64 exec, exec, s[4:5]
	s_waitcnt lgkmcnt(0)
	; wave barrier
	s_waitcnt lgkmcnt(0)
	buffer_load_dword v94, off, s[0:3], 0 offset:216
	buffer_load_dword v95, off, s[0:3], 0 offset:220
	;; [unrolled: 1-line block ×16, first 2 shown]
	ds_read_b128 v[100:103], v98 offset:592
	ds_read_b128 v[104:107], v98 offset:608
	;; [unrolled: 1-line block ×4, first 2 shown]
	v_cmp_lt_u32_e32 vcc, 26, v0
	s_waitcnt vmcnt(12) lgkmcnt(3)
	v_fma_f64 v[96:97], v[96:97], v[100:101], 0
	buffer_load_dword v101, off, s[0:3], 0 offset:284
	buffer_load_dword v100, off, s[0:3], 0 offset:280
	s_waitcnt vmcnt(12)
	v_fmac_f64_e32 v[96:97], v[116:117], v[102:103]
	s_waitcnt vmcnt(10) lgkmcnt(2)
	v_fmac_f64_e32 v[96:97], v[118:119], v[104:105]
	buffer_load_dword v105, off, s[0:3], 0 offset:292
	buffer_load_dword v104, off, s[0:3], 0 offset:288
	s_waitcnt vmcnt(10)
	v_fmac_f64_e32 v[96:97], v[120:121], v[106:107]
	s_waitcnt vmcnt(8) lgkmcnt(1)
	v_fmac_f64_e32 v[96:97], v[122:123], v[108:109]
	s_waitcnt vmcnt(6)
	v_fmac_f64_e32 v[96:97], v[124:125], v[110:111]
	s_waitcnt vmcnt(4) lgkmcnt(0)
	v_fmac_f64_e32 v[96:97], v[126:127], v[112:113]
	s_waitcnt vmcnt(2)
	v_fmac_f64_e32 v[96:97], v[100:101], v[114:115]
	ds_read_b128 v[100:103], v98 offset:656
	s_waitcnt vmcnt(0) lgkmcnt(0)
	v_fmac_f64_e32 v[96:97], v[104:105], v[100:101]
	buffer_load_dword v101, off, s[0:3], 0 offset:300
	buffer_load_dword v100, off, s[0:3], 0 offset:296
	buffer_load_dword v105, off, s[0:3], 0 offset:308
	buffer_load_dword v104, off, s[0:3], 0 offset:304
	s_waitcnt vmcnt(2)
	v_fmac_f64_e32 v[96:97], v[100:101], v[102:103]
	ds_read_b128 v[100:103], v98 offset:672
	s_waitcnt vmcnt(0) lgkmcnt(0)
	v_fmac_f64_e32 v[96:97], v[104:105], v[100:101]
	buffer_load_dword v101, off, s[0:3], 0 offset:316
	buffer_load_dword v100, off, s[0:3], 0 offset:312
	buffer_load_dword v105, off, s[0:3], 0 offset:324
	buffer_load_dword v104, off, s[0:3], 0 offset:320
	;; [unrolled: 9-line block ×3, first 2 shown]
	s_waitcnt vmcnt(2)
	v_fmac_f64_e32 v[96:97], v[100:101], v[102:103]
	ds_read_b128 v[100:103], v98 offset:704
	s_waitcnt vmcnt(0) lgkmcnt(0)
	v_fmac_f64_e32 v[96:97], v[104:105], v[100:101]
	buffer_load_dword v101, off, s[0:3], 0 offset:348
	buffer_load_dword v100, off, s[0:3], 0 offset:344
	s_waitcnt vmcnt(0)
	v_fmac_f64_e32 v[96:97], v[100:101], v[102:103]
	buffer_load_dword v103, off, s[0:3], 0 offset:356
	buffer_load_dword v102, off, s[0:3], 0 offset:352
	ds_read_b128 v[98:101], v98 offset:720
	s_waitcnt vmcnt(0) lgkmcnt(0)
	v_fmac_f64_e32 v[96:97], v[102:103], v[98:99]
	buffer_load_dword v99, off, s[0:3], 0 offset:364
	buffer_load_dword v98, off, s[0:3], 0 offset:360
	s_waitcnt vmcnt(0)
	v_fmac_f64_e32 v[96:97], v[98:99], v[100:101]
	v_add_f64 v[94:95], v[94:95], -v[96:97]
	buffer_store_dword v95, off, s[0:3], 0 offset:220
	buffer_store_dword v94, off, s[0:3], 0 offset:216
	s_and_saveexec_b64 s[4:5], vcc
	s_cbranch_execz .LBB109_231
; %bb.230:
	buffer_load_dword v94, off, s[0:3], 0 offset:208
	buffer_load_dword v95, off, s[0:3], 0 offset:212
	v_mov_b32_e32 v96, 0
	buffer_store_dword v96, off, s[0:3], 0 offset:208
	buffer_store_dword v96, off, s[0:3], 0 offset:212
	s_waitcnt vmcnt(2)
	ds_write_b64 v1, v[94:95]
.LBB109_231:
	s_or_b64 exec, exec, s[4:5]
	s_waitcnt lgkmcnt(0)
	; wave barrier
	s_waitcnt lgkmcnt(0)
	buffer_load_dword v94, off, s[0:3], 0 offset:208
	buffer_load_dword v95, off, s[0:3], 0 offset:212
	;; [unrolled: 1-line block ×16, first 2 shown]
	v_mov_b32_e32 v98, 0
	ds_read2_b64 v[100:103], v98 offset0:73 offset1:74
	v_cmp_lt_u32_e32 vcc, 25, v0
	s_waitcnt vmcnt(12) lgkmcnt(0)
	v_fma_f64 v[96:97], v[96:97], v[100:101], 0
	s_waitcnt vmcnt(10)
	v_fmac_f64_e32 v[96:97], v[104:105], v[102:103]
	ds_read2_b64 v[100:103], v98 offset0:75 offset1:76
	s_waitcnt vmcnt(8) lgkmcnt(0)
	v_fmac_f64_e32 v[96:97], v[106:107], v[100:101]
	s_waitcnt vmcnt(6)
	v_fmac_f64_e32 v[96:97], v[108:109], v[102:103]
	ds_read2_b64 v[100:103], v98 offset0:77 offset1:78
	s_waitcnt vmcnt(4) lgkmcnt(0)
	v_fmac_f64_e32 v[96:97], v[110:111], v[100:101]
	;; [unrolled: 5-line block ×3, first 2 shown]
	buffer_load_dword v101, off, s[0:3], 0 offset:276
	buffer_load_dword v100, off, s[0:3], 0 offset:272
	buffer_load_dword v105, off, s[0:3], 0 offset:284
	buffer_load_dword v104, off, s[0:3], 0 offset:280
	s_waitcnt vmcnt(2)
	v_fmac_f64_e32 v[96:97], v[100:101], v[102:103]
	ds_read2_b64 v[100:103], v98 offset0:81 offset1:82
	s_waitcnt vmcnt(0) lgkmcnt(0)
	v_fmac_f64_e32 v[96:97], v[104:105], v[100:101]
	buffer_load_dword v101, off, s[0:3], 0 offset:292
	buffer_load_dword v100, off, s[0:3], 0 offset:288
	buffer_load_dword v105, off, s[0:3], 0 offset:300
	buffer_load_dword v104, off, s[0:3], 0 offset:296
	s_waitcnt vmcnt(2)
	v_fmac_f64_e32 v[96:97], v[100:101], v[102:103]
	ds_read2_b64 v[100:103], v98 offset0:83 offset1:84
	s_waitcnt vmcnt(0) lgkmcnt(0)
	v_fmac_f64_e32 v[96:97], v[104:105], v[100:101]
	;; [unrolled: 9-line block ×5, first 2 shown]
	buffer_load_dword v101, off, s[0:3], 0 offset:356
	buffer_load_dword v100, off, s[0:3], 0 offset:352
	s_waitcnt vmcnt(0)
	v_fmac_f64_e32 v[96:97], v[100:101], v[102:103]
	buffer_load_dword v101, off, s[0:3], 0 offset:364
	buffer_load_dword v100, off, s[0:3], 0 offset:360
	ds_read_b64 v[102:103], v98 offset:728
	s_waitcnt vmcnt(0) lgkmcnt(0)
	v_fmac_f64_e32 v[96:97], v[100:101], v[102:103]
	v_add_f64 v[94:95], v[94:95], -v[96:97]
	buffer_store_dword v95, off, s[0:3], 0 offset:212
	buffer_store_dword v94, off, s[0:3], 0 offset:208
	s_and_saveexec_b64 s[4:5], vcc
	s_cbranch_execz .LBB109_233
; %bb.232:
	buffer_load_dword v94, off, s[0:3], 0 offset:200
	buffer_load_dword v95, off, s[0:3], 0 offset:204
	s_waitcnt vmcnt(0)
	ds_write_b64 v1, v[94:95]
	buffer_store_dword v98, off, s[0:3], 0 offset:200
	buffer_store_dword v98, off, s[0:3], 0 offset:204
.LBB109_233:
	s_or_b64 exec, exec, s[4:5]
	s_waitcnt lgkmcnt(0)
	; wave barrier
	s_waitcnt lgkmcnt(0)
	buffer_load_dword v94, off, s[0:3], 0 offset:200
	buffer_load_dword v95, off, s[0:3], 0 offset:204
	;; [unrolled: 1-line block ×16, first 2 shown]
	ds_read_b128 v[100:103], v98 offset:576
	ds_read_b128 v[104:107], v98 offset:592
	ds_read_b128 v[108:111], v98 offset:608
	ds_read_b128 v[112:115], v98 offset:624
	v_cmp_lt_u32_e32 vcc, 24, v0
	s_waitcnt vmcnt(12) lgkmcnt(3)
	v_fma_f64 v[96:97], v[96:97], v[100:101], 0
	buffer_load_dword v101, off, s[0:3], 0 offset:268
	buffer_load_dword v100, off, s[0:3], 0 offset:264
	s_waitcnt vmcnt(12)
	v_fmac_f64_e32 v[96:97], v[116:117], v[102:103]
	s_waitcnt vmcnt(10) lgkmcnt(2)
	v_fmac_f64_e32 v[96:97], v[118:119], v[104:105]
	buffer_load_dword v105, off, s[0:3], 0 offset:276
	buffer_load_dword v104, off, s[0:3], 0 offset:272
	s_waitcnt vmcnt(10)
	v_fmac_f64_e32 v[96:97], v[120:121], v[106:107]
	s_waitcnt vmcnt(8) lgkmcnt(1)
	v_fmac_f64_e32 v[96:97], v[122:123], v[108:109]
	s_waitcnt vmcnt(6)
	v_fmac_f64_e32 v[96:97], v[124:125], v[110:111]
	s_waitcnt vmcnt(4) lgkmcnt(0)
	v_fmac_f64_e32 v[96:97], v[126:127], v[112:113]
	s_waitcnt vmcnt(2)
	v_fmac_f64_e32 v[96:97], v[100:101], v[114:115]
	ds_read_b128 v[100:103], v98 offset:640
	s_waitcnt vmcnt(0) lgkmcnt(0)
	v_fmac_f64_e32 v[96:97], v[104:105], v[100:101]
	buffer_load_dword v101, off, s[0:3], 0 offset:284
	buffer_load_dword v100, off, s[0:3], 0 offset:280
	buffer_load_dword v105, off, s[0:3], 0 offset:292
	buffer_load_dword v104, off, s[0:3], 0 offset:288
	s_waitcnt vmcnt(2)
	v_fmac_f64_e32 v[96:97], v[100:101], v[102:103]
	ds_read_b128 v[100:103], v98 offset:656
	s_waitcnt vmcnt(0) lgkmcnt(0)
	v_fmac_f64_e32 v[96:97], v[104:105], v[100:101]
	buffer_load_dword v101, off, s[0:3], 0 offset:300
	buffer_load_dword v100, off, s[0:3], 0 offset:296
	buffer_load_dword v105, off, s[0:3], 0 offset:308
	buffer_load_dword v104, off, s[0:3], 0 offset:304
	;; [unrolled: 9-line block ×4, first 2 shown]
	s_waitcnt vmcnt(2)
	v_fmac_f64_e32 v[96:97], v[100:101], v[102:103]
	ds_read_b128 v[100:103], v98 offset:704
	s_waitcnt vmcnt(0) lgkmcnt(0)
	v_fmac_f64_e32 v[96:97], v[104:105], v[100:101]
	buffer_load_dword v101, off, s[0:3], 0 offset:348
	buffer_load_dword v100, off, s[0:3], 0 offset:344
	s_waitcnt vmcnt(0)
	v_fmac_f64_e32 v[96:97], v[100:101], v[102:103]
	buffer_load_dword v103, off, s[0:3], 0 offset:356
	buffer_load_dword v102, off, s[0:3], 0 offset:352
	ds_read_b128 v[98:101], v98 offset:720
	s_waitcnt vmcnt(0) lgkmcnt(0)
	v_fmac_f64_e32 v[96:97], v[102:103], v[98:99]
	buffer_load_dword v99, off, s[0:3], 0 offset:364
	buffer_load_dword v98, off, s[0:3], 0 offset:360
	s_waitcnt vmcnt(0)
	v_fmac_f64_e32 v[96:97], v[98:99], v[100:101]
	v_add_f64 v[94:95], v[94:95], -v[96:97]
	buffer_store_dword v95, off, s[0:3], 0 offset:204
	buffer_store_dword v94, off, s[0:3], 0 offset:200
	s_and_saveexec_b64 s[4:5], vcc
	s_cbranch_execz .LBB109_235
; %bb.234:
	buffer_load_dword v94, off, s[0:3], 0 offset:192
	buffer_load_dword v95, off, s[0:3], 0 offset:196
	v_mov_b32_e32 v96, 0
	buffer_store_dword v96, off, s[0:3], 0 offset:192
	buffer_store_dword v96, off, s[0:3], 0 offset:196
	s_waitcnt vmcnt(2)
	ds_write_b64 v1, v[94:95]
.LBB109_235:
	s_or_b64 exec, exec, s[4:5]
	s_waitcnt lgkmcnt(0)
	; wave barrier
	s_waitcnt lgkmcnt(0)
	buffer_load_dword v94, off, s[0:3], 0 offset:192
	buffer_load_dword v95, off, s[0:3], 0 offset:196
	;; [unrolled: 1-line block ×16, first 2 shown]
	v_mov_b32_e32 v98, 0
	ds_read2_b64 v[100:103], v98 offset0:71 offset1:72
	v_cmp_lt_u32_e32 vcc, 23, v0
	s_waitcnt vmcnt(12) lgkmcnt(0)
	v_fma_f64 v[96:97], v[96:97], v[100:101], 0
	s_waitcnt vmcnt(10)
	v_fmac_f64_e32 v[96:97], v[104:105], v[102:103]
	ds_read2_b64 v[100:103], v98 offset0:73 offset1:74
	s_waitcnt vmcnt(8) lgkmcnt(0)
	v_fmac_f64_e32 v[96:97], v[106:107], v[100:101]
	s_waitcnt vmcnt(6)
	v_fmac_f64_e32 v[96:97], v[108:109], v[102:103]
	ds_read2_b64 v[100:103], v98 offset0:75 offset1:76
	s_waitcnt vmcnt(4) lgkmcnt(0)
	v_fmac_f64_e32 v[96:97], v[110:111], v[100:101]
	;; [unrolled: 5-line block ×3, first 2 shown]
	buffer_load_dword v101, off, s[0:3], 0 offset:260
	buffer_load_dword v100, off, s[0:3], 0 offset:256
	buffer_load_dword v105, off, s[0:3], 0 offset:268
	buffer_load_dword v104, off, s[0:3], 0 offset:264
	s_waitcnt vmcnt(2)
	v_fmac_f64_e32 v[96:97], v[100:101], v[102:103]
	ds_read2_b64 v[100:103], v98 offset0:79 offset1:80
	s_waitcnt vmcnt(0) lgkmcnt(0)
	v_fmac_f64_e32 v[96:97], v[104:105], v[100:101]
	buffer_load_dword v101, off, s[0:3], 0 offset:276
	buffer_load_dword v100, off, s[0:3], 0 offset:272
	buffer_load_dword v105, off, s[0:3], 0 offset:284
	buffer_load_dword v104, off, s[0:3], 0 offset:280
	s_waitcnt vmcnt(2)
	v_fmac_f64_e32 v[96:97], v[100:101], v[102:103]
	ds_read2_b64 v[100:103], v98 offset0:81 offset1:82
	s_waitcnt vmcnt(0) lgkmcnt(0)
	v_fmac_f64_e32 v[96:97], v[104:105], v[100:101]
	;; [unrolled: 9-line block ×6, first 2 shown]
	buffer_load_dword v101, off, s[0:3], 0 offset:356
	buffer_load_dword v100, off, s[0:3], 0 offset:352
	s_waitcnt vmcnt(0)
	v_fmac_f64_e32 v[96:97], v[100:101], v[102:103]
	buffer_load_dword v101, off, s[0:3], 0 offset:364
	buffer_load_dword v100, off, s[0:3], 0 offset:360
	ds_read_b64 v[102:103], v98 offset:728
	s_waitcnt vmcnt(0) lgkmcnt(0)
	v_fmac_f64_e32 v[96:97], v[100:101], v[102:103]
	v_add_f64 v[94:95], v[94:95], -v[96:97]
	buffer_store_dword v95, off, s[0:3], 0 offset:196
	buffer_store_dword v94, off, s[0:3], 0 offset:192
	s_and_saveexec_b64 s[4:5], vcc
	s_cbranch_execz .LBB109_237
; %bb.236:
	buffer_load_dword v94, off, s[0:3], 0 offset:184
	buffer_load_dword v95, off, s[0:3], 0 offset:188
	s_waitcnt vmcnt(0)
	ds_write_b64 v1, v[94:95]
	buffer_store_dword v98, off, s[0:3], 0 offset:184
	buffer_store_dword v98, off, s[0:3], 0 offset:188
.LBB109_237:
	s_or_b64 exec, exec, s[4:5]
	s_waitcnt lgkmcnt(0)
	; wave barrier
	s_waitcnt lgkmcnt(0)
	buffer_load_dword v94, off, s[0:3], 0 offset:184
	buffer_load_dword v95, off, s[0:3], 0 offset:188
	;; [unrolled: 1-line block ×16, first 2 shown]
	ds_read_b128 v[100:103], v98 offset:560
	ds_read_b128 v[104:107], v98 offset:576
	;; [unrolled: 1-line block ×4, first 2 shown]
	v_cmp_lt_u32_e32 vcc, 22, v0
	s_waitcnt vmcnt(12) lgkmcnt(3)
	v_fma_f64 v[96:97], v[96:97], v[100:101], 0
	buffer_load_dword v101, off, s[0:3], 0 offset:252
	buffer_load_dword v100, off, s[0:3], 0 offset:248
	s_waitcnt vmcnt(12)
	v_fmac_f64_e32 v[96:97], v[116:117], v[102:103]
	s_waitcnt vmcnt(10) lgkmcnt(2)
	v_fmac_f64_e32 v[96:97], v[118:119], v[104:105]
	buffer_load_dword v105, off, s[0:3], 0 offset:260
	buffer_load_dword v104, off, s[0:3], 0 offset:256
	s_waitcnt vmcnt(10)
	v_fmac_f64_e32 v[96:97], v[120:121], v[106:107]
	s_waitcnt vmcnt(8) lgkmcnt(1)
	v_fmac_f64_e32 v[96:97], v[122:123], v[108:109]
	s_waitcnt vmcnt(6)
	v_fmac_f64_e32 v[96:97], v[124:125], v[110:111]
	s_waitcnt vmcnt(4) lgkmcnt(0)
	v_fmac_f64_e32 v[96:97], v[126:127], v[112:113]
	s_waitcnt vmcnt(2)
	v_fmac_f64_e32 v[96:97], v[100:101], v[114:115]
	ds_read_b128 v[100:103], v98 offset:624
	s_waitcnt vmcnt(0) lgkmcnt(0)
	v_fmac_f64_e32 v[96:97], v[104:105], v[100:101]
	buffer_load_dword v101, off, s[0:3], 0 offset:268
	buffer_load_dword v100, off, s[0:3], 0 offset:264
	buffer_load_dword v105, off, s[0:3], 0 offset:276
	buffer_load_dword v104, off, s[0:3], 0 offset:272
	s_waitcnt vmcnt(2)
	v_fmac_f64_e32 v[96:97], v[100:101], v[102:103]
	ds_read_b128 v[100:103], v98 offset:640
	s_waitcnt vmcnt(0) lgkmcnt(0)
	v_fmac_f64_e32 v[96:97], v[104:105], v[100:101]
	buffer_load_dword v101, off, s[0:3], 0 offset:284
	buffer_load_dword v100, off, s[0:3], 0 offset:280
	buffer_load_dword v105, off, s[0:3], 0 offset:292
	buffer_load_dword v104, off, s[0:3], 0 offset:288
	;; [unrolled: 9-line block ×5, first 2 shown]
	s_waitcnt vmcnt(2)
	v_fmac_f64_e32 v[96:97], v[100:101], v[102:103]
	ds_read_b128 v[100:103], v98 offset:704
	s_waitcnt vmcnt(0) lgkmcnt(0)
	v_fmac_f64_e32 v[96:97], v[104:105], v[100:101]
	buffer_load_dword v101, off, s[0:3], 0 offset:348
	buffer_load_dword v100, off, s[0:3], 0 offset:344
	s_waitcnt vmcnt(0)
	v_fmac_f64_e32 v[96:97], v[100:101], v[102:103]
	buffer_load_dword v103, off, s[0:3], 0 offset:356
	buffer_load_dword v102, off, s[0:3], 0 offset:352
	ds_read_b128 v[98:101], v98 offset:720
	s_waitcnt vmcnt(0) lgkmcnt(0)
	v_fmac_f64_e32 v[96:97], v[102:103], v[98:99]
	buffer_load_dword v99, off, s[0:3], 0 offset:364
	buffer_load_dword v98, off, s[0:3], 0 offset:360
	s_waitcnt vmcnt(0)
	v_fmac_f64_e32 v[96:97], v[98:99], v[100:101]
	v_add_f64 v[94:95], v[94:95], -v[96:97]
	buffer_store_dword v95, off, s[0:3], 0 offset:188
	buffer_store_dword v94, off, s[0:3], 0 offset:184
	s_and_saveexec_b64 s[4:5], vcc
	s_cbranch_execz .LBB109_239
; %bb.238:
	buffer_load_dword v94, off, s[0:3], 0 offset:176
	buffer_load_dword v95, off, s[0:3], 0 offset:180
	v_mov_b32_e32 v96, 0
	buffer_store_dword v96, off, s[0:3], 0 offset:176
	buffer_store_dword v96, off, s[0:3], 0 offset:180
	s_waitcnt vmcnt(2)
	ds_write_b64 v1, v[94:95]
.LBB109_239:
	s_or_b64 exec, exec, s[4:5]
	s_waitcnt lgkmcnt(0)
	; wave barrier
	s_waitcnt lgkmcnt(0)
	buffer_load_dword v94, off, s[0:3], 0 offset:176
	buffer_load_dword v95, off, s[0:3], 0 offset:180
	;; [unrolled: 1-line block ×16, first 2 shown]
	v_mov_b32_e32 v98, 0
	ds_read2_b64 v[100:103], v98 offset0:69 offset1:70
	v_cmp_lt_u32_e32 vcc, 21, v0
	s_waitcnt vmcnt(12) lgkmcnt(0)
	v_fma_f64 v[96:97], v[96:97], v[100:101], 0
	s_waitcnt vmcnt(10)
	v_fmac_f64_e32 v[96:97], v[104:105], v[102:103]
	ds_read2_b64 v[100:103], v98 offset0:71 offset1:72
	s_waitcnt vmcnt(8) lgkmcnt(0)
	v_fmac_f64_e32 v[96:97], v[106:107], v[100:101]
	s_waitcnt vmcnt(6)
	v_fmac_f64_e32 v[96:97], v[108:109], v[102:103]
	ds_read2_b64 v[100:103], v98 offset0:73 offset1:74
	s_waitcnt vmcnt(4) lgkmcnt(0)
	v_fmac_f64_e32 v[96:97], v[110:111], v[100:101]
	;; [unrolled: 5-line block ×3, first 2 shown]
	buffer_load_dword v101, off, s[0:3], 0 offset:244
	buffer_load_dword v100, off, s[0:3], 0 offset:240
	buffer_load_dword v105, off, s[0:3], 0 offset:252
	buffer_load_dword v104, off, s[0:3], 0 offset:248
	s_waitcnt vmcnt(2)
	v_fmac_f64_e32 v[96:97], v[100:101], v[102:103]
	ds_read2_b64 v[100:103], v98 offset0:77 offset1:78
	s_waitcnt vmcnt(0) lgkmcnt(0)
	v_fmac_f64_e32 v[96:97], v[104:105], v[100:101]
	buffer_load_dword v101, off, s[0:3], 0 offset:260
	buffer_load_dword v100, off, s[0:3], 0 offset:256
	buffer_load_dword v105, off, s[0:3], 0 offset:268
	buffer_load_dword v104, off, s[0:3], 0 offset:264
	s_waitcnt vmcnt(2)
	v_fmac_f64_e32 v[96:97], v[100:101], v[102:103]
	ds_read2_b64 v[100:103], v98 offset0:79 offset1:80
	s_waitcnt vmcnt(0) lgkmcnt(0)
	v_fmac_f64_e32 v[96:97], v[104:105], v[100:101]
	;; [unrolled: 9-line block ×7, first 2 shown]
	buffer_load_dword v101, off, s[0:3], 0 offset:356
	buffer_load_dword v100, off, s[0:3], 0 offset:352
	s_waitcnt vmcnt(0)
	v_fmac_f64_e32 v[96:97], v[100:101], v[102:103]
	buffer_load_dword v101, off, s[0:3], 0 offset:364
	buffer_load_dword v100, off, s[0:3], 0 offset:360
	ds_read_b64 v[102:103], v98 offset:728
	s_waitcnt vmcnt(0) lgkmcnt(0)
	v_fmac_f64_e32 v[96:97], v[100:101], v[102:103]
	v_add_f64 v[94:95], v[94:95], -v[96:97]
	buffer_store_dword v95, off, s[0:3], 0 offset:180
	buffer_store_dword v94, off, s[0:3], 0 offset:176
	s_and_saveexec_b64 s[4:5], vcc
	s_cbranch_execz .LBB109_241
; %bb.240:
	buffer_load_dword v94, off, s[0:3], 0 offset:168
	buffer_load_dword v95, off, s[0:3], 0 offset:172
	s_waitcnt vmcnt(0)
	ds_write_b64 v1, v[94:95]
	buffer_store_dword v98, off, s[0:3], 0 offset:168
	buffer_store_dword v98, off, s[0:3], 0 offset:172
.LBB109_241:
	s_or_b64 exec, exec, s[4:5]
	s_waitcnt lgkmcnt(0)
	; wave barrier
	s_waitcnt lgkmcnt(0)
	buffer_load_dword v94, off, s[0:3], 0 offset:168
	buffer_load_dword v95, off, s[0:3], 0 offset:172
	;; [unrolled: 1-line block ×16, first 2 shown]
	ds_read_b128 v[100:103], v98 offset:544
	ds_read_b128 v[104:107], v98 offset:560
	;; [unrolled: 1-line block ×4, first 2 shown]
	v_cmp_lt_u32_e32 vcc, 20, v0
	s_waitcnt vmcnt(12) lgkmcnt(3)
	v_fma_f64 v[96:97], v[96:97], v[100:101], 0
	buffer_load_dword v101, off, s[0:3], 0 offset:236
	buffer_load_dword v100, off, s[0:3], 0 offset:232
	s_waitcnt vmcnt(12)
	v_fmac_f64_e32 v[96:97], v[116:117], v[102:103]
	s_waitcnt vmcnt(10) lgkmcnt(2)
	v_fmac_f64_e32 v[96:97], v[118:119], v[104:105]
	buffer_load_dword v105, off, s[0:3], 0 offset:244
	buffer_load_dword v104, off, s[0:3], 0 offset:240
	s_waitcnt vmcnt(10)
	v_fmac_f64_e32 v[96:97], v[120:121], v[106:107]
	s_waitcnt vmcnt(8) lgkmcnt(1)
	v_fmac_f64_e32 v[96:97], v[122:123], v[108:109]
	s_waitcnt vmcnt(6)
	v_fmac_f64_e32 v[96:97], v[124:125], v[110:111]
	s_waitcnt vmcnt(4) lgkmcnt(0)
	v_fmac_f64_e32 v[96:97], v[126:127], v[112:113]
	s_waitcnt vmcnt(2)
	v_fmac_f64_e32 v[96:97], v[100:101], v[114:115]
	ds_read_b128 v[100:103], v98 offset:608
	s_waitcnt vmcnt(0) lgkmcnt(0)
	v_fmac_f64_e32 v[96:97], v[104:105], v[100:101]
	buffer_load_dword v101, off, s[0:3], 0 offset:252
	buffer_load_dword v100, off, s[0:3], 0 offset:248
	buffer_load_dword v105, off, s[0:3], 0 offset:260
	buffer_load_dword v104, off, s[0:3], 0 offset:256
	s_waitcnt vmcnt(2)
	v_fmac_f64_e32 v[96:97], v[100:101], v[102:103]
	ds_read_b128 v[100:103], v98 offset:624
	s_waitcnt vmcnt(0) lgkmcnt(0)
	v_fmac_f64_e32 v[96:97], v[104:105], v[100:101]
	buffer_load_dword v101, off, s[0:3], 0 offset:268
	buffer_load_dword v100, off, s[0:3], 0 offset:264
	buffer_load_dword v105, off, s[0:3], 0 offset:276
	buffer_load_dword v104, off, s[0:3], 0 offset:272
	;; [unrolled: 9-line block ×6, first 2 shown]
	s_waitcnt vmcnt(2)
	v_fmac_f64_e32 v[96:97], v[100:101], v[102:103]
	ds_read_b128 v[100:103], v98 offset:704
	s_waitcnt vmcnt(0) lgkmcnt(0)
	v_fmac_f64_e32 v[96:97], v[104:105], v[100:101]
	buffer_load_dword v101, off, s[0:3], 0 offset:348
	buffer_load_dword v100, off, s[0:3], 0 offset:344
	s_waitcnt vmcnt(0)
	v_fmac_f64_e32 v[96:97], v[100:101], v[102:103]
	buffer_load_dword v103, off, s[0:3], 0 offset:356
	buffer_load_dword v102, off, s[0:3], 0 offset:352
	ds_read_b128 v[98:101], v98 offset:720
	s_waitcnt vmcnt(0) lgkmcnt(0)
	v_fmac_f64_e32 v[96:97], v[102:103], v[98:99]
	buffer_load_dword v99, off, s[0:3], 0 offset:364
	buffer_load_dword v98, off, s[0:3], 0 offset:360
	s_waitcnt vmcnt(0)
	v_fmac_f64_e32 v[96:97], v[98:99], v[100:101]
	v_add_f64 v[94:95], v[94:95], -v[96:97]
	buffer_store_dword v95, off, s[0:3], 0 offset:172
	buffer_store_dword v94, off, s[0:3], 0 offset:168
	s_and_saveexec_b64 s[4:5], vcc
	s_cbranch_execz .LBB109_243
; %bb.242:
	buffer_load_dword v94, off, s[0:3], 0 offset:160
	buffer_load_dword v95, off, s[0:3], 0 offset:164
	v_mov_b32_e32 v96, 0
	buffer_store_dword v96, off, s[0:3], 0 offset:160
	buffer_store_dword v96, off, s[0:3], 0 offset:164
	s_waitcnt vmcnt(2)
	ds_write_b64 v1, v[94:95]
.LBB109_243:
	s_or_b64 exec, exec, s[4:5]
	s_waitcnt lgkmcnt(0)
	; wave barrier
	s_waitcnt lgkmcnt(0)
	buffer_load_dword v94, off, s[0:3], 0 offset:160
	buffer_load_dword v95, off, s[0:3], 0 offset:164
	;; [unrolled: 1-line block ×16, first 2 shown]
	v_mov_b32_e32 v98, 0
	ds_read2_b64 v[100:103], v98 offset0:67 offset1:68
	v_cmp_lt_u32_e32 vcc, 19, v0
	s_waitcnt vmcnt(12) lgkmcnt(0)
	v_fma_f64 v[96:97], v[96:97], v[100:101], 0
	s_waitcnt vmcnt(10)
	v_fmac_f64_e32 v[96:97], v[104:105], v[102:103]
	ds_read2_b64 v[100:103], v98 offset0:69 offset1:70
	s_waitcnt vmcnt(8) lgkmcnt(0)
	v_fmac_f64_e32 v[96:97], v[106:107], v[100:101]
	s_waitcnt vmcnt(6)
	v_fmac_f64_e32 v[96:97], v[108:109], v[102:103]
	ds_read2_b64 v[100:103], v98 offset0:71 offset1:72
	s_waitcnt vmcnt(4) lgkmcnt(0)
	v_fmac_f64_e32 v[96:97], v[110:111], v[100:101]
	;; [unrolled: 5-line block ×3, first 2 shown]
	buffer_load_dword v101, off, s[0:3], 0 offset:228
	buffer_load_dword v100, off, s[0:3], 0 offset:224
	buffer_load_dword v105, off, s[0:3], 0 offset:236
	buffer_load_dword v104, off, s[0:3], 0 offset:232
	s_waitcnt vmcnt(2)
	v_fmac_f64_e32 v[96:97], v[100:101], v[102:103]
	ds_read2_b64 v[100:103], v98 offset0:75 offset1:76
	s_waitcnt vmcnt(0) lgkmcnt(0)
	v_fmac_f64_e32 v[96:97], v[104:105], v[100:101]
	buffer_load_dword v101, off, s[0:3], 0 offset:244
	buffer_load_dword v100, off, s[0:3], 0 offset:240
	buffer_load_dword v105, off, s[0:3], 0 offset:252
	buffer_load_dword v104, off, s[0:3], 0 offset:248
	s_waitcnt vmcnt(2)
	v_fmac_f64_e32 v[96:97], v[100:101], v[102:103]
	ds_read2_b64 v[100:103], v98 offset0:77 offset1:78
	s_waitcnt vmcnt(0) lgkmcnt(0)
	v_fmac_f64_e32 v[96:97], v[104:105], v[100:101]
	;; [unrolled: 9-line block ×8, first 2 shown]
	buffer_load_dword v101, off, s[0:3], 0 offset:356
	buffer_load_dword v100, off, s[0:3], 0 offset:352
	s_waitcnt vmcnt(0)
	v_fmac_f64_e32 v[96:97], v[100:101], v[102:103]
	buffer_load_dword v101, off, s[0:3], 0 offset:364
	buffer_load_dword v100, off, s[0:3], 0 offset:360
	ds_read_b64 v[102:103], v98 offset:728
	s_waitcnt vmcnt(0) lgkmcnt(0)
	v_fmac_f64_e32 v[96:97], v[100:101], v[102:103]
	v_add_f64 v[94:95], v[94:95], -v[96:97]
	buffer_store_dword v95, off, s[0:3], 0 offset:164
	buffer_store_dword v94, off, s[0:3], 0 offset:160
	s_and_saveexec_b64 s[4:5], vcc
	s_cbranch_execz .LBB109_245
; %bb.244:
	buffer_load_dword v94, off, s[0:3], 0 offset:152
	buffer_load_dword v95, off, s[0:3], 0 offset:156
	s_waitcnt vmcnt(0)
	ds_write_b64 v1, v[94:95]
	buffer_store_dword v98, off, s[0:3], 0 offset:152
	buffer_store_dword v98, off, s[0:3], 0 offset:156
.LBB109_245:
	s_or_b64 exec, exec, s[4:5]
	s_waitcnt lgkmcnt(0)
	; wave barrier
	s_waitcnt lgkmcnt(0)
	buffer_load_dword v94, off, s[0:3], 0 offset:152
	buffer_load_dword v95, off, s[0:3], 0 offset:156
	;; [unrolled: 1-line block ×16, first 2 shown]
	ds_read_b128 v[100:103], v98 offset:528
	ds_read_b128 v[104:107], v98 offset:544
	;; [unrolled: 1-line block ×4, first 2 shown]
	v_cmp_lt_u32_e32 vcc, 18, v0
	s_waitcnt vmcnt(12) lgkmcnt(3)
	v_fma_f64 v[96:97], v[96:97], v[100:101], 0
	buffer_load_dword v101, off, s[0:3], 0 offset:220
	buffer_load_dword v100, off, s[0:3], 0 offset:216
	s_waitcnt vmcnt(12)
	v_fmac_f64_e32 v[96:97], v[116:117], v[102:103]
	s_waitcnt vmcnt(10) lgkmcnt(2)
	v_fmac_f64_e32 v[96:97], v[118:119], v[104:105]
	buffer_load_dword v105, off, s[0:3], 0 offset:228
	buffer_load_dword v104, off, s[0:3], 0 offset:224
	s_waitcnt vmcnt(10)
	v_fmac_f64_e32 v[96:97], v[120:121], v[106:107]
	s_waitcnt vmcnt(8) lgkmcnt(1)
	v_fmac_f64_e32 v[96:97], v[122:123], v[108:109]
	s_waitcnt vmcnt(6)
	v_fmac_f64_e32 v[96:97], v[124:125], v[110:111]
	s_waitcnt vmcnt(4) lgkmcnt(0)
	v_fmac_f64_e32 v[96:97], v[126:127], v[112:113]
	s_waitcnt vmcnt(2)
	v_fmac_f64_e32 v[96:97], v[100:101], v[114:115]
	ds_read_b128 v[100:103], v98 offset:592
	s_waitcnt vmcnt(0) lgkmcnt(0)
	v_fmac_f64_e32 v[96:97], v[104:105], v[100:101]
	buffer_load_dword v101, off, s[0:3], 0 offset:236
	buffer_load_dword v100, off, s[0:3], 0 offset:232
	buffer_load_dword v105, off, s[0:3], 0 offset:244
	buffer_load_dword v104, off, s[0:3], 0 offset:240
	s_waitcnt vmcnt(2)
	v_fmac_f64_e32 v[96:97], v[100:101], v[102:103]
	ds_read_b128 v[100:103], v98 offset:608
	s_waitcnt vmcnt(0) lgkmcnt(0)
	v_fmac_f64_e32 v[96:97], v[104:105], v[100:101]
	buffer_load_dword v101, off, s[0:3], 0 offset:252
	buffer_load_dword v100, off, s[0:3], 0 offset:248
	buffer_load_dword v105, off, s[0:3], 0 offset:260
	buffer_load_dword v104, off, s[0:3], 0 offset:256
	;; [unrolled: 9-line block ×7, first 2 shown]
	s_waitcnt vmcnt(2)
	v_fmac_f64_e32 v[96:97], v[100:101], v[102:103]
	ds_read_b128 v[100:103], v98 offset:704
	s_waitcnt vmcnt(0) lgkmcnt(0)
	v_fmac_f64_e32 v[96:97], v[104:105], v[100:101]
	buffer_load_dword v101, off, s[0:3], 0 offset:348
	buffer_load_dword v100, off, s[0:3], 0 offset:344
	s_waitcnt vmcnt(0)
	v_fmac_f64_e32 v[96:97], v[100:101], v[102:103]
	buffer_load_dword v103, off, s[0:3], 0 offset:356
	buffer_load_dword v102, off, s[0:3], 0 offset:352
	ds_read_b128 v[98:101], v98 offset:720
	s_waitcnt vmcnt(0) lgkmcnt(0)
	v_fmac_f64_e32 v[96:97], v[102:103], v[98:99]
	buffer_load_dword v99, off, s[0:3], 0 offset:364
	buffer_load_dword v98, off, s[0:3], 0 offset:360
	s_waitcnt vmcnt(0)
	v_fmac_f64_e32 v[96:97], v[98:99], v[100:101]
	v_add_f64 v[94:95], v[94:95], -v[96:97]
	buffer_store_dword v95, off, s[0:3], 0 offset:156
	buffer_store_dword v94, off, s[0:3], 0 offset:152
	s_and_saveexec_b64 s[4:5], vcc
	s_cbranch_execz .LBB109_247
; %bb.246:
	buffer_load_dword v94, off, s[0:3], 0 offset:144
	buffer_load_dword v95, off, s[0:3], 0 offset:148
	v_mov_b32_e32 v96, 0
	buffer_store_dword v96, off, s[0:3], 0 offset:144
	buffer_store_dword v96, off, s[0:3], 0 offset:148
	s_waitcnt vmcnt(2)
	ds_write_b64 v1, v[94:95]
.LBB109_247:
	s_or_b64 exec, exec, s[4:5]
	s_waitcnt lgkmcnt(0)
	; wave barrier
	s_waitcnt lgkmcnt(0)
	buffer_load_dword v94, off, s[0:3], 0 offset:144
	buffer_load_dword v95, off, s[0:3], 0 offset:148
	;; [unrolled: 1-line block ×16, first 2 shown]
	v_mov_b32_e32 v98, 0
	ds_read2_b64 v[100:103], v98 offset0:65 offset1:66
	v_cmp_lt_u32_e32 vcc, 17, v0
	s_waitcnt vmcnt(12) lgkmcnt(0)
	v_fma_f64 v[96:97], v[96:97], v[100:101], 0
	s_waitcnt vmcnt(10)
	v_fmac_f64_e32 v[96:97], v[104:105], v[102:103]
	ds_read2_b64 v[100:103], v98 offset0:67 offset1:68
	s_waitcnt vmcnt(8) lgkmcnt(0)
	v_fmac_f64_e32 v[96:97], v[106:107], v[100:101]
	s_waitcnt vmcnt(6)
	v_fmac_f64_e32 v[96:97], v[108:109], v[102:103]
	ds_read2_b64 v[100:103], v98 offset0:69 offset1:70
	s_waitcnt vmcnt(4) lgkmcnt(0)
	v_fmac_f64_e32 v[96:97], v[110:111], v[100:101]
	;; [unrolled: 5-line block ×3, first 2 shown]
	buffer_load_dword v101, off, s[0:3], 0 offset:212
	buffer_load_dword v100, off, s[0:3], 0 offset:208
	buffer_load_dword v105, off, s[0:3], 0 offset:220
	buffer_load_dword v104, off, s[0:3], 0 offset:216
	s_waitcnt vmcnt(2)
	v_fmac_f64_e32 v[96:97], v[100:101], v[102:103]
	ds_read2_b64 v[100:103], v98 offset0:73 offset1:74
	s_waitcnt vmcnt(0) lgkmcnt(0)
	v_fmac_f64_e32 v[96:97], v[104:105], v[100:101]
	buffer_load_dword v101, off, s[0:3], 0 offset:228
	buffer_load_dword v100, off, s[0:3], 0 offset:224
	buffer_load_dword v105, off, s[0:3], 0 offset:236
	buffer_load_dword v104, off, s[0:3], 0 offset:232
	s_waitcnt vmcnt(2)
	v_fmac_f64_e32 v[96:97], v[100:101], v[102:103]
	ds_read2_b64 v[100:103], v98 offset0:75 offset1:76
	s_waitcnt vmcnt(0) lgkmcnt(0)
	v_fmac_f64_e32 v[96:97], v[104:105], v[100:101]
	;; [unrolled: 9-line block ×9, first 2 shown]
	buffer_load_dword v101, off, s[0:3], 0 offset:356
	buffer_load_dword v100, off, s[0:3], 0 offset:352
	s_waitcnt vmcnt(0)
	v_fmac_f64_e32 v[96:97], v[100:101], v[102:103]
	buffer_load_dword v101, off, s[0:3], 0 offset:364
	buffer_load_dword v100, off, s[0:3], 0 offset:360
	ds_read_b64 v[102:103], v98 offset:728
	s_waitcnt vmcnt(0) lgkmcnt(0)
	v_fmac_f64_e32 v[96:97], v[100:101], v[102:103]
	v_add_f64 v[94:95], v[94:95], -v[96:97]
	buffer_store_dword v95, off, s[0:3], 0 offset:148
	buffer_store_dword v94, off, s[0:3], 0 offset:144
	s_and_saveexec_b64 s[4:5], vcc
	s_cbranch_execz .LBB109_249
; %bb.248:
	buffer_load_dword v94, off, s[0:3], 0 offset:136
	buffer_load_dword v95, off, s[0:3], 0 offset:140
	s_waitcnt vmcnt(0)
	ds_write_b64 v1, v[94:95]
	buffer_store_dword v98, off, s[0:3], 0 offset:136
	buffer_store_dword v98, off, s[0:3], 0 offset:140
.LBB109_249:
	s_or_b64 exec, exec, s[4:5]
	s_waitcnt lgkmcnt(0)
	; wave barrier
	s_waitcnt lgkmcnt(0)
	buffer_load_dword v94, off, s[0:3], 0 offset:136
	buffer_load_dword v95, off, s[0:3], 0 offset:140
	;; [unrolled: 1-line block ×16, first 2 shown]
	ds_read_b128 v[100:103], v98 offset:512
	ds_read_b128 v[104:107], v98 offset:528
	;; [unrolled: 1-line block ×4, first 2 shown]
	v_cmp_lt_u32_e32 vcc, 16, v0
	s_waitcnt vmcnt(12) lgkmcnt(3)
	v_fma_f64 v[96:97], v[96:97], v[100:101], 0
	buffer_load_dword v101, off, s[0:3], 0 offset:204
	buffer_load_dword v100, off, s[0:3], 0 offset:200
	s_waitcnt vmcnt(12)
	v_fmac_f64_e32 v[96:97], v[116:117], v[102:103]
	s_waitcnt vmcnt(10) lgkmcnt(2)
	v_fmac_f64_e32 v[96:97], v[118:119], v[104:105]
	buffer_load_dword v105, off, s[0:3], 0 offset:212
	buffer_load_dword v104, off, s[0:3], 0 offset:208
	s_waitcnt vmcnt(10)
	v_fmac_f64_e32 v[96:97], v[120:121], v[106:107]
	s_waitcnt vmcnt(8) lgkmcnt(1)
	v_fmac_f64_e32 v[96:97], v[122:123], v[108:109]
	s_waitcnt vmcnt(6)
	v_fmac_f64_e32 v[96:97], v[124:125], v[110:111]
	s_waitcnt vmcnt(4) lgkmcnt(0)
	v_fmac_f64_e32 v[96:97], v[126:127], v[112:113]
	s_waitcnt vmcnt(2)
	v_fmac_f64_e32 v[96:97], v[100:101], v[114:115]
	ds_read_b128 v[100:103], v98 offset:576
	s_waitcnt vmcnt(0) lgkmcnt(0)
	v_fmac_f64_e32 v[96:97], v[104:105], v[100:101]
	buffer_load_dword v101, off, s[0:3], 0 offset:220
	buffer_load_dword v100, off, s[0:3], 0 offset:216
	buffer_load_dword v105, off, s[0:3], 0 offset:228
	buffer_load_dword v104, off, s[0:3], 0 offset:224
	s_waitcnt vmcnt(2)
	v_fmac_f64_e32 v[96:97], v[100:101], v[102:103]
	ds_read_b128 v[100:103], v98 offset:592
	s_waitcnt vmcnt(0) lgkmcnt(0)
	v_fmac_f64_e32 v[96:97], v[104:105], v[100:101]
	buffer_load_dword v101, off, s[0:3], 0 offset:236
	buffer_load_dword v100, off, s[0:3], 0 offset:232
	buffer_load_dword v105, off, s[0:3], 0 offset:244
	buffer_load_dword v104, off, s[0:3], 0 offset:240
	;; [unrolled: 9-line block ×8, first 2 shown]
	s_waitcnt vmcnt(2)
	v_fmac_f64_e32 v[96:97], v[100:101], v[102:103]
	ds_read_b128 v[100:103], v98 offset:704
	s_waitcnt vmcnt(0) lgkmcnt(0)
	v_fmac_f64_e32 v[96:97], v[104:105], v[100:101]
	buffer_load_dword v101, off, s[0:3], 0 offset:348
	buffer_load_dword v100, off, s[0:3], 0 offset:344
	s_waitcnt vmcnt(0)
	v_fmac_f64_e32 v[96:97], v[100:101], v[102:103]
	buffer_load_dword v103, off, s[0:3], 0 offset:356
	buffer_load_dword v102, off, s[0:3], 0 offset:352
	ds_read_b128 v[98:101], v98 offset:720
	s_waitcnt vmcnt(0) lgkmcnt(0)
	v_fmac_f64_e32 v[96:97], v[102:103], v[98:99]
	buffer_load_dword v99, off, s[0:3], 0 offset:364
	buffer_load_dword v98, off, s[0:3], 0 offset:360
	s_waitcnt vmcnt(0)
	v_fmac_f64_e32 v[96:97], v[98:99], v[100:101]
	v_add_f64 v[94:95], v[94:95], -v[96:97]
	buffer_store_dword v95, off, s[0:3], 0 offset:140
	buffer_store_dword v94, off, s[0:3], 0 offset:136
	s_and_saveexec_b64 s[4:5], vcc
	s_cbranch_execz .LBB109_251
; %bb.250:
	buffer_load_dword v94, off, s[0:3], 0 offset:128
	buffer_load_dword v95, off, s[0:3], 0 offset:132
	v_mov_b32_e32 v96, 0
	buffer_store_dword v96, off, s[0:3], 0 offset:128
	buffer_store_dword v96, off, s[0:3], 0 offset:132
	s_waitcnt vmcnt(2)
	ds_write_b64 v1, v[94:95]
.LBB109_251:
	s_or_b64 exec, exec, s[4:5]
	s_waitcnt lgkmcnt(0)
	; wave barrier
	s_waitcnt lgkmcnt(0)
	buffer_load_dword v94, off, s[0:3], 0 offset:128
	buffer_load_dword v95, off, s[0:3], 0 offset:132
	;; [unrolled: 1-line block ×16, first 2 shown]
	v_mov_b32_e32 v98, 0
	ds_read2_b64 v[100:103], v98 offset0:63 offset1:64
	v_cmp_lt_u32_e32 vcc, 15, v0
	s_waitcnt vmcnt(12) lgkmcnt(0)
	v_fma_f64 v[96:97], v[96:97], v[100:101], 0
	s_waitcnt vmcnt(10)
	v_fmac_f64_e32 v[96:97], v[104:105], v[102:103]
	ds_read2_b64 v[100:103], v98 offset0:65 offset1:66
	s_waitcnt vmcnt(8) lgkmcnt(0)
	v_fmac_f64_e32 v[96:97], v[106:107], v[100:101]
	s_waitcnt vmcnt(6)
	v_fmac_f64_e32 v[96:97], v[108:109], v[102:103]
	ds_read2_b64 v[100:103], v98 offset0:67 offset1:68
	s_waitcnt vmcnt(4) lgkmcnt(0)
	v_fmac_f64_e32 v[96:97], v[110:111], v[100:101]
	;; [unrolled: 5-line block ×3, first 2 shown]
	buffer_load_dword v101, off, s[0:3], 0 offset:196
	buffer_load_dword v100, off, s[0:3], 0 offset:192
	buffer_load_dword v105, off, s[0:3], 0 offset:204
	buffer_load_dword v104, off, s[0:3], 0 offset:200
	s_waitcnt vmcnt(2)
	v_fmac_f64_e32 v[96:97], v[100:101], v[102:103]
	ds_read2_b64 v[100:103], v98 offset0:71 offset1:72
	s_waitcnt vmcnt(0) lgkmcnt(0)
	v_fmac_f64_e32 v[96:97], v[104:105], v[100:101]
	buffer_load_dword v101, off, s[0:3], 0 offset:212
	buffer_load_dword v100, off, s[0:3], 0 offset:208
	buffer_load_dword v105, off, s[0:3], 0 offset:220
	buffer_load_dword v104, off, s[0:3], 0 offset:216
	s_waitcnt vmcnt(2)
	v_fmac_f64_e32 v[96:97], v[100:101], v[102:103]
	ds_read2_b64 v[100:103], v98 offset0:73 offset1:74
	s_waitcnt vmcnt(0) lgkmcnt(0)
	v_fmac_f64_e32 v[96:97], v[104:105], v[100:101]
	;; [unrolled: 9-line block ×10, first 2 shown]
	buffer_load_dword v101, off, s[0:3], 0 offset:356
	buffer_load_dword v100, off, s[0:3], 0 offset:352
	s_waitcnt vmcnt(0)
	v_fmac_f64_e32 v[96:97], v[100:101], v[102:103]
	buffer_load_dword v101, off, s[0:3], 0 offset:364
	buffer_load_dword v100, off, s[0:3], 0 offset:360
	ds_read_b64 v[102:103], v98 offset:728
	s_waitcnt vmcnt(0) lgkmcnt(0)
	v_fmac_f64_e32 v[96:97], v[100:101], v[102:103]
	v_add_f64 v[94:95], v[94:95], -v[96:97]
	buffer_store_dword v95, off, s[0:3], 0 offset:132
	buffer_store_dword v94, off, s[0:3], 0 offset:128
	s_and_saveexec_b64 s[4:5], vcc
	s_cbranch_execz .LBB109_253
; %bb.252:
	buffer_load_dword v94, off, s[0:3], 0 offset:120
	buffer_load_dword v95, off, s[0:3], 0 offset:124
	s_waitcnt vmcnt(0)
	ds_write_b64 v1, v[94:95]
	buffer_store_dword v98, off, s[0:3], 0 offset:120
	buffer_store_dword v98, off, s[0:3], 0 offset:124
.LBB109_253:
	s_or_b64 exec, exec, s[4:5]
	s_waitcnt lgkmcnt(0)
	; wave barrier
	s_waitcnt lgkmcnt(0)
	buffer_load_dword v94, off, s[0:3], 0 offset:120
	buffer_load_dword v95, off, s[0:3], 0 offset:124
	;; [unrolled: 1-line block ×16, first 2 shown]
	ds_read_b128 v[100:103], v98 offset:496
	ds_read_b128 v[104:107], v98 offset:512
	;; [unrolled: 1-line block ×4, first 2 shown]
	v_cmp_lt_u32_e32 vcc, 14, v0
	s_waitcnt vmcnt(12) lgkmcnt(3)
	v_fma_f64 v[96:97], v[96:97], v[100:101], 0
	buffer_load_dword v101, off, s[0:3], 0 offset:188
	buffer_load_dword v100, off, s[0:3], 0 offset:184
	s_waitcnt vmcnt(12)
	v_fmac_f64_e32 v[96:97], v[116:117], v[102:103]
	s_waitcnt vmcnt(10) lgkmcnt(2)
	v_fmac_f64_e32 v[96:97], v[118:119], v[104:105]
	buffer_load_dword v105, off, s[0:3], 0 offset:196
	buffer_load_dword v104, off, s[0:3], 0 offset:192
	s_waitcnt vmcnt(10)
	v_fmac_f64_e32 v[96:97], v[120:121], v[106:107]
	s_waitcnt vmcnt(8) lgkmcnt(1)
	v_fmac_f64_e32 v[96:97], v[122:123], v[108:109]
	s_waitcnt vmcnt(6)
	v_fmac_f64_e32 v[96:97], v[124:125], v[110:111]
	s_waitcnt vmcnt(4) lgkmcnt(0)
	v_fmac_f64_e32 v[96:97], v[126:127], v[112:113]
	s_waitcnt vmcnt(2)
	v_fmac_f64_e32 v[96:97], v[100:101], v[114:115]
	ds_read_b128 v[100:103], v98 offset:560
	s_waitcnt vmcnt(0) lgkmcnt(0)
	v_fmac_f64_e32 v[96:97], v[104:105], v[100:101]
	buffer_load_dword v101, off, s[0:3], 0 offset:204
	buffer_load_dword v100, off, s[0:3], 0 offset:200
	buffer_load_dword v105, off, s[0:3], 0 offset:212
	buffer_load_dword v104, off, s[0:3], 0 offset:208
	s_waitcnt vmcnt(2)
	v_fmac_f64_e32 v[96:97], v[100:101], v[102:103]
	ds_read_b128 v[100:103], v98 offset:576
	s_waitcnt vmcnt(0) lgkmcnt(0)
	v_fmac_f64_e32 v[96:97], v[104:105], v[100:101]
	buffer_load_dword v101, off, s[0:3], 0 offset:220
	buffer_load_dword v100, off, s[0:3], 0 offset:216
	buffer_load_dword v105, off, s[0:3], 0 offset:228
	buffer_load_dword v104, off, s[0:3], 0 offset:224
	;; [unrolled: 9-line block ×9, first 2 shown]
	s_waitcnt vmcnt(2)
	v_fmac_f64_e32 v[96:97], v[100:101], v[102:103]
	ds_read_b128 v[100:103], v98 offset:704
	s_waitcnt vmcnt(0) lgkmcnt(0)
	v_fmac_f64_e32 v[96:97], v[104:105], v[100:101]
	buffer_load_dword v101, off, s[0:3], 0 offset:348
	buffer_load_dword v100, off, s[0:3], 0 offset:344
	s_waitcnt vmcnt(0)
	v_fmac_f64_e32 v[96:97], v[100:101], v[102:103]
	buffer_load_dword v103, off, s[0:3], 0 offset:356
	buffer_load_dword v102, off, s[0:3], 0 offset:352
	ds_read_b128 v[98:101], v98 offset:720
	s_waitcnt vmcnt(0) lgkmcnt(0)
	v_fmac_f64_e32 v[96:97], v[102:103], v[98:99]
	buffer_load_dword v99, off, s[0:3], 0 offset:364
	buffer_load_dword v98, off, s[0:3], 0 offset:360
	s_waitcnt vmcnt(0)
	v_fmac_f64_e32 v[96:97], v[98:99], v[100:101]
	v_add_f64 v[94:95], v[94:95], -v[96:97]
	buffer_store_dword v95, off, s[0:3], 0 offset:124
	buffer_store_dword v94, off, s[0:3], 0 offset:120
	s_and_saveexec_b64 s[4:5], vcc
	s_cbranch_execz .LBB109_255
; %bb.254:
	buffer_load_dword v94, off, s[0:3], 0 offset:112
	buffer_load_dword v95, off, s[0:3], 0 offset:116
	v_mov_b32_e32 v96, 0
	buffer_store_dword v96, off, s[0:3], 0 offset:112
	buffer_store_dword v96, off, s[0:3], 0 offset:116
	s_waitcnt vmcnt(2)
	ds_write_b64 v1, v[94:95]
.LBB109_255:
	s_or_b64 exec, exec, s[4:5]
	s_waitcnt lgkmcnt(0)
	; wave barrier
	s_waitcnt lgkmcnt(0)
	buffer_load_dword v94, off, s[0:3], 0 offset:112
	buffer_load_dword v95, off, s[0:3], 0 offset:116
	;; [unrolled: 1-line block ×16, first 2 shown]
	v_mov_b32_e32 v98, 0
	ds_read2_b64 v[100:103], v98 offset0:61 offset1:62
	v_cmp_lt_u32_e32 vcc, 13, v0
	s_waitcnt vmcnt(12) lgkmcnt(0)
	v_fma_f64 v[96:97], v[96:97], v[100:101], 0
	s_waitcnt vmcnt(10)
	v_fmac_f64_e32 v[96:97], v[104:105], v[102:103]
	ds_read2_b64 v[100:103], v98 offset0:63 offset1:64
	s_waitcnt vmcnt(8) lgkmcnt(0)
	v_fmac_f64_e32 v[96:97], v[106:107], v[100:101]
	s_waitcnt vmcnt(6)
	v_fmac_f64_e32 v[96:97], v[108:109], v[102:103]
	ds_read2_b64 v[100:103], v98 offset0:65 offset1:66
	s_waitcnt vmcnt(4) lgkmcnt(0)
	v_fmac_f64_e32 v[96:97], v[110:111], v[100:101]
	;; [unrolled: 5-line block ×3, first 2 shown]
	buffer_load_dword v101, off, s[0:3], 0 offset:180
	buffer_load_dword v100, off, s[0:3], 0 offset:176
	buffer_load_dword v105, off, s[0:3], 0 offset:188
	buffer_load_dword v104, off, s[0:3], 0 offset:184
	s_waitcnt vmcnt(2)
	v_fmac_f64_e32 v[96:97], v[100:101], v[102:103]
	ds_read2_b64 v[100:103], v98 offset0:69 offset1:70
	s_waitcnt vmcnt(0) lgkmcnt(0)
	v_fmac_f64_e32 v[96:97], v[104:105], v[100:101]
	buffer_load_dword v101, off, s[0:3], 0 offset:196
	buffer_load_dword v100, off, s[0:3], 0 offset:192
	buffer_load_dword v105, off, s[0:3], 0 offset:204
	buffer_load_dword v104, off, s[0:3], 0 offset:200
	s_waitcnt vmcnt(2)
	v_fmac_f64_e32 v[96:97], v[100:101], v[102:103]
	ds_read2_b64 v[100:103], v98 offset0:71 offset1:72
	s_waitcnt vmcnt(0) lgkmcnt(0)
	v_fmac_f64_e32 v[96:97], v[104:105], v[100:101]
	;; [unrolled: 9-line block ×11, first 2 shown]
	buffer_load_dword v101, off, s[0:3], 0 offset:356
	buffer_load_dword v100, off, s[0:3], 0 offset:352
	s_waitcnt vmcnt(0)
	v_fmac_f64_e32 v[96:97], v[100:101], v[102:103]
	buffer_load_dword v101, off, s[0:3], 0 offset:364
	buffer_load_dword v100, off, s[0:3], 0 offset:360
	ds_read_b64 v[102:103], v98 offset:728
	s_waitcnt vmcnt(0) lgkmcnt(0)
	v_fmac_f64_e32 v[96:97], v[100:101], v[102:103]
	v_add_f64 v[94:95], v[94:95], -v[96:97]
	buffer_store_dword v95, off, s[0:3], 0 offset:116
	buffer_store_dword v94, off, s[0:3], 0 offset:112
	s_and_saveexec_b64 s[4:5], vcc
	s_cbranch_execz .LBB109_257
; %bb.256:
	buffer_load_dword v94, off, s[0:3], 0 offset:104
	buffer_load_dword v95, off, s[0:3], 0 offset:108
	s_waitcnt vmcnt(0)
	ds_write_b64 v1, v[94:95]
	buffer_store_dword v98, off, s[0:3], 0 offset:104
	buffer_store_dword v98, off, s[0:3], 0 offset:108
.LBB109_257:
	s_or_b64 exec, exec, s[4:5]
	s_waitcnt lgkmcnt(0)
	; wave barrier
	s_waitcnt lgkmcnt(0)
	buffer_load_dword v94, off, s[0:3], 0 offset:104
	buffer_load_dword v95, off, s[0:3], 0 offset:108
	;; [unrolled: 1-line block ×16, first 2 shown]
	ds_read_b128 v[100:103], v98 offset:480
	ds_read_b128 v[104:107], v98 offset:496
	;; [unrolled: 1-line block ×4, first 2 shown]
	v_cmp_lt_u32_e32 vcc, 12, v0
	s_waitcnt vmcnt(12) lgkmcnt(3)
	v_fma_f64 v[96:97], v[96:97], v[100:101], 0
	buffer_load_dword v101, off, s[0:3], 0 offset:172
	buffer_load_dword v100, off, s[0:3], 0 offset:168
	s_waitcnt vmcnt(12)
	v_fmac_f64_e32 v[96:97], v[116:117], v[102:103]
	s_waitcnt vmcnt(10) lgkmcnt(2)
	v_fmac_f64_e32 v[96:97], v[118:119], v[104:105]
	buffer_load_dword v105, off, s[0:3], 0 offset:180
	buffer_load_dword v104, off, s[0:3], 0 offset:176
	s_waitcnt vmcnt(10)
	v_fmac_f64_e32 v[96:97], v[120:121], v[106:107]
	s_waitcnt vmcnt(8) lgkmcnt(1)
	v_fmac_f64_e32 v[96:97], v[122:123], v[108:109]
	s_waitcnt vmcnt(6)
	v_fmac_f64_e32 v[96:97], v[124:125], v[110:111]
	s_waitcnt vmcnt(4) lgkmcnt(0)
	v_fmac_f64_e32 v[96:97], v[126:127], v[112:113]
	s_waitcnt vmcnt(2)
	v_fmac_f64_e32 v[96:97], v[100:101], v[114:115]
	ds_read_b128 v[100:103], v98 offset:544
	s_waitcnt vmcnt(0) lgkmcnt(0)
	v_fmac_f64_e32 v[96:97], v[104:105], v[100:101]
	buffer_load_dword v101, off, s[0:3], 0 offset:188
	buffer_load_dword v100, off, s[0:3], 0 offset:184
	buffer_load_dword v105, off, s[0:3], 0 offset:196
	buffer_load_dword v104, off, s[0:3], 0 offset:192
	s_waitcnt vmcnt(2)
	v_fmac_f64_e32 v[96:97], v[100:101], v[102:103]
	ds_read_b128 v[100:103], v98 offset:560
	s_waitcnt vmcnt(0) lgkmcnt(0)
	v_fmac_f64_e32 v[96:97], v[104:105], v[100:101]
	buffer_load_dword v101, off, s[0:3], 0 offset:204
	buffer_load_dword v100, off, s[0:3], 0 offset:200
	buffer_load_dword v105, off, s[0:3], 0 offset:212
	buffer_load_dword v104, off, s[0:3], 0 offset:208
	;; [unrolled: 9-line block ×10, first 2 shown]
	s_waitcnt vmcnt(2)
	v_fmac_f64_e32 v[96:97], v[100:101], v[102:103]
	ds_read_b128 v[100:103], v98 offset:704
	s_waitcnt vmcnt(0) lgkmcnt(0)
	v_fmac_f64_e32 v[96:97], v[104:105], v[100:101]
	buffer_load_dword v101, off, s[0:3], 0 offset:348
	buffer_load_dword v100, off, s[0:3], 0 offset:344
	s_waitcnt vmcnt(0)
	v_fmac_f64_e32 v[96:97], v[100:101], v[102:103]
	buffer_load_dword v103, off, s[0:3], 0 offset:356
	buffer_load_dword v102, off, s[0:3], 0 offset:352
	ds_read_b128 v[98:101], v98 offset:720
	s_waitcnt vmcnt(0) lgkmcnt(0)
	v_fmac_f64_e32 v[96:97], v[102:103], v[98:99]
	buffer_load_dword v99, off, s[0:3], 0 offset:364
	buffer_load_dword v98, off, s[0:3], 0 offset:360
	s_waitcnt vmcnt(0)
	v_fmac_f64_e32 v[96:97], v[98:99], v[100:101]
	v_add_f64 v[94:95], v[94:95], -v[96:97]
	buffer_store_dword v95, off, s[0:3], 0 offset:108
	buffer_store_dword v94, off, s[0:3], 0 offset:104
	s_and_saveexec_b64 s[4:5], vcc
	s_cbranch_execz .LBB109_259
; %bb.258:
	buffer_load_dword v94, off, s[0:3], 0 offset:96
	buffer_load_dword v95, off, s[0:3], 0 offset:100
	v_mov_b32_e32 v96, 0
	buffer_store_dword v96, off, s[0:3], 0 offset:96
	buffer_store_dword v96, off, s[0:3], 0 offset:100
	s_waitcnt vmcnt(2)
	ds_write_b64 v1, v[94:95]
.LBB109_259:
	s_or_b64 exec, exec, s[4:5]
	s_waitcnt lgkmcnt(0)
	; wave barrier
	s_waitcnt lgkmcnt(0)
	buffer_load_dword v94, off, s[0:3], 0 offset:96
	buffer_load_dword v95, off, s[0:3], 0 offset:100
	buffer_load_dword v96, off, s[0:3], 0 offset:104
	buffer_load_dword v97, off, s[0:3], 0 offset:108
	buffer_load_dword v104, off, s[0:3], 0 offset:112
	buffer_load_dword v105, off, s[0:3], 0 offset:116
	buffer_load_dword v106, off, s[0:3], 0 offset:120
	buffer_load_dword v107, off, s[0:3], 0 offset:124
	buffer_load_dword v108, off, s[0:3], 0 offset:128
	buffer_load_dword v109, off, s[0:3], 0 offset:132
	buffer_load_dword v110, off, s[0:3], 0 offset:136
	buffer_load_dword v111, off, s[0:3], 0 offset:140
	buffer_load_dword v112, off, s[0:3], 0 offset:144
	buffer_load_dword v113, off, s[0:3], 0 offset:148
	buffer_load_dword v114, off, s[0:3], 0 offset:152
	buffer_load_dword v115, off, s[0:3], 0 offset:156
	v_mov_b32_e32 v98, 0
	ds_read2_b64 v[100:103], v98 offset0:59 offset1:60
	v_cmp_lt_u32_e32 vcc, 11, v0
	s_waitcnt vmcnt(12) lgkmcnt(0)
	v_fma_f64 v[96:97], v[96:97], v[100:101], 0
	s_waitcnt vmcnt(10)
	v_fmac_f64_e32 v[96:97], v[104:105], v[102:103]
	ds_read2_b64 v[100:103], v98 offset0:61 offset1:62
	s_waitcnt vmcnt(8) lgkmcnt(0)
	v_fmac_f64_e32 v[96:97], v[106:107], v[100:101]
	s_waitcnt vmcnt(6)
	v_fmac_f64_e32 v[96:97], v[108:109], v[102:103]
	ds_read2_b64 v[100:103], v98 offset0:63 offset1:64
	s_waitcnt vmcnt(4) lgkmcnt(0)
	v_fmac_f64_e32 v[96:97], v[110:111], v[100:101]
	;; [unrolled: 5-line block ×3, first 2 shown]
	buffer_load_dword v101, off, s[0:3], 0 offset:164
	buffer_load_dword v100, off, s[0:3], 0 offset:160
	buffer_load_dword v105, off, s[0:3], 0 offset:172
	buffer_load_dword v104, off, s[0:3], 0 offset:168
	s_waitcnt vmcnt(2)
	v_fmac_f64_e32 v[96:97], v[100:101], v[102:103]
	ds_read2_b64 v[100:103], v98 offset0:67 offset1:68
	s_waitcnt vmcnt(0) lgkmcnt(0)
	v_fmac_f64_e32 v[96:97], v[104:105], v[100:101]
	buffer_load_dword v101, off, s[0:3], 0 offset:180
	buffer_load_dword v100, off, s[0:3], 0 offset:176
	buffer_load_dword v105, off, s[0:3], 0 offset:188
	buffer_load_dword v104, off, s[0:3], 0 offset:184
	s_waitcnt vmcnt(2)
	v_fmac_f64_e32 v[96:97], v[100:101], v[102:103]
	ds_read2_b64 v[100:103], v98 offset0:69 offset1:70
	s_waitcnt vmcnt(0) lgkmcnt(0)
	v_fmac_f64_e32 v[96:97], v[104:105], v[100:101]
	buffer_load_dword v101, off, s[0:3], 0 offset:196
	buffer_load_dword v100, off, s[0:3], 0 offset:192
	buffer_load_dword v105, off, s[0:3], 0 offset:204
	buffer_load_dword v104, off, s[0:3], 0 offset:200
	s_waitcnt vmcnt(2)
	v_fmac_f64_e32 v[96:97], v[100:101], v[102:103]
	ds_read2_b64 v[100:103], v98 offset0:71 offset1:72
	s_waitcnt vmcnt(0) lgkmcnt(0)
	v_fmac_f64_e32 v[96:97], v[104:105], v[100:101]
	buffer_load_dword v101, off, s[0:3], 0 offset:212
	buffer_load_dword v100, off, s[0:3], 0 offset:208
	buffer_load_dword v105, off, s[0:3], 0 offset:220
	buffer_load_dword v104, off, s[0:3], 0 offset:216
	s_waitcnt vmcnt(2)
	v_fmac_f64_e32 v[96:97], v[100:101], v[102:103]
	ds_read2_b64 v[100:103], v98 offset0:73 offset1:74
	s_waitcnt vmcnt(0) lgkmcnt(0)
	v_fmac_f64_e32 v[96:97], v[104:105], v[100:101]
	buffer_load_dword v101, off, s[0:3], 0 offset:228
	buffer_load_dword v100, off, s[0:3], 0 offset:224
	buffer_load_dword v105, off, s[0:3], 0 offset:236
	buffer_load_dword v104, off, s[0:3], 0 offset:232
	s_waitcnt vmcnt(2)
	v_fmac_f64_e32 v[96:97], v[100:101], v[102:103]
	ds_read2_b64 v[100:103], v98 offset0:75 offset1:76
	s_waitcnt vmcnt(0) lgkmcnt(0)
	v_fmac_f64_e32 v[96:97], v[104:105], v[100:101]
	buffer_load_dword v101, off, s[0:3], 0 offset:244
	buffer_load_dword v100, off, s[0:3], 0 offset:240
	buffer_load_dword v105, off, s[0:3], 0 offset:252
	buffer_load_dword v104, off, s[0:3], 0 offset:248
	s_waitcnt vmcnt(2)
	v_fmac_f64_e32 v[96:97], v[100:101], v[102:103]
	ds_read2_b64 v[100:103], v98 offset0:77 offset1:78
	s_waitcnt vmcnt(0) lgkmcnt(0)
	v_fmac_f64_e32 v[96:97], v[104:105], v[100:101]
	buffer_load_dword v101, off, s[0:3], 0 offset:260
	buffer_load_dword v100, off, s[0:3], 0 offset:256
	buffer_load_dword v105, off, s[0:3], 0 offset:268
	buffer_load_dword v104, off, s[0:3], 0 offset:264
	s_waitcnt vmcnt(2)
	v_fmac_f64_e32 v[96:97], v[100:101], v[102:103]
	ds_read2_b64 v[100:103], v98 offset0:79 offset1:80
	s_waitcnt vmcnt(0) lgkmcnt(0)
	v_fmac_f64_e32 v[96:97], v[104:105], v[100:101]
	buffer_load_dword v101, off, s[0:3], 0 offset:276
	buffer_load_dword v100, off, s[0:3], 0 offset:272
	buffer_load_dword v105, off, s[0:3], 0 offset:284
	buffer_load_dword v104, off, s[0:3], 0 offset:280
	s_waitcnt vmcnt(2)
	v_fmac_f64_e32 v[96:97], v[100:101], v[102:103]
	ds_read2_b64 v[100:103], v98 offset0:81 offset1:82
	s_waitcnt vmcnt(0) lgkmcnt(0)
	v_fmac_f64_e32 v[96:97], v[104:105], v[100:101]
	buffer_load_dword v101, off, s[0:3], 0 offset:292
	buffer_load_dword v100, off, s[0:3], 0 offset:288
	buffer_load_dword v105, off, s[0:3], 0 offset:300
	buffer_load_dword v104, off, s[0:3], 0 offset:296
	s_waitcnt vmcnt(2)
	v_fmac_f64_e32 v[96:97], v[100:101], v[102:103]
	ds_read2_b64 v[100:103], v98 offset0:83 offset1:84
	s_waitcnt vmcnt(0) lgkmcnt(0)
	v_fmac_f64_e32 v[96:97], v[104:105], v[100:101]
	buffer_load_dword v101, off, s[0:3], 0 offset:308
	buffer_load_dword v100, off, s[0:3], 0 offset:304
	buffer_load_dword v105, off, s[0:3], 0 offset:316
	buffer_load_dword v104, off, s[0:3], 0 offset:312
	s_waitcnt vmcnt(2)
	v_fmac_f64_e32 v[96:97], v[100:101], v[102:103]
	ds_read2_b64 v[100:103], v98 offset0:85 offset1:86
	s_waitcnt vmcnt(0) lgkmcnt(0)
	v_fmac_f64_e32 v[96:97], v[104:105], v[100:101]
	buffer_load_dword v101, off, s[0:3], 0 offset:324
	buffer_load_dword v100, off, s[0:3], 0 offset:320
	buffer_load_dword v105, off, s[0:3], 0 offset:332
	buffer_load_dword v104, off, s[0:3], 0 offset:328
	s_waitcnt vmcnt(2)
	v_fmac_f64_e32 v[96:97], v[100:101], v[102:103]
	ds_read2_b64 v[100:103], v98 offset0:87 offset1:88
	s_waitcnt vmcnt(0) lgkmcnt(0)
	v_fmac_f64_e32 v[96:97], v[104:105], v[100:101]
	buffer_load_dword v101, off, s[0:3], 0 offset:340
	buffer_load_dword v100, off, s[0:3], 0 offset:336
	buffer_load_dword v105, off, s[0:3], 0 offset:348
	buffer_load_dword v104, off, s[0:3], 0 offset:344
	s_waitcnt vmcnt(2)
	v_fmac_f64_e32 v[96:97], v[100:101], v[102:103]
	ds_read2_b64 v[100:103], v98 offset0:89 offset1:90
	s_waitcnt vmcnt(0) lgkmcnt(0)
	v_fmac_f64_e32 v[96:97], v[104:105], v[100:101]
	buffer_load_dword v101, off, s[0:3], 0 offset:356
	buffer_load_dword v100, off, s[0:3], 0 offset:352
	s_waitcnt vmcnt(0)
	v_fmac_f64_e32 v[96:97], v[100:101], v[102:103]
	buffer_load_dword v101, off, s[0:3], 0 offset:364
	buffer_load_dword v100, off, s[0:3], 0 offset:360
	ds_read_b64 v[102:103], v98 offset:728
	s_waitcnt vmcnt(0) lgkmcnt(0)
	v_fmac_f64_e32 v[96:97], v[100:101], v[102:103]
	v_add_f64 v[94:95], v[94:95], -v[96:97]
	buffer_store_dword v95, off, s[0:3], 0 offset:100
	buffer_store_dword v94, off, s[0:3], 0 offset:96
	s_and_saveexec_b64 s[4:5], vcc
	s_cbranch_execz .LBB109_261
; %bb.260:
	buffer_load_dword v94, off, s[0:3], 0 offset:88
	buffer_load_dword v95, off, s[0:3], 0 offset:92
	s_waitcnt vmcnt(0)
	ds_write_b64 v1, v[94:95]
	buffer_store_dword v98, off, s[0:3], 0 offset:88
	buffer_store_dword v98, off, s[0:3], 0 offset:92
.LBB109_261:
	s_or_b64 exec, exec, s[4:5]
	s_waitcnt lgkmcnt(0)
	; wave barrier
	s_waitcnt lgkmcnt(0)
	buffer_load_dword v94, off, s[0:3], 0 offset:88
	buffer_load_dword v95, off, s[0:3], 0 offset:92
	;; [unrolled: 1-line block ×16, first 2 shown]
	ds_read_b128 v[100:103], v98 offset:464
	ds_read_b128 v[104:107], v98 offset:480
	;; [unrolled: 1-line block ×4, first 2 shown]
	v_cmp_lt_u32_e32 vcc, 10, v0
	s_waitcnt vmcnt(12) lgkmcnt(3)
	v_fma_f64 v[96:97], v[96:97], v[100:101], 0
	buffer_load_dword v101, off, s[0:3], 0 offset:156
	buffer_load_dword v100, off, s[0:3], 0 offset:152
	s_waitcnt vmcnt(12)
	v_fmac_f64_e32 v[96:97], v[116:117], v[102:103]
	s_waitcnt vmcnt(10) lgkmcnt(2)
	v_fmac_f64_e32 v[96:97], v[118:119], v[104:105]
	buffer_load_dword v105, off, s[0:3], 0 offset:164
	buffer_load_dword v104, off, s[0:3], 0 offset:160
	s_waitcnt vmcnt(10)
	v_fmac_f64_e32 v[96:97], v[120:121], v[106:107]
	s_waitcnt vmcnt(8) lgkmcnt(1)
	v_fmac_f64_e32 v[96:97], v[122:123], v[108:109]
	s_waitcnt vmcnt(6)
	v_fmac_f64_e32 v[96:97], v[124:125], v[110:111]
	s_waitcnt vmcnt(4) lgkmcnt(0)
	v_fmac_f64_e32 v[96:97], v[126:127], v[112:113]
	s_waitcnt vmcnt(2)
	v_fmac_f64_e32 v[96:97], v[100:101], v[114:115]
	ds_read_b128 v[100:103], v98 offset:528
	s_waitcnt vmcnt(0) lgkmcnt(0)
	v_fmac_f64_e32 v[96:97], v[104:105], v[100:101]
	buffer_load_dword v101, off, s[0:3], 0 offset:172
	buffer_load_dword v100, off, s[0:3], 0 offset:168
	buffer_load_dword v105, off, s[0:3], 0 offset:180
	buffer_load_dword v104, off, s[0:3], 0 offset:176
	s_waitcnt vmcnt(2)
	v_fmac_f64_e32 v[96:97], v[100:101], v[102:103]
	ds_read_b128 v[100:103], v98 offset:544
	s_waitcnt vmcnt(0) lgkmcnt(0)
	v_fmac_f64_e32 v[96:97], v[104:105], v[100:101]
	buffer_load_dword v101, off, s[0:3], 0 offset:188
	buffer_load_dword v100, off, s[0:3], 0 offset:184
	buffer_load_dword v105, off, s[0:3], 0 offset:196
	buffer_load_dword v104, off, s[0:3], 0 offset:192
	s_waitcnt vmcnt(2)
	v_fmac_f64_e32 v[96:97], v[100:101], v[102:103]
	ds_read_b128 v[100:103], v98 offset:560
	s_waitcnt vmcnt(0) lgkmcnt(0)
	v_fmac_f64_e32 v[96:97], v[104:105], v[100:101]
	buffer_load_dword v101, off, s[0:3], 0 offset:204
	buffer_load_dword v100, off, s[0:3], 0 offset:200
	buffer_load_dword v105, off, s[0:3], 0 offset:212
	buffer_load_dword v104, off, s[0:3], 0 offset:208
	s_waitcnt vmcnt(2)
	v_fmac_f64_e32 v[96:97], v[100:101], v[102:103]
	ds_read_b128 v[100:103], v98 offset:576
	s_waitcnt vmcnt(0) lgkmcnt(0)
	v_fmac_f64_e32 v[96:97], v[104:105], v[100:101]
	buffer_load_dword v101, off, s[0:3], 0 offset:220
	buffer_load_dword v100, off, s[0:3], 0 offset:216
	buffer_load_dword v105, off, s[0:3], 0 offset:228
	buffer_load_dword v104, off, s[0:3], 0 offset:224
	s_waitcnt vmcnt(2)
	v_fmac_f64_e32 v[96:97], v[100:101], v[102:103]
	ds_read_b128 v[100:103], v98 offset:592
	s_waitcnt vmcnt(0) lgkmcnt(0)
	v_fmac_f64_e32 v[96:97], v[104:105], v[100:101]
	buffer_load_dword v101, off, s[0:3], 0 offset:236
	buffer_load_dword v100, off, s[0:3], 0 offset:232
	buffer_load_dword v105, off, s[0:3], 0 offset:244
	buffer_load_dword v104, off, s[0:3], 0 offset:240
	s_waitcnt vmcnt(2)
	v_fmac_f64_e32 v[96:97], v[100:101], v[102:103]
	ds_read_b128 v[100:103], v98 offset:608
	s_waitcnt vmcnt(0) lgkmcnt(0)
	v_fmac_f64_e32 v[96:97], v[104:105], v[100:101]
	buffer_load_dword v101, off, s[0:3], 0 offset:252
	buffer_load_dword v100, off, s[0:3], 0 offset:248
	buffer_load_dword v105, off, s[0:3], 0 offset:260
	buffer_load_dword v104, off, s[0:3], 0 offset:256
	s_waitcnt vmcnt(2)
	v_fmac_f64_e32 v[96:97], v[100:101], v[102:103]
	ds_read_b128 v[100:103], v98 offset:624
	s_waitcnt vmcnt(0) lgkmcnt(0)
	v_fmac_f64_e32 v[96:97], v[104:105], v[100:101]
	buffer_load_dword v101, off, s[0:3], 0 offset:268
	buffer_load_dword v100, off, s[0:3], 0 offset:264
	buffer_load_dword v105, off, s[0:3], 0 offset:276
	buffer_load_dword v104, off, s[0:3], 0 offset:272
	s_waitcnt vmcnt(2)
	v_fmac_f64_e32 v[96:97], v[100:101], v[102:103]
	ds_read_b128 v[100:103], v98 offset:640
	s_waitcnt vmcnt(0) lgkmcnt(0)
	v_fmac_f64_e32 v[96:97], v[104:105], v[100:101]
	buffer_load_dword v101, off, s[0:3], 0 offset:284
	buffer_load_dword v100, off, s[0:3], 0 offset:280
	buffer_load_dword v105, off, s[0:3], 0 offset:292
	buffer_load_dword v104, off, s[0:3], 0 offset:288
	s_waitcnt vmcnt(2)
	v_fmac_f64_e32 v[96:97], v[100:101], v[102:103]
	ds_read_b128 v[100:103], v98 offset:656
	s_waitcnt vmcnt(0) lgkmcnt(0)
	v_fmac_f64_e32 v[96:97], v[104:105], v[100:101]
	buffer_load_dword v101, off, s[0:3], 0 offset:300
	buffer_load_dword v100, off, s[0:3], 0 offset:296
	buffer_load_dword v105, off, s[0:3], 0 offset:308
	buffer_load_dword v104, off, s[0:3], 0 offset:304
	s_waitcnt vmcnt(2)
	v_fmac_f64_e32 v[96:97], v[100:101], v[102:103]
	ds_read_b128 v[100:103], v98 offset:672
	s_waitcnt vmcnt(0) lgkmcnt(0)
	v_fmac_f64_e32 v[96:97], v[104:105], v[100:101]
	buffer_load_dword v101, off, s[0:3], 0 offset:316
	buffer_load_dword v100, off, s[0:3], 0 offset:312
	buffer_load_dword v105, off, s[0:3], 0 offset:324
	buffer_load_dword v104, off, s[0:3], 0 offset:320
	s_waitcnt vmcnt(2)
	v_fmac_f64_e32 v[96:97], v[100:101], v[102:103]
	ds_read_b128 v[100:103], v98 offset:688
	s_waitcnt vmcnt(0) lgkmcnt(0)
	v_fmac_f64_e32 v[96:97], v[104:105], v[100:101]
	buffer_load_dword v101, off, s[0:3], 0 offset:332
	buffer_load_dword v100, off, s[0:3], 0 offset:328
	buffer_load_dword v105, off, s[0:3], 0 offset:340
	buffer_load_dword v104, off, s[0:3], 0 offset:336
	s_waitcnt vmcnt(2)
	v_fmac_f64_e32 v[96:97], v[100:101], v[102:103]
	ds_read_b128 v[100:103], v98 offset:704
	s_waitcnt vmcnt(0) lgkmcnt(0)
	v_fmac_f64_e32 v[96:97], v[104:105], v[100:101]
	buffer_load_dword v101, off, s[0:3], 0 offset:348
	buffer_load_dword v100, off, s[0:3], 0 offset:344
	s_waitcnt vmcnt(0)
	v_fmac_f64_e32 v[96:97], v[100:101], v[102:103]
	buffer_load_dword v103, off, s[0:3], 0 offset:356
	buffer_load_dword v102, off, s[0:3], 0 offset:352
	ds_read_b128 v[98:101], v98 offset:720
	s_waitcnt vmcnt(0) lgkmcnt(0)
	v_fmac_f64_e32 v[96:97], v[102:103], v[98:99]
	buffer_load_dword v99, off, s[0:3], 0 offset:364
	buffer_load_dword v98, off, s[0:3], 0 offset:360
	s_waitcnt vmcnt(0)
	v_fmac_f64_e32 v[96:97], v[98:99], v[100:101]
	v_add_f64 v[94:95], v[94:95], -v[96:97]
	buffer_store_dword v95, off, s[0:3], 0 offset:92
	buffer_store_dword v94, off, s[0:3], 0 offset:88
	s_and_saveexec_b64 s[4:5], vcc
	s_cbranch_execz .LBB109_263
; %bb.262:
	buffer_load_dword v94, off, s[0:3], 0 offset:80
	buffer_load_dword v95, off, s[0:3], 0 offset:84
	v_mov_b32_e32 v96, 0
	buffer_store_dword v96, off, s[0:3], 0 offset:80
	buffer_store_dword v96, off, s[0:3], 0 offset:84
	s_waitcnt vmcnt(2)
	ds_write_b64 v1, v[94:95]
.LBB109_263:
	s_or_b64 exec, exec, s[4:5]
	s_waitcnt lgkmcnt(0)
	; wave barrier
	s_waitcnt lgkmcnt(0)
	buffer_load_dword v94, off, s[0:3], 0 offset:80
	buffer_load_dword v95, off, s[0:3], 0 offset:84
	;; [unrolled: 1-line block ×16, first 2 shown]
	v_mov_b32_e32 v98, 0
	ds_read2_b64 v[100:103], v98 offset0:57 offset1:58
	v_cmp_lt_u32_e32 vcc, 9, v0
	s_waitcnt vmcnt(12) lgkmcnt(0)
	v_fma_f64 v[96:97], v[96:97], v[100:101], 0
	s_waitcnt vmcnt(10)
	v_fmac_f64_e32 v[96:97], v[104:105], v[102:103]
	ds_read2_b64 v[100:103], v98 offset0:59 offset1:60
	s_waitcnt vmcnt(8) lgkmcnt(0)
	v_fmac_f64_e32 v[96:97], v[106:107], v[100:101]
	s_waitcnt vmcnt(6)
	v_fmac_f64_e32 v[96:97], v[108:109], v[102:103]
	ds_read2_b64 v[100:103], v98 offset0:61 offset1:62
	s_waitcnt vmcnt(4) lgkmcnt(0)
	v_fmac_f64_e32 v[96:97], v[110:111], v[100:101]
	;; [unrolled: 5-line block ×3, first 2 shown]
	buffer_load_dword v101, off, s[0:3], 0 offset:148
	buffer_load_dword v100, off, s[0:3], 0 offset:144
	buffer_load_dword v105, off, s[0:3], 0 offset:156
	buffer_load_dword v104, off, s[0:3], 0 offset:152
	s_waitcnt vmcnt(2)
	v_fmac_f64_e32 v[96:97], v[100:101], v[102:103]
	ds_read2_b64 v[100:103], v98 offset0:65 offset1:66
	s_waitcnt vmcnt(0) lgkmcnt(0)
	v_fmac_f64_e32 v[96:97], v[104:105], v[100:101]
	buffer_load_dword v101, off, s[0:3], 0 offset:164
	buffer_load_dword v100, off, s[0:3], 0 offset:160
	buffer_load_dword v105, off, s[0:3], 0 offset:172
	buffer_load_dword v104, off, s[0:3], 0 offset:168
	s_waitcnt vmcnt(2)
	v_fmac_f64_e32 v[96:97], v[100:101], v[102:103]
	ds_read2_b64 v[100:103], v98 offset0:67 offset1:68
	s_waitcnt vmcnt(0) lgkmcnt(0)
	v_fmac_f64_e32 v[96:97], v[104:105], v[100:101]
	;; [unrolled: 9-line block ×13, first 2 shown]
	buffer_load_dword v101, off, s[0:3], 0 offset:356
	buffer_load_dword v100, off, s[0:3], 0 offset:352
	s_waitcnt vmcnt(0)
	v_fmac_f64_e32 v[96:97], v[100:101], v[102:103]
	buffer_load_dword v101, off, s[0:3], 0 offset:364
	buffer_load_dword v100, off, s[0:3], 0 offset:360
	ds_read_b64 v[102:103], v98 offset:728
	s_waitcnt vmcnt(0) lgkmcnt(0)
	v_fmac_f64_e32 v[96:97], v[100:101], v[102:103]
	v_add_f64 v[94:95], v[94:95], -v[96:97]
	buffer_store_dword v95, off, s[0:3], 0 offset:84
	buffer_store_dword v94, off, s[0:3], 0 offset:80
	s_and_saveexec_b64 s[4:5], vcc
	s_cbranch_execz .LBB109_265
; %bb.264:
	buffer_load_dword v94, off, s[0:3], 0 offset:72
	buffer_load_dword v95, off, s[0:3], 0 offset:76
	s_waitcnt vmcnt(0)
	ds_write_b64 v1, v[94:95]
	buffer_store_dword v98, off, s[0:3], 0 offset:72
	buffer_store_dword v98, off, s[0:3], 0 offset:76
.LBB109_265:
	s_or_b64 exec, exec, s[4:5]
	s_waitcnt lgkmcnt(0)
	; wave barrier
	s_waitcnt lgkmcnt(0)
	buffer_load_dword v94, off, s[0:3], 0 offset:72
	buffer_load_dword v95, off, s[0:3], 0 offset:76
	;; [unrolled: 1-line block ×16, first 2 shown]
	ds_read_b128 v[100:103], v98 offset:448
	ds_read_b128 v[104:107], v98 offset:464
	ds_read_b128 v[108:111], v98 offset:480
	ds_read_b128 v[112:115], v98 offset:496
	v_cmp_lt_u32_e32 vcc, 8, v0
	s_waitcnt vmcnt(12) lgkmcnt(3)
	v_fma_f64 v[96:97], v[96:97], v[100:101], 0
	buffer_load_dword v101, off, s[0:3], 0 offset:140
	buffer_load_dword v100, off, s[0:3], 0 offset:136
	s_waitcnt vmcnt(12)
	v_fmac_f64_e32 v[96:97], v[116:117], v[102:103]
	s_waitcnt vmcnt(10) lgkmcnt(2)
	v_fmac_f64_e32 v[96:97], v[118:119], v[104:105]
	buffer_load_dword v105, off, s[0:3], 0 offset:148
	buffer_load_dword v104, off, s[0:3], 0 offset:144
	s_waitcnt vmcnt(10)
	v_fmac_f64_e32 v[96:97], v[120:121], v[106:107]
	s_waitcnt vmcnt(8) lgkmcnt(1)
	v_fmac_f64_e32 v[96:97], v[122:123], v[108:109]
	s_waitcnt vmcnt(6)
	v_fmac_f64_e32 v[96:97], v[124:125], v[110:111]
	s_waitcnt vmcnt(4) lgkmcnt(0)
	v_fmac_f64_e32 v[96:97], v[126:127], v[112:113]
	s_waitcnt vmcnt(2)
	v_fmac_f64_e32 v[96:97], v[100:101], v[114:115]
	ds_read_b128 v[100:103], v98 offset:512
	s_waitcnt vmcnt(0) lgkmcnt(0)
	v_fmac_f64_e32 v[96:97], v[104:105], v[100:101]
	buffer_load_dword v101, off, s[0:3], 0 offset:156
	buffer_load_dword v100, off, s[0:3], 0 offset:152
	buffer_load_dword v105, off, s[0:3], 0 offset:164
	buffer_load_dword v104, off, s[0:3], 0 offset:160
	s_waitcnt vmcnt(2)
	v_fmac_f64_e32 v[96:97], v[100:101], v[102:103]
	ds_read_b128 v[100:103], v98 offset:528
	s_waitcnt vmcnt(0) lgkmcnt(0)
	v_fmac_f64_e32 v[96:97], v[104:105], v[100:101]
	buffer_load_dword v101, off, s[0:3], 0 offset:172
	buffer_load_dword v100, off, s[0:3], 0 offset:168
	buffer_load_dword v105, off, s[0:3], 0 offset:180
	buffer_load_dword v104, off, s[0:3], 0 offset:176
	s_waitcnt vmcnt(2)
	v_fmac_f64_e32 v[96:97], v[100:101], v[102:103]
	ds_read_b128 v[100:103], v98 offset:544
	s_waitcnt vmcnt(0) lgkmcnt(0)
	v_fmac_f64_e32 v[96:97], v[104:105], v[100:101]
	buffer_load_dword v101, off, s[0:3], 0 offset:188
	buffer_load_dword v100, off, s[0:3], 0 offset:184
	buffer_load_dword v105, off, s[0:3], 0 offset:196
	buffer_load_dword v104, off, s[0:3], 0 offset:192
	s_waitcnt vmcnt(2)
	v_fmac_f64_e32 v[96:97], v[100:101], v[102:103]
	ds_read_b128 v[100:103], v98 offset:560
	s_waitcnt vmcnt(0) lgkmcnt(0)
	v_fmac_f64_e32 v[96:97], v[104:105], v[100:101]
	buffer_load_dword v101, off, s[0:3], 0 offset:204
	buffer_load_dword v100, off, s[0:3], 0 offset:200
	buffer_load_dword v105, off, s[0:3], 0 offset:212
	buffer_load_dword v104, off, s[0:3], 0 offset:208
	s_waitcnt vmcnt(2)
	v_fmac_f64_e32 v[96:97], v[100:101], v[102:103]
	ds_read_b128 v[100:103], v98 offset:576
	s_waitcnt vmcnt(0) lgkmcnt(0)
	v_fmac_f64_e32 v[96:97], v[104:105], v[100:101]
	buffer_load_dword v101, off, s[0:3], 0 offset:220
	buffer_load_dword v100, off, s[0:3], 0 offset:216
	buffer_load_dword v105, off, s[0:3], 0 offset:228
	buffer_load_dword v104, off, s[0:3], 0 offset:224
	s_waitcnt vmcnt(2)
	v_fmac_f64_e32 v[96:97], v[100:101], v[102:103]
	ds_read_b128 v[100:103], v98 offset:592
	s_waitcnt vmcnt(0) lgkmcnt(0)
	v_fmac_f64_e32 v[96:97], v[104:105], v[100:101]
	buffer_load_dword v101, off, s[0:3], 0 offset:236
	buffer_load_dword v100, off, s[0:3], 0 offset:232
	buffer_load_dword v105, off, s[0:3], 0 offset:244
	buffer_load_dword v104, off, s[0:3], 0 offset:240
	s_waitcnt vmcnt(2)
	v_fmac_f64_e32 v[96:97], v[100:101], v[102:103]
	ds_read_b128 v[100:103], v98 offset:608
	s_waitcnt vmcnt(0) lgkmcnt(0)
	v_fmac_f64_e32 v[96:97], v[104:105], v[100:101]
	buffer_load_dword v101, off, s[0:3], 0 offset:252
	buffer_load_dword v100, off, s[0:3], 0 offset:248
	buffer_load_dword v105, off, s[0:3], 0 offset:260
	buffer_load_dword v104, off, s[0:3], 0 offset:256
	s_waitcnt vmcnt(2)
	v_fmac_f64_e32 v[96:97], v[100:101], v[102:103]
	ds_read_b128 v[100:103], v98 offset:624
	s_waitcnt vmcnt(0) lgkmcnt(0)
	v_fmac_f64_e32 v[96:97], v[104:105], v[100:101]
	buffer_load_dword v101, off, s[0:3], 0 offset:268
	buffer_load_dword v100, off, s[0:3], 0 offset:264
	buffer_load_dword v105, off, s[0:3], 0 offset:276
	buffer_load_dword v104, off, s[0:3], 0 offset:272
	s_waitcnt vmcnt(2)
	v_fmac_f64_e32 v[96:97], v[100:101], v[102:103]
	ds_read_b128 v[100:103], v98 offset:640
	s_waitcnt vmcnt(0) lgkmcnt(0)
	v_fmac_f64_e32 v[96:97], v[104:105], v[100:101]
	buffer_load_dword v101, off, s[0:3], 0 offset:284
	buffer_load_dword v100, off, s[0:3], 0 offset:280
	buffer_load_dword v105, off, s[0:3], 0 offset:292
	buffer_load_dword v104, off, s[0:3], 0 offset:288
	s_waitcnt vmcnt(2)
	v_fmac_f64_e32 v[96:97], v[100:101], v[102:103]
	ds_read_b128 v[100:103], v98 offset:656
	s_waitcnt vmcnt(0) lgkmcnt(0)
	v_fmac_f64_e32 v[96:97], v[104:105], v[100:101]
	buffer_load_dword v101, off, s[0:3], 0 offset:300
	buffer_load_dword v100, off, s[0:3], 0 offset:296
	buffer_load_dword v105, off, s[0:3], 0 offset:308
	buffer_load_dword v104, off, s[0:3], 0 offset:304
	s_waitcnt vmcnt(2)
	v_fmac_f64_e32 v[96:97], v[100:101], v[102:103]
	ds_read_b128 v[100:103], v98 offset:672
	s_waitcnt vmcnt(0) lgkmcnt(0)
	v_fmac_f64_e32 v[96:97], v[104:105], v[100:101]
	buffer_load_dword v101, off, s[0:3], 0 offset:316
	buffer_load_dword v100, off, s[0:3], 0 offset:312
	buffer_load_dword v105, off, s[0:3], 0 offset:324
	buffer_load_dword v104, off, s[0:3], 0 offset:320
	s_waitcnt vmcnt(2)
	v_fmac_f64_e32 v[96:97], v[100:101], v[102:103]
	ds_read_b128 v[100:103], v98 offset:688
	s_waitcnt vmcnt(0) lgkmcnt(0)
	v_fmac_f64_e32 v[96:97], v[104:105], v[100:101]
	buffer_load_dword v101, off, s[0:3], 0 offset:332
	buffer_load_dword v100, off, s[0:3], 0 offset:328
	buffer_load_dword v105, off, s[0:3], 0 offset:340
	buffer_load_dword v104, off, s[0:3], 0 offset:336
	s_waitcnt vmcnt(2)
	v_fmac_f64_e32 v[96:97], v[100:101], v[102:103]
	ds_read_b128 v[100:103], v98 offset:704
	s_waitcnt vmcnt(0) lgkmcnt(0)
	v_fmac_f64_e32 v[96:97], v[104:105], v[100:101]
	buffer_load_dword v101, off, s[0:3], 0 offset:348
	buffer_load_dword v100, off, s[0:3], 0 offset:344
	s_waitcnt vmcnt(0)
	v_fmac_f64_e32 v[96:97], v[100:101], v[102:103]
	buffer_load_dword v103, off, s[0:3], 0 offset:356
	buffer_load_dword v102, off, s[0:3], 0 offset:352
	ds_read_b128 v[98:101], v98 offset:720
	s_waitcnt vmcnt(0) lgkmcnt(0)
	v_fmac_f64_e32 v[96:97], v[102:103], v[98:99]
	buffer_load_dword v99, off, s[0:3], 0 offset:364
	buffer_load_dword v98, off, s[0:3], 0 offset:360
	s_waitcnt vmcnt(0)
	v_fmac_f64_e32 v[96:97], v[98:99], v[100:101]
	v_add_f64 v[94:95], v[94:95], -v[96:97]
	buffer_store_dword v95, off, s[0:3], 0 offset:76
	buffer_store_dword v94, off, s[0:3], 0 offset:72
	s_and_saveexec_b64 s[4:5], vcc
	s_cbranch_execz .LBB109_267
; %bb.266:
	buffer_load_dword v94, off, s[0:3], 0 offset:64
	buffer_load_dword v95, off, s[0:3], 0 offset:68
	v_mov_b32_e32 v96, 0
	buffer_store_dword v96, off, s[0:3], 0 offset:64
	buffer_store_dword v96, off, s[0:3], 0 offset:68
	s_waitcnt vmcnt(2)
	ds_write_b64 v1, v[94:95]
.LBB109_267:
	s_or_b64 exec, exec, s[4:5]
	s_waitcnt lgkmcnt(0)
	; wave barrier
	s_waitcnt lgkmcnt(0)
	buffer_load_dword v94, off, s[0:3], 0 offset:64
	buffer_load_dword v95, off, s[0:3], 0 offset:68
	;; [unrolled: 1-line block ×16, first 2 shown]
	v_mov_b32_e32 v98, 0
	ds_read2_b64 v[100:103], v98 offset0:55 offset1:56
	v_cmp_lt_u32_e32 vcc, 7, v0
	s_waitcnt vmcnt(12) lgkmcnt(0)
	v_fma_f64 v[96:97], v[96:97], v[100:101], 0
	s_waitcnt vmcnt(10)
	v_fmac_f64_e32 v[96:97], v[104:105], v[102:103]
	ds_read2_b64 v[100:103], v98 offset0:57 offset1:58
	s_waitcnt vmcnt(8) lgkmcnt(0)
	v_fmac_f64_e32 v[96:97], v[106:107], v[100:101]
	s_waitcnt vmcnt(6)
	v_fmac_f64_e32 v[96:97], v[108:109], v[102:103]
	ds_read2_b64 v[100:103], v98 offset0:59 offset1:60
	s_waitcnt vmcnt(4) lgkmcnt(0)
	v_fmac_f64_e32 v[96:97], v[110:111], v[100:101]
	;; [unrolled: 5-line block ×3, first 2 shown]
	buffer_load_dword v101, off, s[0:3], 0 offset:132
	buffer_load_dword v100, off, s[0:3], 0 offset:128
	buffer_load_dword v105, off, s[0:3], 0 offset:140
	buffer_load_dword v104, off, s[0:3], 0 offset:136
	s_waitcnt vmcnt(2)
	v_fmac_f64_e32 v[96:97], v[100:101], v[102:103]
	ds_read2_b64 v[100:103], v98 offset0:63 offset1:64
	s_waitcnt vmcnt(0) lgkmcnt(0)
	v_fmac_f64_e32 v[96:97], v[104:105], v[100:101]
	buffer_load_dword v101, off, s[0:3], 0 offset:148
	buffer_load_dword v100, off, s[0:3], 0 offset:144
	buffer_load_dword v105, off, s[0:3], 0 offset:156
	buffer_load_dword v104, off, s[0:3], 0 offset:152
	s_waitcnt vmcnt(2)
	v_fmac_f64_e32 v[96:97], v[100:101], v[102:103]
	ds_read2_b64 v[100:103], v98 offset0:65 offset1:66
	s_waitcnt vmcnt(0) lgkmcnt(0)
	v_fmac_f64_e32 v[96:97], v[104:105], v[100:101]
	;; [unrolled: 9-line block ×14, first 2 shown]
	buffer_load_dword v101, off, s[0:3], 0 offset:356
	buffer_load_dword v100, off, s[0:3], 0 offset:352
	s_waitcnt vmcnt(0)
	v_fmac_f64_e32 v[96:97], v[100:101], v[102:103]
	buffer_load_dword v101, off, s[0:3], 0 offset:364
	buffer_load_dword v100, off, s[0:3], 0 offset:360
	ds_read_b64 v[102:103], v98 offset:728
	s_waitcnt vmcnt(0) lgkmcnt(0)
	v_fmac_f64_e32 v[96:97], v[100:101], v[102:103]
	v_add_f64 v[94:95], v[94:95], -v[96:97]
	buffer_store_dword v95, off, s[0:3], 0 offset:68
	buffer_store_dword v94, off, s[0:3], 0 offset:64
	s_and_saveexec_b64 s[4:5], vcc
	s_cbranch_execz .LBB109_269
; %bb.268:
	buffer_load_dword v94, off, s[0:3], 0 offset:56
	buffer_load_dword v95, off, s[0:3], 0 offset:60
	s_waitcnt vmcnt(0)
	ds_write_b64 v1, v[94:95]
	buffer_store_dword v98, off, s[0:3], 0 offset:56
	buffer_store_dword v98, off, s[0:3], 0 offset:60
.LBB109_269:
	s_or_b64 exec, exec, s[4:5]
	s_waitcnt lgkmcnt(0)
	; wave barrier
	s_waitcnt lgkmcnt(0)
	buffer_load_dword v94, off, s[0:3], 0 offset:56
	buffer_load_dword v95, off, s[0:3], 0 offset:60
	;; [unrolled: 1-line block ×16, first 2 shown]
	ds_read_b128 v[100:103], v98 offset:432
	ds_read_b128 v[104:107], v98 offset:448
	;; [unrolled: 1-line block ×4, first 2 shown]
	v_cmp_lt_u32_e32 vcc, 6, v0
	s_waitcnt vmcnt(12) lgkmcnt(3)
	v_fma_f64 v[96:97], v[96:97], v[100:101], 0
	buffer_load_dword v101, off, s[0:3], 0 offset:124
	buffer_load_dword v100, off, s[0:3], 0 offset:120
	s_waitcnt vmcnt(12)
	v_fmac_f64_e32 v[96:97], v[116:117], v[102:103]
	s_waitcnt vmcnt(10) lgkmcnt(2)
	v_fmac_f64_e32 v[96:97], v[118:119], v[104:105]
	buffer_load_dword v105, off, s[0:3], 0 offset:132
	buffer_load_dword v104, off, s[0:3], 0 offset:128
	s_waitcnt vmcnt(10)
	v_fmac_f64_e32 v[96:97], v[120:121], v[106:107]
	s_waitcnt vmcnt(8) lgkmcnt(1)
	v_fmac_f64_e32 v[96:97], v[122:123], v[108:109]
	s_waitcnt vmcnt(6)
	v_fmac_f64_e32 v[96:97], v[124:125], v[110:111]
	s_waitcnt vmcnt(4) lgkmcnt(0)
	v_fmac_f64_e32 v[96:97], v[126:127], v[112:113]
	s_waitcnt vmcnt(2)
	v_fmac_f64_e32 v[96:97], v[100:101], v[114:115]
	ds_read_b128 v[100:103], v98 offset:496
	s_waitcnt vmcnt(0) lgkmcnt(0)
	v_fmac_f64_e32 v[96:97], v[104:105], v[100:101]
	buffer_load_dword v101, off, s[0:3], 0 offset:140
	buffer_load_dword v100, off, s[0:3], 0 offset:136
	buffer_load_dword v105, off, s[0:3], 0 offset:148
	buffer_load_dword v104, off, s[0:3], 0 offset:144
	s_waitcnt vmcnt(2)
	v_fmac_f64_e32 v[96:97], v[100:101], v[102:103]
	ds_read_b128 v[100:103], v98 offset:512
	s_waitcnt vmcnt(0) lgkmcnt(0)
	v_fmac_f64_e32 v[96:97], v[104:105], v[100:101]
	buffer_load_dword v101, off, s[0:3], 0 offset:156
	buffer_load_dword v100, off, s[0:3], 0 offset:152
	buffer_load_dword v105, off, s[0:3], 0 offset:164
	buffer_load_dword v104, off, s[0:3], 0 offset:160
	;; [unrolled: 9-line block ×13, first 2 shown]
	s_waitcnt vmcnt(2)
	v_fmac_f64_e32 v[96:97], v[100:101], v[102:103]
	ds_read_b128 v[100:103], v98 offset:704
	s_waitcnt vmcnt(0) lgkmcnt(0)
	v_fmac_f64_e32 v[96:97], v[104:105], v[100:101]
	buffer_load_dword v101, off, s[0:3], 0 offset:348
	buffer_load_dword v100, off, s[0:3], 0 offset:344
	s_waitcnt vmcnt(0)
	v_fmac_f64_e32 v[96:97], v[100:101], v[102:103]
	buffer_load_dword v103, off, s[0:3], 0 offset:356
	buffer_load_dword v102, off, s[0:3], 0 offset:352
	ds_read_b128 v[98:101], v98 offset:720
	s_waitcnt vmcnt(0) lgkmcnt(0)
	v_fmac_f64_e32 v[96:97], v[102:103], v[98:99]
	buffer_load_dword v99, off, s[0:3], 0 offset:364
	buffer_load_dword v98, off, s[0:3], 0 offset:360
	s_waitcnt vmcnt(0)
	v_fmac_f64_e32 v[96:97], v[98:99], v[100:101]
	v_add_f64 v[94:95], v[94:95], -v[96:97]
	buffer_store_dword v95, off, s[0:3], 0 offset:60
	buffer_store_dword v94, off, s[0:3], 0 offset:56
	s_and_saveexec_b64 s[4:5], vcc
	s_cbranch_execz .LBB109_271
; %bb.270:
	buffer_load_dword v94, off, s[0:3], 0 offset:48
	buffer_load_dword v95, off, s[0:3], 0 offset:52
	v_mov_b32_e32 v96, 0
	buffer_store_dword v96, off, s[0:3], 0 offset:48
	buffer_store_dword v96, off, s[0:3], 0 offset:52
	s_waitcnt vmcnt(2)
	ds_write_b64 v1, v[94:95]
.LBB109_271:
	s_or_b64 exec, exec, s[4:5]
	s_waitcnt lgkmcnt(0)
	; wave barrier
	s_waitcnt lgkmcnt(0)
	buffer_load_dword v94, off, s[0:3], 0 offset:48
	buffer_load_dword v95, off, s[0:3], 0 offset:52
	;; [unrolled: 1-line block ×16, first 2 shown]
	v_mov_b32_e32 v98, 0
	ds_read2_b64 v[100:103], v98 offset0:53 offset1:54
	v_cmp_lt_u32_e32 vcc, 5, v0
	s_waitcnt vmcnt(12) lgkmcnt(0)
	v_fma_f64 v[96:97], v[96:97], v[100:101], 0
	s_waitcnt vmcnt(10)
	v_fmac_f64_e32 v[96:97], v[104:105], v[102:103]
	ds_read2_b64 v[100:103], v98 offset0:55 offset1:56
	s_waitcnt vmcnt(8) lgkmcnt(0)
	v_fmac_f64_e32 v[96:97], v[106:107], v[100:101]
	s_waitcnt vmcnt(6)
	v_fmac_f64_e32 v[96:97], v[108:109], v[102:103]
	ds_read2_b64 v[100:103], v98 offset0:57 offset1:58
	s_waitcnt vmcnt(4) lgkmcnt(0)
	v_fmac_f64_e32 v[96:97], v[110:111], v[100:101]
	;; [unrolled: 5-line block ×3, first 2 shown]
	buffer_load_dword v101, off, s[0:3], 0 offset:116
	buffer_load_dword v100, off, s[0:3], 0 offset:112
	buffer_load_dword v105, off, s[0:3], 0 offset:124
	buffer_load_dword v104, off, s[0:3], 0 offset:120
	s_waitcnt vmcnt(2)
	v_fmac_f64_e32 v[96:97], v[100:101], v[102:103]
	ds_read2_b64 v[100:103], v98 offset0:61 offset1:62
	s_waitcnt vmcnt(0) lgkmcnt(0)
	v_fmac_f64_e32 v[96:97], v[104:105], v[100:101]
	buffer_load_dword v101, off, s[0:3], 0 offset:132
	buffer_load_dword v100, off, s[0:3], 0 offset:128
	buffer_load_dword v105, off, s[0:3], 0 offset:140
	buffer_load_dword v104, off, s[0:3], 0 offset:136
	s_waitcnt vmcnt(2)
	v_fmac_f64_e32 v[96:97], v[100:101], v[102:103]
	ds_read2_b64 v[100:103], v98 offset0:63 offset1:64
	s_waitcnt vmcnt(0) lgkmcnt(0)
	v_fmac_f64_e32 v[96:97], v[104:105], v[100:101]
	;; [unrolled: 9-line block ×15, first 2 shown]
	buffer_load_dword v101, off, s[0:3], 0 offset:356
	buffer_load_dword v100, off, s[0:3], 0 offset:352
	s_waitcnt vmcnt(0)
	v_fmac_f64_e32 v[96:97], v[100:101], v[102:103]
	buffer_load_dword v101, off, s[0:3], 0 offset:364
	buffer_load_dword v100, off, s[0:3], 0 offset:360
	ds_read_b64 v[102:103], v98 offset:728
	s_waitcnt vmcnt(0) lgkmcnt(0)
	v_fmac_f64_e32 v[96:97], v[100:101], v[102:103]
	v_add_f64 v[94:95], v[94:95], -v[96:97]
	buffer_store_dword v95, off, s[0:3], 0 offset:52
	buffer_store_dword v94, off, s[0:3], 0 offset:48
	s_and_saveexec_b64 s[4:5], vcc
	s_cbranch_execz .LBB109_273
; %bb.272:
	buffer_load_dword v94, off, s[0:3], 0 offset:40
	buffer_load_dword v95, off, s[0:3], 0 offset:44
	s_waitcnt vmcnt(0)
	ds_write_b64 v1, v[94:95]
	buffer_store_dword v98, off, s[0:3], 0 offset:40
	buffer_store_dword v98, off, s[0:3], 0 offset:44
.LBB109_273:
	s_or_b64 exec, exec, s[4:5]
	s_waitcnt lgkmcnt(0)
	; wave barrier
	s_waitcnt lgkmcnt(0)
	buffer_load_dword v94, off, s[0:3], 0 offset:40
	buffer_load_dword v95, off, s[0:3], 0 offset:44
	;; [unrolled: 1-line block ×16, first 2 shown]
	ds_read_b128 v[100:103], v98 offset:416
	ds_read_b128 v[104:107], v98 offset:432
	;; [unrolled: 1-line block ×4, first 2 shown]
	v_cmp_lt_u32_e32 vcc, 4, v0
	s_waitcnt vmcnt(12) lgkmcnt(3)
	v_fma_f64 v[96:97], v[96:97], v[100:101], 0
	buffer_load_dword v101, off, s[0:3], 0 offset:108
	buffer_load_dword v100, off, s[0:3], 0 offset:104
	s_waitcnt vmcnt(12)
	v_fmac_f64_e32 v[96:97], v[116:117], v[102:103]
	s_waitcnt vmcnt(10) lgkmcnt(2)
	v_fmac_f64_e32 v[96:97], v[118:119], v[104:105]
	buffer_load_dword v105, off, s[0:3], 0 offset:116
	buffer_load_dword v104, off, s[0:3], 0 offset:112
	s_waitcnt vmcnt(10)
	v_fmac_f64_e32 v[96:97], v[120:121], v[106:107]
	s_waitcnt vmcnt(8) lgkmcnt(1)
	v_fmac_f64_e32 v[96:97], v[122:123], v[108:109]
	s_waitcnt vmcnt(6)
	v_fmac_f64_e32 v[96:97], v[124:125], v[110:111]
	s_waitcnt vmcnt(4) lgkmcnt(0)
	v_fmac_f64_e32 v[96:97], v[126:127], v[112:113]
	s_waitcnt vmcnt(2)
	v_fmac_f64_e32 v[96:97], v[100:101], v[114:115]
	ds_read_b128 v[100:103], v98 offset:480
	s_waitcnt vmcnt(0) lgkmcnt(0)
	v_fmac_f64_e32 v[96:97], v[104:105], v[100:101]
	buffer_load_dword v101, off, s[0:3], 0 offset:124
	buffer_load_dword v100, off, s[0:3], 0 offset:120
	buffer_load_dword v105, off, s[0:3], 0 offset:132
	buffer_load_dword v104, off, s[0:3], 0 offset:128
	s_waitcnt vmcnt(2)
	v_fmac_f64_e32 v[96:97], v[100:101], v[102:103]
	ds_read_b128 v[100:103], v98 offset:496
	s_waitcnt vmcnt(0) lgkmcnt(0)
	v_fmac_f64_e32 v[96:97], v[104:105], v[100:101]
	buffer_load_dword v101, off, s[0:3], 0 offset:140
	buffer_load_dword v100, off, s[0:3], 0 offset:136
	buffer_load_dword v105, off, s[0:3], 0 offset:148
	buffer_load_dword v104, off, s[0:3], 0 offset:144
	;; [unrolled: 9-line block ×14, first 2 shown]
	s_waitcnt vmcnt(2)
	v_fmac_f64_e32 v[96:97], v[100:101], v[102:103]
	ds_read_b128 v[100:103], v98 offset:704
	s_waitcnt vmcnt(0) lgkmcnt(0)
	v_fmac_f64_e32 v[96:97], v[104:105], v[100:101]
	buffer_load_dword v101, off, s[0:3], 0 offset:348
	buffer_load_dword v100, off, s[0:3], 0 offset:344
	s_waitcnt vmcnt(0)
	v_fmac_f64_e32 v[96:97], v[100:101], v[102:103]
	buffer_load_dword v103, off, s[0:3], 0 offset:356
	buffer_load_dword v102, off, s[0:3], 0 offset:352
	ds_read_b128 v[98:101], v98 offset:720
	s_waitcnt vmcnt(0) lgkmcnt(0)
	v_fmac_f64_e32 v[96:97], v[102:103], v[98:99]
	buffer_load_dword v99, off, s[0:3], 0 offset:364
	buffer_load_dword v98, off, s[0:3], 0 offset:360
	s_waitcnt vmcnt(0)
	v_fmac_f64_e32 v[96:97], v[98:99], v[100:101]
	v_add_f64 v[94:95], v[94:95], -v[96:97]
	buffer_store_dword v95, off, s[0:3], 0 offset:44
	buffer_store_dword v94, off, s[0:3], 0 offset:40
	s_and_saveexec_b64 s[4:5], vcc
	s_cbranch_execz .LBB109_275
; %bb.274:
	buffer_load_dword v94, off, s[0:3], 0 offset:32
	buffer_load_dword v95, off, s[0:3], 0 offset:36
	v_mov_b32_e32 v96, 0
	buffer_store_dword v96, off, s[0:3], 0 offset:32
	buffer_store_dword v96, off, s[0:3], 0 offset:36
	s_waitcnt vmcnt(2)
	ds_write_b64 v1, v[94:95]
.LBB109_275:
	s_or_b64 exec, exec, s[4:5]
	s_waitcnt lgkmcnt(0)
	; wave barrier
	s_waitcnt lgkmcnt(0)
	buffer_load_dword v94, off, s[0:3], 0 offset:32
	buffer_load_dword v95, off, s[0:3], 0 offset:36
	;; [unrolled: 1-line block ×16, first 2 shown]
	v_mov_b32_e32 v98, 0
	ds_read2_b64 v[100:103], v98 offset0:51 offset1:52
	v_cmp_lt_u32_e32 vcc, 3, v0
	s_waitcnt vmcnt(12) lgkmcnt(0)
	v_fma_f64 v[96:97], v[96:97], v[100:101], 0
	s_waitcnt vmcnt(10)
	v_fmac_f64_e32 v[96:97], v[104:105], v[102:103]
	ds_read2_b64 v[100:103], v98 offset0:53 offset1:54
	s_waitcnt vmcnt(8) lgkmcnt(0)
	v_fmac_f64_e32 v[96:97], v[106:107], v[100:101]
	s_waitcnt vmcnt(6)
	v_fmac_f64_e32 v[96:97], v[108:109], v[102:103]
	ds_read2_b64 v[100:103], v98 offset0:55 offset1:56
	s_waitcnt vmcnt(4) lgkmcnt(0)
	v_fmac_f64_e32 v[96:97], v[110:111], v[100:101]
	;; [unrolled: 5-line block ×3, first 2 shown]
	buffer_load_dword v101, off, s[0:3], 0 offset:100
	buffer_load_dword v100, off, s[0:3], 0 offset:96
	buffer_load_dword v105, off, s[0:3], 0 offset:108
	buffer_load_dword v104, off, s[0:3], 0 offset:104
	s_waitcnt vmcnt(2)
	v_fmac_f64_e32 v[96:97], v[100:101], v[102:103]
	ds_read2_b64 v[100:103], v98 offset0:59 offset1:60
	s_waitcnt vmcnt(0) lgkmcnt(0)
	v_fmac_f64_e32 v[96:97], v[104:105], v[100:101]
	buffer_load_dword v101, off, s[0:3], 0 offset:116
	buffer_load_dword v100, off, s[0:3], 0 offset:112
	buffer_load_dword v105, off, s[0:3], 0 offset:124
	buffer_load_dword v104, off, s[0:3], 0 offset:120
	s_waitcnt vmcnt(2)
	v_fmac_f64_e32 v[96:97], v[100:101], v[102:103]
	ds_read2_b64 v[100:103], v98 offset0:61 offset1:62
	s_waitcnt vmcnt(0) lgkmcnt(0)
	v_fmac_f64_e32 v[96:97], v[104:105], v[100:101]
	;; [unrolled: 9-line block ×16, first 2 shown]
	buffer_load_dword v101, off, s[0:3], 0 offset:356
	buffer_load_dword v100, off, s[0:3], 0 offset:352
	s_waitcnt vmcnt(0)
	v_fmac_f64_e32 v[96:97], v[100:101], v[102:103]
	buffer_load_dword v101, off, s[0:3], 0 offset:364
	buffer_load_dword v100, off, s[0:3], 0 offset:360
	ds_read_b64 v[102:103], v98 offset:728
	s_waitcnt vmcnt(0) lgkmcnt(0)
	v_fmac_f64_e32 v[96:97], v[100:101], v[102:103]
	v_add_f64 v[94:95], v[94:95], -v[96:97]
	buffer_store_dword v95, off, s[0:3], 0 offset:36
	buffer_store_dword v94, off, s[0:3], 0 offset:32
	s_and_saveexec_b64 s[4:5], vcc
	s_cbranch_execz .LBB109_277
; %bb.276:
	buffer_load_dword v94, off, s[0:3], 0 offset:24
	buffer_load_dword v95, off, s[0:3], 0 offset:28
	s_waitcnt vmcnt(0)
	ds_write_b64 v1, v[94:95]
	buffer_store_dword v98, off, s[0:3], 0 offset:24
	buffer_store_dword v98, off, s[0:3], 0 offset:28
.LBB109_277:
	s_or_b64 exec, exec, s[4:5]
	s_waitcnt lgkmcnt(0)
	; wave barrier
	s_waitcnt lgkmcnt(0)
	buffer_load_dword v94, off, s[0:3], 0 offset:24
	buffer_load_dword v95, off, s[0:3], 0 offset:28
	;; [unrolled: 1-line block ×16, first 2 shown]
	ds_read_b128 v[100:103], v98 offset:400
	ds_read_b128 v[104:107], v98 offset:416
	;; [unrolled: 1-line block ×4, first 2 shown]
	v_cmp_lt_u32_e32 vcc, 2, v0
	s_waitcnt vmcnt(12) lgkmcnt(3)
	v_fma_f64 v[96:97], v[96:97], v[100:101], 0
	buffer_load_dword v101, off, s[0:3], 0 offset:92
	buffer_load_dword v100, off, s[0:3], 0 offset:88
	s_waitcnt vmcnt(12)
	v_fmac_f64_e32 v[96:97], v[116:117], v[102:103]
	s_waitcnt vmcnt(10) lgkmcnt(2)
	v_fmac_f64_e32 v[96:97], v[118:119], v[104:105]
	buffer_load_dword v105, off, s[0:3], 0 offset:100
	buffer_load_dword v104, off, s[0:3], 0 offset:96
	s_waitcnt vmcnt(10)
	v_fmac_f64_e32 v[96:97], v[120:121], v[106:107]
	s_waitcnt vmcnt(8) lgkmcnt(1)
	v_fmac_f64_e32 v[96:97], v[122:123], v[108:109]
	s_waitcnt vmcnt(6)
	v_fmac_f64_e32 v[96:97], v[124:125], v[110:111]
	s_waitcnt vmcnt(4) lgkmcnt(0)
	v_fmac_f64_e32 v[96:97], v[126:127], v[112:113]
	s_waitcnt vmcnt(2)
	v_fmac_f64_e32 v[96:97], v[100:101], v[114:115]
	ds_read_b128 v[100:103], v98 offset:464
	s_waitcnt vmcnt(0) lgkmcnt(0)
	v_fmac_f64_e32 v[96:97], v[104:105], v[100:101]
	buffer_load_dword v101, off, s[0:3], 0 offset:108
	buffer_load_dword v100, off, s[0:3], 0 offset:104
	buffer_load_dword v105, off, s[0:3], 0 offset:116
	buffer_load_dword v104, off, s[0:3], 0 offset:112
	s_waitcnt vmcnt(2)
	v_fmac_f64_e32 v[96:97], v[100:101], v[102:103]
	ds_read_b128 v[100:103], v98 offset:480
	s_waitcnt vmcnt(0) lgkmcnt(0)
	v_fmac_f64_e32 v[96:97], v[104:105], v[100:101]
	buffer_load_dword v101, off, s[0:3], 0 offset:124
	buffer_load_dword v100, off, s[0:3], 0 offset:120
	buffer_load_dword v105, off, s[0:3], 0 offset:132
	buffer_load_dword v104, off, s[0:3], 0 offset:128
	;; [unrolled: 9-line block ×15, first 2 shown]
	s_waitcnt vmcnt(2)
	v_fmac_f64_e32 v[96:97], v[100:101], v[102:103]
	ds_read_b128 v[100:103], v98 offset:704
	s_waitcnt vmcnt(0) lgkmcnt(0)
	v_fmac_f64_e32 v[96:97], v[104:105], v[100:101]
	buffer_load_dword v101, off, s[0:3], 0 offset:348
	buffer_load_dword v100, off, s[0:3], 0 offset:344
	s_waitcnt vmcnt(0)
	v_fmac_f64_e32 v[96:97], v[100:101], v[102:103]
	buffer_load_dword v103, off, s[0:3], 0 offset:356
	buffer_load_dword v102, off, s[0:3], 0 offset:352
	ds_read_b128 v[98:101], v98 offset:720
	s_waitcnt vmcnt(0) lgkmcnt(0)
	v_fmac_f64_e32 v[96:97], v[102:103], v[98:99]
	buffer_load_dword v99, off, s[0:3], 0 offset:364
	buffer_load_dword v98, off, s[0:3], 0 offset:360
	s_waitcnt vmcnt(0)
	v_fmac_f64_e32 v[96:97], v[98:99], v[100:101]
	v_add_f64 v[94:95], v[94:95], -v[96:97]
	buffer_store_dword v95, off, s[0:3], 0 offset:28
	buffer_store_dword v94, off, s[0:3], 0 offset:24
	s_and_saveexec_b64 s[4:5], vcc
	s_cbranch_execz .LBB109_279
; %bb.278:
	buffer_load_dword v94, off, s[0:3], 0 offset:16
	buffer_load_dword v95, off, s[0:3], 0 offset:20
	v_mov_b32_e32 v96, 0
	buffer_store_dword v96, off, s[0:3], 0 offset:16
	buffer_store_dword v96, off, s[0:3], 0 offset:20
	s_waitcnt vmcnt(2)
	ds_write_b64 v1, v[94:95]
.LBB109_279:
	s_or_b64 exec, exec, s[4:5]
	s_waitcnt lgkmcnt(0)
	; wave barrier
	s_waitcnt lgkmcnt(0)
	buffer_load_dword v94, off, s[0:3], 0 offset:16
	buffer_load_dword v95, off, s[0:3], 0 offset:20
	;; [unrolled: 1-line block ×16, first 2 shown]
	v_mov_b32_e32 v98, 0
	ds_read2_b64 v[100:103], v98 offset0:49 offset1:50
	v_cmp_lt_u32_e32 vcc, 1, v0
	s_waitcnt vmcnt(12) lgkmcnt(0)
	v_fma_f64 v[96:97], v[96:97], v[100:101], 0
	s_waitcnt vmcnt(10)
	v_fmac_f64_e32 v[96:97], v[104:105], v[102:103]
	ds_read2_b64 v[100:103], v98 offset0:51 offset1:52
	s_waitcnt vmcnt(8) lgkmcnt(0)
	v_fmac_f64_e32 v[96:97], v[106:107], v[100:101]
	s_waitcnt vmcnt(6)
	v_fmac_f64_e32 v[96:97], v[108:109], v[102:103]
	ds_read2_b64 v[100:103], v98 offset0:53 offset1:54
	s_waitcnt vmcnt(4) lgkmcnt(0)
	v_fmac_f64_e32 v[96:97], v[110:111], v[100:101]
	;; [unrolled: 5-line block ×3, first 2 shown]
	buffer_load_dword v101, off, s[0:3], 0 offset:84
	buffer_load_dword v100, off, s[0:3], 0 offset:80
	buffer_load_dword v105, off, s[0:3], 0 offset:92
	buffer_load_dword v104, off, s[0:3], 0 offset:88
	s_waitcnt vmcnt(2)
	v_fmac_f64_e32 v[96:97], v[100:101], v[102:103]
	ds_read2_b64 v[100:103], v98 offset0:57 offset1:58
	s_waitcnt vmcnt(0) lgkmcnt(0)
	v_fmac_f64_e32 v[96:97], v[104:105], v[100:101]
	buffer_load_dword v101, off, s[0:3], 0 offset:100
	buffer_load_dword v100, off, s[0:3], 0 offset:96
	buffer_load_dword v105, off, s[0:3], 0 offset:108
	buffer_load_dword v104, off, s[0:3], 0 offset:104
	s_waitcnt vmcnt(2)
	v_fmac_f64_e32 v[96:97], v[100:101], v[102:103]
	ds_read2_b64 v[100:103], v98 offset0:59 offset1:60
	s_waitcnt vmcnt(0) lgkmcnt(0)
	v_fmac_f64_e32 v[96:97], v[104:105], v[100:101]
	;; [unrolled: 9-line block ×17, first 2 shown]
	buffer_load_dword v101, off, s[0:3], 0 offset:356
	buffer_load_dword v100, off, s[0:3], 0 offset:352
	s_waitcnt vmcnt(0)
	v_fmac_f64_e32 v[96:97], v[100:101], v[102:103]
	buffer_load_dword v101, off, s[0:3], 0 offset:364
	buffer_load_dword v100, off, s[0:3], 0 offset:360
	ds_read_b64 v[102:103], v98 offset:728
	s_waitcnt vmcnt(0) lgkmcnt(0)
	v_fmac_f64_e32 v[96:97], v[100:101], v[102:103]
	v_add_f64 v[94:95], v[94:95], -v[96:97]
	buffer_store_dword v95, off, s[0:3], 0 offset:20
	buffer_store_dword v94, off, s[0:3], 0 offset:16
	s_and_saveexec_b64 s[4:5], vcc
	s_cbranch_execz .LBB109_281
; %bb.280:
	buffer_load_dword v94, off, s[0:3], 0 offset:8
	buffer_load_dword v95, off, s[0:3], 0 offset:12
	s_waitcnt vmcnt(0)
	ds_write_b64 v1, v[94:95]
	buffer_store_dword v98, off, s[0:3], 0 offset:8
	buffer_store_dword v98, off, s[0:3], 0 offset:12
.LBB109_281:
	s_or_b64 exec, exec, s[4:5]
	s_waitcnt lgkmcnt(0)
	; wave barrier
	s_waitcnt lgkmcnt(0)
	buffer_load_dword v94, off, s[0:3], 0 offset:8
	buffer_load_dword v95, off, s[0:3], 0 offset:12
	;; [unrolled: 1-line block ×16, first 2 shown]
	ds_read_b128 v[100:103], v98 offset:384
	ds_read_b128 v[104:107], v98 offset:400
	;; [unrolled: 1-line block ×4, first 2 shown]
	v_cmp_ne_u32_e32 vcc, 0, v0
	s_waitcnt vmcnt(12) lgkmcnt(3)
	v_fma_f64 v[96:97], v[96:97], v[100:101], 0
	buffer_load_dword v101, off, s[0:3], 0 offset:76
	buffer_load_dword v100, off, s[0:3], 0 offset:72
	s_waitcnt vmcnt(12)
	v_fmac_f64_e32 v[96:97], v[116:117], v[102:103]
	s_waitcnt vmcnt(10) lgkmcnt(2)
	v_fmac_f64_e32 v[96:97], v[118:119], v[104:105]
	buffer_load_dword v105, off, s[0:3], 0 offset:84
	buffer_load_dword v104, off, s[0:3], 0 offset:80
	s_waitcnt vmcnt(10)
	v_fmac_f64_e32 v[96:97], v[120:121], v[106:107]
	s_waitcnt vmcnt(8) lgkmcnt(1)
	v_fmac_f64_e32 v[96:97], v[122:123], v[108:109]
	s_waitcnt vmcnt(6)
	v_fmac_f64_e32 v[96:97], v[124:125], v[110:111]
	s_waitcnt vmcnt(4) lgkmcnt(0)
	v_fmac_f64_e32 v[96:97], v[126:127], v[112:113]
	s_waitcnt vmcnt(2)
	v_fmac_f64_e32 v[96:97], v[100:101], v[114:115]
	ds_read_b128 v[100:103], v98 offset:448
	s_waitcnt vmcnt(0) lgkmcnt(0)
	v_fmac_f64_e32 v[96:97], v[104:105], v[100:101]
	buffer_load_dword v101, off, s[0:3], 0 offset:92
	buffer_load_dword v100, off, s[0:3], 0 offset:88
	buffer_load_dword v105, off, s[0:3], 0 offset:100
	buffer_load_dword v104, off, s[0:3], 0 offset:96
	s_waitcnt vmcnt(2)
	v_fmac_f64_e32 v[96:97], v[100:101], v[102:103]
	ds_read_b128 v[100:103], v98 offset:464
	s_waitcnt vmcnt(0) lgkmcnt(0)
	v_fmac_f64_e32 v[96:97], v[104:105], v[100:101]
	buffer_load_dword v101, off, s[0:3], 0 offset:108
	buffer_load_dword v100, off, s[0:3], 0 offset:104
	buffer_load_dword v105, off, s[0:3], 0 offset:116
	buffer_load_dword v104, off, s[0:3], 0 offset:112
	s_waitcnt vmcnt(2)
	v_fmac_f64_e32 v[96:97], v[100:101], v[102:103]
	ds_read_b128 v[100:103], v98 offset:480
	s_waitcnt vmcnt(0) lgkmcnt(0)
	v_fmac_f64_e32 v[96:97], v[104:105], v[100:101]
	buffer_load_dword v101, off, s[0:3], 0 offset:124
	buffer_load_dword v100, off, s[0:3], 0 offset:120
	buffer_load_dword v105, off, s[0:3], 0 offset:132
	buffer_load_dword v104, off, s[0:3], 0 offset:128
	s_waitcnt vmcnt(2)
	v_fmac_f64_e32 v[96:97], v[100:101], v[102:103]
	ds_read_b128 v[100:103], v98 offset:496
	s_waitcnt vmcnt(0) lgkmcnt(0)
	v_fmac_f64_e32 v[96:97], v[104:105], v[100:101]
	buffer_load_dword v101, off, s[0:3], 0 offset:140
	buffer_load_dword v100, off, s[0:3], 0 offset:136
	buffer_load_dword v105, off, s[0:3], 0 offset:148
	buffer_load_dword v104, off, s[0:3], 0 offset:144
	s_waitcnt vmcnt(2)
	v_fmac_f64_e32 v[96:97], v[100:101], v[102:103]
	ds_read_b128 v[100:103], v98 offset:512
	s_waitcnt vmcnt(0) lgkmcnt(0)
	v_fmac_f64_e32 v[96:97], v[104:105], v[100:101]
	buffer_load_dword v101, off, s[0:3], 0 offset:156
	buffer_load_dword v100, off, s[0:3], 0 offset:152
	buffer_load_dword v105, off, s[0:3], 0 offset:164
	buffer_load_dword v104, off, s[0:3], 0 offset:160
	s_waitcnt vmcnt(2)
	v_fmac_f64_e32 v[96:97], v[100:101], v[102:103]
	ds_read_b128 v[100:103], v98 offset:528
	s_waitcnt vmcnt(0) lgkmcnt(0)
	v_fmac_f64_e32 v[96:97], v[104:105], v[100:101]
	buffer_load_dword v101, off, s[0:3], 0 offset:172
	buffer_load_dword v100, off, s[0:3], 0 offset:168
	buffer_load_dword v105, off, s[0:3], 0 offset:180
	buffer_load_dword v104, off, s[0:3], 0 offset:176
	s_waitcnt vmcnt(2)
	v_fmac_f64_e32 v[96:97], v[100:101], v[102:103]
	ds_read_b128 v[100:103], v98 offset:544
	s_waitcnt vmcnt(0) lgkmcnt(0)
	v_fmac_f64_e32 v[96:97], v[104:105], v[100:101]
	buffer_load_dword v101, off, s[0:3], 0 offset:188
	buffer_load_dword v100, off, s[0:3], 0 offset:184
	buffer_load_dword v105, off, s[0:3], 0 offset:196
	buffer_load_dword v104, off, s[0:3], 0 offset:192
	s_waitcnt vmcnt(2)
	v_fmac_f64_e32 v[96:97], v[100:101], v[102:103]
	ds_read_b128 v[100:103], v98 offset:560
	s_waitcnt vmcnt(0) lgkmcnt(0)
	v_fmac_f64_e32 v[96:97], v[104:105], v[100:101]
	buffer_load_dword v101, off, s[0:3], 0 offset:204
	buffer_load_dword v100, off, s[0:3], 0 offset:200
	buffer_load_dword v105, off, s[0:3], 0 offset:212
	buffer_load_dword v104, off, s[0:3], 0 offset:208
	s_waitcnt vmcnt(2)
	v_fmac_f64_e32 v[96:97], v[100:101], v[102:103]
	ds_read_b128 v[100:103], v98 offset:576
	s_waitcnt vmcnt(0) lgkmcnt(0)
	v_fmac_f64_e32 v[96:97], v[104:105], v[100:101]
	buffer_load_dword v101, off, s[0:3], 0 offset:220
	buffer_load_dword v100, off, s[0:3], 0 offset:216
	buffer_load_dword v105, off, s[0:3], 0 offset:228
	buffer_load_dword v104, off, s[0:3], 0 offset:224
	s_waitcnt vmcnt(2)
	v_fmac_f64_e32 v[96:97], v[100:101], v[102:103]
	ds_read_b128 v[100:103], v98 offset:592
	s_waitcnt vmcnt(0) lgkmcnt(0)
	v_fmac_f64_e32 v[96:97], v[104:105], v[100:101]
	buffer_load_dword v101, off, s[0:3], 0 offset:236
	buffer_load_dword v100, off, s[0:3], 0 offset:232
	buffer_load_dword v105, off, s[0:3], 0 offset:244
	buffer_load_dword v104, off, s[0:3], 0 offset:240
	s_waitcnt vmcnt(2)
	v_fmac_f64_e32 v[96:97], v[100:101], v[102:103]
	ds_read_b128 v[100:103], v98 offset:608
	s_waitcnt vmcnt(0) lgkmcnt(0)
	v_fmac_f64_e32 v[96:97], v[104:105], v[100:101]
	buffer_load_dword v101, off, s[0:3], 0 offset:252
	buffer_load_dword v100, off, s[0:3], 0 offset:248
	buffer_load_dword v105, off, s[0:3], 0 offset:260
	buffer_load_dword v104, off, s[0:3], 0 offset:256
	s_waitcnt vmcnt(2)
	v_fmac_f64_e32 v[96:97], v[100:101], v[102:103]
	ds_read_b128 v[100:103], v98 offset:624
	s_waitcnt vmcnt(0) lgkmcnt(0)
	v_fmac_f64_e32 v[96:97], v[104:105], v[100:101]
	buffer_load_dword v101, off, s[0:3], 0 offset:268
	buffer_load_dword v100, off, s[0:3], 0 offset:264
	buffer_load_dword v105, off, s[0:3], 0 offset:276
	buffer_load_dword v104, off, s[0:3], 0 offset:272
	s_waitcnt vmcnt(2)
	v_fmac_f64_e32 v[96:97], v[100:101], v[102:103]
	ds_read_b128 v[100:103], v98 offset:640
	s_waitcnt vmcnt(0) lgkmcnt(0)
	v_fmac_f64_e32 v[96:97], v[104:105], v[100:101]
	buffer_load_dword v101, off, s[0:3], 0 offset:284
	buffer_load_dword v100, off, s[0:3], 0 offset:280
	buffer_load_dword v105, off, s[0:3], 0 offset:292
	buffer_load_dword v104, off, s[0:3], 0 offset:288
	s_waitcnt vmcnt(2)
	v_fmac_f64_e32 v[96:97], v[100:101], v[102:103]
	ds_read_b128 v[100:103], v98 offset:656
	s_waitcnt vmcnt(0) lgkmcnt(0)
	v_fmac_f64_e32 v[96:97], v[104:105], v[100:101]
	buffer_load_dword v101, off, s[0:3], 0 offset:300
	buffer_load_dword v100, off, s[0:3], 0 offset:296
	buffer_load_dword v105, off, s[0:3], 0 offset:308
	buffer_load_dword v104, off, s[0:3], 0 offset:304
	s_waitcnt vmcnt(2)
	v_fmac_f64_e32 v[96:97], v[100:101], v[102:103]
	ds_read_b128 v[100:103], v98 offset:672
	s_waitcnt vmcnt(0) lgkmcnt(0)
	v_fmac_f64_e32 v[96:97], v[104:105], v[100:101]
	buffer_load_dword v101, off, s[0:3], 0 offset:316
	buffer_load_dword v100, off, s[0:3], 0 offset:312
	buffer_load_dword v105, off, s[0:3], 0 offset:324
	buffer_load_dword v104, off, s[0:3], 0 offset:320
	s_waitcnt vmcnt(2)
	v_fmac_f64_e32 v[96:97], v[100:101], v[102:103]
	ds_read_b128 v[100:103], v98 offset:688
	s_waitcnt vmcnt(0) lgkmcnt(0)
	v_fmac_f64_e32 v[96:97], v[104:105], v[100:101]
	buffer_load_dword v101, off, s[0:3], 0 offset:332
	buffer_load_dword v100, off, s[0:3], 0 offset:328
	buffer_load_dword v105, off, s[0:3], 0 offset:340
	buffer_load_dword v104, off, s[0:3], 0 offset:336
	s_waitcnt vmcnt(2)
	v_fmac_f64_e32 v[96:97], v[100:101], v[102:103]
	ds_read_b128 v[100:103], v98 offset:704
	s_waitcnt vmcnt(0) lgkmcnt(0)
	v_fmac_f64_e32 v[96:97], v[104:105], v[100:101]
	buffer_load_dword v101, off, s[0:3], 0 offset:348
	buffer_load_dword v100, off, s[0:3], 0 offset:344
	s_waitcnt vmcnt(0)
	v_fmac_f64_e32 v[96:97], v[100:101], v[102:103]
	buffer_load_dword v103, off, s[0:3], 0 offset:356
	buffer_load_dword v102, off, s[0:3], 0 offset:352
	ds_read_b128 v[98:101], v98 offset:720
	s_waitcnt vmcnt(0) lgkmcnt(0)
	v_fmac_f64_e32 v[96:97], v[102:103], v[98:99]
	buffer_load_dword v99, off, s[0:3], 0 offset:364
	buffer_load_dword v98, off, s[0:3], 0 offset:360
	s_waitcnt vmcnt(0)
	v_fmac_f64_e32 v[96:97], v[98:99], v[100:101]
	v_add_f64 v[94:95], v[94:95], -v[96:97]
	buffer_store_dword v95, off, s[0:3], 0 offset:12
	buffer_store_dword v94, off, s[0:3], 0 offset:8
	s_and_saveexec_b64 s[4:5], vcc
	s_cbranch_execz .LBB109_283
; %bb.282:
	buffer_load_dword v94, off, s[0:3], 0
	buffer_load_dword v95, off, s[0:3], 0 offset:4
	v_mov_b32_e32 v0, 0
	buffer_store_dword v0, off, s[0:3], 0
	buffer_store_dword v0, off, s[0:3], 0 offset:4
	s_waitcnt vmcnt(2)
	ds_write_b64 v1, v[94:95]
.LBB109_283:
	s_or_b64 exec, exec, s[4:5]
	s_waitcnt lgkmcnt(0)
	; wave barrier
	s_waitcnt lgkmcnt(0)
	buffer_load_dword v0, off, s[0:3], 0
	buffer_load_dword v1, off, s[0:3], 0 offset:4
	buffer_load_dword v100, off, s[0:3], 0 offset:8
	;; [unrolled: 1-line block ×15, first 2 shown]
	v_mov_b32_e32 v98, 0
	ds_read2_b64 v[94:97], v98 offset0:47 offset1:48
	s_and_b64 vcc, exec, s[16:17]
	s_waitcnt vmcnt(12) lgkmcnt(0)
	v_fma_f64 v[94:95], v[100:101], v[94:95], 0
	s_waitcnt vmcnt(10)
	v_fmac_f64_e32 v[94:95], v[102:103], v[96:97]
	ds_read2_b64 v[100:103], v98 offset0:49 offset1:50
	s_waitcnt vmcnt(8) lgkmcnt(0)
	v_fmac_f64_e32 v[94:95], v[104:105], v[100:101]
	s_waitcnt vmcnt(6)
	v_fmac_f64_e32 v[94:95], v[106:107], v[102:103]
	ds_read2_b64 v[100:103], v98 offset0:51 offset1:52
	s_waitcnt vmcnt(4) lgkmcnt(0)
	v_fmac_f64_e32 v[94:95], v[108:109], v[100:101]
	s_waitcnt vmcnt(2)
	v_fmac_f64_e32 v[94:95], v[110:111], v[102:103]
	ds_read2_b64 v[100:103], v98 offset0:53 offset1:54
	buffer_load_dword v97, off, s[0:3], 0 offset:68
	buffer_load_dword v96, off, s[0:3], 0 offset:64
	s_waitcnt vmcnt(2) lgkmcnt(0)
	v_fmac_f64_e32 v[94:95], v[112:113], v[100:101]
	s_waitcnt vmcnt(0)
	v_fmac_f64_e32 v[94:95], v[96:97], v[102:103]
	buffer_load_dword v97, off, s[0:3], 0 offset:76
	buffer_load_dword v96, off, s[0:3], 0 offset:72
	ds_read2_b64 v[100:103], v98 offset0:55 offset1:56
	s_waitcnt vmcnt(0) lgkmcnt(0)
	v_fmac_f64_e32 v[94:95], v[96:97], v[100:101]
	buffer_load_dword v97, off, s[0:3], 0 offset:84
	buffer_load_dword v96, off, s[0:3], 0 offset:80
	s_waitcnt vmcnt(0)
	v_fmac_f64_e32 v[94:95], v[96:97], v[102:103]
	buffer_load_dword v97, off, s[0:3], 0 offset:92
	buffer_load_dword v96, off, s[0:3], 0 offset:88
	ds_read2_b64 v[100:103], v98 offset0:57 offset1:58
	s_waitcnt vmcnt(0) lgkmcnt(0)
	v_fmac_f64_e32 v[94:95], v[96:97], v[100:101]
	buffer_load_dword v97, off, s[0:3], 0 offset:100
	buffer_load_dword v96, off, s[0:3], 0 offset:96
	;; [unrolled: 9-line block ×18, first 2 shown]
	buffer_load_dword v101, off, s[0:3], 0 offset:364
	buffer_load_dword v100, off, s[0:3], 0 offset:360
	ds_read_b64 v[98:99], v98 offset:728
	s_waitcnt vmcnt(2)
	v_fmac_f64_e32 v[94:95], v[96:97], v[102:103]
	s_waitcnt vmcnt(0) lgkmcnt(0)
	v_fmac_f64_e32 v[94:95], v[100:101], v[98:99]
	v_add_f64 v[0:1], v[0:1], -v[94:95]
	buffer_store_dword v1, off, s[0:3], 0 offset:4
	buffer_store_dword v0, off, s[0:3], 0
	s_cbranch_vccz .LBB109_375
; %bb.284:
	v_pk_mov_b32 v[0:1], s[10:11], s[10:11] op_sel:[0,1]
	flat_load_dword v0, v[0:1] offset:176
	s_waitcnt vmcnt(0) lgkmcnt(0)
	v_add_u32_e32 v0, -1, v0
	v_cmp_ne_u32_e32 vcc, 44, v0
	s_and_saveexec_b64 s[4:5], vcc
	s_cbranch_execz .LBB109_286
; %bb.285:
	v_mov_b32_e32 v1, 0
	v_lshl_add_u32 v0, v0, 3, v1
	buffer_load_dword v1, v0, s[0:3], 0 offen offset:4
	buffer_load_dword v94, v0, s[0:3], 0 offen
	s_waitcnt vmcnt(1)
	buffer_store_dword v1, off, s[0:3], 0 offset:356
	s_waitcnt vmcnt(1)
	buffer_store_dword v94, off, s[0:3], 0 offset:352
	buffer_store_dword v97, v0, s[0:3], 0 offen offset:4
	buffer_store_dword v96, v0, s[0:3], 0 offen
.LBB109_286:
	s_or_b64 exec, exec, s[4:5]
	v_pk_mov_b32 v[0:1], s[10:11], s[10:11] op_sel:[0,1]
	flat_load_dword v0, v[0:1] offset:172
	s_waitcnt vmcnt(0) lgkmcnt(0)
	v_add_u32_e32 v0, -1, v0
	v_cmp_ne_u32_e32 vcc, 43, v0
	s_and_saveexec_b64 s[4:5], vcc
	s_cbranch_execz .LBB109_288
; %bb.287:
	v_mov_b32_e32 v1, 0
	v_lshl_add_u32 v0, v0, 3, v1
	buffer_load_dword v1, v0, s[0:3], 0 offen
	buffer_load_dword v94, v0, s[0:3], 0 offen offset:4
	buffer_load_dword v95, off, s[0:3], 0 offset:344
	buffer_load_dword v96, off, s[0:3], 0 offset:348
	s_waitcnt vmcnt(3)
	buffer_store_dword v1, off, s[0:3], 0 offset:344
	s_waitcnt vmcnt(3)
	buffer_store_dword v94, off, s[0:3], 0 offset:348
	s_waitcnt vmcnt(3)
	buffer_store_dword v95, v0, s[0:3], 0 offen
	s_waitcnt vmcnt(3)
	buffer_store_dword v96, v0, s[0:3], 0 offen offset:4
.LBB109_288:
	s_or_b64 exec, exec, s[4:5]
	v_pk_mov_b32 v[0:1], s[10:11], s[10:11] op_sel:[0,1]
	flat_load_dword v0, v[0:1] offset:168
	s_waitcnt vmcnt(0) lgkmcnt(0)
	v_add_u32_e32 v0, -1, v0
	v_cmp_ne_u32_e32 vcc, 42, v0
	s_and_saveexec_b64 s[4:5], vcc
	s_cbranch_execz .LBB109_290
; %bb.289:
	v_mov_b32_e32 v1, 0
	v_lshl_add_u32 v0, v0, 3, v1
	buffer_load_dword v1, v0, s[0:3], 0 offen
	buffer_load_dword v94, v0, s[0:3], 0 offen offset:4
	buffer_load_dword v95, off, s[0:3], 0 offset:340
	buffer_load_dword v96, off, s[0:3], 0 offset:336
	s_waitcnt vmcnt(3)
	buffer_store_dword v1, off, s[0:3], 0 offset:336
	s_waitcnt vmcnt(3)
	buffer_store_dword v94, off, s[0:3], 0 offset:340
	s_waitcnt vmcnt(3)
	buffer_store_dword v95, v0, s[0:3], 0 offen offset:4
	s_waitcnt vmcnt(3)
	buffer_store_dword v96, v0, s[0:3], 0 offen
.LBB109_290:
	s_or_b64 exec, exec, s[4:5]
	v_pk_mov_b32 v[0:1], s[10:11], s[10:11] op_sel:[0,1]
	flat_load_dword v0, v[0:1] offset:164
	s_waitcnt vmcnt(0) lgkmcnt(0)
	v_add_u32_e32 v0, -1, v0
	v_cmp_ne_u32_e32 vcc, 41, v0
	s_and_saveexec_b64 s[4:5], vcc
	s_cbranch_execz .LBB109_292
; %bb.291:
	v_mov_b32_e32 v1, 0
	v_lshl_add_u32 v0, v0, 3, v1
	buffer_load_dword v1, v0, s[0:3], 0 offen
	buffer_load_dword v94, v0, s[0:3], 0 offen offset:4
	buffer_load_dword v95, off, s[0:3], 0 offset:328
	buffer_load_dword v96, off, s[0:3], 0 offset:332
	s_waitcnt vmcnt(3)
	buffer_store_dword v1, off, s[0:3], 0 offset:328
	s_waitcnt vmcnt(3)
	buffer_store_dword v94, off, s[0:3], 0 offset:332
	s_waitcnt vmcnt(3)
	buffer_store_dword v95, v0, s[0:3], 0 offen
	s_waitcnt vmcnt(3)
	buffer_store_dword v96, v0, s[0:3], 0 offen offset:4
.LBB109_292:
	s_or_b64 exec, exec, s[4:5]
	v_pk_mov_b32 v[0:1], s[10:11], s[10:11] op_sel:[0,1]
	flat_load_dword v0, v[0:1] offset:160
	s_waitcnt vmcnt(0) lgkmcnt(0)
	v_add_u32_e32 v0, -1, v0
	v_cmp_ne_u32_e32 vcc, 40, v0
	s_and_saveexec_b64 s[4:5], vcc
	s_cbranch_execz .LBB109_294
; %bb.293:
	v_mov_b32_e32 v1, 0
	v_lshl_add_u32 v0, v0, 3, v1
	buffer_load_dword v1, v0, s[0:3], 0 offen
	buffer_load_dword v94, v0, s[0:3], 0 offen offset:4
	buffer_load_dword v95, off, s[0:3], 0 offset:324
	buffer_load_dword v96, off, s[0:3], 0 offset:320
	s_waitcnt vmcnt(3)
	buffer_store_dword v1, off, s[0:3], 0 offset:320
	s_waitcnt vmcnt(3)
	buffer_store_dword v94, off, s[0:3], 0 offset:324
	s_waitcnt vmcnt(3)
	buffer_store_dword v95, v0, s[0:3], 0 offen offset:4
	s_waitcnt vmcnt(3)
	buffer_store_dword v96, v0, s[0:3], 0 offen
.LBB109_294:
	;; [unrolled: 48-line block ×21, first 2 shown]
	s_or_b64 exec, exec, s[4:5]
	v_pk_mov_b32 v[0:1], s[10:11], s[10:11] op_sel:[0,1]
	flat_load_dword v0, v[0:1] offset:4
	s_waitcnt vmcnt(0) lgkmcnt(0)
	v_add_u32_e32 v0, -1, v0
	v_cmp_ne_u32_e32 vcc, 1, v0
	s_and_saveexec_b64 s[4:5], vcc
	s_cbranch_execz .LBB109_372
; %bb.371:
	v_mov_b32_e32 v1, 0
	v_lshl_add_u32 v0, v0, 3, v1
	buffer_load_dword v1, v0, s[0:3], 0 offen
	buffer_load_dword v94, v0, s[0:3], 0 offen offset:4
	buffer_load_dword v95, off, s[0:3], 0 offset:8
	buffer_load_dword v96, off, s[0:3], 0 offset:12
	s_waitcnt vmcnt(3)
	buffer_store_dword v1, off, s[0:3], 0 offset:8
	s_waitcnt vmcnt(3)
	buffer_store_dword v94, off, s[0:3], 0 offset:12
	s_waitcnt vmcnt(3)
	buffer_store_dword v95, v0, s[0:3], 0 offen
	s_waitcnt vmcnt(3)
	buffer_store_dword v96, v0, s[0:3], 0 offen offset:4
.LBB109_372:
	s_or_b64 exec, exec, s[4:5]
	v_pk_mov_b32 v[0:1], s[10:11], s[10:11] op_sel:[0,1]
	flat_load_dword v94, v[0:1]
	s_nop 0
	buffer_load_dword v0, off, s[0:3], 0
	buffer_load_dword v1, off, s[0:3], 0 offset:4
	s_waitcnt vmcnt(0) lgkmcnt(0)
	v_add_u32_e32 v94, -1, v94
	v_cmp_ne_u32_e32 vcc, 0, v94
	s_and_saveexec_b64 s[4:5], vcc
	s_cbranch_execz .LBB109_374
; %bb.373:
	v_mov_b32_e32 v95, 0
	v_lshl_add_u32 v94, v94, 3, v95
	buffer_load_dword v95, v94, s[0:3], 0 offen offset:4
	buffer_load_dword v96, v94, s[0:3], 0 offen
	s_waitcnt vmcnt(1)
	buffer_store_dword v95, off, s[0:3], 0 offset:4
	s_waitcnt vmcnt(1)
	buffer_store_dword v96, off, s[0:3], 0
	buffer_store_dword v1, v94, s[0:3], 0 offen offset:4
	buffer_store_dword v0, v94, s[0:3], 0 offen
	buffer_load_dword v0, off, s[0:3], 0
	s_nop 0
	buffer_load_dword v1, off, s[0:3], 0 offset:4
.LBB109_374:
	s_or_b64 exec, exec, s[4:5]
.LBB109_375:
	s_waitcnt vmcnt(0)
	global_store_dwordx2 v[92:93], v[0:1], off
	buffer_load_dword v0, off, s[0:3], 0 offset:8
	s_nop 0
	buffer_load_dword v1, off, s[0:3], 0 offset:12
	buffer_load_dword v92, off, s[0:3], 0 offset:16
	;; [unrolled: 1-line block ×15, first 2 shown]
	s_waitcnt vmcnt(14)
	global_store_dwordx2 v[90:91], v[0:1], off
	s_waitcnt vmcnt(13)
	global_store_dwordx2 v[2:3], v[92:93], off
	s_waitcnt vmcnt(12)
	global_store_dwordx2 v[4:5], v[94:95], off
	s_waitcnt vmcnt(11)
	global_store_dwordx2 v[6:7], v[96:97], off
	s_waitcnt vmcnt(10)
	global_store_dwordx2 v[8:9], v[98:99], off
	s_waitcnt vmcnt(9)
	global_store_dwordx2 v[10:11], v[100:101], off
	s_waitcnt vmcnt(8)
	global_store_dwordx2 v[12:13], v[102:103], off
	s_waitcnt vmcnt(7)
	global_store_dwordx2 v[18:19], v[104:105], off
	buffer_load_dword v0, off, s[0:3], 0 offset:72
	buffer_load_dword v1, off, s[0:3], 0 offset:76
	s_waitcnt vmcnt(0)
	global_store_dwordx2 v[14:15], v[0:1], off
	buffer_load_dword v0, off, s[0:3], 0 offset:80
	s_nop 0
	buffer_load_dword v1, off, s[0:3], 0 offset:84
	s_waitcnt vmcnt(0)
	global_store_dwordx2 v[16:17], v[0:1], off
	buffer_load_dword v0, off, s[0:3], 0 offset:88
	s_nop 0
	;; [unrolled: 5-line block ×36, first 2 shown]
	buffer_load_dword v1, off, s[0:3], 0 offset:364
	s_waitcnt vmcnt(0)
	global_store_dwordx2 v[78:79], v[0:1], off
	s_endpgm
	.section	.rodata,"a",@progbits
	.p2align	6, 0x0
	.amdhsa_kernel _ZN9rocsolver6v33100L18getri_kernel_smallILi46EdPKPdEEvT1_iilPiilS6_bb
		.amdhsa_group_segment_fixed_size 744
		.amdhsa_private_segment_fixed_size 384
		.amdhsa_kernarg_size 60
		.amdhsa_user_sgpr_count 8
		.amdhsa_user_sgpr_private_segment_buffer 1
		.amdhsa_user_sgpr_dispatch_ptr 0
		.amdhsa_user_sgpr_queue_ptr 0
		.amdhsa_user_sgpr_kernarg_segment_ptr 1
		.amdhsa_user_sgpr_dispatch_id 0
		.amdhsa_user_sgpr_flat_scratch_init 1
		.amdhsa_user_sgpr_kernarg_preload_length 0
		.amdhsa_user_sgpr_kernarg_preload_offset 0
		.amdhsa_user_sgpr_private_segment_size 0
		.amdhsa_uses_dynamic_stack 0
		.amdhsa_system_sgpr_private_segment_wavefront_offset 1
		.amdhsa_system_sgpr_workgroup_id_x 1
		.amdhsa_system_sgpr_workgroup_id_y 0
		.amdhsa_system_sgpr_workgroup_id_z 0
		.amdhsa_system_sgpr_workgroup_info 0
		.amdhsa_system_vgpr_workitem_id 0
		.amdhsa_next_free_vgpr 166
		.amdhsa_next_free_sgpr 22
		.amdhsa_accum_offset 168
		.amdhsa_reserve_vcc 1
		.amdhsa_reserve_flat_scratch 1
		.amdhsa_float_round_mode_32 0
		.amdhsa_float_round_mode_16_64 0
		.amdhsa_float_denorm_mode_32 3
		.amdhsa_float_denorm_mode_16_64 3
		.amdhsa_dx10_clamp 1
		.amdhsa_ieee_mode 1
		.amdhsa_fp16_overflow 0
		.amdhsa_tg_split 0
		.amdhsa_exception_fp_ieee_invalid_op 0
		.amdhsa_exception_fp_denorm_src 0
		.amdhsa_exception_fp_ieee_div_zero 0
		.amdhsa_exception_fp_ieee_overflow 0
		.amdhsa_exception_fp_ieee_underflow 0
		.amdhsa_exception_fp_ieee_inexact 0
		.amdhsa_exception_int_div_zero 0
	.end_amdhsa_kernel
	.section	.text._ZN9rocsolver6v33100L18getri_kernel_smallILi46EdPKPdEEvT1_iilPiilS6_bb,"axG",@progbits,_ZN9rocsolver6v33100L18getri_kernel_smallILi46EdPKPdEEvT1_iilPiilS6_bb,comdat
.Lfunc_end109:
	.size	_ZN9rocsolver6v33100L18getri_kernel_smallILi46EdPKPdEEvT1_iilPiilS6_bb, .Lfunc_end109-_ZN9rocsolver6v33100L18getri_kernel_smallILi46EdPKPdEEvT1_iilPiilS6_bb
                                        ; -- End function
	.section	.AMDGPU.csdata,"",@progbits
; Kernel info:
; codeLenInByte = 53112
; NumSgprs: 28
; NumVgprs: 166
; NumAgprs: 0
; TotalNumVgprs: 166
; ScratchSize: 384
; MemoryBound: 1
; FloatMode: 240
; IeeeMode: 1
; LDSByteSize: 744 bytes/workgroup (compile time only)
; SGPRBlocks: 3
; VGPRBlocks: 20
; NumSGPRsForWavesPerEU: 28
; NumVGPRsForWavesPerEU: 166
; AccumOffset: 168
; Occupancy: 3
; WaveLimiterHint : 1
; COMPUTE_PGM_RSRC2:SCRATCH_EN: 1
; COMPUTE_PGM_RSRC2:USER_SGPR: 8
; COMPUTE_PGM_RSRC2:TRAP_HANDLER: 0
; COMPUTE_PGM_RSRC2:TGID_X_EN: 1
; COMPUTE_PGM_RSRC2:TGID_Y_EN: 0
; COMPUTE_PGM_RSRC2:TGID_Z_EN: 0
; COMPUTE_PGM_RSRC2:TIDIG_COMP_CNT: 0
; COMPUTE_PGM_RSRC3_GFX90A:ACCUM_OFFSET: 41
; COMPUTE_PGM_RSRC3_GFX90A:TG_SPLIT: 0
	.section	.text._ZN9rocsolver6v33100L18getri_kernel_smallILi47EdPKPdEEvT1_iilPiilS6_bb,"axG",@progbits,_ZN9rocsolver6v33100L18getri_kernel_smallILi47EdPKPdEEvT1_iilPiilS6_bb,comdat
	.globl	_ZN9rocsolver6v33100L18getri_kernel_smallILi47EdPKPdEEvT1_iilPiilS6_bb ; -- Begin function _ZN9rocsolver6v33100L18getri_kernel_smallILi47EdPKPdEEvT1_iilPiilS6_bb
	.p2align	8
	.type	_ZN9rocsolver6v33100L18getri_kernel_smallILi47EdPKPdEEvT1_iilPiilS6_bb,@function
_ZN9rocsolver6v33100L18getri_kernel_smallILi47EdPKPdEEvT1_iilPiilS6_bb: ; @_ZN9rocsolver6v33100L18getri_kernel_smallILi47EdPKPdEEvT1_iilPiilS6_bb
; %bb.0:
	s_add_u32 flat_scratch_lo, s6, s9
	s_addc_u32 flat_scratch_hi, s7, 0
	s_add_u32 s0, s0, s9
	s_addc_u32 s1, s1, 0
	v_cmp_gt_u32_e32 vcc, 47, v0
	s_and_saveexec_b64 s[6:7], vcc
	s_cbranch_execz .LBB110_196
; %bb.1:
	s_load_dword s20, s[4:5], 0x38
	s_load_dwordx2 s[6:7], s[4:5], 0x0
	s_load_dwordx4 s[12:15], s[4:5], 0x28
	s_waitcnt lgkmcnt(0)
	s_bitcmp1_b32 s20, 8
	s_cselect_b64 s[16:17], -1, 0
	s_ashr_i32 s9, s8, 31
	s_lshl_b64 s[10:11], s[8:9], 3
	s_add_u32 s6, s6, s10
	s_addc_u32 s7, s7, s11
	s_load_dwordx2 s[18:19], s[6:7], 0x0
	s_bfe_u32 s6, s20, 0x10008
	s_cmp_eq_u32 s6, 0
                                        ; implicit-def: $sgpr10_sgpr11
	s_cbranch_scc1 .LBB110_3
; %bb.2:
	s_load_dword s6, s[4:5], 0x20
	s_load_dwordx2 s[10:11], s[4:5], 0x18
	s_mul_i32 s7, s8, s13
	s_mul_hi_u32 s13, s8, s12
	s_add_i32 s13, s13, s7
	s_mul_i32 s21, s9, s12
	s_add_i32 s13, s13, s21
	s_mul_i32 s12, s8, s12
	s_waitcnt lgkmcnt(0)
	s_ashr_i32 s7, s6, 31
	s_lshl_b64 s[12:13], s[12:13], 2
	s_add_u32 s10, s10, s12
	s_addc_u32 s11, s11, s13
	s_lshl_b64 s[6:7], s[6:7], 2
	s_add_u32 s10, s10, s6
	s_addc_u32 s11, s11, s7
.LBB110_3:
	s_load_dwordx2 s[6:7], s[4:5], 0x8
	s_waitcnt lgkmcnt(0)
	s_ashr_i32 s5, s6, 31
	s_mov_b32 s4, s6
	s_lshl_b64 s[4:5], s[4:5], 3
	s_add_u32 s4, s18, s4
	s_addc_u32 s5, s19, s5
	s_add_i32 s6, s7, s7
	v_add_u32_e32 v4, s6, v0
	v_ashrrev_i32_e32 v5, 31, v4
	v_lshlrev_b64 v[2:3], 3, v[4:5]
	v_add_u32_e32 v6, s7, v4
	v_mov_b32_e32 v1, s5
	v_add_co_u32_e32 v2, vcc, s4, v2
	v_ashrrev_i32_e32 v7, 31, v6
	v_addc_co_u32_e32 v3, vcc, v1, v3, vcc
	v_lshlrev_b64 v[4:5], 3, v[6:7]
	v_add_u32_e32 v8, s7, v6
	v_add_co_u32_e32 v4, vcc, s4, v4
	v_ashrrev_i32_e32 v9, 31, v8
	v_addc_co_u32_e32 v5, vcc, v1, v5, vcc
	v_lshlrev_b64 v[6:7], 3, v[8:9]
	v_add_u32_e32 v10, s7, v8
	;; [unrolled: 5-line block ×5, first 2 shown]
	v_add_co_u32_e32 v12, vcc, s4, v12
	v_ashrrev_i32_e32 v15, 31, v14
	v_addc_co_u32_e32 v13, vcc, v1, v13, vcc
	v_lshlrev_b64 v[16:17], 3, v[14:15]
	v_add_co_u32_e32 v18, vcc, s4, v16
	v_add_u32_e32 v16, s7, v14
	v_addc_co_u32_e32 v19, vcc, v1, v17, vcc
	v_ashrrev_i32_e32 v17, 31, v16
	v_lshlrev_b64 v[14:15], 3, v[16:17]
	v_add_u32_e32 v20, s7, v16
	v_add_co_u32_e32 v14, vcc, s4, v14
	v_ashrrev_i32_e32 v21, 31, v20
	v_addc_co_u32_e32 v15, vcc, v1, v15, vcc
	v_lshlrev_b64 v[16:17], 3, v[20:21]
	v_add_u32_e32 v22, s7, v20
	v_add_co_u32_e32 v16, vcc, s4, v16
	v_ashrrev_i32_e32 v23, 31, v22
	v_addc_co_u32_e32 v17, vcc, v1, v17, vcc
	;; [unrolled: 5-line block ×30, first 2 shown]
	v_lshlrev_b64 v[76:77], 3, v[78:79]
	v_add_co_u32_e32 v76, vcc, s4, v76
	v_addc_co_u32_e32 v77, vcc, v1, v77, vcc
	v_lshlrev_b32_e32 v1, 3, v0
	global_load_dwordx2 v[96:97], v1, s[4:5]
	global_load_dwordx2 v[100:101], v[2:3], off
	global_load_dwordx2 v[102:103], v[4:5], off
	;; [unrolled: 1-line block ×3, first 2 shown]
	v_mov_b32_e32 v79, s5
	v_add_co_u32_e32 v94, vcc, s4, v1
	s_ashr_i32 s13, s7, 31
	s_mov_b32 s12, s7
	v_addc_co_u32_e32 v95, vcc, 0, v79, vcc
	s_lshl_b64 s[12:13], s[12:13], 3
	v_mov_b32_e32 v79, s13
	v_add_co_u32_e32 v92, vcc, s12, v94
	v_addc_co_u32_e32 v93, vcc, v95, v79, vcc
	global_load_dwordx2 v[98:99], v[92:93], off
	global_load_dwordx2 v[106:107], v[8:9], off
	;; [unrolled: 1-line block ×9, first 2 shown]
	v_add_u32_e32 v78, s7, v78
	v_ashrrev_i32_e32 v79, 31, v78
	v_lshlrev_b64 v[80:81], 3, v[78:79]
	v_add_u32_e32 v78, s7, v78
	v_mov_b32_e32 v82, s5
	v_add_co_u32_e32 v80, vcc, s4, v80
	v_ashrrev_i32_e32 v79, 31, v78
	v_addc_co_u32_e32 v81, vcc, v82, v81, vcc
	v_lshlrev_b64 v[82:83], 3, v[78:79]
	v_add_u32_e32 v78, s7, v78
	v_mov_b32_e32 v84, s5
	v_add_co_u32_e32 v82, vcc, s4, v82
	v_ashrrev_i32_e32 v79, 31, v78
	v_addc_co_u32_e32 v83, vcc, v84, v83, vcc
	;; [unrolled: 6-line block ×6, first 2 shown]
	global_load_dwordx2 v[122:123], v[24:25], off
	v_lshlrev_b64 v[78:79], 3, v[78:79]
	v_mov_b32_e32 v132, s5
	v_add_co_u32_e32 v78, vcc, s4, v78
	global_load_dwordx2 v[124:125], v[26:27], off
	global_load_dwordx2 v[126:127], v[28:29], off
	global_load_dwordx2 v[128:129], v[30:31], off
	global_load_dwordx2 v[130:131], v[32:33], off
	v_addc_co_u32_e32 v79, vcc, v132, v79, vcc
	global_load_dwordx2 v[132:133], v[34:35], off
	global_load_dwordx2 v[134:135], v[78:79], off
	global_load_dwordx2 v[136:137], v[36:37], off
	global_load_dwordx2 v[138:139], v[38:39], off
	global_load_dwordx2 v[140:141], v[42:43], off
	global_load_dwordx2 v[142:143], v[46:47], off
	global_load_dwordx2 v[144:145], v[50:51], off
	global_load_dwordx2 v[146:147], v[54:55], off
	global_load_dwordx2 v[148:149], v[58:59], off
	global_load_dwordx2 v[150:151], v[62:63], off
	global_load_dwordx2 v[152:153], v[66:67], off
	global_load_dwordx2 v[154:155], v[70:71], off
	global_load_dwordx2 v[156:157], v[74:75], off
	global_load_dwordx2 v[158:159], v[80:81], off
	global_load_dwordx2 v[160:161], v[84:85], off
	global_load_dwordx2 v[162:163], v[88:89], off
	s_bitcmp0_b32 s20, 0
	s_waitcnt vmcnt(33)
	buffer_store_dword v97, off, s[0:3], 0 offset:4
	buffer_store_dword v96, off, s[0:3], 0
	global_load_dwordx2 v[96:97], v[40:41], off
	s_mov_b64 s[6:7], -1
	s_waitcnt vmcnt(32)
	buffer_store_dword v99, off, s[0:3], 0 offset:12
	buffer_store_dword v98, off, s[0:3], 0 offset:8
	global_load_dwordx2 v[98:99], v[44:45], off
	s_nop 0
	buffer_store_dword v101, off, s[0:3], 0 offset:20
	buffer_store_dword v100, off, s[0:3], 0 offset:16
	global_load_dwordx2 v[100:101], v[48:49], off
	s_nop 0
	;; [unrolled: 4-line block ×3, first 2 shown]
	buffer_store_dword v105, off, s[0:3], 0 offset:36
	buffer_store_dword v104, off, s[0:3], 0 offset:32
	global_load_dwordx2 v[104:105], v[56:57], off
	s_waitcnt vmcnt(43)
	buffer_store_dword v107, off, s[0:3], 0 offset:44
	buffer_store_dword v106, off, s[0:3], 0 offset:40
	global_load_dwordx2 v[106:107], v[60:61], off
	s_waitcnt vmcnt(45)
	;; [unrolled: 4-line block ×4, first 2 shown]
	buffer_store_dword v113, off, s[0:3], 0 offset:68
	buffer_store_dword v112, off, s[0:3], 0 offset:64
	global_load_dwordx2 v[112:113], v[72:73], off
	s_nop 0
	buffer_store_dword v114, off, s[0:3], 0 offset:72
	buffer_store_dword v115, off, s[0:3], 0 offset:76
	global_load_dwordx2 v[114:115], v[76:77], off
	s_nop 0
	buffer_store_dword v116, off, s[0:3], 0 offset:80
	buffer_store_dword v117, off, s[0:3], 0 offset:84
	global_load_dwordx2 v[116:117], v[82:83], off
	s_waitcnt vmcnt(55)
	buffer_store_dword v118, off, s[0:3], 0 offset:88
	buffer_store_dword v119, off, s[0:3], 0 offset:92
	global_load_dwordx2 v[118:119], v[86:87], off
	s_waitcnt vmcnt(57)
	buffer_store_dword v120, off, s[0:3], 0 offset:96
	buffer_store_dword v121, off, s[0:3], 0 offset:100
	global_load_dwordx2 v[120:121], v[90:91], off
	s_waitcnt vmcnt(59)
	buffer_store_dword v122, off, s[0:3], 0 offset:104
	buffer_store_dword v123, off, s[0:3], 0 offset:108
	s_waitcnt vmcnt(60)
	buffer_store_dword v125, off, s[0:3], 0 offset:116
	buffer_store_dword v124, off, s[0:3], 0 offset:112
	s_waitcnt vmcnt(61)
	;; [unrolled: 3-line block ×4, first 2 shown]
	buffer_store_dword v130, off, s[0:3], 0 offset:136
	buffer_store_dword v131, off, s[0:3], 0 offset:140
	buffer_store_dword v132, off, s[0:3], 0 offset:144
	buffer_store_dword v133, off, s[0:3], 0 offset:148
	s_waitcnt vmcnt(62)
	buffer_store_dword v137, off, s[0:3], 0 offset:156
	buffer_store_dword v136, off, s[0:3], 0 offset:152
	buffer_store_dword v139, off, s[0:3], 0 offset:164
	buffer_store_dword v138, off, s[0:3], 0 offset:160
	s_waitcnt vmcnt(52)
	;; [unrolled: 5-line block ×14, first 2 shown]
	buffer_store_dword v120, off, s[0:3], 0 offset:360
	buffer_store_dword v121, off, s[0:3], 0 offset:364
	buffer_store_dword v134, off, s[0:3], 0 offset:368
	buffer_store_dword v135, off, s[0:3], 0 offset:372
	s_cbranch_scc1 .LBB110_194
; %bb.4:
	v_cmp_eq_u32_e64 s[4:5], 0, v0
	s_and_saveexec_b64 s[6:7], s[4:5]
	s_cbranch_execz .LBB110_6
; %bb.5:
	v_mov_b32_e32 v96, 0
	ds_write_b32 v96, v96 offset:376
.LBB110_6:
	s_or_b64 exec, exec, s[6:7]
	v_mov_b32_e32 v96, 0
	v_lshl_add_u32 v96, v0, 3, v96
	s_waitcnt lgkmcnt(0)
	; wave barrier
	s_waitcnt lgkmcnt(0)
	buffer_load_dword v98, v96, s[0:3], 0 offen
	buffer_load_dword v99, v96, s[0:3], 0 offen offset:4
	s_waitcnt vmcnt(0)
	v_cmp_eq_f64_e32 vcc, 0, v[98:99]
	s_and_saveexec_b64 s[12:13], vcc
	s_cbranch_execz .LBB110_10
; %bb.7:
	v_mov_b32_e32 v97, 0
	ds_read_b32 v99, v97 offset:376
	v_add_u32_e32 v98, 1, v0
	s_waitcnt lgkmcnt(0)
	v_readfirstlane_b32 s6, v99
	s_cmp_eq_u32 s6, 0
	s_cselect_b64 s[18:19], -1, 0
	v_cmp_gt_i32_e32 vcc, s6, v98
	s_or_b64 s[18:19], s[18:19], vcc
	s_and_b64 exec, exec, s[18:19]
	s_cbranch_execz .LBB110_10
; %bb.8:
	s_mov_b64 s[18:19], 0
	v_mov_b32_e32 v99, s6
.LBB110_9:                              ; =>This Inner Loop Header: Depth=1
	ds_cmpst_rtn_b32 v99, v97, v99, v98 offset:376
	s_waitcnt lgkmcnt(0)
	v_cmp_ne_u32_e32 vcc, 0, v99
	v_cmp_le_i32_e64 s[6:7], v99, v98
	s_and_b64 s[6:7], vcc, s[6:7]
	s_and_b64 s[6:7], exec, s[6:7]
	s_or_b64 s[18:19], s[6:7], s[18:19]
	s_andn2_b64 exec, exec, s[18:19]
	s_cbranch_execnz .LBB110_9
.LBB110_10:
	s_or_b64 exec, exec, s[12:13]
	v_mov_b32_e32 v98, 0
	s_waitcnt lgkmcnt(0)
	; wave barrier
	ds_read_b32 v97, v98 offset:376
	s_and_saveexec_b64 s[6:7], s[4:5]
	s_cbranch_execz .LBB110_12
; %bb.11:
	s_lshl_b64 s[12:13], s[8:9], 2
	s_add_u32 s12, s14, s12
	s_addc_u32 s13, s15, s13
	s_waitcnt lgkmcnt(0)
	global_store_dword v98, v97, s[12:13]
.LBB110_12:
	s_or_b64 exec, exec, s[6:7]
	s_waitcnt lgkmcnt(0)
	v_cmp_ne_u32_e32 vcc, 0, v97
	s_mov_b64 s[6:7], 0
	s_cbranch_vccnz .LBB110_194
; %bb.13:
	buffer_load_dword v98, v96, s[0:3], 0 offen
	buffer_load_dword v99, v96, s[0:3], 0 offen offset:4
	s_waitcnt vmcnt(0)
	v_div_scale_f64 v[100:101], s[6:7], v[98:99], v[98:99], 1.0
	v_rcp_f64_e32 v[102:103], v[100:101]
	v_div_scale_f64 v[104:105], vcc, 1.0, v[98:99], 1.0
	v_fma_f64 v[106:107], -v[100:101], v[102:103], 1.0
	v_fmac_f64_e32 v[102:103], v[102:103], v[106:107]
	v_fma_f64 v[106:107], -v[100:101], v[102:103], 1.0
	v_fmac_f64_e32 v[102:103], v[102:103], v[106:107]
	v_mul_f64 v[106:107], v[104:105], v[102:103]
	v_fma_f64 v[100:101], -v[100:101], v[106:107], v[104:105]
	v_div_fmas_f64 v[100:101], v[100:101], v[102:103], v[106:107]
	v_div_fixup_f64 v[100:101], v[100:101], v[98:99], 1.0
	buffer_store_dword v101, v96, s[0:3], 0 offen offset:4
	buffer_store_dword v100, v96, s[0:3], 0 offen
	buffer_load_dword v103, off, s[0:3], 0 offset:12
	buffer_load_dword v102, off, s[0:3], 0 offset:8
	v_add_u32_e32 v98, 0x180, v1
	v_xor_b32_e32 v101, 0x80000000, v101
	s_waitcnt vmcnt(0)
	ds_write2_b64 v1, v[100:101], v[102:103] offset1:48
	s_waitcnt lgkmcnt(0)
	; wave barrier
	s_waitcnt lgkmcnt(0)
	s_and_saveexec_b64 s[6:7], s[4:5]
	s_cbranch_execz .LBB110_15
; %bb.14:
	buffer_load_dword v100, v96, s[0:3], 0 offen
	buffer_load_dword v101, v96, s[0:3], 0 offen offset:4
	v_mov_b32_e32 v97, 0
	ds_read_b64 v[102:103], v98
	ds_read_b64 v[104:105], v97 offset:8
	s_waitcnt vmcnt(0) lgkmcnt(1)
	v_fma_f64 v[100:101], v[100:101], v[102:103], 0
	s_waitcnt lgkmcnt(0)
	v_mul_f64 v[100:101], v[100:101], v[104:105]
	buffer_store_dword v100, off, s[0:3], 0 offset:8
	buffer_store_dword v101, off, s[0:3], 0 offset:12
.LBB110_15:
	s_or_b64 exec, exec, s[6:7]
	s_waitcnt lgkmcnt(0)
	; wave barrier
	buffer_load_dword v100, off, s[0:3], 0 offset:16
	buffer_load_dword v101, off, s[0:3], 0 offset:20
	v_cmp_gt_u32_e32 vcc, 2, v0
	s_waitcnt vmcnt(0)
	ds_write_b64 v98, v[100:101]
	s_waitcnt lgkmcnt(0)
	; wave barrier
	s_waitcnt lgkmcnt(0)
	s_and_saveexec_b64 s[6:7], vcc
	s_cbranch_execz .LBB110_17
; %bb.16:
	buffer_load_dword v97, v96, s[0:3], 0 offen offset:4
	buffer_load_dword v104, off, s[0:3], 0 offset:8
	s_nop 0
	buffer_load_dword v96, v96, s[0:3], 0 offen
	s_nop 0
	buffer_load_dword v105, off, s[0:3], 0 offset:12
	ds_read_b64 v[106:107], v98
	v_mov_b32_e32 v99, 0
	ds_read2_b64 v[100:103], v99 offset0:2 offset1:49
	s_waitcnt vmcnt(1) lgkmcnt(1)
	v_fma_f64 v[96:97], v[96:97], v[106:107], 0
	s_waitcnt vmcnt(0) lgkmcnt(0)
	v_fma_f64 v[102:103], v[104:105], v[102:103], v[96:97]
	v_cndmask_b32_e64 v97, v97, v103, s[4:5]
	v_cndmask_b32_e64 v96, v96, v102, s[4:5]
	v_mul_f64 v[96:97], v[96:97], v[100:101]
	buffer_store_dword v97, off, s[0:3], 0 offset:20
	buffer_store_dword v96, off, s[0:3], 0 offset:16
.LBB110_17:
	s_or_b64 exec, exec, s[6:7]
	s_waitcnt lgkmcnt(0)
	; wave barrier
	buffer_load_dword v96, off, s[0:3], 0 offset:24
	buffer_load_dword v97, off, s[0:3], 0 offset:28
	v_cmp_gt_u32_e32 vcc, 3, v0
	v_add_u32_e32 v99, -1, v0
	s_waitcnt vmcnt(0)
	ds_write_b64 v98, v[96:97]
	s_waitcnt lgkmcnt(0)
	; wave barrier
	s_waitcnt lgkmcnt(0)
	s_and_saveexec_b64 s[4:5], vcc
	s_cbranch_execz .LBB110_21
; %bb.18:
	v_add_u32_e32 v100, -1, v0
	v_add_u32_e32 v101, 0x180, v1
	v_add_u32_e32 v102, 0, v1
	s_mov_b64 s[6:7], 0
	v_pk_mov_b32 v[96:97], 0, 0
.LBB110_19:                             ; =>This Inner Loop Header: Depth=1
	buffer_load_dword v104, v102, s[0:3], 0 offen
	buffer_load_dword v105, v102, s[0:3], 0 offen offset:4
	ds_read_b64 v[106:107], v101
	v_add_u32_e32 v100, 1, v100
	v_cmp_lt_u32_e32 vcc, 1, v100
	v_add_u32_e32 v101, 8, v101
	v_add_u32_e32 v102, 8, v102
	s_or_b64 s[6:7], vcc, s[6:7]
	s_waitcnt vmcnt(0) lgkmcnt(0)
	v_fmac_f64_e32 v[96:97], v[104:105], v[106:107]
	s_andn2_b64 exec, exec, s[6:7]
	s_cbranch_execnz .LBB110_19
; %bb.20:
	s_or_b64 exec, exec, s[6:7]
	v_mov_b32_e32 v100, 0
	ds_read_b64 v[100:101], v100 offset:24
	s_waitcnt lgkmcnt(0)
	v_mul_f64 v[96:97], v[96:97], v[100:101]
	buffer_store_dword v97, off, s[0:3], 0 offset:28
	buffer_store_dword v96, off, s[0:3], 0 offset:24
.LBB110_21:
	s_or_b64 exec, exec, s[4:5]
	s_waitcnt lgkmcnt(0)
	; wave barrier
	buffer_load_dword v96, off, s[0:3], 0 offset:32
	buffer_load_dword v97, off, s[0:3], 0 offset:36
	v_cmp_gt_u32_e32 vcc, 4, v0
	s_waitcnt vmcnt(0)
	ds_write_b64 v98, v[96:97]
	s_waitcnt lgkmcnt(0)
	; wave barrier
	s_waitcnt lgkmcnt(0)
	s_and_saveexec_b64 s[4:5], vcc
	s_cbranch_execz .LBB110_25
; %bb.22:
	v_add_u32_e32 v100, -1, v0
	v_add_u32_e32 v101, 0x180, v1
	v_add_u32_e32 v102, 0, v1
	s_mov_b64 s[6:7], 0
	v_pk_mov_b32 v[96:97], 0, 0
.LBB110_23:                             ; =>This Inner Loop Header: Depth=1
	buffer_load_dword v104, v102, s[0:3], 0 offen
	buffer_load_dword v105, v102, s[0:3], 0 offen offset:4
	ds_read_b64 v[106:107], v101
	v_add_u32_e32 v100, 1, v100
	v_cmp_lt_u32_e32 vcc, 2, v100
	v_add_u32_e32 v101, 8, v101
	v_add_u32_e32 v102, 8, v102
	s_or_b64 s[6:7], vcc, s[6:7]
	s_waitcnt vmcnt(0) lgkmcnt(0)
	v_fmac_f64_e32 v[96:97], v[104:105], v[106:107]
	s_andn2_b64 exec, exec, s[6:7]
	s_cbranch_execnz .LBB110_23
; %bb.24:
	s_or_b64 exec, exec, s[6:7]
	v_mov_b32_e32 v100, 0
	ds_read_b64 v[100:101], v100 offset:32
	s_waitcnt lgkmcnt(0)
	v_mul_f64 v[96:97], v[96:97], v[100:101]
	buffer_store_dword v97, off, s[0:3], 0 offset:36
	buffer_store_dword v96, off, s[0:3], 0 offset:32
.LBB110_25:
	s_or_b64 exec, exec, s[4:5]
	s_waitcnt lgkmcnt(0)
	; wave barrier
	buffer_load_dword v96, off, s[0:3], 0 offset:40
	buffer_load_dword v97, off, s[0:3], 0 offset:44
	v_cmp_gt_u32_e32 vcc, 5, v0
	s_waitcnt vmcnt(0)
	ds_write_b64 v98, v[96:97]
	s_waitcnt lgkmcnt(0)
	; wave barrier
	s_waitcnt lgkmcnt(0)
	s_and_saveexec_b64 s[4:5], vcc
	s_cbranch_execz .LBB110_29
; %bb.26:
	v_add_u32_e32 v100, -1, v0
	v_add_u32_e32 v101, 0x180, v1
	v_add_u32_e32 v102, 0, v1
	s_mov_b64 s[6:7], 0
	v_pk_mov_b32 v[96:97], 0, 0
.LBB110_27:                             ; =>This Inner Loop Header: Depth=1
	buffer_load_dword v104, v102, s[0:3], 0 offen
	buffer_load_dword v105, v102, s[0:3], 0 offen offset:4
	ds_read_b64 v[106:107], v101
	v_add_u32_e32 v100, 1, v100
	v_cmp_lt_u32_e32 vcc, 3, v100
	v_add_u32_e32 v101, 8, v101
	v_add_u32_e32 v102, 8, v102
	s_or_b64 s[6:7], vcc, s[6:7]
	s_waitcnt vmcnt(0) lgkmcnt(0)
	v_fmac_f64_e32 v[96:97], v[104:105], v[106:107]
	s_andn2_b64 exec, exec, s[6:7]
	s_cbranch_execnz .LBB110_27
; %bb.28:
	s_or_b64 exec, exec, s[6:7]
	v_mov_b32_e32 v100, 0
	ds_read_b64 v[100:101], v100 offset:40
	s_waitcnt lgkmcnt(0)
	v_mul_f64 v[96:97], v[96:97], v[100:101]
	buffer_store_dword v97, off, s[0:3], 0 offset:44
	buffer_store_dword v96, off, s[0:3], 0 offset:40
.LBB110_29:
	s_or_b64 exec, exec, s[4:5]
	s_waitcnt lgkmcnt(0)
	; wave barrier
	buffer_load_dword v96, off, s[0:3], 0 offset:48
	buffer_load_dword v97, off, s[0:3], 0 offset:52
	v_cmp_gt_u32_e32 vcc, 6, v0
	s_waitcnt vmcnt(0)
	ds_write_b64 v98, v[96:97]
	s_waitcnt lgkmcnt(0)
	; wave barrier
	s_waitcnt lgkmcnt(0)
	s_and_saveexec_b64 s[4:5], vcc
	s_cbranch_execz .LBB110_33
; %bb.30:
	v_add_u32_e32 v100, -1, v0
	v_add_u32_e32 v101, 0x180, v1
	v_add_u32_e32 v102, 0, v1
	s_mov_b64 s[6:7], 0
	v_pk_mov_b32 v[96:97], 0, 0
.LBB110_31:                             ; =>This Inner Loop Header: Depth=1
	buffer_load_dword v104, v102, s[0:3], 0 offen
	buffer_load_dword v105, v102, s[0:3], 0 offen offset:4
	ds_read_b64 v[106:107], v101
	v_add_u32_e32 v100, 1, v100
	v_cmp_lt_u32_e32 vcc, 4, v100
	v_add_u32_e32 v101, 8, v101
	v_add_u32_e32 v102, 8, v102
	s_or_b64 s[6:7], vcc, s[6:7]
	s_waitcnt vmcnt(0) lgkmcnt(0)
	v_fmac_f64_e32 v[96:97], v[104:105], v[106:107]
	s_andn2_b64 exec, exec, s[6:7]
	s_cbranch_execnz .LBB110_31
; %bb.32:
	s_or_b64 exec, exec, s[6:7]
	v_mov_b32_e32 v100, 0
	ds_read_b64 v[100:101], v100 offset:48
	s_waitcnt lgkmcnt(0)
	v_mul_f64 v[96:97], v[96:97], v[100:101]
	buffer_store_dword v97, off, s[0:3], 0 offset:52
	buffer_store_dword v96, off, s[0:3], 0 offset:48
.LBB110_33:
	s_or_b64 exec, exec, s[4:5]
	s_waitcnt lgkmcnt(0)
	; wave barrier
	buffer_load_dword v96, off, s[0:3], 0 offset:56
	buffer_load_dword v97, off, s[0:3], 0 offset:60
	v_cmp_gt_u32_e32 vcc, 7, v0
	s_waitcnt vmcnt(0)
	ds_write_b64 v98, v[96:97]
	s_waitcnt lgkmcnt(0)
	; wave barrier
	s_waitcnt lgkmcnt(0)
	s_and_saveexec_b64 s[4:5], vcc
	s_cbranch_execz .LBB110_37
; %bb.34:
	v_add_u32_e32 v100, -1, v0
	v_add_u32_e32 v101, 0x180, v1
	v_add_u32_e32 v102, 0, v1
	s_mov_b64 s[6:7], 0
	v_pk_mov_b32 v[96:97], 0, 0
.LBB110_35:                             ; =>This Inner Loop Header: Depth=1
	buffer_load_dword v104, v102, s[0:3], 0 offen
	buffer_load_dword v105, v102, s[0:3], 0 offen offset:4
	ds_read_b64 v[106:107], v101
	v_add_u32_e32 v100, 1, v100
	v_cmp_lt_u32_e32 vcc, 5, v100
	v_add_u32_e32 v101, 8, v101
	v_add_u32_e32 v102, 8, v102
	s_or_b64 s[6:7], vcc, s[6:7]
	s_waitcnt vmcnt(0) lgkmcnt(0)
	v_fmac_f64_e32 v[96:97], v[104:105], v[106:107]
	s_andn2_b64 exec, exec, s[6:7]
	s_cbranch_execnz .LBB110_35
; %bb.36:
	s_or_b64 exec, exec, s[6:7]
	v_mov_b32_e32 v100, 0
	ds_read_b64 v[100:101], v100 offset:56
	s_waitcnt lgkmcnt(0)
	v_mul_f64 v[96:97], v[96:97], v[100:101]
	buffer_store_dword v97, off, s[0:3], 0 offset:60
	buffer_store_dword v96, off, s[0:3], 0 offset:56
.LBB110_37:
	s_or_b64 exec, exec, s[4:5]
	s_waitcnt lgkmcnt(0)
	; wave barrier
	buffer_load_dword v96, off, s[0:3], 0 offset:64
	buffer_load_dword v97, off, s[0:3], 0 offset:68
	v_cmp_gt_u32_e32 vcc, 8, v0
	s_waitcnt vmcnt(0)
	ds_write_b64 v98, v[96:97]
	s_waitcnt lgkmcnt(0)
	; wave barrier
	s_waitcnt lgkmcnt(0)
	s_and_saveexec_b64 s[4:5], vcc
	s_cbranch_execz .LBB110_41
; %bb.38:
	v_add_u32_e32 v100, -1, v0
	v_add_u32_e32 v101, 0x180, v1
	v_add_u32_e32 v102, 0, v1
	s_mov_b64 s[6:7], 0
	v_pk_mov_b32 v[96:97], 0, 0
.LBB110_39:                             ; =>This Inner Loop Header: Depth=1
	buffer_load_dword v104, v102, s[0:3], 0 offen
	buffer_load_dword v105, v102, s[0:3], 0 offen offset:4
	ds_read_b64 v[106:107], v101
	v_add_u32_e32 v100, 1, v100
	v_cmp_lt_u32_e32 vcc, 6, v100
	v_add_u32_e32 v101, 8, v101
	v_add_u32_e32 v102, 8, v102
	s_or_b64 s[6:7], vcc, s[6:7]
	s_waitcnt vmcnt(0) lgkmcnt(0)
	v_fmac_f64_e32 v[96:97], v[104:105], v[106:107]
	s_andn2_b64 exec, exec, s[6:7]
	s_cbranch_execnz .LBB110_39
; %bb.40:
	s_or_b64 exec, exec, s[6:7]
	v_mov_b32_e32 v100, 0
	ds_read_b64 v[100:101], v100 offset:64
	s_waitcnt lgkmcnt(0)
	v_mul_f64 v[96:97], v[96:97], v[100:101]
	buffer_store_dword v97, off, s[0:3], 0 offset:68
	buffer_store_dword v96, off, s[0:3], 0 offset:64
.LBB110_41:
	s_or_b64 exec, exec, s[4:5]
	s_waitcnt lgkmcnt(0)
	; wave barrier
	buffer_load_dword v96, off, s[0:3], 0 offset:72
	buffer_load_dword v97, off, s[0:3], 0 offset:76
	v_cmp_gt_u32_e32 vcc, 9, v0
	s_waitcnt vmcnt(0)
	ds_write_b64 v98, v[96:97]
	s_waitcnt lgkmcnt(0)
	; wave barrier
	s_waitcnt lgkmcnt(0)
	s_and_saveexec_b64 s[4:5], vcc
	s_cbranch_execz .LBB110_45
; %bb.42:
	v_add_u32_e32 v100, -1, v0
	v_add_u32_e32 v101, 0x180, v1
	v_add_u32_e32 v102, 0, v1
	s_mov_b64 s[6:7], 0
	v_pk_mov_b32 v[96:97], 0, 0
.LBB110_43:                             ; =>This Inner Loop Header: Depth=1
	buffer_load_dword v104, v102, s[0:3], 0 offen
	buffer_load_dword v105, v102, s[0:3], 0 offen offset:4
	ds_read_b64 v[106:107], v101
	v_add_u32_e32 v100, 1, v100
	v_cmp_lt_u32_e32 vcc, 7, v100
	v_add_u32_e32 v101, 8, v101
	v_add_u32_e32 v102, 8, v102
	s_or_b64 s[6:7], vcc, s[6:7]
	s_waitcnt vmcnt(0) lgkmcnt(0)
	v_fmac_f64_e32 v[96:97], v[104:105], v[106:107]
	s_andn2_b64 exec, exec, s[6:7]
	s_cbranch_execnz .LBB110_43
; %bb.44:
	s_or_b64 exec, exec, s[6:7]
	v_mov_b32_e32 v100, 0
	ds_read_b64 v[100:101], v100 offset:72
	s_waitcnt lgkmcnt(0)
	v_mul_f64 v[96:97], v[96:97], v[100:101]
	buffer_store_dword v97, off, s[0:3], 0 offset:76
	buffer_store_dword v96, off, s[0:3], 0 offset:72
.LBB110_45:
	s_or_b64 exec, exec, s[4:5]
	s_waitcnt lgkmcnt(0)
	; wave barrier
	buffer_load_dword v96, off, s[0:3], 0 offset:80
	buffer_load_dword v97, off, s[0:3], 0 offset:84
	v_cmp_gt_u32_e32 vcc, 10, v0
	s_waitcnt vmcnt(0)
	ds_write_b64 v98, v[96:97]
	s_waitcnt lgkmcnt(0)
	; wave barrier
	s_waitcnt lgkmcnt(0)
	s_and_saveexec_b64 s[4:5], vcc
	s_cbranch_execz .LBB110_49
; %bb.46:
	v_add_u32_e32 v100, -1, v0
	v_add_u32_e32 v101, 0x180, v1
	v_add_u32_e32 v102, 0, v1
	s_mov_b64 s[6:7], 0
	v_pk_mov_b32 v[96:97], 0, 0
.LBB110_47:                             ; =>This Inner Loop Header: Depth=1
	buffer_load_dword v104, v102, s[0:3], 0 offen
	buffer_load_dword v105, v102, s[0:3], 0 offen offset:4
	ds_read_b64 v[106:107], v101
	v_add_u32_e32 v100, 1, v100
	v_cmp_lt_u32_e32 vcc, 8, v100
	v_add_u32_e32 v101, 8, v101
	v_add_u32_e32 v102, 8, v102
	s_or_b64 s[6:7], vcc, s[6:7]
	s_waitcnt vmcnt(0) lgkmcnt(0)
	v_fmac_f64_e32 v[96:97], v[104:105], v[106:107]
	s_andn2_b64 exec, exec, s[6:7]
	s_cbranch_execnz .LBB110_47
; %bb.48:
	s_or_b64 exec, exec, s[6:7]
	v_mov_b32_e32 v100, 0
	ds_read_b64 v[100:101], v100 offset:80
	s_waitcnt lgkmcnt(0)
	v_mul_f64 v[96:97], v[96:97], v[100:101]
	buffer_store_dword v97, off, s[0:3], 0 offset:84
	buffer_store_dword v96, off, s[0:3], 0 offset:80
.LBB110_49:
	s_or_b64 exec, exec, s[4:5]
	s_waitcnt lgkmcnt(0)
	; wave barrier
	buffer_load_dword v96, off, s[0:3], 0 offset:88
	buffer_load_dword v97, off, s[0:3], 0 offset:92
	v_cmp_gt_u32_e32 vcc, 11, v0
	s_waitcnt vmcnt(0)
	ds_write_b64 v98, v[96:97]
	s_waitcnt lgkmcnt(0)
	; wave barrier
	s_waitcnt lgkmcnt(0)
	s_and_saveexec_b64 s[4:5], vcc
	s_cbranch_execz .LBB110_53
; %bb.50:
	v_add_u32_e32 v100, -1, v0
	v_add_u32_e32 v101, 0x180, v1
	v_add_u32_e32 v102, 0, v1
	s_mov_b64 s[6:7], 0
	v_pk_mov_b32 v[96:97], 0, 0
.LBB110_51:                             ; =>This Inner Loop Header: Depth=1
	buffer_load_dword v104, v102, s[0:3], 0 offen
	buffer_load_dword v105, v102, s[0:3], 0 offen offset:4
	ds_read_b64 v[106:107], v101
	v_add_u32_e32 v100, 1, v100
	v_cmp_lt_u32_e32 vcc, 9, v100
	v_add_u32_e32 v101, 8, v101
	v_add_u32_e32 v102, 8, v102
	s_or_b64 s[6:7], vcc, s[6:7]
	s_waitcnt vmcnt(0) lgkmcnt(0)
	v_fmac_f64_e32 v[96:97], v[104:105], v[106:107]
	s_andn2_b64 exec, exec, s[6:7]
	s_cbranch_execnz .LBB110_51
; %bb.52:
	s_or_b64 exec, exec, s[6:7]
	v_mov_b32_e32 v100, 0
	ds_read_b64 v[100:101], v100 offset:88
	s_waitcnt lgkmcnt(0)
	v_mul_f64 v[96:97], v[96:97], v[100:101]
	buffer_store_dword v97, off, s[0:3], 0 offset:92
	buffer_store_dword v96, off, s[0:3], 0 offset:88
.LBB110_53:
	s_or_b64 exec, exec, s[4:5]
	s_waitcnt lgkmcnt(0)
	; wave barrier
	buffer_load_dword v96, off, s[0:3], 0 offset:96
	buffer_load_dword v97, off, s[0:3], 0 offset:100
	v_cmp_gt_u32_e32 vcc, 12, v0
	s_waitcnt vmcnt(0)
	ds_write_b64 v98, v[96:97]
	s_waitcnt lgkmcnt(0)
	; wave barrier
	s_waitcnt lgkmcnt(0)
	s_and_saveexec_b64 s[4:5], vcc
	s_cbranch_execz .LBB110_57
; %bb.54:
	v_add_u32_e32 v100, -1, v0
	v_add_u32_e32 v101, 0x180, v1
	v_add_u32_e32 v102, 0, v1
	s_mov_b64 s[6:7], 0
	v_pk_mov_b32 v[96:97], 0, 0
.LBB110_55:                             ; =>This Inner Loop Header: Depth=1
	buffer_load_dword v104, v102, s[0:3], 0 offen
	buffer_load_dword v105, v102, s[0:3], 0 offen offset:4
	ds_read_b64 v[106:107], v101
	v_add_u32_e32 v100, 1, v100
	v_cmp_lt_u32_e32 vcc, 10, v100
	v_add_u32_e32 v101, 8, v101
	v_add_u32_e32 v102, 8, v102
	s_or_b64 s[6:7], vcc, s[6:7]
	s_waitcnt vmcnt(0) lgkmcnt(0)
	v_fmac_f64_e32 v[96:97], v[104:105], v[106:107]
	s_andn2_b64 exec, exec, s[6:7]
	s_cbranch_execnz .LBB110_55
; %bb.56:
	s_or_b64 exec, exec, s[6:7]
	v_mov_b32_e32 v100, 0
	ds_read_b64 v[100:101], v100 offset:96
	s_waitcnt lgkmcnt(0)
	v_mul_f64 v[96:97], v[96:97], v[100:101]
	buffer_store_dword v97, off, s[0:3], 0 offset:100
	buffer_store_dword v96, off, s[0:3], 0 offset:96
.LBB110_57:
	s_or_b64 exec, exec, s[4:5]
	s_waitcnt lgkmcnt(0)
	; wave barrier
	buffer_load_dword v96, off, s[0:3], 0 offset:104
	buffer_load_dword v97, off, s[0:3], 0 offset:108
	v_cmp_gt_u32_e32 vcc, 13, v0
	s_waitcnt vmcnt(0)
	ds_write_b64 v98, v[96:97]
	s_waitcnt lgkmcnt(0)
	; wave barrier
	s_waitcnt lgkmcnt(0)
	s_and_saveexec_b64 s[4:5], vcc
	s_cbranch_execz .LBB110_61
; %bb.58:
	v_add_u32_e32 v100, -1, v0
	v_add_u32_e32 v101, 0x180, v1
	v_add_u32_e32 v102, 0, v1
	s_mov_b64 s[6:7], 0
	v_pk_mov_b32 v[96:97], 0, 0
.LBB110_59:                             ; =>This Inner Loop Header: Depth=1
	buffer_load_dword v104, v102, s[0:3], 0 offen
	buffer_load_dword v105, v102, s[0:3], 0 offen offset:4
	ds_read_b64 v[106:107], v101
	v_add_u32_e32 v100, 1, v100
	v_cmp_lt_u32_e32 vcc, 11, v100
	v_add_u32_e32 v101, 8, v101
	v_add_u32_e32 v102, 8, v102
	s_or_b64 s[6:7], vcc, s[6:7]
	s_waitcnt vmcnt(0) lgkmcnt(0)
	v_fmac_f64_e32 v[96:97], v[104:105], v[106:107]
	s_andn2_b64 exec, exec, s[6:7]
	s_cbranch_execnz .LBB110_59
; %bb.60:
	s_or_b64 exec, exec, s[6:7]
	v_mov_b32_e32 v100, 0
	ds_read_b64 v[100:101], v100 offset:104
	s_waitcnt lgkmcnt(0)
	v_mul_f64 v[96:97], v[96:97], v[100:101]
	buffer_store_dword v97, off, s[0:3], 0 offset:108
	buffer_store_dword v96, off, s[0:3], 0 offset:104
.LBB110_61:
	s_or_b64 exec, exec, s[4:5]
	s_waitcnt lgkmcnt(0)
	; wave barrier
	buffer_load_dword v96, off, s[0:3], 0 offset:112
	buffer_load_dword v97, off, s[0:3], 0 offset:116
	v_cmp_gt_u32_e32 vcc, 14, v0
	s_waitcnt vmcnt(0)
	ds_write_b64 v98, v[96:97]
	s_waitcnt lgkmcnt(0)
	; wave barrier
	s_waitcnt lgkmcnt(0)
	s_and_saveexec_b64 s[4:5], vcc
	s_cbranch_execz .LBB110_65
; %bb.62:
	v_add_u32_e32 v100, -1, v0
	v_add_u32_e32 v101, 0x180, v1
	v_add_u32_e32 v102, 0, v1
	s_mov_b64 s[6:7], 0
	v_pk_mov_b32 v[96:97], 0, 0
.LBB110_63:                             ; =>This Inner Loop Header: Depth=1
	buffer_load_dword v104, v102, s[0:3], 0 offen
	buffer_load_dword v105, v102, s[0:3], 0 offen offset:4
	ds_read_b64 v[106:107], v101
	v_add_u32_e32 v100, 1, v100
	v_cmp_lt_u32_e32 vcc, 12, v100
	v_add_u32_e32 v101, 8, v101
	v_add_u32_e32 v102, 8, v102
	s_or_b64 s[6:7], vcc, s[6:7]
	s_waitcnt vmcnt(0) lgkmcnt(0)
	v_fmac_f64_e32 v[96:97], v[104:105], v[106:107]
	s_andn2_b64 exec, exec, s[6:7]
	s_cbranch_execnz .LBB110_63
; %bb.64:
	s_or_b64 exec, exec, s[6:7]
	v_mov_b32_e32 v100, 0
	ds_read_b64 v[100:101], v100 offset:112
	s_waitcnt lgkmcnt(0)
	v_mul_f64 v[96:97], v[96:97], v[100:101]
	buffer_store_dword v97, off, s[0:3], 0 offset:116
	buffer_store_dword v96, off, s[0:3], 0 offset:112
.LBB110_65:
	s_or_b64 exec, exec, s[4:5]
	s_waitcnt lgkmcnt(0)
	; wave barrier
	buffer_load_dword v96, off, s[0:3], 0 offset:120
	buffer_load_dword v97, off, s[0:3], 0 offset:124
	v_cmp_gt_u32_e32 vcc, 15, v0
	s_waitcnt vmcnt(0)
	ds_write_b64 v98, v[96:97]
	s_waitcnt lgkmcnt(0)
	; wave barrier
	s_waitcnt lgkmcnt(0)
	s_and_saveexec_b64 s[4:5], vcc
	s_cbranch_execz .LBB110_69
; %bb.66:
	v_add_u32_e32 v100, -1, v0
	v_add_u32_e32 v101, 0x180, v1
	v_add_u32_e32 v102, 0, v1
	s_mov_b64 s[6:7], 0
	v_pk_mov_b32 v[96:97], 0, 0
.LBB110_67:                             ; =>This Inner Loop Header: Depth=1
	buffer_load_dword v104, v102, s[0:3], 0 offen
	buffer_load_dword v105, v102, s[0:3], 0 offen offset:4
	ds_read_b64 v[106:107], v101
	v_add_u32_e32 v100, 1, v100
	v_cmp_lt_u32_e32 vcc, 13, v100
	v_add_u32_e32 v101, 8, v101
	v_add_u32_e32 v102, 8, v102
	s_or_b64 s[6:7], vcc, s[6:7]
	s_waitcnt vmcnt(0) lgkmcnt(0)
	v_fmac_f64_e32 v[96:97], v[104:105], v[106:107]
	s_andn2_b64 exec, exec, s[6:7]
	s_cbranch_execnz .LBB110_67
; %bb.68:
	s_or_b64 exec, exec, s[6:7]
	v_mov_b32_e32 v100, 0
	ds_read_b64 v[100:101], v100 offset:120
	s_waitcnt lgkmcnt(0)
	v_mul_f64 v[96:97], v[96:97], v[100:101]
	buffer_store_dword v97, off, s[0:3], 0 offset:124
	buffer_store_dword v96, off, s[0:3], 0 offset:120
.LBB110_69:
	s_or_b64 exec, exec, s[4:5]
	s_waitcnt lgkmcnt(0)
	; wave barrier
	buffer_load_dword v96, off, s[0:3], 0 offset:128
	buffer_load_dword v97, off, s[0:3], 0 offset:132
	v_cmp_gt_u32_e32 vcc, 16, v0
	s_waitcnt vmcnt(0)
	ds_write_b64 v98, v[96:97]
	s_waitcnt lgkmcnt(0)
	; wave barrier
	s_waitcnt lgkmcnt(0)
	s_and_saveexec_b64 s[4:5], vcc
	s_cbranch_execz .LBB110_73
; %bb.70:
	v_add_u32_e32 v100, -1, v0
	v_add_u32_e32 v101, 0x180, v1
	v_add_u32_e32 v102, 0, v1
	s_mov_b64 s[6:7], 0
	v_pk_mov_b32 v[96:97], 0, 0
.LBB110_71:                             ; =>This Inner Loop Header: Depth=1
	buffer_load_dword v104, v102, s[0:3], 0 offen
	buffer_load_dword v105, v102, s[0:3], 0 offen offset:4
	ds_read_b64 v[106:107], v101
	v_add_u32_e32 v100, 1, v100
	v_cmp_lt_u32_e32 vcc, 14, v100
	v_add_u32_e32 v101, 8, v101
	v_add_u32_e32 v102, 8, v102
	s_or_b64 s[6:7], vcc, s[6:7]
	s_waitcnt vmcnt(0) lgkmcnt(0)
	v_fmac_f64_e32 v[96:97], v[104:105], v[106:107]
	s_andn2_b64 exec, exec, s[6:7]
	s_cbranch_execnz .LBB110_71
; %bb.72:
	s_or_b64 exec, exec, s[6:7]
	v_mov_b32_e32 v100, 0
	ds_read_b64 v[100:101], v100 offset:128
	s_waitcnt lgkmcnt(0)
	v_mul_f64 v[96:97], v[96:97], v[100:101]
	buffer_store_dword v97, off, s[0:3], 0 offset:132
	buffer_store_dword v96, off, s[0:3], 0 offset:128
.LBB110_73:
	s_or_b64 exec, exec, s[4:5]
	s_waitcnt lgkmcnt(0)
	; wave barrier
	buffer_load_dword v96, off, s[0:3], 0 offset:136
	buffer_load_dword v97, off, s[0:3], 0 offset:140
	v_cmp_gt_u32_e32 vcc, 17, v0
	s_waitcnt vmcnt(0)
	ds_write_b64 v98, v[96:97]
	s_waitcnt lgkmcnt(0)
	; wave barrier
	s_waitcnt lgkmcnt(0)
	s_and_saveexec_b64 s[4:5], vcc
	s_cbranch_execz .LBB110_77
; %bb.74:
	v_add_u32_e32 v100, -1, v0
	v_add_u32_e32 v101, 0x180, v1
	v_add_u32_e32 v102, 0, v1
	s_mov_b64 s[6:7], 0
	v_pk_mov_b32 v[96:97], 0, 0
.LBB110_75:                             ; =>This Inner Loop Header: Depth=1
	buffer_load_dword v104, v102, s[0:3], 0 offen
	buffer_load_dword v105, v102, s[0:3], 0 offen offset:4
	ds_read_b64 v[106:107], v101
	v_add_u32_e32 v100, 1, v100
	v_cmp_lt_u32_e32 vcc, 15, v100
	v_add_u32_e32 v101, 8, v101
	v_add_u32_e32 v102, 8, v102
	s_or_b64 s[6:7], vcc, s[6:7]
	s_waitcnt vmcnt(0) lgkmcnt(0)
	v_fmac_f64_e32 v[96:97], v[104:105], v[106:107]
	s_andn2_b64 exec, exec, s[6:7]
	s_cbranch_execnz .LBB110_75
; %bb.76:
	s_or_b64 exec, exec, s[6:7]
	v_mov_b32_e32 v100, 0
	ds_read_b64 v[100:101], v100 offset:136
	s_waitcnt lgkmcnt(0)
	v_mul_f64 v[96:97], v[96:97], v[100:101]
	buffer_store_dword v97, off, s[0:3], 0 offset:140
	buffer_store_dword v96, off, s[0:3], 0 offset:136
.LBB110_77:
	s_or_b64 exec, exec, s[4:5]
	s_waitcnt lgkmcnt(0)
	; wave barrier
	buffer_load_dword v96, off, s[0:3], 0 offset:144
	buffer_load_dword v97, off, s[0:3], 0 offset:148
	v_cmp_gt_u32_e32 vcc, 18, v0
	s_waitcnt vmcnt(0)
	ds_write_b64 v98, v[96:97]
	s_waitcnt lgkmcnt(0)
	; wave barrier
	s_waitcnt lgkmcnt(0)
	s_and_saveexec_b64 s[4:5], vcc
	s_cbranch_execz .LBB110_81
; %bb.78:
	v_add_u32_e32 v100, -1, v0
	v_add_u32_e32 v101, 0x180, v1
	v_add_u32_e32 v102, 0, v1
	s_mov_b64 s[6:7], 0
	v_pk_mov_b32 v[96:97], 0, 0
.LBB110_79:                             ; =>This Inner Loop Header: Depth=1
	buffer_load_dword v104, v102, s[0:3], 0 offen
	buffer_load_dword v105, v102, s[0:3], 0 offen offset:4
	ds_read_b64 v[106:107], v101
	v_add_u32_e32 v100, 1, v100
	v_cmp_lt_u32_e32 vcc, 16, v100
	v_add_u32_e32 v101, 8, v101
	v_add_u32_e32 v102, 8, v102
	s_or_b64 s[6:7], vcc, s[6:7]
	s_waitcnt vmcnt(0) lgkmcnt(0)
	v_fmac_f64_e32 v[96:97], v[104:105], v[106:107]
	s_andn2_b64 exec, exec, s[6:7]
	s_cbranch_execnz .LBB110_79
; %bb.80:
	s_or_b64 exec, exec, s[6:7]
	v_mov_b32_e32 v100, 0
	ds_read_b64 v[100:101], v100 offset:144
	s_waitcnt lgkmcnt(0)
	v_mul_f64 v[96:97], v[96:97], v[100:101]
	buffer_store_dword v97, off, s[0:3], 0 offset:148
	buffer_store_dword v96, off, s[0:3], 0 offset:144
.LBB110_81:
	s_or_b64 exec, exec, s[4:5]
	s_waitcnt lgkmcnt(0)
	; wave barrier
	buffer_load_dword v96, off, s[0:3], 0 offset:152
	buffer_load_dword v97, off, s[0:3], 0 offset:156
	v_cmp_gt_u32_e32 vcc, 19, v0
	s_waitcnt vmcnt(0)
	ds_write_b64 v98, v[96:97]
	s_waitcnt lgkmcnt(0)
	; wave barrier
	s_waitcnt lgkmcnt(0)
	s_and_saveexec_b64 s[4:5], vcc
	s_cbranch_execz .LBB110_85
; %bb.82:
	v_add_u32_e32 v100, -1, v0
	v_add_u32_e32 v101, 0x180, v1
	v_add_u32_e32 v102, 0, v1
	s_mov_b64 s[6:7], 0
	v_pk_mov_b32 v[96:97], 0, 0
.LBB110_83:                             ; =>This Inner Loop Header: Depth=1
	buffer_load_dword v104, v102, s[0:3], 0 offen
	buffer_load_dword v105, v102, s[0:3], 0 offen offset:4
	ds_read_b64 v[106:107], v101
	v_add_u32_e32 v100, 1, v100
	v_cmp_lt_u32_e32 vcc, 17, v100
	v_add_u32_e32 v101, 8, v101
	v_add_u32_e32 v102, 8, v102
	s_or_b64 s[6:7], vcc, s[6:7]
	s_waitcnt vmcnt(0) lgkmcnt(0)
	v_fmac_f64_e32 v[96:97], v[104:105], v[106:107]
	s_andn2_b64 exec, exec, s[6:7]
	s_cbranch_execnz .LBB110_83
; %bb.84:
	s_or_b64 exec, exec, s[6:7]
	v_mov_b32_e32 v100, 0
	ds_read_b64 v[100:101], v100 offset:152
	s_waitcnt lgkmcnt(0)
	v_mul_f64 v[96:97], v[96:97], v[100:101]
	buffer_store_dword v97, off, s[0:3], 0 offset:156
	buffer_store_dword v96, off, s[0:3], 0 offset:152
.LBB110_85:
	s_or_b64 exec, exec, s[4:5]
	s_waitcnt lgkmcnt(0)
	; wave barrier
	buffer_load_dword v96, off, s[0:3], 0 offset:160
	buffer_load_dword v97, off, s[0:3], 0 offset:164
	v_cmp_gt_u32_e32 vcc, 20, v0
	s_waitcnt vmcnt(0)
	ds_write_b64 v98, v[96:97]
	s_waitcnt lgkmcnt(0)
	; wave barrier
	s_waitcnt lgkmcnt(0)
	s_and_saveexec_b64 s[4:5], vcc
	s_cbranch_execz .LBB110_89
; %bb.86:
	v_add_u32_e32 v100, -1, v0
	v_add_u32_e32 v101, 0x180, v1
	v_add_u32_e32 v102, 0, v1
	s_mov_b64 s[6:7], 0
	v_pk_mov_b32 v[96:97], 0, 0
.LBB110_87:                             ; =>This Inner Loop Header: Depth=1
	buffer_load_dword v104, v102, s[0:3], 0 offen
	buffer_load_dword v105, v102, s[0:3], 0 offen offset:4
	ds_read_b64 v[106:107], v101
	v_add_u32_e32 v100, 1, v100
	v_cmp_lt_u32_e32 vcc, 18, v100
	v_add_u32_e32 v101, 8, v101
	v_add_u32_e32 v102, 8, v102
	s_or_b64 s[6:7], vcc, s[6:7]
	s_waitcnt vmcnt(0) lgkmcnt(0)
	v_fmac_f64_e32 v[96:97], v[104:105], v[106:107]
	s_andn2_b64 exec, exec, s[6:7]
	s_cbranch_execnz .LBB110_87
; %bb.88:
	s_or_b64 exec, exec, s[6:7]
	v_mov_b32_e32 v100, 0
	ds_read_b64 v[100:101], v100 offset:160
	s_waitcnt lgkmcnt(0)
	v_mul_f64 v[96:97], v[96:97], v[100:101]
	buffer_store_dword v97, off, s[0:3], 0 offset:164
	buffer_store_dword v96, off, s[0:3], 0 offset:160
.LBB110_89:
	s_or_b64 exec, exec, s[4:5]
	s_waitcnt lgkmcnt(0)
	; wave barrier
	buffer_load_dword v96, off, s[0:3], 0 offset:168
	buffer_load_dword v97, off, s[0:3], 0 offset:172
	v_cmp_gt_u32_e32 vcc, 21, v0
	s_waitcnt vmcnt(0)
	ds_write_b64 v98, v[96:97]
	s_waitcnt lgkmcnt(0)
	; wave barrier
	s_waitcnt lgkmcnt(0)
	s_and_saveexec_b64 s[4:5], vcc
	s_cbranch_execz .LBB110_93
; %bb.90:
	v_add_u32_e32 v100, -1, v0
	v_add_u32_e32 v101, 0x180, v1
	v_add_u32_e32 v102, 0, v1
	s_mov_b64 s[6:7], 0
	v_pk_mov_b32 v[96:97], 0, 0
.LBB110_91:                             ; =>This Inner Loop Header: Depth=1
	buffer_load_dword v104, v102, s[0:3], 0 offen
	buffer_load_dword v105, v102, s[0:3], 0 offen offset:4
	ds_read_b64 v[106:107], v101
	v_add_u32_e32 v100, 1, v100
	v_cmp_lt_u32_e32 vcc, 19, v100
	v_add_u32_e32 v101, 8, v101
	v_add_u32_e32 v102, 8, v102
	s_or_b64 s[6:7], vcc, s[6:7]
	s_waitcnt vmcnt(0) lgkmcnt(0)
	v_fmac_f64_e32 v[96:97], v[104:105], v[106:107]
	s_andn2_b64 exec, exec, s[6:7]
	s_cbranch_execnz .LBB110_91
; %bb.92:
	s_or_b64 exec, exec, s[6:7]
	v_mov_b32_e32 v100, 0
	ds_read_b64 v[100:101], v100 offset:168
	s_waitcnt lgkmcnt(0)
	v_mul_f64 v[96:97], v[96:97], v[100:101]
	buffer_store_dword v97, off, s[0:3], 0 offset:172
	buffer_store_dword v96, off, s[0:3], 0 offset:168
.LBB110_93:
	s_or_b64 exec, exec, s[4:5]
	s_waitcnt lgkmcnt(0)
	; wave barrier
	buffer_load_dword v96, off, s[0:3], 0 offset:176
	buffer_load_dword v97, off, s[0:3], 0 offset:180
	v_cmp_gt_u32_e32 vcc, 22, v0
	s_waitcnt vmcnt(0)
	ds_write_b64 v98, v[96:97]
	s_waitcnt lgkmcnt(0)
	; wave barrier
	s_waitcnt lgkmcnt(0)
	s_and_saveexec_b64 s[4:5], vcc
	s_cbranch_execz .LBB110_97
; %bb.94:
	v_add_u32_e32 v100, -1, v0
	v_add_u32_e32 v101, 0x180, v1
	v_add_u32_e32 v102, 0, v1
	s_mov_b64 s[6:7], 0
	v_pk_mov_b32 v[96:97], 0, 0
.LBB110_95:                             ; =>This Inner Loop Header: Depth=1
	buffer_load_dword v104, v102, s[0:3], 0 offen
	buffer_load_dword v105, v102, s[0:3], 0 offen offset:4
	ds_read_b64 v[106:107], v101
	v_add_u32_e32 v100, 1, v100
	v_cmp_lt_u32_e32 vcc, 20, v100
	v_add_u32_e32 v101, 8, v101
	v_add_u32_e32 v102, 8, v102
	s_or_b64 s[6:7], vcc, s[6:7]
	s_waitcnt vmcnt(0) lgkmcnt(0)
	v_fmac_f64_e32 v[96:97], v[104:105], v[106:107]
	s_andn2_b64 exec, exec, s[6:7]
	s_cbranch_execnz .LBB110_95
; %bb.96:
	s_or_b64 exec, exec, s[6:7]
	v_mov_b32_e32 v100, 0
	ds_read_b64 v[100:101], v100 offset:176
	s_waitcnt lgkmcnt(0)
	v_mul_f64 v[96:97], v[96:97], v[100:101]
	buffer_store_dword v97, off, s[0:3], 0 offset:180
	buffer_store_dword v96, off, s[0:3], 0 offset:176
.LBB110_97:
	s_or_b64 exec, exec, s[4:5]
	s_waitcnt lgkmcnt(0)
	; wave barrier
	buffer_load_dword v96, off, s[0:3], 0 offset:184
	buffer_load_dword v97, off, s[0:3], 0 offset:188
	v_cmp_gt_u32_e32 vcc, 23, v0
	s_waitcnt vmcnt(0)
	ds_write_b64 v98, v[96:97]
	s_waitcnt lgkmcnt(0)
	; wave barrier
	s_waitcnt lgkmcnt(0)
	s_and_saveexec_b64 s[4:5], vcc
	s_cbranch_execz .LBB110_101
; %bb.98:
	v_add_u32_e32 v100, -1, v0
	v_add_u32_e32 v101, 0x180, v1
	v_add_u32_e32 v102, 0, v1
	s_mov_b64 s[6:7], 0
	v_pk_mov_b32 v[96:97], 0, 0
.LBB110_99:                             ; =>This Inner Loop Header: Depth=1
	buffer_load_dword v104, v102, s[0:3], 0 offen
	buffer_load_dword v105, v102, s[0:3], 0 offen offset:4
	ds_read_b64 v[106:107], v101
	v_add_u32_e32 v100, 1, v100
	v_cmp_lt_u32_e32 vcc, 21, v100
	v_add_u32_e32 v101, 8, v101
	v_add_u32_e32 v102, 8, v102
	s_or_b64 s[6:7], vcc, s[6:7]
	s_waitcnt vmcnt(0) lgkmcnt(0)
	v_fmac_f64_e32 v[96:97], v[104:105], v[106:107]
	s_andn2_b64 exec, exec, s[6:7]
	s_cbranch_execnz .LBB110_99
; %bb.100:
	s_or_b64 exec, exec, s[6:7]
	v_mov_b32_e32 v100, 0
	ds_read_b64 v[100:101], v100 offset:184
	s_waitcnt lgkmcnt(0)
	v_mul_f64 v[96:97], v[96:97], v[100:101]
	buffer_store_dword v97, off, s[0:3], 0 offset:188
	buffer_store_dword v96, off, s[0:3], 0 offset:184
.LBB110_101:
	s_or_b64 exec, exec, s[4:5]
	s_waitcnt lgkmcnt(0)
	; wave barrier
	buffer_load_dword v96, off, s[0:3], 0 offset:192
	buffer_load_dword v97, off, s[0:3], 0 offset:196
	v_cmp_gt_u32_e32 vcc, 24, v0
	s_waitcnt vmcnt(0)
	ds_write_b64 v98, v[96:97]
	s_waitcnt lgkmcnt(0)
	; wave barrier
	s_waitcnt lgkmcnt(0)
	s_and_saveexec_b64 s[4:5], vcc
	s_cbranch_execz .LBB110_105
; %bb.102:
	v_add_u32_e32 v100, -1, v0
	v_add_u32_e32 v101, 0x180, v1
	v_add_u32_e32 v102, 0, v1
	s_mov_b64 s[6:7], 0
	v_pk_mov_b32 v[96:97], 0, 0
.LBB110_103:                            ; =>This Inner Loop Header: Depth=1
	buffer_load_dword v104, v102, s[0:3], 0 offen
	buffer_load_dword v105, v102, s[0:3], 0 offen offset:4
	ds_read_b64 v[106:107], v101
	v_add_u32_e32 v100, 1, v100
	v_cmp_lt_u32_e32 vcc, 22, v100
	v_add_u32_e32 v101, 8, v101
	v_add_u32_e32 v102, 8, v102
	s_or_b64 s[6:7], vcc, s[6:7]
	s_waitcnt vmcnt(0) lgkmcnt(0)
	v_fmac_f64_e32 v[96:97], v[104:105], v[106:107]
	s_andn2_b64 exec, exec, s[6:7]
	s_cbranch_execnz .LBB110_103
; %bb.104:
	s_or_b64 exec, exec, s[6:7]
	v_mov_b32_e32 v100, 0
	ds_read_b64 v[100:101], v100 offset:192
	s_waitcnt lgkmcnt(0)
	v_mul_f64 v[96:97], v[96:97], v[100:101]
	buffer_store_dword v97, off, s[0:3], 0 offset:196
	buffer_store_dword v96, off, s[0:3], 0 offset:192
.LBB110_105:
	s_or_b64 exec, exec, s[4:5]
	s_waitcnt lgkmcnt(0)
	; wave barrier
	buffer_load_dword v96, off, s[0:3], 0 offset:200
	buffer_load_dword v97, off, s[0:3], 0 offset:204
	v_cmp_gt_u32_e32 vcc, 25, v0
	s_waitcnt vmcnt(0)
	ds_write_b64 v98, v[96:97]
	s_waitcnt lgkmcnt(0)
	; wave barrier
	s_waitcnt lgkmcnt(0)
	s_and_saveexec_b64 s[4:5], vcc
	s_cbranch_execz .LBB110_109
; %bb.106:
	v_add_u32_e32 v100, -1, v0
	v_add_u32_e32 v101, 0x180, v1
	v_add_u32_e32 v102, 0, v1
	s_mov_b64 s[6:7], 0
	v_pk_mov_b32 v[96:97], 0, 0
.LBB110_107:                            ; =>This Inner Loop Header: Depth=1
	buffer_load_dword v104, v102, s[0:3], 0 offen
	buffer_load_dword v105, v102, s[0:3], 0 offen offset:4
	ds_read_b64 v[106:107], v101
	v_add_u32_e32 v100, 1, v100
	v_cmp_lt_u32_e32 vcc, 23, v100
	v_add_u32_e32 v101, 8, v101
	v_add_u32_e32 v102, 8, v102
	s_or_b64 s[6:7], vcc, s[6:7]
	s_waitcnt vmcnt(0) lgkmcnt(0)
	v_fmac_f64_e32 v[96:97], v[104:105], v[106:107]
	s_andn2_b64 exec, exec, s[6:7]
	s_cbranch_execnz .LBB110_107
; %bb.108:
	s_or_b64 exec, exec, s[6:7]
	v_mov_b32_e32 v100, 0
	ds_read_b64 v[100:101], v100 offset:200
	s_waitcnt lgkmcnt(0)
	v_mul_f64 v[96:97], v[96:97], v[100:101]
	buffer_store_dword v97, off, s[0:3], 0 offset:204
	buffer_store_dword v96, off, s[0:3], 0 offset:200
.LBB110_109:
	s_or_b64 exec, exec, s[4:5]
	s_waitcnt lgkmcnt(0)
	; wave barrier
	buffer_load_dword v96, off, s[0:3], 0 offset:208
	buffer_load_dword v97, off, s[0:3], 0 offset:212
	v_cmp_gt_u32_e32 vcc, 26, v0
	;; [unrolled: 41-line block ×21, first 2 shown]
	s_waitcnt vmcnt(0)
	ds_write_b64 v98, v[96:97]
	s_waitcnt lgkmcnt(0)
	; wave barrier
	s_waitcnt lgkmcnt(0)
	s_and_saveexec_b64 s[4:5], vcc
	s_cbranch_execz .LBB110_189
; %bb.186:
	v_add_u32_e32 v100, -1, v0
	v_add_u32_e32 v101, 0x180, v1
	v_add_u32_e32 v102, 0, v1
	s_mov_b64 s[6:7], 0
	v_pk_mov_b32 v[96:97], 0, 0
.LBB110_187:                            ; =>This Inner Loop Header: Depth=1
	buffer_load_dword v104, v102, s[0:3], 0 offen
	buffer_load_dword v105, v102, s[0:3], 0 offen offset:4
	ds_read_b64 v[106:107], v101
	v_add_u32_e32 v100, 1, v100
	v_cmp_lt_u32_e32 vcc, 43, v100
	v_add_u32_e32 v101, 8, v101
	v_add_u32_e32 v102, 8, v102
	s_or_b64 s[6:7], vcc, s[6:7]
	s_waitcnt vmcnt(0) lgkmcnt(0)
	v_fmac_f64_e32 v[96:97], v[104:105], v[106:107]
	s_andn2_b64 exec, exec, s[6:7]
	s_cbranch_execnz .LBB110_187
; %bb.188:
	s_or_b64 exec, exec, s[6:7]
	v_mov_b32_e32 v100, 0
	ds_read_b64 v[100:101], v100 offset:360
	s_waitcnt lgkmcnt(0)
	v_mul_f64 v[96:97], v[96:97], v[100:101]
	buffer_store_dword v97, off, s[0:3], 0 offset:364
	buffer_store_dword v96, off, s[0:3], 0 offset:360
.LBB110_189:
	s_or_b64 exec, exec, s[4:5]
	s_waitcnt lgkmcnt(0)
	; wave barrier
	buffer_load_dword v96, off, s[0:3], 0 offset:368
	buffer_load_dword v97, off, s[0:3], 0 offset:372
	v_cmp_ne_u32_e32 vcc, 46, v0
	s_waitcnt vmcnt(0)
	ds_write_b64 v98, v[96:97]
	s_waitcnt lgkmcnt(0)
	; wave barrier
	s_waitcnt lgkmcnt(0)
	s_and_saveexec_b64 s[4:5], vcc
	s_cbranch_execz .LBB110_193
; %bb.190:
	v_add_u32_e32 v98, 0x180, v1
	v_add_u32_e32 v1, 0, v1
	s_mov_b64 s[6:7], 0
	v_pk_mov_b32 v[96:97], 0, 0
.LBB110_191:                            ; =>This Inner Loop Header: Depth=1
	buffer_load_dword v100, v1, s[0:3], 0 offen
	buffer_load_dword v101, v1, s[0:3], 0 offen offset:4
	ds_read_b64 v[102:103], v98
	v_add_u32_e32 v99, 1, v99
	v_cmp_lt_u32_e32 vcc, 44, v99
	v_add_u32_e32 v98, 8, v98
	v_add_u32_e32 v1, 8, v1
	s_or_b64 s[6:7], vcc, s[6:7]
	s_waitcnt vmcnt(0) lgkmcnt(0)
	v_fmac_f64_e32 v[96:97], v[100:101], v[102:103]
	s_andn2_b64 exec, exec, s[6:7]
	s_cbranch_execnz .LBB110_191
; %bb.192:
	s_or_b64 exec, exec, s[6:7]
	v_mov_b32_e32 v1, 0
	ds_read_b64 v[98:99], v1 offset:368
	s_waitcnt lgkmcnt(0)
	v_mul_f64 v[96:97], v[96:97], v[98:99]
	buffer_store_dword v97, off, s[0:3], 0 offset:372
	buffer_store_dword v96, off, s[0:3], 0 offset:368
.LBB110_193:
	s_or_b64 exec, exec, s[4:5]
	s_mov_b64 s[6:7], -1
	s_waitcnt lgkmcnt(0)
	; wave barrier
.LBB110_194:
	s_and_b64 vcc, exec, s[6:7]
	s_cbranch_vccz .LBB110_196
; %bb.195:
	s_lshl_b64 s[4:5], s[8:9], 2
	s_add_u32 s4, s14, s4
	s_addc_u32 s5, s15, s5
	v_mov_b32_e32 v1, 0
	global_load_dword v1, v1, s[4:5]
	s_waitcnt vmcnt(0)
	v_cmp_ne_u32_e32 vcc, 0, v1
	s_cbranch_vccz .LBB110_197
.LBB110_196:
	s_endpgm
.LBB110_197:
	v_mov_b32_e32 v1, 0x180
	v_lshl_add_u32 v1, v0, 3, v1
	v_cmp_eq_u32_e32 vcc, 46, v0
	s_and_saveexec_b64 s[4:5], vcc
	s_cbranch_execz .LBB110_199
; %bb.198:
	buffer_load_dword v96, off, s[0:3], 0 offset:360
	buffer_load_dword v97, off, s[0:3], 0 offset:364
	v_mov_b32_e32 v98, 0
	buffer_store_dword v98, off, s[0:3], 0 offset:360
	buffer_store_dword v98, off, s[0:3], 0 offset:364
	s_waitcnt vmcnt(2)
	ds_write_b64 v1, v[96:97]
.LBB110_199:
	s_or_b64 exec, exec, s[4:5]
	s_waitcnt lgkmcnt(0)
	; wave barrier
	s_waitcnt lgkmcnt(0)
	buffer_load_dword v98, off, s[0:3], 0 offset:368
	buffer_load_dword v99, off, s[0:3], 0 offset:372
	;; [unrolled: 1-line block ×4, first 2 shown]
	v_mov_b32_e32 v96, 0
	ds_read_b64 v[102:103], v96 offset:752
	v_cmp_lt_u32_e32 vcc, 44, v0
	s_waitcnt vmcnt(2) lgkmcnt(0)
	v_fma_f64 v[98:99], v[98:99], v[102:103], 0
	s_waitcnt vmcnt(0)
	v_add_f64 v[98:99], v[100:101], -v[98:99]
	buffer_store_dword v98, off, s[0:3], 0 offset:360
	buffer_store_dword v99, off, s[0:3], 0 offset:364
	s_and_saveexec_b64 s[4:5], vcc
	s_cbranch_execz .LBB110_201
; %bb.200:
	buffer_load_dword v98, off, s[0:3], 0 offset:352
	buffer_load_dword v99, off, s[0:3], 0 offset:356
	s_waitcnt vmcnt(0)
	ds_write_b64 v1, v[98:99]
	buffer_store_dword v96, off, s[0:3], 0 offset:352
	buffer_store_dword v96, off, s[0:3], 0 offset:356
.LBB110_201:
	s_or_b64 exec, exec, s[4:5]
	s_waitcnt lgkmcnt(0)
	; wave barrier
	s_waitcnt lgkmcnt(0)
	buffer_load_dword v100, off, s[0:3], 0 offset:360
	buffer_load_dword v101, off, s[0:3], 0 offset:364
	;; [unrolled: 1-line block ×6, first 2 shown]
	ds_read2_b64 v[96:99], v96 offset0:93 offset1:94
	v_cmp_lt_u32_e32 vcc, 43, v0
	s_waitcnt vmcnt(4) lgkmcnt(0)
	v_fma_f64 v[96:97], v[100:101], v[96:97], 0
	s_waitcnt vmcnt(2)
	v_fmac_f64_e32 v[96:97], v[102:103], v[98:99]
	s_waitcnt vmcnt(0)
	v_add_f64 v[96:97], v[104:105], -v[96:97]
	buffer_store_dword v96, off, s[0:3], 0 offset:352
	buffer_store_dword v97, off, s[0:3], 0 offset:356
	s_and_saveexec_b64 s[4:5], vcc
	s_cbranch_execz .LBB110_203
; %bb.202:
	buffer_load_dword v96, off, s[0:3], 0 offset:344
	buffer_load_dword v97, off, s[0:3], 0 offset:348
	v_mov_b32_e32 v98, 0
	buffer_store_dword v98, off, s[0:3], 0 offset:344
	buffer_store_dword v98, off, s[0:3], 0 offset:348
	s_waitcnt vmcnt(2)
	ds_write_b64 v1, v[96:97]
.LBB110_203:
	s_or_b64 exec, exec, s[4:5]
	s_waitcnt lgkmcnt(0)
	; wave barrier
	s_waitcnt lgkmcnt(0)
	buffer_load_dword v102, off, s[0:3], 0 offset:352
	buffer_load_dword v103, off, s[0:3], 0 offset:356
	;; [unrolled: 1-line block ×8, first 2 shown]
	v_mov_b32_e32 v96, 0
	ds_read_b128 v[98:101], v96 offset:736
	ds_read_b64 v[110:111], v96 offset:752
	v_cmp_lt_u32_e32 vcc, 42, v0
	s_waitcnt vmcnt(6) lgkmcnt(1)
	v_fma_f64 v[98:99], v[102:103], v[98:99], 0
	s_waitcnt vmcnt(4)
	v_fmac_f64_e32 v[98:99], v[104:105], v[100:101]
	s_waitcnt vmcnt(2) lgkmcnt(0)
	v_fmac_f64_e32 v[98:99], v[106:107], v[110:111]
	s_waitcnt vmcnt(0)
	v_add_f64 v[98:99], v[108:109], -v[98:99]
	buffer_store_dword v98, off, s[0:3], 0 offset:344
	buffer_store_dword v99, off, s[0:3], 0 offset:348
	s_and_saveexec_b64 s[4:5], vcc
	s_cbranch_execz .LBB110_205
; %bb.204:
	buffer_load_dword v98, off, s[0:3], 0 offset:336
	buffer_load_dword v99, off, s[0:3], 0 offset:340
	s_waitcnt vmcnt(0)
	ds_write_b64 v1, v[98:99]
	buffer_store_dword v96, off, s[0:3], 0 offset:336
	buffer_store_dword v96, off, s[0:3], 0 offset:340
.LBB110_205:
	s_or_b64 exec, exec, s[4:5]
	s_waitcnt lgkmcnt(0)
	; wave barrier
	s_waitcnt lgkmcnt(0)
	buffer_load_dword v106, off, s[0:3], 0 offset:344
	buffer_load_dword v107, off, s[0:3], 0 offset:348
	;; [unrolled: 1-line block ×10, first 2 shown]
	ds_read2_b64 v[98:101], v96 offset0:91 offset1:92
	ds_read2_b64 v[102:105], v96 offset0:93 offset1:94
	v_cmp_lt_u32_e32 vcc, 41, v0
	s_waitcnt vmcnt(8) lgkmcnt(1)
	v_fma_f64 v[96:97], v[106:107], v[98:99], 0
	s_waitcnt vmcnt(6)
	v_fmac_f64_e32 v[96:97], v[108:109], v[100:101]
	s_waitcnt vmcnt(4) lgkmcnt(0)
	v_fmac_f64_e32 v[96:97], v[110:111], v[102:103]
	s_waitcnt vmcnt(2)
	v_fmac_f64_e32 v[96:97], v[112:113], v[104:105]
	s_waitcnt vmcnt(0)
	v_add_f64 v[96:97], v[114:115], -v[96:97]
	buffer_store_dword v96, off, s[0:3], 0 offset:336
	buffer_store_dword v97, off, s[0:3], 0 offset:340
	s_and_saveexec_b64 s[4:5], vcc
	s_cbranch_execz .LBB110_207
; %bb.206:
	buffer_load_dword v96, off, s[0:3], 0 offset:328
	buffer_load_dword v97, off, s[0:3], 0 offset:332
	v_mov_b32_e32 v98, 0
	buffer_store_dword v98, off, s[0:3], 0 offset:328
	buffer_store_dword v98, off, s[0:3], 0 offset:332
	s_waitcnt vmcnt(2)
	ds_write_b64 v1, v[96:97]
.LBB110_207:
	s_or_b64 exec, exec, s[4:5]
	s_waitcnt lgkmcnt(0)
	; wave barrier
	s_waitcnt lgkmcnt(0)
	buffer_load_dword v106, off, s[0:3], 0 offset:336
	buffer_load_dword v107, off, s[0:3], 0 offset:340
	;; [unrolled: 1-line block ×12, first 2 shown]
	v_mov_b32_e32 v96, 0
	ds_read_b128 v[98:101], v96 offset:720
	ds_read_b128 v[102:105], v96 offset:736
	ds_read_b64 v[118:119], v96 offset:752
	v_cmp_lt_u32_e32 vcc, 40, v0
	s_waitcnt vmcnt(10) lgkmcnt(2)
	v_fma_f64 v[98:99], v[106:107], v[98:99], 0
	s_waitcnt vmcnt(8)
	v_fmac_f64_e32 v[98:99], v[108:109], v[100:101]
	s_waitcnt vmcnt(6) lgkmcnt(1)
	v_fmac_f64_e32 v[98:99], v[110:111], v[102:103]
	s_waitcnt vmcnt(4)
	v_fmac_f64_e32 v[98:99], v[112:113], v[104:105]
	s_waitcnt vmcnt(2) lgkmcnt(0)
	v_fmac_f64_e32 v[98:99], v[114:115], v[118:119]
	s_waitcnt vmcnt(0)
	v_add_f64 v[98:99], v[116:117], -v[98:99]
	buffer_store_dword v98, off, s[0:3], 0 offset:328
	buffer_store_dword v99, off, s[0:3], 0 offset:332
	s_and_saveexec_b64 s[4:5], vcc
	s_cbranch_execz .LBB110_209
; %bb.208:
	buffer_load_dword v98, off, s[0:3], 0 offset:320
	buffer_load_dword v99, off, s[0:3], 0 offset:324
	s_waitcnt vmcnt(0)
	ds_write_b64 v1, v[98:99]
	buffer_store_dword v96, off, s[0:3], 0 offset:320
	buffer_store_dword v96, off, s[0:3], 0 offset:324
.LBB110_209:
	s_or_b64 exec, exec, s[4:5]
	s_waitcnt lgkmcnt(0)
	; wave barrier
	s_waitcnt lgkmcnt(0)
	buffer_load_dword v110, off, s[0:3], 0 offset:328
	buffer_load_dword v111, off, s[0:3], 0 offset:332
	;; [unrolled: 1-line block ×14, first 2 shown]
	ds_read2_b64 v[98:101], v96 offset0:89 offset1:90
	ds_read2_b64 v[102:105], v96 offset0:91 offset1:92
	;; [unrolled: 1-line block ×3, first 2 shown]
	v_cmp_lt_u32_e32 vcc, 39, v0
	s_waitcnt vmcnt(12) lgkmcnt(2)
	v_fma_f64 v[96:97], v[110:111], v[98:99], 0
	s_waitcnt vmcnt(10)
	v_fmac_f64_e32 v[96:97], v[112:113], v[100:101]
	s_waitcnt vmcnt(8) lgkmcnt(1)
	v_fmac_f64_e32 v[96:97], v[114:115], v[102:103]
	s_waitcnt vmcnt(6)
	v_fmac_f64_e32 v[96:97], v[116:117], v[104:105]
	s_waitcnt vmcnt(4) lgkmcnt(0)
	v_fmac_f64_e32 v[96:97], v[118:119], v[106:107]
	s_waitcnt vmcnt(2)
	v_fmac_f64_e32 v[96:97], v[120:121], v[108:109]
	s_waitcnt vmcnt(0)
	v_add_f64 v[96:97], v[122:123], -v[96:97]
	buffer_store_dword v96, off, s[0:3], 0 offset:320
	buffer_store_dword v97, off, s[0:3], 0 offset:324
	s_and_saveexec_b64 s[4:5], vcc
	s_cbranch_execz .LBB110_211
; %bb.210:
	buffer_load_dword v96, off, s[0:3], 0 offset:312
	buffer_load_dword v97, off, s[0:3], 0 offset:316
	v_mov_b32_e32 v98, 0
	buffer_store_dword v98, off, s[0:3], 0 offset:312
	buffer_store_dword v98, off, s[0:3], 0 offset:316
	s_waitcnt vmcnt(2)
	ds_write_b64 v1, v[96:97]
.LBB110_211:
	s_or_b64 exec, exec, s[4:5]
	s_waitcnt lgkmcnt(0)
	; wave barrier
	s_waitcnt lgkmcnt(0)
	buffer_load_dword v110, off, s[0:3], 0 offset:320
	buffer_load_dword v111, off, s[0:3], 0 offset:324
	;; [unrolled: 1-line block ×16, first 2 shown]
	v_mov_b32_e32 v96, 0
	ds_read_b128 v[98:101], v96 offset:704
	ds_read_b128 v[102:105], v96 offset:720
	;; [unrolled: 1-line block ×3, first 2 shown]
	ds_read_b64 v[126:127], v96 offset:752
	v_cmp_lt_u32_e32 vcc, 38, v0
	s_waitcnt vmcnt(14) lgkmcnt(3)
	v_fma_f64 v[98:99], v[110:111], v[98:99], 0
	s_waitcnt vmcnt(12)
	v_fmac_f64_e32 v[98:99], v[112:113], v[100:101]
	s_waitcnt vmcnt(10) lgkmcnt(2)
	v_fmac_f64_e32 v[98:99], v[114:115], v[102:103]
	s_waitcnt vmcnt(8)
	v_fmac_f64_e32 v[98:99], v[116:117], v[104:105]
	s_waitcnt vmcnt(6) lgkmcnt(1)
	v_fmac_f64_e32 v[98:99], v[118:119], v[106:107]
	;; [unrolled: 4-line block ×3, first 2 shown]
	s_waitcnt vmcnt(0)
	v_add_f64 v[98:99], v[124:125], -v[98:99]
	buffer_store_dword v98, off, s[0:3], 0 offset:312
	buffer_store_dword v99, off, s[0:3], 0 offset:316
	s_and_saveexec_b64 s[4:5], vcc
	s_cbranch_execz .LBB110_213
; %bb.212:
	buffer_load_dword v98, off, s[0:3], 0 offset:304
	buffer_load_dword v99, off, s[0:3], 0 offset:308
	s_waitcnt vmcnt(0)
	ds_write_b64 v1, v[98:99]
	buffer_store_dword v96, off, s[0:3], 0 offset:304
	buffer_store_dword v96, off, s[0:3], 0 offset:308
.LBB110_213:
	s_or_b64 exec, exec, s[4:5]
	s_waitcnt lgkmcnt(0)
	; wave barrier
	s_waitcnt lgkmcnt(0)
	buffer_load_dword v114, off, s[0:3], 0 offset:312
	buffer_load_dword v115, off, s[0:3], 0 offset:316
	buffer_load_dword v116, off, s[0:3], 0 offset:320
	buffer_load_dword v117, off, s[0:3], 0 offset:324
	buffer_load_dword v118, off, s[0:3], 0 offset:328
	buffer_load_dword v119, off, s[0:3], 0 offset:332
	buffer_load_dword v120, off, s[0:3], 0 offset:336
	buffer_load_dword v121, off, s[0:3], 0 offset:340
	buffer_load_dword v122, off, s[0:3], 0 offset:344
	buffer_load_dword v123, off, s[0:3], 0 offset:348
	buffer_load_dword v124, off, s[0:3], 0 offset:352
	buffer_load_dword v125, off, s[0:3], 0 offset:356
	buffer_load_dword v126, off, s[0:3], 0 offset:360
	buffer_load_dword v127, off, s[0:3], 0 offset:364
	buffer_load_dword v129, off, s[0:3], 0 offset:372
	buffer_load_dword v128, off, s[0:3], 0 offset:368
	buffer_load_dword v130, off, s[0:3], 0 offset:304
	buffer_load_dword v131, off, s[0:3], 0 offset:308
	ds_read2_b64 v[98:101], v96 offset0:87 offset1:88
	ds_read2_b64 v[102:105], v96 offset0:89 offset1:90
	;; [unrolled: 1-line block ×4, first 2 shown]
	v_cmp_lt_u32_e32 vcc, 37, v0
	s_waitcnt vmcnt(16) lgkmcnt(3)
	v_fma_f64 v[96:97], v[114:115], v[98:99], 0
	s_waitcnt vmcnt(14)
	v_fmac_f64_e32 v[96:97], v[116:117], v[100:101]
	s_waitcnt vmcnt(12) lgkmcnt(2)
	v_fmac_f64_e32 v[96:97], v[118:119], v[102:103]
	s_waitcnt vmcnt(10)
	v_fmac_f64_e32 v[96:97], v[120:121], v[104:105]
	s_waitcnt vmcnt(8) lgkmcnt(1)
	v_fmac_f64_e32 v[96:97], v[122:123], v[106:107]
	;; [unrolled: 4-line block ×3, first 2 shown]
	s_waitcnt vmcnt(2)
	v_fmac_f64_e32 v[96:97], v[128:129], v[112:113]
	s_waitcnt vmcnt(0)
	v_add_f64 v[96:97], v[130:131], -v[96:97]
	buffer_store_dword v96, off, s[0:3], 0 offset:304
	buffer_store_dword v97, off, s[0:3], 0 offset:308
	s_and_saveexec_b64 s[4:5], vcc
	s_cbranch_execz .LBB110_215
; %bb.214:
	buffer_load_dword v96, off, s[0:3], 0 offset:296
	buffer_load_dword v97, off, s[0:3], 0 offset:300
	v_mov_b32_e32 v98, 0
	buffer_store_dword v98, off, s[0:3], 0 offset:296
	buffer_store_dword v98, off, s[0:3], 0 offset:300
	s_waitcnt vmcnt(2)
	ds_write_b64 v1, v[96:97]
.LBB110_215:
	s_or_b64 exec, exec, s[4:5]
	s_waitcnt lgkmcnt(0)
	; wave barrier
	s_waitcnt lgkmcnt(0)
	buffer_load_dword v114, off, s[0:3], 0 offset:304
	buffer_load_dword v115, off, s[0:3], 0 offset:308
	;; [unrolled: 1-line block ×20, first 2 shown]
	v_mov_b32_e32 v96, 0
	ds_read_b128 v[98:101], v96 offset:688
	ds_read_b128 v[102:105], v96 offset:704
	;; [unrolled: 1-line block ×4, first 2 shown]
	ds_read_b64 v[134:135], v96 offset:752
	v_cmp_lt_u32_e32 vcc, 36, v0
	s_waitcnt vmcnt(18) lgkmcnt(4)
	v_fma_f64 v[98:99], v[114:115], v[98:99], 0
	s_waitcnt vmcnt(16)
	v_fmac_f64_e32 v[98:99], v[116:117], v[100:101]
	s_waitcnt vmcnt(14) lgkmcnt(3)
	v_fmac_f64_e32 v[98:99], v[118:119], v[102:103]
	s_waitcnt vmcnt(12)
	v_fmac_f64_e32 v[98:99], v[120:121], v[104:105]
	s_waitcnt vmcnt(10) lgkmcnt(2)
	v_fmac_f64_e32 v[98:99], v[122:123], v[106:107]
	;; [unrolled: 4-line block ×3, first 2 shown]
	s_waitcnt vmcnt(2)
	v_fmac_f64_e32 v[98:99], v[130:131], v[112:113]
	s_waitcnt lgkmcnt(0)
	v_fmac_f64_e32 v[98:99], v[128:129], v[134:135]
	s_waitcnt vmcnt(0)
	v_add_f64 v[98:99], v[132:133], -v[98:99]
	buffer_store_dword v98, off, s[0:3], 0 offset:296
	buffer_store_dword v99, off, s[0:3], 0 offset:300
	s_and_saveexec_b64 s[4:5], vcc
	s_cbranch_execz .LBB110_217
; %bb.216:
	buffer_load_dword v98, off, s[0:3], 0 offset:288
	buffer_load_dword v99, off, s[0:3], 0 offset:292
	s_waitcnt vmcnt(0)
	ds_write_b64 v1, v[98:99]
	buffer_store_dword v96, off, s[0:3], 0 offset:288
	buffer_store_dword v96, off, s[0:3], 0 offset:292
.LBB110_217:
	s_or_b64 exec, exec, s[4:5]
	s_waitcnt lgkmcnt(0)
	; wave barrier
	s_waitcnt lgkmcnt(0)
	buffer_load_dword v118, off, s[0:3], 0 offset:296
	buffer_load_dword v119, off, s[0:3], 0 offset:300
	buffer_load_dword v120, off, s[0:3], 0 offset:304
	buffer_load_dword v121, off, s[0:3], 0 offset:308
	buffer_load_dword v122, off, s[0:3], 0 offset:312
	buffer_load_dword v123, off, s[0:3], 0 offset:316
	buffer_load_dword v124, off, s[0:3], 0 offset:320
	buffer_load_dword v125, off, s[0:3], 0 offset:324
	buffer_load_dword v126, off, s[0:3], 0 offset:328
	buffer_load_dword v127, off, s[0:3], 0 offset:332
	buffer_load_dword v128, off, s[0:3], 0 offset:336
	buffer_load_dword v129, off, s[0:3], 0 offset:340
	buffer_load_dword v130, off, s[0:3], 0 offset:344
	buffer_load_dword v131, off, s[0:3], 0 offset:348
	buffer_load_dword v132, off, s[0:3], 0 offset:368
	buffer_load_dword v135, off, s[0:3], 0 offset:364
	buffer_load_dword v134, off, s[0:3], 0 offset:360
	buffer_load_dword v137, off, s[0:3], 0 offset:356
	buffer_load_dword v136, off, s[0:3], 0 offset:352
	buffer_load_dword v133, off, s[0:3], 0 offset:372
	buffer_load_dword v138, off, s[0:3], 0 offset:288
	buffer_load_dword v139, off, s[0:3], 0 offset:292
	ds_read2_b64 v[98:101], v96 offset0:85 offset1:86
	ds_read2_b64 v[102:105], v96 offset0:87 offset1:88
	;; [unrolled: 1-line block ×5, first 2 shown]
	v_cmp_lt_u32_e32 vcc, 35, v0
	s_waitcnt vmcnt(20) lgkmcnt(4)
	v_fma_f64 v[96:97], v[118:119], v[98:99], 0
	s_waitcnt vmcnt(18)
	v_fmac_f64_e32 v[96:97], v[120:121], v[100:101]
	s_waitcnt vmcnt(16) lgkmcnt(3)
	v_fmac_f64_e32 v[96:97], v[122:123], v[102:103]
	s_waitcnt vmcnt(14)
	v_fmac_f64_e32 v[96:97], v[124:125], v[104:105]
	s_waitcnt vmcnt(12) lgkmcnt(2)
	v_fmac_f64_e32 v[96:97], v[126:127], v[106:107]
	;; [unrolled: 4-line block ×3, first 2 shown]
	s_waitcnt vmcnt(3)
	v_fmac_f64_e32 v[96:97], v[136:137], v[112:113]
	s_waitcnt lgkmcnt(0)
	v_fmac_f64_e32 v[96:97], v[134:135], v[114:115]
	s_waitcnt vmcnt(2)
	v_fmac_f64_e32 v[96:97], v[132:133], v[116:117]
	s_waitcnt vmcnt(0)
	v_add_f64 v[96:97], v[138:139], -v[96:97]
	buffer_store_dword v96, off, s[0:3], 0 offset:288
	buffer_store_dword v97, off, s[0:3], 0 offset:292
	s_and_saveexec_b64 s[4:5], vcc
	s_cbranch_execz .LBB110_219
; %bb.218:
	buffer_load_dword v96, off, s[0:3], 0 offset:280
	buffer_load_dword v97, off, s[0:3], 0 offset:284
	v_mov_b32_e32 v98, 0
	buffer_store_dword v98, off, s[0:3], 0 offset:280
	buffer_store_dword v98, off, s[0:3], 0 offset:284
	s_waitcnt vmcnt(2)
	ds_write_b64 v1, v[96:97]
.LBB110_219:
	s_or_b64 exec, exec, s[4:5]
	s_waitcnt lgkmcnt(0)
	; wave barrier
	s_waitcnt lgkmcnt(0)
	buffer_load_dword v118, off, s[0:3], 0 offset:288
	buffer_load_dword v119, off, s[0:3], 0 offset:292
	;; [unrolled: 1-line block ×24, first 2 shown]
	v_mov_b32_e32 v96, 0
	ds_read_b128 v[98:101], v96 offset:672
	ds_read_b128 v[102:105], v96 offset:688
	;; [unrolled: 1-line block ×5, first 2 shown]
	ds_read_b64 v[142:143], v96 offset:752
	v_cmp_lt_u32_e32 vcc, 34, v0
	s_waitcnt vmcnt(22) lgkmcnt(5)
	v_fma_f64 v[98:99], v[118:119], v[98:99], 0
	s_waitcnt vmcnt(20)
	v_fmac_f64_e32 v[98:99], v[120:121], v[100:101]
	s_waitcnt vmcnt(18) lgkmcnt(4)
	v_fmac_f64_e32 v[98:99], v[122:123], v[102:103]
	s_waitcnt vmcnt(16)
	v_fmac_f64_e32 v[98:99], v[124:125], v[104:105]
	s_waitcnt vmcnt(14) lgkmcnt(3)
	v_fmac_f64_e32 v[98:99], v[126:127], v[106:107]
	;; [unrolled: 4-line block ×3, first 2 shown]
	s_waitcnt vmcnt(4)
	v_fmac_f64_e32 v[98:99], v[138:139], v[112:113]
	s_waitcnt lgkmcnt(1)
	v_fmac_f64_e32 v[98:99], v[136:137], v[114:115]
	s_waitcnt vmcnt(3)
	v_fmac_f64_e32 v[98:99], v[134:135], v[116:117]
	s_waitcnt vmcnt(2) lgkmcnt(0)
	v_fmac_f64_e32 v[98:99], v[132:133], v[142:143]
	s_waitcnt vmcnt(0)
	v_add_f64 v[98:99], v[140:141], -v[98:99]
	buffer_store_dword v99, off, s[0:3], 0 offset:284
	buffer_store_dword v98, off, s[0:3], 0 offset:280
	s_and_saveexec_b64 s[4:5], vcc
	s_cbranch_execz .LBB110_221
; %bb.220:
	buffer_load_dword v98, off, s[0:3], 0 offset:272
	buffer_load_dword v99, off, s[0:3], 0 offset:276
	s_waitcnt vmcnt(0)
	ds_write_b64 v1, v[98:99]
	buffer_store_dword v96, off, s[0:3], 0 offset:272
	buffer_store_dword v96, off, s[0:3], 0 offset:276
.LBB110_221:
	s_or_b64 exec, exec, s[4:5]
	s_waitcnt lgkmcnt(0)
	; wave barrier
	s_waitcnt lgkmcnt(0)
	buffer_load_dword v122, off, s[0:3], 0 offset:280
	buffer_load_dword v123, off, s[0:3], 0 offset:284
	;; [unrolled: 1-line block ×26, first 2 shown]
	ds_read2_b64 v[98:101], v96 offset0:83 offset1:84
	ds_read2_b64 v[102:105], v96 offset0:85 offset1:86
	;; [unrolled: 1-line block ×6, first 2 shown]
	v_cmp_lt_u32_e32 vcc, 33, v0
	s_waitcnt vmcnt(24) lgkmcnt(5)
	v_fma_f64 v[96:97], v[122:123], v[98:99], 0
	s_waitcnt vmcnt(22)
	v_fmac_f64_e32 v[96:97], v[124:125], v[100:101]
	s_waitcnt vmcnt(20) lgkmcnt(4)
	v_fmac_f64_e32 v[96:97], v[126:127], v[102:103]
	s_waitcnt vmcnt(18)
	v_fmac_f64_e32 v[96:97], v[128:129], v[104:105]
	s_waitcnt vmcnt(16) lgkmcnt(3)
	v_fmac_f64_e32 v[96:97], v[130:131], v[106:107]
	;; [unrolled: 4-line block ×3, first 2 shown]
	s_waitcnt vmcnt(5)
	v_fmac_f64_e32 v[96:97], v[142:143], v[112:113]
	s_waitcnt lgkmcnt(1)
	v_fmac_f64_e32 v[96:97], v[140:141], v[114:115]
	v_fmac_f64_e32 v[96:97], v[138:139], v[116:117]
	s_waitcnt vmcnt(4) lgkmcnt(0)
	v_fmac_f64_e32 v[96:97], v[136:137], v[118:119]
	s_waitcnt vmcnt(2)
	v_fmac_f64_e32 v[96:97], v[144:145], v[120:121]
	s_waitcnt vmcnt(0)
	v_add_f64 v[96:97], v[146:147], -v[96:97]
	buffer_store_dword v97, off, s[0:3], 0 offset:276
	buffer_store_dword v96, off, s[0:3], 0 offset:272
	s_and_saveexec_b64 s[4:5], vcc
	s_cbranch_execz .LBB110_223
; %bb.222:
	buffer_load_dword v96, off, s[0:3], 0 offset:264
	buffer_load_dword v97, off, s[0:3], 0 offset:268
	v_mov_b32_e32 v98, 0
	buffer_store_dword v98, off, s[0:3], 0 offset:264
	buffer_store_dword v98, off, s[0:3], 0 offset:268
	s_waitcnt vmcnt(2)
	ds_write_b64 v1, v[96:97]
.LBB110_223:
	s_or_b64 exec, exec, s[4:5]
	s_waitcnt lgkmcnt(0)
	; wave barrier
	s_waitcnt lgkmcnt(0)
	buffer_load_dword v122, off, s[0:3], 0 offset:272
	buffer_load_dword v123, off, s[0:3], 0 offset:276
	;; [unrolled: 1-line block ×28, first 2 shown]
	v_mov_b32_e32 v96, 0
	ds_read_b128 v[98:101], v96 offset:656
	ds_read_b128 v[102:105], v96 offset:672
	;; [unrolled: 1-line block ×6, first 2 shown]
	ds_read_b64 v[150:151], v96 offset:752
	v_cmp_lt_u32_e32 vcc, 32, v0
	s_waitcnt vmcnt(26) lgkmcnt(6)
	v_fma_f64 v[98:99], v[122:123], v[98:99], 0
	s_waitcnt vmcnt(24)
	v_fmac_f64_e32 v[98:99], v[124:125], v[100:101]
	s_waitcnt vmcnt(22) lgkmcnt(5)
	v_fmac_f64_e32 v[98:99], v[126:127], v[102:103]
	s_waitcnt vmcnt(20)
	v_fmac_f64_e32 v[98:99], v[128:129], v[104:105]
	s_waitcnt vmcnt(18) lgkmcnt(4)
	v_fmac_f64_e32 v[98:99], v[130:131], v[106:107]
	s_waitcnt vmcnt(16)
	v_fmac_f64_e32 v[98:99], v[132:133], v[108:109]
	s_waitcnt vmcnt(14) lgkmcnt(3)
	v_fmac_f64_e32 v[98:99], v[134:135], v[110:111]
	s_waitcnt vmcnt(6)
	v_fmac_f64_e32 v[98:99], v[142:143], v[112:113]
	s_waitcnt lgkmcnt(2)
	v_fmac_f64_e32 v[98:99], v[140:141], v[114:115]
	v_fmac_f64_e32 v[98:99], v[138:139], v[116:117]
	s_waitcnt lgkmcnt(1)
	v_fmac_f64_e32 v[98:99], v[136:137], v[118:119]
	s_waitcnt vmcnt(2)
	v_fmac_f64_e32 v[98:99], v[146:147], v[120:121]
	s_waitcnt lgkmcnt(0)
	v_fmac_f64_e32 v[98:99], v[144:145], v[150:151]
	s_waitcnt vmcnt(0)
	v_add_f64 v[98:99], v[148:149], -v[98:99]
	buffer_store_dword v99, off, s[0:3], 0 offset:268
	buffer_store_dword v98, off, s[0:3], 0 offset:264
	s_and_saveexec_b64 s[4:5], vcc
	s_cbranch_execz .LBB110_225
; %bb.224:
	buffer_load_dword v98, off, s[0:3], 0 offset:256
	buffer_load_dword v99, off, s[0:3], 0 offset:260
	s_waitcnt vmcnt(0)
	ds_write_b64 v1, v[98:99]
	buffer_store_dword v96, off, s[0:3], 0 offset:256
	buffer_store_dword v96, off, s[0:3], 0 offset:260
.LBB110_225:
	s_or_b64 exec, exec, s[4:5]
	s_waitcnt lgkmcnt(0)
	; wave barrier
	s_waitcnt lgkmcnt(0)
	buffer_load_dword v126, off, s[0:3], 0 offset:264
	buffer_load_dword v127, off, s[0:3], 0 offset:268
	;; [unrolled: 1-line block ×30, first 2 shown]
	ds_read2_b64 v[98:101], v96 offset0:81 offset1:82
	ds_read2_b64 v[102:105], v96 offset0:83 offset1:84
	;; [unrolled: 1-line block ×7, first 2 shown]
	v_cmp_lt_u32_e32 vcc, 31, v0
	s_waitcnt vmcnt(28) lgkmcnt(6)
	v_fma_f64 v[96:97], v[126:127], v[98:99], 0
	s_waitcnt vmcnt(26)
	v_fmac_f64_e32 v[96:97], v[128:129], v[100:101]
	s_waitcnt vmcnt(24) lgkmcnt(5)
	v_fmac_f64_e32 v[96:97], v[130:131], v[102:103]
	s_waitcnt vmcnt(22)
	v_fmac_f64_e32 v[96:97], v[132:133], v[104:105]
	s_waitcnt vmcnt(20) lgkmcnt(4)
	v_fmac_f64_e32 v[96:97], v[134:135], v[106:107]
	;; [unrolled: 4-line block ×3, first 2 shown]
	s_waitcnt vmcnt(8)
	v_fmac_f64_e32 v[96:97], v[146:147], v[112:113]
	s_waitcnt lgkmcnt(2)
	v_fmac_f64_e32 v[96:97], v[144:145], v[114:115]
	v_fmac_f64_e32 v[96:97], v[142:143], v[116:117]
	s_waitcnt lgkmcnt(1)
	v_fmac_f64_e32 v[96:97], v[140:141], v[118:119]
	s_waitcnt vmcnt(3)
	v_fmac_f64_e32 v[96:97], v[152:153], v[120:121]
	s_waitcnt lgkmcnt(0)
	v_fmac_f64_e32 v[96:97], v[150:151], v[122:123]
	s_waitcnt vmcnt(2)
	v_fmac_f64_e32 v[96:97], v[148:149], v[124:125]
	s_waitcnt vmcnt(0)
	v_add_f64 v[96:97], v[154:155], -v[96:97]
	buffer_store_dword v97, off, s[0:3], 0 offset:260
	buffer_store_dword v96, off, s[0:3], 0 offset:256
	s_and_saveexec_b64 s[4:5], vcc
	s_cbranch_execz .LBB110_227
; %bb.226:
	buffer_load_dword v96, off, s[0:3], 0 offset:248
	buffer_load_dword v97, off, s[0:3], 0 offset:252
	v_mov_b32_e32 v98, 0
	buffer_store_dword v98, off, s[0:3], 0 offset:248
	buffer_store_dword v98, off, s[0:3], 0 offset:252
	s_waitcnt vmcnt(2)
	ds_write_b64 v1, v[96:97]
.LBB110_227:
	s_or_b64 exec, exec, s[4:5]
	s_waitcnt lgkmcnt(0)
	; wave barrier
	s_waitcnt lgkmcnt(0)
	buffer_load_dword v126, off, s[0:3], 0 offset:256
	buffer_load_dword v127, off, s[0:3], 0 offset:260
	;; [unrolled: 1-line block ×32, first 2 shown]
	v_mov_b32_e32 v96, 0
	ds_read_b128 v[98:101], v96 offset:640
	ds_read_b128 v[102:105], v96 offset:656
	;; [unrolled: 1-line block ×7, first 2 shown]
	ds_read_b64 v[158:159], v96 offset:752
	v_cmp_lt_u32_e32 vcc, 30, v0
	s_waitcnt vmcnt(30) lgkmcnt(7)
	v_fma_f64 v[98:99], v[126:127], v[98:99], 0
	s_waitcnt vmcnt(28)
	v_fmac_f64_e32 v[98:99], v[128:129], v[100:101]
	s_waitcnt vmcnt(26) lgkmcnt(6)
	v_fmac_f64_e32 v[98:99], v[130:131], v[102:103]
	s_waitcnt vmcnt(24)
	v_fmac_f64_e32 v[98:99], v[132:133], v[104:105]
	s_waitcnt vmcnt(22) lgkmcnt(5)
	v_fmac_f64_e32 v[98:99], v[134:135], v[106:107]
	;; [unrolled: 4-line block ×3, first 2 shown]
	s_waitcnt vmcnt(10)
	v_fmac_f64_e32 v[98:99], v[146:147], v[112:113]
	s_waitcnt lgkmcnt(3)
	v_fmac_f64_e32 v[98:99], v[144:145], v[114:115]
	v_fmac_f64_e32 v[98:99], v[142:143], v[116:117]
	s_waitcnt lgkmcnt(2)
	v_fmac_f64_e32 v[98:99], v[140:141], v[118:119]
	s_waitcnt vmcnt(4)
	v_fmac_f64_e32 v[98:99], v[154:155], v[120:121]
	s_waitcnt lgkmcnt(1)
	v_fmac_f64_e32 v[98:99], v[152:153], v[122:123]
	s_waitcnt vmcnt(3)
	v_fmac_f64_e32 v[98:99], v[150:151], v[124:125]
	s_waitcnt vmcnt(2) lgkmcnt(0)
	v_fmac_f64_e32 v[98:99], v[148:149], v[158:159]
	s_waitcnt vmcnt(0)
	v_add_f64 v[98:99], v[156:157], -v[98:99]
	buffer_store_dword v99, off, s[0:3], 0 offset:252
	buffer_store_dword v98, off, s[0:3], 0 offset:248
	s_and_saveexec_b64 s[4:5], vcc
	s_cbranch_execz .LBB110_229
; %bb.228:
	buffer_load_dword v98, off, s[0:3], 0 offset:240
	buffer_load_dword v99, off, s[0:3], 0 offset:244
	s_waitcnt vmcnt(0)
	ds_write_b64 v1, v[98:99]
	buffer_store_dword v96, off, s[0:3], 0 offset:240
	buffer_store_dword v96, off, s[0:3], 0 offset:244
.LBB110_229:
	s_or_b64 exec, exec, s[4:5]
	s_waitcnt lgkmcnt(0)
	; wave barrier
	s_waitcnt lgkmcnt(0)
	buffer_load_dword v130, off, s[0:3], 0 offset:248
	buffer_load_dword v131, off, s[0:3], 0 offset:252
	;; [unrolled: 1-line block ×34, first 2 shown]
	ds_read2_b64 v[98:101], v96 offset0:79 offset1:80
	ds_read2_b64 v[102:105], v96 offset0:81 offset1:82
	;; [unrolled: 1-line block ×8, first 2 shown]
	v_cmp_lt_u32_e32 vcc, 29, v0
	s_waitcnt vmcnt(32) lgkmcnt(7)
	v_fma_f64 v[96:97], v[130:131], v[98:99], 0
	s_waitcnt vmcnt(30)
	v_fmac_f64_e32 v[96:97], v[132:133], v[100:101]
	s_waitcnt vmcnt(28) lgkmcnt(6)
	v_fmac_f64_e32 v[96:97], v[134:135], v[102:103]
	s_waitcnt vmcnt(26)
	v_fmac_f64_e32 v[96:97], v[136:137], v[104:105]
	s_waitcnt vmcnt(24) lgkmcnt(5)
	v_fmac_f64_e32 v[96:97], v[138:139], v[106:107]
	;; [unrolled: 4-line block ×3, first 2 shown]
	s_waitcnt vmcnt(12)
	v_fmac_f64_e32 v[96:97], v[150:151], v[112:113]
	s_waitcnt lgkmcnt(3)
	v_fmac_f64_e32 v[96:97], v[148:149], v[114:115]
	v_fmac_f64_e32 v[96:97], v[146:147], v[116:117]
	s_waitcnt lgkmcnt(2)
	v_fmac_f64_e32 v[96:97], v[144:145], v[118:119]
	s_waitcnt vmcnt(5)
	v_fmac_f64_e32 v[96:97], v[158:159], v[120:121]
	s_waitcnt lgkmcnt(1)
	v_fmac_f64_e32 v[96:97], v[156:157], v[122:123]
	v_fmac_f64_e32 v[96:97], v[154:155], v[124:125]
	s_waitcnt vmcnt(4) lgkmcnt(0)
	v_fmac_f64_e32 v[96:97], v[152:153], v[126:127]
	s_waitcnt vmcnt(2)
	v_fmac_f64_e32 v[96:97], v[160:161], v[128:129]
	s_waitcnt vmcnt(0)
	v_add_f64 v[96:97], v[162:163], -v[96:97]
	buffer_store_dword v97, off, s[0:3], 0 offset:244
	buffer_store_dword v96, off, s[0:3], 0 offset:240
	s_and_saveexec_b64 s[4:5], vcc
	s_cbranch_execz .LBB110_231
; %bb.230:
	buffer_load_dword v96, off, s[0:3], 0 offset:232
	buffer_load_dword v97, off, s[0:3], 0 offset:236
	v_mov_b32_e32 v98, 0
	buffer_store_dword v98, off, s[0:3], 0 offset:232
	buffer_store_dword v98, off, s[0:3], 0 offset:236
	s_waitcnt vmcnt(2)
	ds_write_b64 v1, v[96:97]
.LBB110_231:
	s_or_b64 exec, exec, s[4:5]
	s_waitcnt lgkmcnt(0)
	; wave barrier
	s_waitcnt lgkmcnt(0)
	buffer_load_dword v96, off, s[0:3], 0 offset:232
	buffer_load_dword v97, off, s[0:3], 0 offset:236
	;; [unrolled: 1-line block ×16, first 2 shown]
	v_mov_b32_e32 v100, 0
	ds_read_b128 v[102:105], v100 offset:624
	ds_read_b128 v[106:109], v100 offset:640
	;; [unrolled: 1-line block ×4, first 2 shown]
	v_cmp_lt_u32_e32 vcc, 28, v0
	s_waitcnt vmcnt(12) lgkmcnt(3)
	v_fma_f64 v[98:99], v[98:99], v[102:103], 0
	buffer_load_dword v103, off, s[0:3], 0 offset:300
	buffer_load_dword v102, off, s[0:3], 0 offset:296
	s_waitcnt vmcnt(12)
	v_fmac_f64_e32 v[98:99], v[118:119], v[104:105]
	s_waitcnt vmcnt(10) lgkmcnt(2)
	v_fmac_f64_e32 v[98:99], v[120:121], v[106:107]
	buffer_load_dword v107, off, s[0:3], 0 offset:308
	buffer_load_dword v106, off, s[0:3], 0 offset:304
	s_waitcnt vmcnt(10)
	v_fmac_f64_e32 v[98:99], v[122:123], v[108:109]
	s_waitcnt vmcnt(8) lgkmcnt(1)
	v_fmac_f64_e32 v[98:99], v[124:125], v[110:111]
	s_waitcnt vmcnt(6)
	v_fmac_f64_e32 v[98:99], v[126:127], v[112:113]
	s_waitcnt vmcnt(4) lgkmcnt(0)
	v_fmac_f64_e32 v[98:99], v[128:129], v[114:115]
	s_waitcnt vmcnt(2)
	v_fmac_f64_e32 v[98:99], v[102:103], v[116:117]
	ds_read_b128 v[102:105], v100 offset:688
	s_waitcnt vmcnt(0) lgkmcnt(0)
	v_fmac_f64_e32 v[98:99], v[106:107], v[102:103]
	buffer_load_dword v103, off, s[0:3], 0 offset:316
	buffer_load_dword v102, off, s[0:3], 0 offset:312
	buffer_load_dword v107, off, s[0:3], 0 offset:324
	buffer_load_dword v106, off, s[0:3], 0 offset:320
	s_waitcnt vmcnt(2)
	v_fmac_f64_e32 v[98:99], v[102:103], v[104:105]
	ds_read_b128 v[102:105], v100 offset:704
	s_waitcnt vmcnt(0) lgkmcnt(0)
	v_fmac_f64_e32 v[98:99], v[106:107], v[102:103]
	buffer_load_dword v103, off, s[0:3], 0 offset:332
	buffer_load_dword v102, off, s[0:3], 0 offset:328
	buffer_load_dword v107, off, s[0:3], 0 offset:340
	buffer_load_dword v106, off, s[0:3], 0 offset:336
	;; [unrolled: 9-line block ×3, first 2 shown]
	s_waitcnt vmcnt(2)
	v_fmac_f64_e32 v[98:99], v[102:103], v[104:105]
	ds_read_b128 v[102:105], v100 offset:736
	s_waitcnt vmcnt(0) lgkmcnt(0)
	v_fmac_f64_e32 v[98:99], v[106:107], v[102:103]
	buffer_load_dword v103, off, s[0:3], 0 offset:364
	buffer_load_dword v102, off, s[0:3], 0 offset:360
	s_waitcnt vmcnt(0)
	v_fmac_f64_e32 v[98:99], v[102:103], v[104:105]
	buffer_load_dword v103, off, s[0:3], 0 offset:372
	buffer_load_dword v102, off, s[0:3], 0 offset:368
	ds_read_b64 v[104:105], v100 offset:752
	s_waitcnt vmcnt(0) lgkmcnt(0)
	v_fmac_f64_e32 v[98:99], v[102:103], v[104:105]
	v_add_f64 v[96:97], v[96:97], -v[98:99]
	buffer_store_dword v97, off, s[0:3], 0 offset:236
	buffer_store_dword v96, off, s[0:3], 0 offset:232
	s_and_saveexec_b64 s[4:5], vcc
	s_cbranch_execz .LBB110_233
; %bb.232:
	buffer_load_dword v96, off, s[0:3], 0 offset:224
	buffer_load_dword v97, off, s[0:3], 0 offset:228
	s_waitcnt vmcnt(0)
	ds_write_b64 v1, v[96:97]
	buffer_store_dword v100, off, s[0:3], 0 offset:224
	buffer_store_dword v100, off, s[0:3], 0 offset:228
.LBB110_233:
	s_or_b64 exec, exec, s[4:5]
	s_waitcnt lgkmcnt(0)
	; wave barrier
	s_waitcnt lgkmcnt(0)
	buffer_load_dword v96, off, s[0:3], 0 offset:224
	buffer_load_dword v97, off, s[0:3], 0 offset:228
	;; [unrolled: 1-line block ×16, first 2 shown]
	ds_read2_b64 v[102:105], v100 offset0:77 offset1:78
	v_cmp_lt_u32_e32 vcc, 27, v0
	s_waitcnt vmcnt(12) lgkmcnt(0)
	v_fma_f64 v[98:99], v[98:99], v[102:103], 0
	s_waitcnt vmcnt(10)
	v_fmac_f64_e32 v[98:99], v[106:107], v[104:105]
	ds_read2_b64 v[102:105], v100 offset0:79 offset1:80
	s_waitcnt vmcnt(8) lgkmcnt(0)
	v_fmac_f64_e32 v[98:99], v[108:109], v[102:103]
	s_waitcnt vmcnt(6)
	v_fmac_f64_e32 v[98:99], v[110:111], v[104:105]
	ds_read2_b64 v[102:105], v100 offset0:81 offset1:82
	s_waitcnt vmcnt(4) lgkmcnt(0)
	v_fmac_f64_e32 v[98:99], v[112:113], v[102:103]
	;; [unrolled: 5-line block ×3, first 2 shown]
	buffer_load_dword v103, off, s[0:3], 0 offset:292
	buffer_load_dword v102, off, s[0:3], 0 offset:288
	buffer_load_dword v107, off, s[0:3], 0 offset:300
	buffer_load_dword v106, off, s[0:3], 0 offset:296
	s_waitcnt vmcnt(2)
	v_fmac_f64_e32 v[98:99], v[102:103], v[104:105]
	ds_read2_b64 v[102:105], v100 offset0:85 offset1:86
	s_waitcnt vmcnt(0) lgkmcnt(0)
	v_fmac_f64_e32 v[98:99], v[106:107], v[102:103]
	buffer_load_dword v103, off, s[0:3], 0 offset:308
	buffer_load_dword v102, off, s[0:3], 0 offset:304
	buffer_load_dword v107, off, s[0:3], 0 offset:316
	buffer_load_dword v106, off, s[0:3], 0 offset:312
	s_waitcnt vmcnt(2)
	v_fmac_f64_e32 v[98:99], v[102:103], v[104:105]
	ds_read2_b64 v[102:105], v100 offset0:87 offset1:88
	s_waitcnt vmcnt(0) lgkmcnt(0)
	v_fmac_f64_e32 v[98:99], v[106:107], v[102:103]
	;; [unrolled: 9-line block ×4, first 2 shown]
	buffer_load_dword v103, off, s[0:3], 0 offset:356
	buffer_load_dword v102, off, s[0:3], 0 offset:352
	s_waitcnt vmcnt(0)
	v_fmac_f64_e32 v[98:99], v[102:103], v[104:105]
	buffer_load_dword v105, off, s[0:3], 0 offset:364
	buffer_load_dword v104, off, s[0:3], 0 offset:360
	ds_read2_b64 v[100:103], v100 offset0:93 offset1:94
	s_waitcnt vmcnt(0) lgkmcnt(0)
	v_fmac_f64_e32 v[98:99], v[104:105], v[100:101]
	buffer_load_dword v101, off, s[0:3], 0 offset:372
	buffer_load_dword v100, off, s[0:3], 0 offset:368
	s_waitcnt vmcnt(0)
	v_fmac_f64_e32 v[98:99], v[100:101], v[102:103]
	v_add_f64 v[96:97], v[96:97], -v[98:99]
	buffer_store_dword v97, off, s[0:3], 0 offset:228
	buffer_store_dword v96, off, s[0:3], 0 offset:224
	s_and_saveexec_b64 s[4:5], vcc
	s_cbranch_execz .LBB110_235
; %bb.234:
	buffer_load_dword v96, off, s[0:3], 0 offset:216
	buffer_load_dword v97, off, s[0:3], 0 offset:220
	v_mov_b32_e32 v98, 0
	buffer_store_dword v98, off, s[0:3], 0 offset:216
	buffer_store_dword v98, off, s[0:3], 0 offset:220
	s_waitcnt vmcnt(2)
	ds_write_b64 v1, v[96:97]
.LBB110_235:
	s_or_b64 exec, exec, s[4:5]
	s_waitcnt lgkmcnt(0)
	; wave barrier
	s_waitcnt lgkmcnt(0)
	buffer_load_dword v96, off, s[0:3], 0 offset:216
	buffer_load_dword v97, off, s[0:3], 0 offset:220
	;; [unrolled: 1-line block ×16, first 2 shown]
	v_mov_b32_e32 v100, 0
	ds_read_b128 v[102:105], v100 offset:608
	ds_read_b128 v[106:109], v100 offset:624
	;; [unrolled: 1-line block ×4, first 2 shown]
	v_cmp_lt_u32_e32 vcc, 26, v0
	s_waitcnt vmcnt(12) lgkmcnt(3)
	v_fma_f64 v[98:99], v[98:99], v[102:103], 0
	buffer_load_dword v103, off, s[0:3], 0 offset:284
	buffer_load_dword v102, off, s[0:3], 0 offset:280
	s_waitcnt vmcnt(12)
	v_fmac_f64_e32 v[98:99], v[118:119], v[104:105]
	s_waitcnt vmcnt(10) lgkmcnt(2)
	v_fmac_f64_e32 v[98:99], v[120:121], v[106:107]
	buffer_load_dword v107, off, s[0:3], 0 offset:292
	buffer_load_dword v106, off, s[0:3], 0 offset:288
	s_waitcnt vmcnt(10)
	v_fmac_f64_e32 v[98:99], v[122:123], v[108:109]
	s_waitcnt vmcnt(8) lgkmcnt(1)
	v_fmac_f64_e32 v[98:99], v[124:125], v[110:111]
	s_waitcnt vmcnt(6)
	v_fmac_f64_e32 v[98:99], v[126:127], v[112:113]
	s_waitcnt vmcnt(4) lgkmcnt(0)
	v_fmac_f64_e32 v[98:99], v[128:129], v[114:115]
	s_waitcnt vmcnt(2)
	v_fmac_f64_e32 v[98:99], v[102:103], v[116:117]
	ds_read_b128 v[102:105], v100 offset:672
	s_waitcnt vmcnt(0) lgkmcnt(0)
	v_fmac_f64_e32 v[98:99], v[106:107], v[102:103]
	buffer_load_dword v103, off, s[0:3], 0 offset:300
	buffer_load_dword v102, off, s[0:3], 0 offset:296
	buffer_load_dword v107, off, s[0:3], 0 offset:308
	buffer_load_dword v106, off, s[0:3], 0 offset:304
	s_waitcnt vmcnt(2)
	v_fmac_f64_e32 v[98:99], v[102:103], v[104:105]
	ds_read_b128 v[102:105], v100 offset:688
	s_waitcnt vmcnt(0) lgkmcnt(0)
	v_fmac_f64_e32 v[98:99], v[106:107], v[102:103]
	buffer_load_dword v103, off, s[0:3], 0 offset:316
	buffer_load_dword v102, off, s[0:3], 0 offset:312
	buffer_load_dword v107, off, s[0:3], 0 offset:324
	buffer_load_dword v106, off, s[0:3], 0 offset:320
	;; [unrolled: 9-line block ×4, first 2 shown]
	s_waitcnt vmcnt(2)
	v_fmac_f64_e32 v[98:99], v[102:103], v[104:105]
	ds_read_b128 v[102:105], v100 offset:736
	s_waitcnt vmcnt(0) lgkmcnt(0)
	v_fmac_f64_e32 v[98:99], v[106:107], v[102:103]
	buffer_load_dword v103, off, s[0:3], 0 offset:364
	buffer_load_dword v102, off, s[0:3], 0 offset:360
	s_waitcnt vmcnt(0)
	v_fmac_f64_e32 v[98:99], v[102:103], v[104:105]
	buffer_load_dword v103, off, s[0:3], 0 offset:372
	buffer_load_dword v102, off, s[0:3], 0 offset:368
	ds_read_b64 v[104:105], v100 offset:752
	s_waitcnt vmcnt(0) lgkmcnt(0)
	v_fmac_f64_e32 v[98:99], v[102:103], v[104:105]
	v_add_f64 v[96:97], v[96:97], -v[98:99]
	buffer_store_dword v97, off, s[0:3], 0 offset:220
	buffer_store_dword v96, off, s[0:3], 0 offset:216
	s_and_saveexec_b64 s[4:5], vcc
	s_cbranch_execz .LBB110_237
; %bb.236:
	buffer_load_dword v96, off, s[0:3], 0 offset:208
	buffer_load_dword v97, off, s[0:3], 0 offset:212
	s_waitcnt vmcnt(0)
	ds_write_b64 v1, v[96:97]
	buffer_store_dword v100, off, s[0:3], 0 offset:208
	buffer_store_dword v100, off, s[0:3], 0 offset:212
.LBB110_237:
	s_or_b64 exec, exec, s[4:5]
	s_waitcnt lgkmcnt(0)
	; wave barrier
	s_waitcnt lgkmcnt(0)
	buffer_load_dword v96, off, s[0:3], 0 offset:208
	buffer_load_dword v97, off, s[0:3], 0 offset:212
	;; [unrolled: 1-line block ×16, first 2 shown]
	ds_read2_b64 v[102:105], v100 offset0:75 offset1:76
	v_cmp_lt_u32_e32 vcc, 25, v0
	s_waitcnt vmcnt(12) lgkmcnt(0)
	v_fma_f64 v[98:99], v[98:99], v[102:103], 0
	s_waitcnt vmcnt(10)
	v_fmac_f64_e32 v[98:99], v[106:107], v[104:105]
	ds_read2_b64 v[102:105], v100 offset0:77 offset1:78
	s_waitcnt vmcnt(8) lgkmcnt(0)
	v_fmac_f64_e32 v[98:99], v[108:109], v[102:103]
	s_waitcnt vmcnt(6)
	v_fmac_f64_e32 v[98:99], v[110:111], v[104:105]
	ds_read2_b64 v[102:105], v100 offset0:79 offset1:80
	s_waitcnt vmcnt(4) lgkmcnt(0)
	v_fmac_f64_e32 v[98:99], v[112:113], v[102:103]
	;; [unrolled: 5-line block ×3, first 2 shown]
	buffer_load_dword v103, off, s[0:3], 0 offset:276
	buffer_load_dword v102, off, s[0:3], 0 offset:272
	buffer_load_dword v107, off, s[0:3], 0 offset:284
	buffer_load_dword v106, off, s[0:3], 0 offset:280
	s_waitcnt vmcnt(2)
	v_fmac_f64_e32 v[98:99], v[102:103], v[104:105]
	ds_read2_b64 v[102:105], v100 offset0:83 offset1:84
	s_waitcnt vmcnt(0) lgkmcnt(0)
	v_fmac_f64_e32 v[98:99], v[106:107], v[102:103]
	buffer_load_dword v103, off, s[0:3], 0 offset:292
	buffer_load_dword v102, off, s[0:3], 0 offset:288
	buffer_load_dword v107, off, s[0:3], 0 offset:300
	buffer_load_dword v106, off, s[0:3], 0 offset:296
	s_waitcnt vmcnt(2)
	v_fmac_f64_e32 v[98:99], v[102:103], v[104:105]
	ds_read2_b64 v[102:105], v100 offset0:85 offset1:86
	s_waitcnt vmcnt(0) lgkmcnt(0)
	v_fmac_f64_e32 v[98:99], v[106:107], v[102:103]
	;; [unrolled: 9-line block ×5, first 2 shown]
	buffer_load_dword v103, off, s[0:3], 0 offset:356
	buffer_load_dword v102, off, s[0:3], 0 offset:352
	s_waitcnt vmcnt(0)
	v_fmac_f64_e32 v[98:99], v[102:103], v[104:105]
	buffer_load_dword v105, off, s[0:3], 0 offset:364
	buffer_load_dword v104, off, s[0:3], 0 offset:360
	ds_read2_b64 v[100:103], v100 offset0:93 offset1:94
	s_waitcnt vmcnt(0) lgkmcnt(0)
	v_fmac_f64_e32 v[98:99], v[104:105], v[100:101]
	buffer_load_dword v101, off, s[0:3], 0 offset:372
	buffer_load_dword v100, off, s[0:3], 0 offset:368
	s_waitcnt vmcnt(0)
	v_fmac_f64_e32 v[98:99], v[100:101], v[102:103]
	v_add_f64 v[96:97], v[96:97], -v[98:99]
	buffer_store_dword v97, off, s[0:3], 0 offset:212
	buffer_store_dword v96, off, s[0:3], 0 offset:208
	s_and_saveexec_b64 s[4:5], vcc
	s_cbranch_execz .LBB110_239
; %bb.238:
	buffer_load_dword v96, off, s[0:3], 0 offset:200
	buffer_load_dword v97, off, s[0:3], 0 offset:204
	v_mov_b32_e32 v98, 0
	buffer_store_dword v98, off, s[0:3], 0 offset:200
	buffer_store_dword v98, off, s[0:3], 0 offset:204
	s_waitcnt vmcnt(2)
	ds_write_b64 v1, v[96:97]
.LBB110_239:
	s_or_b64 exec, exec, s[4:5]
	s_waitcnt lgkmcnt(0)
	; wave barrier
	s_waitcnt lgkmcnt(0)
	buffer_load_dword v96, off, s[0:3], 0 offset:200
	buffer_load_dword v97, off, s[0:3], 0 offset:204
	;; [unrolled: 1-line block ×16, first 2 shown]
	v_mov_b32_e32 v100, 0
	ds_read_b128 v[102:105], v100 offset:592
	ds_read_b128 v[106:109], v100 offset:608
	;; [unrolled: 1-line block ×4, first 2 shown]
	v_cmp_lt_u32_e32 vcc, 24, v0
	s_waitcnt vmcnt(12) lgkmcnt(3)
	v_fma_f64 v[98:99], v[98:99], v[102:103], 0
	buffer_load_dword v103, off, s[0:3], 0 offset:268
	buffer_load_dword v102, off, s[0:3], 0 offset:264
	s_waitcnt vmcnt(12)
	v_fmac_f64_e32 v[98:99], v[118:119], v[104:105]
	s_waitcnt vmcnt(10) lgkmcnt(2)
	v_fmac_f64_e32 v[98:99], v[120:121], v[106:107]
	buffer_load_dword v107, off, s[0:3], 0 offset:276
	buffer_load_dword v106, off, s[0:3], 0 offset:272
	s_waitcnt vmcnt(10)
	v_fmac_f64_e32 v[98:99], v[122:123], v[108:109]
	s_waitcnt vmcnt(8) lgkmcnt(1)
	v_fmac_f64_e32 v[98:99], v[124:125], v[110:111]
	s_waitcnt vmcnt(6)
	v_fmac_f64_e32 v[98:99], v[126:127], v[112:113]
	s_waitcnt vmcnt(4) lgkmcnt(0)
	v_fmac_f64_e32 v[98:99], v[128:129], v[114:115]
	s_waitcnt vmcnt(2)
	v_fmac_f64_e32 v[98:99], v[102:103], v[116:117]
	ds_read_b128 v[102:105], v100 offset:656
	s_waitcnt vmcnt(0) lgkmcnt(0)
	v_fmac_f64_e32 v[98:99], v[106:107], v[102:103]
	buffer_load_dword v103, off, s[0:3], 0 offset:284
	buffer_load_dword v102, off, s[0:3], 0 offset:280
	buffer_load_dword v107, off, s[0:3], 0 offset:292
	buffer_load_dword v106, off, s[0:3], 0 offset:288
	s_waitcnt vmcnt(2)
	v_fmac_f64_e32 v[98:99], v[102:103], v[104:105]
	ds_read_b128 v[102:105], v100 offset:672
	s_waitcnt vmcnt(0) lgkmcnt(0)
	v_fmac_f64_e32 v[98:99], v[106:107], v[102:103]
	buffer_load_dword v103, off, s[0:3], 0 offset:300
	buffer_load_dword v102, off, s[0:3], 0 offset:296
	buffer_load_dword v107, off, s[0:3], 0 offset:308
	buffer_load_dword v106, off, s[0:3], 0 offset:304
	;; [unrolled: 9-line block ×5, first 2 shown]
	s_waitcnt vmcnt(2)
	v_fmac_f64_e32 v[98:99], v[102:103], v[104:105]
	ds_read_b128 v[102:105], v100 offset:736
	s_waitcnt vmcnt(0) lgkmcnt(0)
	v_fmac_f64_e32 v[98:99], v[106:107], v[102:103]
	buffer_load_dword v103, off, s[0:3], 0 offset:364
	buffer_load_dword v102, off, s[0:3], 0 offset:360
	s_waitcnt vmcnt(0)
	v_fmac_f64_e32 v[98:99], v[102:103], v[104:105]
	buffer_load_dword v103, off, s[0:3], 0 offset:372
	buffer_load_dword v102, off, s[0:3], 0 offset:368
	ds_read_b64 v[104:105], v100 offset:752
	s_waitcnt vmcnt(0) lgkmcnt(0)
	v_fmac_f64_e32 v[98:99], v[102:103], v[104:105]
	v_add_f64 v[96:97], v[96:97], -v[98:99]
	buffer_store_dword v97, off, s[0:3], 0 offset:204
	buffer_store_dword v96, off, s[0:3], 0 offset:200
	s_and_saveexec_b64 s[4:5], vcc
	s_cbranch_execz .LBB110_241
; %bb.240:
	buffer_load_dword v96, off, s[0:3], 0 offset:192
	buffer_load_dword v97, off, s[0:3], 0 offset:196
	s_waitcnt vmcnt(0)
	ds_write_b64 v1, v[96:97]
	buffer_store_dword v100, off, s[0:3], 0 offset:192
	buffer_store_dword v100, off, s[0:3], 0 offset:196
.LBB110_241:
	s_or_b64 exec, exec, s[4:5]
	s_waitcnt lgkmcnt(0)
	; wave barrier
	s_waitcnt lgkmcnt(0)
	buffer_load_dword v96, off, s[0:3], 0 offset:192
	buffer_load_dword v97, off, s[0:3], 0 offset:196
	;; [unrolled: 1-line block ×16, first 2 shown]
	ds_read2_b64 v[102:105], v100 offset0:73 offset1:74
	v_cmp_lt_u32_e32 vcc, 23, v0
	s_waitcnt vmcnt(12) lgkmcnt(0)
	v_fma_f64 v[98:99], v[98:99], v[102:103], 0
	s_waitcnt vmcnt(10)
	v_fmac_f64_e32 v[98:99], v[106:107], v[104:105]
	ds_read2_b64 v[102:105], v100 offset0:75 offset1:76
	s_waitcnt vmcnt(8) lgkmcnt(0)
	v_fmac_f64_e32 v[98:99], v[108:109], v[102:103]
	s_waitcnt vmcnt(6)
	v_fmac_f64_e32 v[98:99], v[110:111], v[104:105]
	ds_read2_b64 v[102:105], v100 offset0:77 offset1:78
	s_waitcnt vmcnt(4) lgkmcnt(0)
	v_fmac_f64_e32 v[98:99], v[112:113], v[102:103]
	;; [unrolled: 5-line block ×3, first 2 shown]
	buffer_load_dword v103, off, s[0:3], 0 offset:260
	buffer_load_dword v102, off, s[0:3], 0 offset:256
	buffer_load_dword v107, off, s[0:3], 0 offset:268
	buffer_load_dword v106, off, s[0:3], 0 offset:264
	s_waitcnt vmcnt(2)
	v_fmac_f64_e32 v[98:99], v[102:103], v[104:105]
	ds_read2_b64 v[102:105], v100 offset0:81 offset1:82
	s_waitcnt vmcnt(0) lgkmcnt(0)
	v_fmac_f64_e32 v[98:99], v[106:107], v[102:103]
	buffer_load_dword v103, off, s[0:3], 0 offset:276
	buffer_load_dword v102, off, s[0:3], 0 offset:272
	buffer_load_dword v107, off, s[0:3], 0 offset:284
	buffer_load_dword v106, off, s[0:3], 0 offset:280
	s_waitcnt vmcnt(2)
	v_fmac_f64_e32 v[98:99], v[102:103], v[104:105]
	ds_read2_b64 v[102:105], v100 offset0:83 offset1:84
	s_waitcnt vmcnt(0) lgkmcnt(0)
	v_fmac_f64_e32 v[98:99], v[106:107], v[102:103]
	;; [unrolled: 9-line block ×6, first 2 shown]
	buffer_load_dword v103, off, s[0:3], 0 offset:356
	buffer_load_dword v102, off, s[0:3], 0 offset:352
	s_waitcnt vmcnt(0)
	v_fmac_f64_e32 v[98:99], v[102:103], v[104:105]
	buffer_load_dword v105, off, s[0:3], 0 offset:364
	buffer_load_dword v104, off, s[0:3], 0 offset:360
	ds_read2_b64 v[100:103], v100 offset0:93 offset1:94
	s_waitcnt vmcnt(0) lgkmcnt(0)
	v_fmac_f64_e32 v[98:99], v[104:105], v[100:101]
	buffer_load_dword v101, off, s[0:3], 0 offset:372
	buffer_load_dword v100, off, s[0:3], 0 offset:368
	s_waitcnt vmcnt(0)
	v_fmac_f64_e32 v[98:99], v[100:101], v[102:103]
	v_add_f64 v[96:97], v[96:97], -v[98:99]
	buffer_store_dword v97, off, s[0:3], 0 offset:196
	buffer_store_dword v96, off, s[0:3], 0 offset:192
	s_and_saveexec_b64 s[4:5], vcc
	s_cbranch_execz .LBB110_243
; %bb.242:
	buffer_load_dword v96, off, s[0:3], 0 offset:184
	buffer_load_dword v97, off, s[0:3], 0 offset:188
	v_mov_b32_e32 v98, 0
	buffer_store_dword v98, off, s[0:3], 0 offset:184
	buffer_store_dword v98, off, s[0:3], 0 offset:188
	s_waitcnt vmcnt(2)
	ds_write_b64 v1, v[96:97]
.LBB110_243:
	s_or_b64 exec, exec, s[4:5]
	s_waitcnt lgkmcnt(0)
	; wave barrier
	s_waitcnt lgkmcnt(0)
	buffer_load_dword v96, off, s[0:3], 0 offset:184
	buffer_load_dword v97, off, s[0:3], 0 offset:188
	;; [unrolled: 1-line block ×16, first 2 shown]
	v_mov_b32_e32 v100, 0
	ds_read_b128 v[102:105], v100 offset:576
	ds_read_b128 v[106:109], v100 offset:592
	;; [unrolled: 1-line block ×4, first 2 shown]
	v_cmp_lt_u32_e32 vcc, 22, v0
	s_waitcnt vmcnt(12) lgkmcnt(3)
	v_fma_f64 v[98:99], v[98:99], v[102:103], 0
	buffer_load_dword v103, off, s[0:3], 0 offset:252
	buffer_load_dword v102, off, s[0:3], 0 offset:248
	s_waitcnt vmcnt(12)
	v_fmac_f64_e32 v[98:99], v[118:119], v[104:105]
	s_waitcnt vmcnt(10) lgkmcnt(2)
	v_fmac_f64_e32 v[98:99], v[120:121], v[106:107]
	buffer_load_dword v107, off, s[0:3], 0 offset:260
	buffer_load_dword v106, off, s[0:3], 0 offset:256
	s_waitcnt vmcnt(10)
	v_fmac_f64_e32 v[98:99], v[122:123], v[108:109]
	s_waitcnt vmcnt(8) lgkmcnt(1)
	v_fmac_f64_e32 v[98:99], v[124:125], v[110:111]
	s_waitcnt vmcnt(6)
	v_fmac_f64_e32 v[98:99], v[126:127], v[112:113]
	s_waitcnt vmcnt(4) lgkmcnt(0)
	v_fmac_f64_e32 v[98:99], v[128:129], v[114:115]
	s_waitcnt vmcnt(2)
	v_fmac_f64_e32 v[98:99], v[102:103], v[116:117]
	ds_read_b128 v[102:105], v100 offset:640
	s_waitcnt vmcnt(0) lgkmcnt(0)
	v_fmac_f64_e32 v[98:99], v[106:107], v[102:103]
	buffer_load_dword v103, off, s[0:3], 0 offset:268
	buffer_load_dword v102, off, s[0:3], 0 offset:264
	buffer_load_dword v107, off, s[0:3], 0 offset:276
	buffer_load_dword v106, off, s[0:3], 0 offset:272
	s_waitcnt vmcnt(2)
	v_fmac_f64_e32 v[98:99], v[102:103], v[104:105]
	ds_read_b128 v[102:105], v100 offset:656
	s_waitcnt vmcnt(0) lgkmcnt(0)
	v_fmac_f64_e32 v[98:99], v[106:107], v[102:103]
	buffer_load_dword v103, off, s[0:3], 0 offset:284
	buffer_load_dword v102, off, s[0:3], 0 offset:280
	buffer_load_dword v107, off, s[0:3], 0 offset:292
	buffer_load_dword v106, off, s[0:3], 0 offset:288
	;; [unrolled: 9-line block ×6, first 2 shown]
	s_waitcnt vmcnt(2)
	v_fmac_f64_e32 v[98:99], v[102:103], v[104:105]
	ds_read_b128 v[102:105], v100 offset:736
	s_waitcnt vmcnt(0) lgkmcnt(0)
	v_fmac_f64_e32 v[98:99], v[106:107], v[102:103]
	buffer_load_dword v103, off, s[0:3], 0 offset:364
	buffer_load_dword v102, off, s[0:3], 0 offset:360
	s_waitcnt vmcnt(0)
	v_fmac_f64_e32 v[98:99], v[102:103], v[104:105]
	buffer_load_dword v103, off, s[0:3], 0 offset:372
	buffer_load_dword v102, off, s[0:3], 0 offset:368
	ds_read_b64 v[104:105], v100 offset:752
	s_waitcnt vmcnt(0) lgkmcnt(0)
	v_fmac_f64_e32 v[98:99], v[102:103], v[104:105]
	v_add_f64 v[96:97], v[96:97], -v[98:99]
	buffer_store_dword v97, off, s[0:3], 0 offset:188
	buffer_store_dword v96, off, s[0:3], 0 offset:184
	s_and_saveexec_b64 s[4:5], vcc
	s_cbranch_execz .LBB110_245
; %bb.244:
	buffer_load_dword v96, off, s[0:3], 0 offset:176
	buffer_load_dword v97, off, s[0:3], 0 offset:180
	s_waitcnt vmcnt(0)
	ds_write_b64 v1, v[96:97]
	buffer_store_dword v100, off, s[0:3], 0 offset:176
	buffer_store_dword v100, off, s[0:3], 0 offset:180
.LBB110_245:
	s_or_b64 exec, exec, s[4:5]
	s_waitcnt lgkmcnt(0)
	; wave barrier
	s_waitcnt lgkmcnt(0)
	buffer_load_dword v96, off, s[0:3], 0 offset:176
	buffer_load_dword v97, off, s[0:3], 0 offset:180
	;; [unrolled: 1-line block ×16, first 2 shown]
	ds_read2_b64 v[102:105], v100 offset0:71 offset1:72
	v_cmp_lt_u32_e32 vcc, 21, v0
	s_waitcnt vmcnt(12) lgkmcnt(0)
	v_fma_f64 v[98:99], v[98:99], v[102:103], 0
	s_waitcnt vmcnt(10)
	v_fmac_f64_e32 v[98:99], v[106:107], v[104:105]
	ds_read2_b64 v[102:105], v100 offset0:73 offset1:74
	s_waitcnt vmcnt(8) lgkmcnt(0)
	v_fmac_f64_e32 v[98:99], v[108:109], v[102:103]
	s_waitcnt vmcnt(6)
	v_fmac_f64_e32 v[98:99], v[110:111], v[104:105]
	ds_read2_b64 v[102:105], v100 offset0:75 offset1:76
	s_waitcnt vmcnt(4) lgkmcnt(0)
	v_fmac_f64_e32 v[98:99], v[112:113], v[102:103]
	;; [unrolled: 5-line block ×3, first 2 shown]
	buffer_load_dword v103, off, s[0:3], 0 offset:244
	buffer_load_dword v102, off, s[0:3], 0 offset:240
	buffer_load_dword v107, off, s[0:3], 0 offset:252
	buffer_load_dword v106, off, s[0:3], 0 offset:248
	s_waitcnt vmcnt(2)
	v_fmac_f64_e32 v[98:99], v[102:103], v[104:105]
	ds_read2_b64 v[102:105], v100 offset0:79 offset1:80
	s_waitcnt vmcnt(0) lgkmcnt(0)
	v_fmac_f64_e32 v[98:99], v[106:107], v[102:103]
	buffer_load_dword v103, off, s[0:3], 0 offset:260
	buffer_load_dword v102, off, s[0:3], 0 offset:256
	buffer_load_dword v107, off, s[0:3], 0 offset:268
	buffer_load_dword v106, off, s[0:3], 0 offset:264
	s_waitcnt vmcnt(2)
	v_fmac_f64_e32 v[98:99], v[102:103], v[104:105]
	ds_read2_b64 v[102:105], v100 offset0:81 offset1:82
	s_waitcnt vmcnt(0) lgkmcnt(0)
	v_fmac_f64_e32 v[98:99], v[106:107], v[102:103]
	;; [unrolled: 9-line block ×7, first 2 shown]
	buffer_load_dword v103, off, s[0:3], 0 offset:356
	buffer_load_dword v102, off, s[0:3], 0 offset:352
	s_waitcnt vmcnt(0)
	v_fmac_f64_e32 v[98:99], v[102:103], v[104:105]
	buffer_load_dword v105, off, s[0:3], 0 offset:364
	buffer_load_dword v104, off, s[0:3], 0 offset:360
	ds_read2_b64 v[100:103], v100 offset0:93 offset1:94
	s_waitcnt vmcnt(0) lgkmcnt(0)
	v_fmac_f64_e32 v[98:99], v[104:105], v[100:101]
	buffer_load_dword v101, off, s[0:3], 0 offset:372
	buffer_load_dword v100, off, s[0:3], 0 offset:368
	s_waitcnt vmcnt(0)
	v_fmac_f64_e32 v[98:99], v[100:101], v[102:103]
	v_add_f64 v[96:97], v[96:97], -v[98:99]
	buffer_store_dword v97, off, s[0:3], 0 offset:180
	buffer_store_dword v96, off, s[0:3], 0 offset:176
	s_and_saveexec_b64 s[4:5], vcc
	s_cbranch_execz .LBB110_247
; %bb.246:
	buffer_load_dword v96, off, s[0:3], 0 offset:168
	buffer_load_dword v97, off, s[0:3], 0 offset:172
	v_mov_b32_e32 v98, 0
	buffer_store_dword v98, off, s[0:3], 0 offset:168
	buffer_store_dword v98, off, s[0:3], 0 offset:172
	s_waitcnt vmcnt(2)
	ds_write_b64 v1, v[96:97]
.LBB110_247:
	s_or_b64 exec, exec, s[4:5]
	s_waitcnt lgkmcnt(0)
	; wave barrier
	s_waitcnt lgkmcnt(0)
	buffer_load_dword v96, off, s[0:3], 0 offset:168
	buffer_load_dword v97, off, s[0:3], 0 offset:172
	;; [unrolled: 1-line block ×16, first 2 shown]
	v_mov_b32_e32 v100, 0
	ds_read_b128 v[102:105], v100 offset:560
	ds_read_b128 v[106:109], v100 offset:576
	;; [unrolled: 1-line block ×4, first 2 shown]
	v_cmp_lt_u32_e32 vcc, 20, v0
	s_waitcnt vmcnt(12) lgkmcnt(3)
	v_fma_f64 v[98:99], v[98:99], v[102:103], 0
	buffer_load_dword v103, off, s[0:3], 0 offset:236
	buffer_load_dword v102, off, s[0:3], 0 offset:232
	s_waitcnt vmcnt(12)
	v_fmac_f64_e32 v[98:99], v[118:119], v[104:105]
	s_waitcnt vmcnt(10) lgkmcnt(2)
	v_fmac_f64_e32 v[98:99], v[120:121], v[106:107]
	buffer_load_dword v107, off, s[0:3], 0 offset:244
	buffer_load_dword v106, off, s[0:3], 0 offset:240
	s_waitcnt vmcnt(10)
	v_fmac_f64_e32 v[98:99], v[122:123], v[108:109]
	s_waitcnt vmcnt(8) lgkmcnt(1)
	v_fmac_f64_e32 v[98:99], v[124:125], v[110:111]
	s_waitcnt vmcnt(6)
	v_fmac_f64_e32 v[98:99], v[126:127], v[112:113]
	s_waitcnt vmcnt(4) lgkmcnt(0)
	v_fmac_f64_e32 v[98:99], v[128:129], v[114:115]
	s_waitcnt vmcnt(2)
	v_fmac_f64_e32 v[98:99], v[102:103], v[116:117]
	ds_read_b128 v[102:105], v100 offset:624
	s_waitcnt vmcnt(0) lgkmcnt(0)
	v_fmac_f64_e32 v[98:99], v[106:107], v[102:103]
	buffer_load_dword v103, off, s[0:3], 0 offset:252
	buffer_load_dword v102, off, s[0:3], 0 offset:248
	buffer_load_dword v107, off, s[0:3], 0 offset:260
	buffer_load_dword v106, off, s[0:3], 0 offset:256
	s_waitcnt vmcnt(2)
	v_fmac_f64_e32 v[98:99], v[102:103], v[104:105]
	ds_read_b128 v[102:105], v100 offset:640
	s_waitcnt vmcnt(0) lgkmcnt(0)
	v_fmac_f64_e32 v[98:99], v[106:107], v[102:103]
	buffer_load_dword v103, off, s[0:3], 0 offset:268
	buffer_load_dword v102, off, s[0:3], 0 offset:264
	buffer_load_dword v107, off, s[0:3], 0 offset:276
	buffer_load_dword v106, off, s[0:3], 0 offset:272
	;; [unrolled: 9-line block ×7, first 2 shown]
	s_waitcnt vmcnt(2)
	v_fmac_f64_e32 v[98:99], v[102:103], v[104:105]
	ds_read_b128 v[102:105], v100 offset:736
	s_waitcnt vmcnt(0) lgkmcnt(0)
	v_fmac_f64_e32 v[98:99], v[106:107], v[102:103]
	buffer_load_dword v103, off, s[0:3], 0 offset:364
	buffer_load_dword v102, off, s[0:3], 0 offset:360
	s_waitcnt vmcnt(0)
	v_fmac_f64_e32 v[98:99], v[102:103], v[104:105]
	buffer_load_dword v103, off, s[0:3], 0 offset:372
	buffer_load_dword v102, off, s[0:3], 0 offset:368
	ds_read_b64 v[104:105], v100 offset:752
	s_waitcnt vmcnt(0) lgkmcnt(0)
	v_fmac_f64_e32 v[98:99], v[102:103], v[104:105]
	v_add_f64 v[96:97], v[96:97], -v[98:99]
	buffer_store_dword v97, off, s[0:3], 0 offset:172
	buffer_store_dword v96, off, s[0:3], 0 offset:168
	s_and_saveexec_b64 s[4:5], vcc
	s_cbranch_execz .LBB110_249
; %bb.248:
	buffer_load_dword v96, off, s[0:3], 0 offset:160
	buffer_load_dword v97, off, s[0:3], 0 offset:164
	s_waitcnt vmcnt(0)
	ds_write_b64 v1, v[96:97]
	buffer_store_dword v100, off, s[0:3], 0 offset:160
	buffer_store_dword v100, off, s[0:3], 0 offset:164
.LBB110_249:
	s_or_b64 exec, exec, s[4:5]
	s_waitcnt lgkmcnt(0)
	; wave barrier
	s_waitcnt lgkmcnt(0)
	buffer_load_dword v96, off, s[0:3], 0 offset:160
	buffer_load_dword v97, off, s[0:3], 0 offset:164
	;; [unrolled: 1-line block ×16, first 2 shown]
	ds_read2_b64 v[102:105], v100 offset0:69 offset1:70
	v_cmp_lt_u32_e32 vcc, 19, v0
	s_waitcnt vmcnt(12) lgkmcnt(0)
	v_fma_f64 v[98:99], v[98:99], v[102:103], 0
	s_waitcnt vmcnt(10)
	v_fmac_f64_e32 v[98:99], v[106:107], v[104:105]
	ds_read2_b64 v[102:105], v100 offset0:71 offset1:72
	s_waitcnt vmcnt(8) lgkmcnt(0)
	v_fmac_f64_e32 v[98:99], v[108:109], v[102:103]
	s_waitcnt vmcnt(6)
	v_fmac_f64_e32 v[98:99], v[110:111], v[104:105]
	ds_read2_b64 v[102:105], v100 offset0:73 offset1:74
	s_waitcnt vmcnt(4) lgkmcnt(0)
	v_fmac_f64_e32 v[98:99], v[112:113], v[102:103]
	s_waitcnt vmcnt(2)
	v_fmac_f64_e32 v[98:99], v[114:115], v[104:105]
	ds_read2_b64 v[102:105], v100 offset0:75 offset1:76
	s_waitcnt vmcnt(0) lgkmcnt(0)
	v_fmac_f64_e32 v[98:99], v[116:117], v[102:103]
	buffer_load_dword v103, off, s[0:3], 0 offset:228
	buffer_load_dword v102, off, s[0:3], 0 offset:224
	buffer_load_dword v107, off, s[0:3], 0 offset:236
	buffer_load_dword v106, off, s[0:3], 0 offset:232
	s_waitcnt vmcnt(2)
	v_fmac_f64_e32 v[98:99], v[102:103], v[104:105]
	ds_read2_b64 v[102:105], v100 offset0:77 offset1:78
	s_waitcnt vmcnt(0) lgkmcnt(0)
	v_fmac_f64_e32 v[98:99], v[106:107], v[102:103]
	buffer_load_dword v103, off, s[0:3], 0 offset:244
	buffer_load_dword v102, off, s[0:3], 0 offset:240
	buffer_load_dword v107, off, s[0:3], 0 offset:252
	buffer_load_dword v106, off, s[0:3], 0 offset:248
	s_waitcnt vmcnt(2)
	v_fmac_f64_e32 v[98:99], v[102:103], v[104:105]
	ds_read2_b64 v[102:105], v100 offset0:79 offset1:80
	s_waitcnt vmcnt(0) lgkmcnt(0)
	v_fmac_f64_e32 v[98:99], v[106:107], v[102:103]
	;; [unrolled: 9-line block ×8, first 2 shown]
	buffer_load_dword v103, off, s[0:3], 0 offset:356
	buffer_load_dword v102, off, s[0:3], 0 offset:352
	s_waitcnt vmcnt(0)
	v_fmac_f64_e32 v[98:99], v[102:103], v[104:105]
	buffer_load_dword v105, off, s[0:3], 0 offset:364
	buffer_load_dword v104, off, s[0:3], 0 offset:360
	ds_read2_b64 v[100:103], v100 offset0:93 offset1:94
	s_waitcnt vmcnt(0) lgkmcnt(0)
	v_fmac_f64_e32 v[98:99], v[104:105], v[100:101]
	buffer_load_dword v101, off, s[0:3], 0 offset:372
	buffer_load_dword v100, off, s[0:3], 0 offset:368
	s_waitcnt vmcnt(0)
	v_fmac_f64_e32 v[98:99], v[100:101], v[102:103]
	v_add_f64 v[96:97], v[96:97], -v[98:99]
	buffer_store_dword v97, off, s[0:3], 0 offset:164
	buffer_store_dword v96, off, s[0:3], 0 offset:160
	s_and_saveexec_b64 s[4:5], vcc
	s_cbranch_execz .LBB110_251
; %bb.250:
	buffer_load_dword v96, off, s[0:3], 0 offset:152
	buffer_load_dword v97, off, s[0:3], 0 offset:156
	v_mov_b32_e32 v98, 0
	buffer_store_dword v98, off, s[0:3], 0 offset:152
	buffer_store_dword v98, off, s[0:3], 0 offset:156
	s_waitcnt vmcnt(2)
	ds_write_b64 v1, v[96:97]
.LBB110_251:
	s_or_b64 exec, exec, s[4:5]
	s_waitcnt lgkmcnt(0)
	; wave barrier
	s_waitcnt lgkmcnt(0)
	buffer_load_dword v96, off, s[0:3], 0 offset:152
	buffer_load_dword v97, off, s[0:3], 0 offset:156
	;; [unrolled: 1-line block ×16, first 2 shown]
	v_mov_b32_e32 v100, 0
	ds_read_b128 v[102:105], v100 offset:544
	ds_read_b128 v[106:109], v100 offset:560
	;; [unrolled: 1-line block ×4, first 2 shown]
	v_cmp_lt_u32_e32 vcc, 18, v0
	s_waitcnt vmcnt(12) lgkmcnt(3)
	v_fma_f64 v[98:99], v[98:99], v[102:103], 0
	buffer_load_dword v103, off, s[0:3], 0 offset:220
	buffer_load_dword v102, off, s[0:3], 0 offset:216
	s_waitcnt vmcnt(12)
	v_fmac_f64_e32 v[98:99], v[118:119], v[104:105]
	s_waitcnt vmcnt(10) lgkmcnt(2)
	v_fmac_f64_e32 v[98:99], v[120:121], v[106:107]
	buffer_load_dword v107, off, s[0:3], 0 offset:228
	buffer_load_dword v106, off, s[0:3], 0 offset:224
	s_waitcnt vmcnt(10)
	v_fmac_f64_e32 v[98:99], v[122:123], v[108:109]
	s_waitcnt vmcnt(8) lgkmcnt(1)
	v_fmac_f64_e32 v[98:99], v[124:125], v[110:111]
	s_waitcnt vmcnt(6)
	v_fmac_f64_e32 v[98:99], v[126:127], v[112:113]
	s_waitcnt vmcnt(4) lgkmcnt(0)
	v_fmac_f64_e32 v[98:99], v[128:129], v[114:115]
	s_waitcnt vmcnt(2)
	v_fmac_f64_e32 v[98:99], v[102:103], v[116:117]
	ds_read_b128 v[102:105], v100 offset:608
	s_waitcnt vmcnt(0) lgkmcnt(0)
	v_fmac_f64_e32 v[98:99], v[106:107], v[102:103]
	buffer_load_dword v103, off, s[0:3], 0 offset:236
	buffer_load_dword v102, off, s[0:3], 0 offset:232
	buffer_load_dword v107, off, s[0:3], 0 offset:244
	buffer_load_dword v106, off, s[0:3], 0 offset:240
	s_waitcnt vmcnt(2)
	v_fmac_f64_e32 v[98:99], v[102:103], v[104:105]
	ds_read_b128 v[102:105], v100 offset:624
	s_waitcnt vmcnt(0) lgkmcnt(0)
	v_fmac_f64_e32 v[98:99], v[106:107], v[102:103]
	buffer_load_dword v103, off, s[0:3], 0 offset:252
	buffer_load_dword v102, off, s[0:3], 0 offset:248
	buffer_load_dword v107, off, s[0:3], 0 offset:260
	buffer_load_dword v106, off, s[0:3], 0 offset:256
	;; [unrolled: 9-line block ×8, first 2 shown]
	s_waitcnt vmcnt(2)
	v_fmac_f64_e32 v[98:99], v[102:103], v[104:105]
	ds_read_b128 v[102:105], v100 offset:736
	s_waitcnt vmcnt(0) lgkmcnt(0)
	v_fmac_f64_e32 v[98:99], v[106:107], v[102:103]
	buffer_load_dword v103, off, s[0:3], 0 offset:364
	buffer_load_dword v102, off, s[0:3], 0 offset:360
	s_waitcnt vmcnt(0)
	v_fmac_f64_e32 v[98:99], v[102:103], v[104:105]
	buffer_load_dword v103, off, s[0:3], 0 offset:372
	buffer_load_dword v102, off, s[0:3], 0 offset:368
	ds_read_b64 v[104:105], v100 offset:752
	s_waitcnt vmcnt(0) lgkmcnt(0)
	v_fmac_f64_e32 v[98:99], v[102:103], v[104:105]
	v_add_f64 v[96:97], v[96:97], -v[98:99]
	buffer_store_dword v97, off, s[0:3], 0 offset:156
	buffer_store_dword v96, off, s[0:3], 0 offset:152
	s_and_saveexec_b64 s[4:5], vcc
	s_cbranch_execz .LBB110_253
; %bb.252:
	buffer_load_dword v96, off, s[0:3], 0 offset:144
	buffer_load_dword v97, off, s[0:3], 0 offset:148
	s_waitcnt vmcnt(0)
	ds_write_b64 v1, v[96:97]
	buffer_store_dword v100, off, s[0:3], 0 offset:144
	buffer_store_dword v100, off, s[0:3], 0 offset:148
.LBB110_253:
	s_or_b64 exec, exec, s[4:5]
	s_waitcnt lgkmcnt(0)
	; wave barrier
	s_waitcnt lgkmcnt(0)
	buffer_load_dword v96, off, s[0:3], 0 offset:144
	buffer_load_dword v97, off, s[0:3], 0 offset:148
	;; [unrolled: 1-line block ×16, first 2 shown]
	ds_read2_b64 v[102:105], v100 offset0:67 offset1:68
	v_cmp_lt_u32_e32 vcc, 17, v0
	s_waitcnt vmcnt(12) lgkmcnt(0)
	v_fma_f64 v[98:99], v[98:99], v[102:103], 0
	s_waitcnt vmcnt(10)
	v_fmac_f64_e32 v[98:99], v[106:107], v[104:105]
	ds_read2_b64 v[102:105], v100 offset0:69 offset1:70
	s_waitcnt vmcnt(8) lgkmcnt(0)
	v_fmac_f64_e32 v[98:99], v[108:109], v[102:103]
	s_waitcnt vmcnt(6)
	v_fmac_f64_e32 v[98:99], v[110:111], v[104:105]
	ds_read2_b64 v[102:105], v100 offset0:71 offset1:72
	s_waitcnt vmcnt(4) lgkmcnt(0)
	v_fmac_f64_e32 v[98:99], v[112:113], v[102:103]
	;; [unrolled: 5-line block ×3, first 2 shown]
	buffer_load_dword v103, off, s[0:3], 0 offset:212
	buffer_load_dword v102, off, s[0:3], 0 offset:208
	buffer_load_dword v107, off, s[0:3], 0 offset:220
	buffer_load_dword v106, off, s[0:3], 0 offset:216
	s_waitcnt vmcnt(2)
	v_fmac_f64_e32 v[98:99], v[102:103], v[104:105]
	ds_read2_b64 v[102:105], v100 offset0:75 offset1:76
	s_waitcnt vmcnt(0) lgkmcnt(0)
	v_fmac_f64_e32 v[98:99], v[106:107], v[102:103]
	buffer_load_dword v103, off, s[0:3], 0 offset:228
	buffer_load_dword v102, off, s[0:3], 0 offset:224
	buffer_load_dword v107, off, s[0:3], 0 offset:236
	buffer_load_dword v106, off, s[0:3], 0 offset:232
	s_waitcnt vmcnt(2)
	v_fmac_f64_e32 v[98:99], v[102:103], v[104:105]
	ds_read2_b64 v[102:105], v100 offset0:77 offset1:78
	s_waitcnt vmcnt(0) lgkmcnt(0)
	v_fmac_f64_e32 v[98:99], v[106:107], v[102:103]
	;; [unrolled: 9-line block ×9, first 2 shown]
	buffer_load_dword v103, off, s[0:3], 0 offset:356
	buffer_load_dword v102, off, s[0:3], 0 offset:352
	s_waitcnt vmcnt(0)
	v_fmac_f64_e32 v[98:99], v[102:103], v[104:105]
	buffer_load_dword v105, off, s[0:3], 0 offset:364
	buffer_load_dword v104, off, s[0:3], 0 offset:360
	ds_read2_b64 v[100:103], v100 offset0:93 offset1:94
	s_waitcnt vmcnt(0) lgkmcnt(0)
	v_fmac_f64_e32 v[98:99], v[104:105], v[100:101]
	buffer_load_dword v101, off, s[0:3], 0 offset:372
	buffer_load_dword v100, off, s[0:3], 0 offset:368
	s_waitcnt vmcnt(0)
	v_fmac_f64_e32 v[98:99], v[100:101], v[102:103]
	v_add_f64 v[96:97], v[96:97], -v[98:99]
	buffer_store_dword v97, off, s[0:3], 0 offset:148
	buffer_store_dword v96, off, s[0:3], 0 offset:144
	s_and_saveexec_b64 s[4:5], vcc
	s_cbranch_execz .LBB110_255
; %bb.254:
	buffer_load_dword v96, off, s[0:3], 0 offset:136
	buffer_load_dword v97, off, s[0:3], 0 offset:140
	v_mov_b32_e32 v98, 0
	buffer_store_dword v98, off, s[0:3], 0 offset:136
	buffer_store_dword v98, off, s[0:3], 0 offset:140
	s_waitcnt vmcnt(2)
	ds_write_b64 v1, v[96:97]
.LBB110_255:
	s_or_b64 exec, exec, s[4:5]
	s_waitcnt lgkmcnt(0)
	; wave barrier
	s_waitcnt lgkmcnt(0)
	buffer_load_dword v96, off, s[0:3], 0 offset:136
	buffer_load_dword v97, off, s[0:3], 0 offset:140
	buffer_load_dword v98, off, s[0:3], 0 offset:144
	buffer_load_dword v99, off, s[0:3], 0 offset:148
	buffer_load_dword v118, off, s[0:3], 0 offset:152
	buffer_load_dword v119, off, s[0:3], 0 offset:156
	buffer_load_dword v120, off, s[0:3], 0 offset:160
	buffer_load_dword v121, off, s[0:3], 0 offset:164
	buffer_load_dword v122, off, s[0:3], 0 offset:168
	buffer_load_dword v123, off, s[0:3], 0 offset:172
	buffer_load_dword v124, off, s[0:3], 0 offset:176
	buffer_load_dword v125, off, s[0:3], 0 offset:180
	buffer_load_dword v126, off, s[0:3], 0 offset:184
	buffer_load_dword v127, off, s[0:3], 0 offset:188
	buffer_load_dword v128, off, s[0:3], 0 offset:192
	buffer_load_dword v129, off, s[0:3], 0 offset:196
	v_mov_b32_e32 v100, 0
	ds_read_b128 v[102:105], v100 offset:528
	ds_read_b128 v[106:109], v100 offset:544
	;; [unrolled: 1-line block ×4, first 2 shown]
	v_cmp_lt_u32_e32 vcc, 16, v0
	s_waitcnt vmcnt(12) lgkmcnt(3)
	v_fma_f64 v[98:99], v[98:99], v[102:103], 0
	buffer_load_dword v103, off, s[0:3], 0 offset:204
	buffer_load_dword v102, off, s[0:3], 0 offset:200
	s_waitcnt vmcnt(12)
	v_fmac_f64_e32 v[98:99], v[118:119], v[104:105]
	s_waitcnt vmcnt(10) lgkmcnt(2)
	v_fmac_f64_e32 v[98:99], v[120:121], v[106:107]
	buffer_load_dword v107, off, s[0:3], 0 offset:212
	buffer_load_dword v106, off, s[0:3], 0 offset:208
	s_waitcnt vmcnt(10)
	v_fmac_f64_e32 v[98:99], v[122:123], v[108:109]
	s_waitcnt vmcnt(8) lgkmcnt(1)
	v_fmac_f64_e32 v[98:99], v[124:125], v[110:111]
	s_waitcnt vmcnt(6)
	v_fmac_f64_e32 v[98:99], v[126:127], v[112:113]
	s_waitcnt vmcnt(4) lgkmcnt(0)
	v_fmac_f64_e32 v[98:99], v[128:129], v[114:115]
	s_waitcnt vmcnt(2)
	v_fmac_f64_e32 v[98:99], v[102:103], v[116:117]
	ds_read_b128 v[102:105], v100 offset:592
	s_waitcnt vmcnt(0) lgkmcnt(0)
	v_fmac_f64_e32 v[98:99], v[106:107], v[102:103]
	buffer_load_dword v103, off, s[0:3], 0 offset:220
	buffer_load_dword v102, off, s[0:3], 0 offset:216
	buffer_load_dword v107, off, s[0:3], 0 offset:228
	buffer_load_dword v106, off, s[0:3], 0 offset:224
	s_waitcnt vmcnt(2)
	v_fmac_f64_e32 v[98:99], v[102:103], v[104:105]
	ds_read_b128 v[102:105], v100 offset:608
	s_waitcnt vmcnt(0) lgkmcnt(0)
	v_fmac_f64_e32 v[98:99], v[106:107], v[102:103]
	buffer_load_dword v103, off, s[0:3], 0 offset:236
	buffer_load_dword v102, off, s[0:3], 0 offset:232
	buffer_load_dword v107, off, s[0:3], 0 offset:244
	buffer_load_dword v106, off, s[0:3], 0 offset:240
	;; [unrolled: 9-line block ×9, first 2 shown]
	s_waitcnt vmcnt(2)
	v_fmac_f64_e32 v[98:99], v[102:103], v[104:105]
	ds_read_b128 v[102:105], v100 offset:736
	s_waitcnt vmcnt(0) lgkmcnt(0)
	v_fmac_f64_e32 v[98:99], v[106:107], v[102:103]
	buffer_load_dword v103, off, s[0:3], 0 offset:364
	buffer_load_dword v102, off, s[0:3], 0 offset:360
	s_waitcnt vmcnt(0)
	v_fmac_f64_e32 v[98:99], v[102:103], v[104:105]
	buffer_load_dword v103, off, s[0:3], 0 offset:372
	buffer_load_dword v102, off, s[0:3], 0 offset:368
	ds_read_b64 v[104:105], v100 offset:752
	s_waitcnt vmcnt(0) lgkmcnt(0)
	v_fmac_f64_e32 v[98:99], v[102:103], v[104:105]
	v_add_f64 v[96:97], v[96:97], -v[98:99]
	buffer_store_dword v97, off, s[0:3], 0 offset:140
	buffer_store_dword v96, off, s[0:3], 0 offset:136
	s_and_saveexec_b64 s[4:5], vcc
	s_cbranch_execz .LBB110_257
; %bb.256:
	buffer_load_dword v96, off, s[0:3], 0 offset:128
	buffer_load_dword v97, off, s[0:3], 0 offset:132
	s_waitcnt vmcnt(0)
	ds_write_b64 v1, v[96:97]
	buffer_store_dword v100, off, s[0:3], 0 offset:128
	buffer_store_dword v100, off, s[0:3], 0 offset:132
.LBB110_257:
	s_or_b64 exec, exec, s[4:5]
	s_waitcnt lgkmcnt(0)
	; wave barrier
	s_waitcnt lgkmcnt(0)
	buffer_load_dword v96, off, s[0:3], 0 offset:128
	buffer_load_dword v97, off, s[0:3], 0 offset:132
	;; [unrolled: 1-line block ×16, first 2 shown]
	ds_read2_b64 v[102:105], v100 offset0:65 offset1:66
	v_cmp_lt_u32_e32 vcc, 15, v0
	s_waitcnt vmcnt(12) lgkmcnt(0)
	v_fma_f64 v[98:99], v[98:99], v[102:103], 0
	s_waitcnt vmcnt(10)
	v_fmac_f64_e32 v[98:99], v[106:107], v[104:105]
	ds_read2_b64 v[102:105], v100 offset0:67 offset1:68
	s_waitcnt vmcnt(8) lgkmcnt(0)
	v_fmac_f64_e32 v[98:99], v[108:109], v[102:103]
	s_waitcnt vmcnt(6)
	v_fmac_f64_e32 v[98:99], v[110:111], v[104:105]
	ds_read2_b64 v[102:105], v100 offset0:69 offset1:70
	s_waitcnt vmcnt(4) lgkmcnt(0)
	v_fmac_f64_e32 v[98:99], v[112:113], v[102:103]
	;; [unrolled: 5-line block ×3, first 2 shown]
	buffer_load_dword v103, off, s[0:3], 0 offset:196
	buffer_load_dword v102, off, s[0:3], 0 offset:192
	buffer_load_dword v107, off, s[0:3], 0 offset:204
	buffer_load_dword v106, off, s[0:3], 0 offset:200
	s_waitcnt vmcnt(2)
	v_fmac_f64_e32 v[98:99], v[102:103], v[104:105]
	ds_read2_b64 v[102:105], v100 offset0:73 offset1:74
	s_waitcnt vmcnt(0) lgkmcnt(0)
	v_fmac_f64_e32 v[98:99], v[106:107], v[102:103]
	buffer_load_dword v103, off, s[0:3], 0 offset:212
	buffer_load_dword v102, off, s[0:3], 0 offset:208
	buffer_load_dword v107, off, s[0:3], 0 offset:220
	buffer_load_dword v106, off, s[0:3], 0 offset:216
	s_waitcnt vmcnt(2)
	v_fmac_f64_e32 v[98:99], v[102:103], v[104:105]
	ds_read2_b64 v[102:105], v100 offset0:75 offset1:76
	s_waitcnt vmcnt(0) lgkmcnt(0)
	v_fmac_f64_e32 v[98:99], v[106:107], v[102:103]
	;; [unrolled: 9-line block ×10, first 2 shown]
	buffer_load_dword v103, off, s[0:3], 0 offset:356
	buffer_load_dword v102, off, s[0:3], 0 offset:352
	s_waitcnt vmcnt(0)
	v_fmac_f64_e32 v[98:99], v[102:103], v[104:105]
	buffer_load_dword v105, off, s[0:3], 0 offset:364
	buffer_load_dword v104, off, s[0:3], 0 offset:360
	ds_read2_b64 v[100:103], v100 offset0:93 offset1:94
	s_waitcnt vmcnt(0) lgkmcnt(0)
	v_fmac_f64_e32 v[98:99], v[104:105], v[100:101]
	buffer_load_dword v101, off, s[0:3], 0 offset:372
	buffer_load_dword v100, off, s[0:3], 0 offset:368
	s_waitcnt vmcnt(0)
	v_fmac_f64_e32 v[98:99], v[100:101], v[102:103]
	v_add_f64 v[96:97], v[96:97], -v[98:99]
	buffer_store_dword v97, off, s[0:3], 0 offset:132
	buffer_store_dword v96, off, s[0:3], 0 offset:128
	s_and_saveexec_b64 s[4:5], vcc
	s_cbranch_execz .LBB110_259
; %bb.258:
	buffer_load_dword v96, off, s[0:3], 0 offset:120
	buffer_load_dword v97, off, s[0:3], 0 offset:124
	v_mov_b32_e32 v98, 0
	buffer_store_dword v98, off, s[0:3], 0 offset:120
	buffer_store_dword v98, off, s[0:3], 0 offset:124
	s_waitcnt vmcnt(2)
	ds_write_b64 v1, v[96:97]
.LBB110_259:
	s_or_b64 exec, exec, s[4:5]
	s_waitcnt lgkmcnt(0)
	; wave barrier
	s_waitcnt lgkmcnt(0)
	buffer_load_dword v96, off, s[0:3], 0 offset:120
	buffer_load_dword v97, off, s[0:3], 0 offset:124
	;; [unrolled: 1-line block ×16, first 2 shown]
	v_mov_b32_e32 v100, 0
	ds_read_b128 v[102:105], v100 offset:512
	ds_read_b128 v[106:109], v100 offset:528
	;; [unrolled: 1-line block ×4, first 2 shown]
	v_cmp_lt_u32_e32 vcc, 14, v0
	s_waitcnt vmcnt(12) lgkmcnt(3)
	v_fma_f64 v[98:99], v[98:99], v[102:103], 0
	buffer_load_dword v103, off, s[0:3], 0 offset:188
	buffer_load_dword v102, off, s[0:3], 0 offset:184
	s_waitcnt vmcnt(12)
	v_fmac_f64_e32 v[98:99], v[118:119], v[104:105]
	s_waitcnt vmcnt(10) lgkmcnt(2)
	v_fmac_f64_e32 v[98:99], v[120:121], v[106:107]
	buffer_load_dword v107, off, s[0:3], 0 offset:196
	buffer_load_dword v106, off, s[0:3], 0 offset:192
	s_waitcnt vmcnt(10)
	v_fmac_f64_e32 v[98:99], v[122:123], v[108:109]
	s_waitcnt vmcnt(8) lgkmcnt(1)
	v_fmac_f64_e32 v[98:99], v[124:125], v[110:111]
	s_waitcnt vmcnt(6)
	v_fmac_f64_e32 v[98:99], v[126:127], v[112:113]
	s_waitcnt vmcnt(4) lgkmcnt(0)
	v_fmac_f64_e32 v[98:99], v[128:129], v[114:115]
	s_waitcnt vmcnt(2)
	v_fmac_f64_e32 v[98:99], v[102:103], v[116:117]
	ds_read_b128 v[102:105], v100 offset:576
	s_waitcnt vmcnt(0) lgkmcnt(0)
	v_fmac_f64_e32 v[98:99], v[106:107], v[102:103]
	buffer_load_dword v103, off, s[0:3], 0 offset:204
	buffer_load_dword v102, off, s[0:3], 0 offset:200
	buffer_load_dword v107, off, s[0:3], 0 offset:212
	buffer_load_dword v106, off, s[0:3], 0 offset:208
	s_waitcnt vmcnt(2)
	v_fmac_f64_e32 v[98:99], v[102:103], v[104:105]
	ds_read_b128 v[102:105], v100 offset:592
	s_waitcnt vmcnt(0) lgkmcnt(0)
	v_fmac_f64_e32 v[98:99], v[106:107], v[102:103]
	buffer_load_dword v103, off, s[0:3], 0 offset:220
	buffer_load_dword v102, off, s[0:3], 0 offset:216
	buffer_load_dword v107, off, s[0:3], 0 offset:228
	buffer_load_dword v106, off, s[0:3], 0 offset:224
	;; [unrolled: 9-line block ×10, first 2 shown]
	s_waitcnt vmcnt(2)
	v_fmac_f64_e32 v[98:99], v[102:103], v[104:105]
	ds_read_b128 v[102:105], v100 offset:736
	s_waitcnt vmcnt(0) lgkmcnt(0)
	v_fmac_f64_e32 v[98:99], v[106:107], v[102:103]
	buffer_load_dword v103, off, s[0:3], 0 offset:364
	buffer_load_dword v102, off, s[0:3], 0 offset:360
	s_waitcnt vmcnt(0)
	v_fmac_f64_e32 v[98:99], v[102:103], v[104:105]
	buffer_load_dword v103, off, s[0:3], 0 offset:372
	buffer_load_dword v102, off, s[0:3], 0 offset:368
	ds_read_b64 v[104:105], v100 offset:752
	s_waitcnt vmcnt(0) lgkmcnt(0)
	v_fmac_f64_e32 v[98:99], v[102:103], v[104:105]
	v_add_f64 v[96:97], v[96:97], -v[98:99]
	buffer_store_dword v97, off, s[0:3], 0 offset:124
	buffer_store_dword v96, off, s[0:3], 0 offset:120
	s_and_saveexec_b64 s[4:5], vcc
	s_cbranch_execz .LBB110_261
; %bb.260:
	buffer_load_dword v96, off, s[0:3], 0 offset:112
	buffer_load_dword v97, off, s[0:3], 0 offset:116
	s_waitcnt vmcnt(0)
	ds_write_b64 v1, v[96:97]
	buffer_store_dword v100, off, s[0:3], 0 offset:112
	buffer_store_dword v100, off, s[0:3], 0 offset:116
.LBB110_261:
	s_or_b64 exec, exec, s[4:5]
	s_waitcnt lgkmcnt(0)
	; wave barrier
	s_waitcnt lgkmcnt(0)
	buffer_load_dword v96, off, s[0:3], 0 offset:112
	buffer_load_dword v97, off, s[0:3], 0 offset:116
	;; [unrolled: 1-line block ×16, first 2 shown]
	ds_read2_b64 v[102:105], v100 offset0:63 offset1:64
	v_cmp_lt_u32_e32 vcc, 13, v0
	s_waitcnt vmcnt(12) lgkmcnt(0)
	v_fma_f64 v[98:99], v[98:99], v[102:103], 0
	s_waitcnt vmcnt(10)
	v_fmac_f64_e32 v[98:99], v[106:107], v[104:105]
	ds_read2_b64 v[102:105], v100 offset0:65 offset1:66
	s_waitcnt vmcnt(8) lgkmcnt(0)
	v_fmac_f64_e32 v[98:99], v[108:109], v[102:103]
	s_waitcnt vmcnt(6)
	v_fmac_f64_e32 v[98:99], v[110:111], v[104:105]
	ds_read2_b64 v[102:105], v100 offset0:67 offset1:68
	s_waitcnt vmcnt(4) lgkmcnt(0)
	v_fmac_f64_e32 v[98:99], v[112:113], v[102:103]
	;; [unrolled: 5-line block ×3, first 2 shown]
	buffer_load_dword v103, off, s[0:3], 0 offset:180
	buffer_load_dword v102, off, s[0:3], 0 offset:176
	buffer_load_dword v107, off, s[0:3], 0 offset:188
	buffer_load_dword v106, off, s[0:3], 0 offset:184
	s_waitcnt vmcnt(2)
	v_fmac_f64_e32 v[98:99], v[102:103], v[104:105]
	ds_read2_b64 v[102:105], v100 offset0:71 offset1:72
	s_waitcnt vmcnt(0) lgkmcnt(0)
	v_fmac_f64_e32 v[98:99], v[106:107], v[102:103]
	buffer_load_dword v103, off, s[0:3], 0 offset:196
	buffer_load_dword v102, off, s[0:3], 0 offset:192
	buffer_load_dword v107, off, s[0:3], 0 offset:204
	buffer_load_dword v106, off, s[0:3], 0 offset:200
	s_waitcnt vmcnt(2)
	v_fmac_f64_e32 v[98:99], v[102:103], v[104:105]
	ds_read2_b64 v[102:105], v100 offset0:73 offset1:74
	s_waitcnt vmcnt(0) lgkmcnt(0)
	v_fmac_f64_e32 v[98:99], v[106:107], v[102:103]
	buffer_load_dword v103, off, s[0:3], 0 offset:212
	buffer_load_dword v102, off, s[0:3], 0 offset:208
	buffer_load_dword v107, off, s[0:3], 0 offset:220
	buffer_load_dword v106, off, s[0:3], 0 offset:216
	s_waitcnt vmcnt(2)
	v_fmac_f64_e32 v[98:99], v[102:103], v[104:105]
	ds_read2_b64 v[102:105], v100 offset0:75 offset1:76
	s_waitcnt vmcnt(0) lgkmcnt(0)
	v_fmac_f64_e32 v[98:99], v[106:107], v[102:103]
	buffer_load_dword v103, off, s[0:3], 0 offset:228
	buffer_load_dword v102, off, s[0:3], 0 offset:224
	buffer_load_dword v107, off, s[0:3], 0 offset:236
	buffer_load_dword v106, off, s[0:3], 0 offset:232
	s_waitcnt vmcnt(2)
	v_fmac_f64_e32 v[98:99], v[102:103], v[104:105]
	ds_read2_b64 v[102:105], v100 offset0:77 offset1:78
	s_waitcnt vmcnt(0) lgkmcnt(0)
	v_fmac_f64_e32 v[98:99], v[106:107], v[102:103]
	buffer_load_dword v103, off, s[0:3], 0 offset:244
	buffer_load_dword v102, off, s[0:3], 0 offset:240
	buffer_load_dword v107, off, s[0:3], 0 offset:252
	buffer_load_dword v106, off, s[0:3], 0 offset:248
	s_waitcnt vmcnt(2)
	v_fmac_f64_e32 v[98:99], v[102:103], v[104:105]
	ds_read2_b64 v[102:105], v100 offset0:79 offset1:80
	s_waitcnt vmcnt(0) lgkmcnt(0)
	v_fmac_f64_e32 v[98:99], v[106:107], v[102:103]
	buffer_load_dword v103, off, s[0:3], 0 offset:260
	buffer_load_dword v102, off, s[0:3], 0 offset:256
	buffer_load_dword v107, off, s[0:3], 0 offset:268
	buffer_load_dword v106, off, s[0:3], 0 offset:264
	s_waitcnt vmcnt(2)
	v_fmac_f64_e32 v[98:99], v[102:103], v[104:105]
	ds_read2_b64 v[102:105], v100 offset0:81 offset1:82
	s_waitcnt vmcnt(0) lgkmcnt(0)
	v_fmac_f64_e32 v[98:99], v[106:107], v[102:103]
	buffer_load_dword v103, off, s[0:3], 0 offset:276
	buffer_load_dword v102, off, s[0:3], 0 offset:272
	buffer_load_dword v107, off, s[0:3], 0 offset:284
	buffer_load_dword v106, off, s[0:3], 0 offset:280
	s_waitcnt vmcnt(2)
	v_fmac_f64_e32 v[98:99], v[102:103], v[104:105]
	ds_read2_b64 v[102:105], v100 offset0:83 offset1:84
	s_waitcnt vmcnt(0) lgkmcnt(0)
	v_fmac_f64_e32 v[98:99], v[106:107], v[102:103]
	buffer_load_dword v103, off, s[0:3], 0 offset:292
	buffer_load_dword v102, off, s[0:3], 0 offset:288
	buffer_load_dword v107, off, s[0:3], 0 offset:300
	buffer_load_dword v106, off, s[0:3], 0 offset:296
	s_waitcnt vmcnt(2)
	v_fmac_f64_e32 v[98:99], v[102:103], v[104:105]
	ds_read2_b64 v[102:105], v100 offset0:85 offset1:86
	s_waitcnt vmcnt(0) lgkmcnt(0)
	v_fmac_f64_e32 v[98:99], v[106:107], v[102:103]
	buffer_load_dword v103, off, s[0:3], 0 offset:308
	buffer_load_dword v102, off, s[0:3], 0 offset:304
	buffer_load_dword v107, off, s[0:3], 0 offset:316
	buffer_load_dword v106, off, s[0:3], 0 offset:312
	s_waitcnt vmcnt(2)
	v_fmac_f64_e32 v[98:99], v[102:103], v[104:105]
	ds_read2_b64 v[102:105], v100 offset0:87 offset1:88
	s_waitcnt vmcnt(0) lgkmcnt(0)
	v_fmac_f64_e32 v[98:99], v[106:107], v[102:103]
	buffer_load_dword v103, off, s[0:3], 0 offset:324
	buffer_load_dword v102, off, s[0:3], 0 offset:320
	buffer_load_dword v107, off, s[0:3], 0 offset:332
	buffer_load_dword v106, off, s[0:3], 0 offset:328
	s_waitcnt vmcnt(2)
	v_fmac_f64_e32 v[98:99], v[102:103], v[104:105]
	ds_read2_b64 v[102:105], v100 offset0:89 offset1:90
	s_waitcnt vmcnt(0) lgkmcnt(0)
	v_fmac_f64_e32 v[98:99], v[106:107], v[102:103]
	buffer_load_dword v103, off, s[0:3], 0 offset:340
	buffer_load_dword v102, off, s[0:3], 0 offset:336
	buffer_load_dword v107, off, s[0:3], 0 offset:348
	buffer_load_dword v106, off, s[0:3], 0 offset:344
	s_waitcnt vmcnt(2)
	v_fmac_f64_e32 v[98:99], v[102:103], v[104:105]
	ds_read2_b64 v[102:105], v100 offset0:91 offset1:92
	s_waitcnt vmcnt(0) lgkmcnt(0)
	v_fmac_f64_e32 v[98:99], v[106:107], v[102:103]
	buffer_load_dword v103, off, s[0:3], 0 offset:356
	buffer_load_dword v102, off, s[0:3], 0 offset:352
	s_waitcnt vmcnt(0)
	v_fmac_f64_e32 v[98:99], v[102:103], v[104:105]
	buffer_load_dword v105, off, s[0:3], 0 offset:364
	buffer_load_dword v104, off, s[0:3], 0 offset:360
	ds_read2_b64 v[100:103], v100 offset0:93 offset1:94
	s_waitcnt vmcnt(0) lgkmcnt(0)
	v_fmac_f64_e32 v[98:99], v[104:105], v[100:101]
	buffer_load_dword v101, off, s[0:3], 0 offset:372
	buffer_load_dword v100, off, s[0:3], 0 offset:368
	s_waitcnt vmcnt(0)
	v_fmac_f64_e32 v[98:99], v[100:101], v[102:103]
	v_add_f64 v[96:97], v[96:97], -v[98:99]
	buffer_store_dword v97, off, s[0:3], 0 offset:116
	buffer_store_dword v96, off, s[0:3], 0 offset:112
	s_and_saveexec_b64 s[4:5], vcc
	s_cbranch_execz .LBB110_263
; %bb.262:
	buffer_load_dword v96, off, s[0:3], 0 offset:104
	buffer_load_dword v97, off, s[0:3], 0 offset:108
	v_mov_b32_e32 v98, 0
	buffer_store_dword v98, off, s[0:3], 0 offset:104
	buffer_store_dword v98, off, s[0:3], 0 offset:108
	s_waitcnt vmcnt(2)
	ds_write_b64 v1, v[96:97]
.LBB110_263:
	s_or_b64 exec, exec, s[4:5]
	s_waitcnt lgkmcnt(0)
	; wave barrier
	s_waitcnt lgkmcnt(0)
	buffer_load_dword v96, off, s[0:3], 0 offset:104
	buffer_load_dword v97, off, s[0:3], 0 offset:108
	;; [unrolled: 1-line block ×16, first 2 shown]
	v_mov_b32_e32 v100, 0
	ds_read_b128 v[102:105], v100 offset:496
	ds_read_b128 v[106:109], v100 offset:512
	;; [unrolled: 1-line block ×4, first 2 shown]
	v_cmp_lt_u32_e32 vcc, 12, v0
	s_waitcnt vmcnt(12) lgkmcnt(3)
	v_fma_f64 v[98:99], v[98:99], v[102:103], 0
	buffer_load_dword v103, off, s[0:3], 0 offset:172
	buffer_load_dword v102, off, s[0:3], 0 offset:168
	s_waitcnt vmcnt(12)
	v_fmac_f64_e32 v[98:99], v[118:119], v[104:105]
	s_waitcnt vmcnt(10) lgkmcnt(2)
	v_fmac_f64_e32 v[98:99], v[120:121], v[106:107]
	buffer_load_dword v107, off, s[0:3], 0 offset:180
	buffer_load_dword v106, off, s[0:3], 0 offset:176
	s_waitcnt vmcnt(10)
	v_fmac_f64_e32 v[98:99], v[122:123], v[108:109]
	s_waitcnt vmcnt(8) lgkmcnt(1)
	v_fmac_f64_e32 v[98:99], v[124:125], v[110:111]
	s_waitcnt vmcnt(6)
	v_fmac_f64_e32 v[98:99], v[126:127], v[112:113]
	s_waitcnt vmcnt(4) lgkmcnt(0)
	v_fmac_f64_e32 v[98:99], v[128:129], v[114:115]
	s_waitcnt vmcnt(2)
	v_fmac_f64_e32 v[98:99], v[102:103], v[116:117]
	ds_read_b128 v[102:105], v100 offset:560
	s_waitcnt vmcnt(0) lgkmcnt(0)
	v_fmac_f64_e32 v[98:99], v[106:107], v[102:103]
	buffer_load_dword v103, off, s[0:3], 0 offset:188
	buffer_load_dword v102, off, s[0:3], 0 offset:184
	buffer_load_dword v107, off, s[0:3], 0 offset:196
	buffer_load_dword v106, off, s[0:3], 0 offset:192
	s_waitcnt vmcnt(2)
	v_fmac_f64_e32 v[98:99], v[102:103], v[104:105]
	ds_read_b128 v[102:105], v100 offset:576
	s_waitcnt vmcnt(0) lgkmcnt(0)
	v_fmac_f64_e32 v[98:99], v[106:107], v[102:103]
	buffer_load_dword v103, off, s[0:3], 0 offset:204
	buffer_load_dword v102, off, s[0:3], 0 offset:200
	buffer_load_dword v107, off, s[0:3], 0 offset:212
	buffer_load_dword v106, off, s[0:3], 0 offset:208
	;; [unrolled: 9-line block ×11, first 2 shown]
	s_waitcnt vmcnt(2)
	v_fmac_f64_e32 v[98:99], v[102:103], v[104:105]
	ds_read_b128 v[102:105], v100 offset:736
	s_waitcnt vmcnt(0) lgkmcnt(0)
	v_fmac_f64_e32 v[98:99], v[106:107], v[102:103]
	buffer_load_dword v103, off, s[0:3], 0 offset:364
	buffer_load_dword v102, off, s[0:3], 0 offset:360
	s_waitcnt vmcnt(0)
	v_fmac_f64_e32 v[98:99], v[102:103], v[104:105]
	buffer_load_dword v103, off, s[0:3], 0 offset:372
	buffer_load_dword v102, off, s[0:3], 0 offset:368
	ds_read_b64 v[104:105], v100 offset:752
	s_waitcnt vmcnt(0) lgkmcnt(0)
	v_fmac_f64_e32 v[98:99], v[102:103], v[104:105]
	v_add_f64 v[96:97], v[96:97], -v[98:99]
	buffer_store_dword v97, off, s[0:3], 0 offset:108
	buffer_store_dword v96, off, s[0:3], 0 offset:104
	s_and_saveexec_b64 s[4:5], vcc
	s_cbranch_execz .LBB110_265
; %bb.264:
	buffer_load_dword v96, off, s[0:3], 0 offset:96
	buffer_load_dword v97, off, s[0:3], 0 offset:100
	s_waitcnt vmcnt(0)
	ds_write_b64 v1, v[96:97]
	buffer_store_dword v100, off, s[0:3], 0 offset:96
	buffer_store_dword v100, off, s[0:3], 0 offset:100
.LBB110_265:
	s_or_b64 exec, exec, s[4:5]
	s_waitcnt lgkmcnt(0)
	; wave barrier
	s_waitcnt lgkmcnt(0)
	buffer_load_dword v96, off, s[0:3], 0 offset:96
	buffer_load_dword v97, off, s[0:3], 0 offset:100
	;; [unrolled: 1-line block ×16, first 2 shown]
	ds_read2_b64 v[102:105], v100 offset0:61 offset1:62
	v_cmp_lt_u32_e32 vcc, 11, v0
	s_waitcnt vmcnt(12) lgkmcnt(0)
	v_fma_f64 v[98:99], v[98:99], v[102:103], 0
	s_waitcnt vmcnt(10)
	v_fmac_f64_e32 v[98:99], v[106:107], v[104:105]
	ds_read2_b64 v[102:105], v100 offset0:63 offset1:64
	s_waitcnt vmcnt(8) lgkmcnt(0)
	v_fmac_f64_e32 v[98:99], v[108:109], v[102:103]
	s_waitcnt vmcnt(6)
	v_fmac_f64_e32 v[98:99], v[110:111], v[104:105]
	ds_read2_b64 v[102:105], v100 offset0:65 offset1:66
	s_waitcnt vmcnt(4) lgkmcnt(0)
	v_fmac_f64_e32 v[98:99], v[112:113], v[102:103]
	;; [unrolled: 5-line block ×3, first 2 shown]
	buffer_load_dword v103, off, s[0:3], 0 offset:164
	buffer_load_dword v102, off, s[0:3], 0 offset:160
	buffer_load_dword v107, off, s[0:3], 0 offset:172
	buffer_load_dword v106, off, s[0:3], 0 offset:168
	s_waitcnt vmcnt(2)
	v_fmac_f64_e32 v[98:99], v[102:103], v[104:105]
	ds_read2_b64 v[102:105], v100 offset0:69 offset1:70
	s_waitcnt vmcnt(0) lgkmcnt(0)
	v_fmac_f64_e32 v[98:99], v[106:107], v[102:103]
	buffer_load_dword v103, off, s[0:3], 0 offset:180
	buffer_load_dword v102, off, s[0:3], 0 offset:176
	buffer_load_dword v107, off, s[0:3], 0 offset:188
	buffer_load_dword v106, off, s[0:3], 0 offset:184
	s_waitcnt vmcnt(2)
	v_fmac_f64_e32 v[98:99], v[102:103], v[104:105]
	ds_read2_b64 v[102:105], v100 offset0:71 offset1:72
	s_waitcnt vmcnt(0) lgkmcnt(0)
	v_fmac_f64_e32 v[98:99], v[106:107], v[102:103]
	;; [unrolled: 9-line block ×12, first 2 shown]
	buffer_load_dword v103, off, s[0:3], 0 offset:356
	buffer_load_dword v102, off, s[0:3], 0 offset:352
	s_waitcnt vmcnt(0)
	v_fmac_f64_e32 v[98:99], v[102:103], v[104:105]
	buffer_load_dword v105, off, s[0:3], 0 offset:364
	buffer_load_dword v104, off, s[0:3], 0 offset:360
	ds_read2_b64 v[100:103], v100 offset0:93 offset1:94
	s_waitcnt vmcnt(0) lgkmcnt(0)
	v_fmac_f64_e32 v[98:99], v[104:105], v[100:101]
	buffer_load_dword v101, off, s[0:3], 0 offset:372
	buffer_load_dword v100, off, s[0:3], 0 offset:368
	s_waitcnt vmcnt(0)
	v_fmac_f64_e32 v[98:99], v[100:101], v[102:103]
	v_add_f64 v[96:97], v[96:97], -v[98:99]
	buffer_store_dword v97, off, s[0:3], 0 offset:100
	buffer_store_dword v96, off, s[0:3], 0 offset:96
	s_and_saveexec_b64 s[4:5], vcc
	s_cbranch_execz .LBB110_267
; %bb.266:
	buffer_load_dword v96, off, s[0:3], 0 offset:88
	buffer_load_dword v97, off, s[0:3], 0 offset:92
	v_mov_b32_e32 v98, 0
	buffer_store_dword v98, off, s[0:3], 0 offset:88
	buffer_store_dword v98, off, s[0:3], 0 offset:92
	s_waitcnt vmcnt(2)
	ds_write_b64 v1, v[96:97]
.LBB110_267:
	s_or_b64 exec, exec, s[4:5]
	s_waitcnt lgkmcnt(0)
	; wave barrier
	s_waitcnt lgkmcnt(0)
	buffer_load_dword v96, off, s[0:3], 0 offset:88
	buffer_load_dword v97, off, s[0:3], 0 offset:92
	;; [unrolled: 1-line block ×16, first 2 shown]
	v_mov_b32_e32 v100, 0
	ds_read_b128 v[102:105], v100 offset:480
	ds_read_b128 v[106:109], v100 offset:496
	;; [unrolled: 1-line block ×4, first 2 shown]
	v_cmp_lt_u32_e32 vcc, 10, v0
	s_waitcnt vmcnt(12) lgkmcnt(3)
	v_fma_f64 v[98:99], v[98:99], v[102:103], 0
	buffer_load_dword v103, off, s[0:3], 0 offset:156
	buffer_load_dword v102, off, s[0:3], 0 offset:152
	s_waitcnt vmcnt(12)
	v_fmac_f64_e32 v[98:99], v[118:119], v[104:105]
	s_waitcnt vmcnt(10) lgkmcnt(2)
	v_fmac_f64_e32 v[98:99], v[120:121], v[106:107]
	buffer_load_dword v107, off, s[0:3], 0 offset:164
	buffer_load_dword v106, off, s[0:3], 0 offset:160
	s_waitcnt vmcnt(10)
	v_fmac_f64_e32 v[98:99], v[122:123], v[108:109]
	s_waitcnt vmcnt(8) lgkmcnt(1)
	v_fmac_f64_e32 v[98:99], v[124:125], v[110:111]
	s_waitcnt vmcnt(6)
	v_fmac_f64_e32 v[98:99], v[126:127], v[112:113]
	s_waitcnt vmcnt(4) lgkmcnt(0)
	v_fmac_f64_e32 v[98:99], v[128:129], v[114:115]
	s_waitcnt vmcnt(2)
	v_fmac_f64_e32 v[98:99], v[102:103], v[116:117]
	ds_read_b128 v[102:105], v100 offset:544
	s_waitcnt vmcnt(0) lgkmcnt(0)
	v_fmac_f64_e32 v[98:99], v[106:107], v[102:103]
	buffer_load_dword v103, off, s[0:3], 0 offset:172
	buffer_load_dword v102, off, s[0:3], 0 offset:168
	buffer_load_dword v107, off, s[0:3], 0 offset:180
	buffer_load_dword v106, off, s[0:3], 0 offset:176
	s_waitcnt vmcnt(2)
	v_fmac_f64_e32 v[98:99], v[102:103], v[104:105]
	ds_read_b128 v[102:105], v100 offset:560
	s_waitcnt vmcnt(0) lgkmcnt(0)
	v_fmac_f64_e32 v[98:99], v[106:107], v[102:103]
	buffer_load_dword v103, off, s[0:3], 0 offset:188
	buffer_load_dword v102, off, s[0:3], 0 offset:184
	buffer_load_dword v107, off, s[0:3], 0 offset:196
	buffer_load_dword v106, off, s[0:3], 0 offset:192
	;; [unrolled: 9-line block ×12, first 2 shown]
	s_waitcnt vmcnt(2)
	v_fmac_f64_e32 v[98:99], v[102:103], v[104:105]
	ds_read_b128 v[102:105], v100 offset:736
	s_waitcnt vmcnt(0) lgkmcnt(0)
	v_fmac_f64_e32 v[98:99], v[106:107], v[102:103]
	buffer_load_dword v103, off, s[0:3], 0 offset:364
	buffer_load_dword v102, off, s[0:3], 0 offset:360
	s_waitcnt vmcnt(0)
	v_fmac_f64_e32 v[98:99], v[102:103], v[104:105]
	buffer_load_dword v103, off, s[0:3], 0 offset:372
	buffer_load_dword v102, off, s[0:3], 0 offset:368
	ds_read_b64 v[104:105], v100 offset:752
	s_waitcnt vmcnt(0) lgkmcnt(0)
	v_fmac_f64_e32 v[98:99], v[102:103], v[104:105]
	v_add_f64 v[96:97], v[96:97], -v[98:99]
	buffer_store_dword v97, off, s[0:3], 0 offset:92
	buffer_store_dword v96, off, s[0:3], 0 offset:88
	s_and_saveexec_b64 s[4:5], vcc
	s_cbranch_execz .LBB110_269
; %bb.268:
	buffer_load_dword v96, off, s[0:3], 0 offset:80
	buffer_load_dword v97, off, s[0:3], 0 offset:84
	s_waitcnt vmcnt(0)
	ds_write_b64 v1, v[96:97]
	buffer_store_dword v100, off, s[0:3], 0 offset:80
	buffer_store_dword v100, off, s[0:3], 0 offset:84
.LBB110_269:
	s_or_b64 exec, exec, s[4:5]
	s_waitcnt lgkmcnt(0)
	; wave barrier
	s_waitcnt lgkmcnt(0)
	buffer_load_dword v96, off, s[0:3], 0 offset:80
	buffer_load_dword v97, off, s[0:3], 0 offset:84
	;; [unrolled: 1-line block ×16, first 2 shown]
	ds_read2_b64 v[102:105], v100 offset0:59 offset1:60
	v_cmp_lt_u32_e32 vcc, 9, v0
	s_waitcnt vmcnt(12) lgkmcnt(0)
	v_fma_f64 v[98:99], v[98:99], v[102:103], 0
	s_waitcnt vmcnt(10)
	v_fmac_f64_e32 v[98:99], v[106:107], v[104:105]
	ds_read2_b64 v[102:105], v100 offset0:61 offset1:62
	s_waitcnt vmcnt(8) lgkmcnt(0)
	v_fmac_f64_e32 v[98:99], v[108:109], v[102:103]
	s_waitcnt vmcnt(6)
	v_fmac_f64_e32 v[98:99], v[110:111], v[104:105]
	ds_read2_b64 v[102:105], v100 offset0:63 offset1:64
	s_waitcnt vmcnt(4) lgkmcnt(0)
	v_fmac_f64_e32 v[98:99], v[112:113], v[102:103]
	;; [unrolled: 5-line block ×3, first 2 shown]
	buffer_load_dword v103, off, s[0:3], 0 offset:148
	buffer_load_dword v102, off, s[0:3], 0 offset:144
	buffer_load_dword v107, off, s[0:3], 0 offset:156
	buffer_load_dword v106, off, s[0:3], 0 offset:152
	s_waitcnt vmcnt(2)
	v_fmac_f64_e32 v[98:99], v[102:103], v[104:105]
	ds_read2_b64 v[102:105], v100 offset0:67 offset1:68
	s_waitcnt vmcnt(0) lgkmcnt(0)
	v_fmac_f64_e32 v[98:99], v[106:107], v[102:103]
	buffer_load_dword v103, off, s[0:3], 0 offset:164
	buffer_load_dword v102, off, s[0:3], 0 offset:160
	buffer_load_dword v107, off, s[0:3], 0 offset:172
	buffer_load_dword v106, off, s[0:3], 0 offset:168
	s_waitcnt vmcnt(2)
	v_fmac_f64_e32 v[98:99], v[102:103], v[104:105]
	ds_read2_b64 v[102:105], v100 offset0:69 offset1:70
	s_waitcnt vmcnt(0) lgkmcnt(0)
	v_fmac_f64_e32 v[98:99], v[106:107], v[102:103]
	;; [unrolled: 9-line block ×13, first 2 shown]
	buffer_load_dword v103, off, s[0:3], 0 offset:356
	buffer_load_dword v102, off, s[0:3], 0 offset:352
	s_waitcnt vmcnt(0)
	v_fmac_f64_e32 v[98:99], v[102:103], v[104:105]
	buffer_load_dword v105, off, s[0:3], 0 offset:364
	buffer_load_dword v104, off, s[0:3], 0 offset:360
	ds_read2_b64 v[100:103], v100 offset0:93 offset1:94
	s_waitcnt vmcnt(0) lgkmcnt(0)
	v_fmac_f64_e32 v[98:99], v[104:105], v[100:101]
	buffer_load_dword v101, off, s[0:3], 0 offset:372
	buffer_load_dword v100, off, s[0:3], 0 offset:368
	s_waitcnt vmcnt(0)
	v_fmac_f64_e32 v[98:99], v[100:101], v[102:103]
	v_add_f64 v[96:97], v[96:97], -v[98:99]
	buffer_store_dword v97, off, s[0:3], 0 offset:84
	buffer_store_dword v96, off, s[0:3], 0 offset:80
	s_and_saveexec_b64 s[4:5], vcc
	s_cbranch_execz .LBB110_271
; %bb.270:
	buffer_load_dword v96, off, s[0:3], 0 offset:72
	buffer_load_dword v97, off, s[0:3], 0 offset:76
	v_mov_b32_e32 v98, 0
	buffer_store_dword v98, off, s[0:3], 0 offset:72
	buffer_store_dword v98, off, s[0:3], 0 offset:76
	s_waitcnt vmcnt(2)
	ds_write_b64 v1, v[96:97]
.LBB110_271:
	s_or_b64 exec, exec, s[4:5]
	s_waitcnt lgkmcnt(0)
	; wave barrier
	s_waitcnt lgkmcnt(0)
	buffer_load_dword v96, off, s[0:3], 0 offset:72
	buffer_load_dword v97, off, s[0:3], 0 offset:76
	;; [unrolled: 1-line block ×16, first 2 shown]
	v_mov_b32_e32 v100, 0
	ds_read_b128 v[102:105], v100 offset:464
	ds_read_b128 v[106:109], v100 offset:480
	;; [unrolled: 1-line block ×4, first 2 shown]
	v_cmp_lt_u32_e32 vcc, 8, v0
	s_waitcnt vmcnt(12) lgkmcnt(3)
	v_fma_f64 v[98:99], v[98:99], v[102:103], 0
	buffer_load_dword v103, off, s[0:3], 0 offset:140
	buffer_load_dword v102, off, s[0:3], 0 offset:136
	s_waitcnt vmcnt(12)
	v_fmac_f64_e32 v[98:99], v[118:119], v[104:105]
	s_waitcnt vmcnt(10) lgkmcnt(2)
	v_fmac_f64_e32 v[98:99], v[120:121], v[106:107]
	buffer_load_dword v107, off, s[0:3], 0 offset:148
	buffer_load_dword v106, off, s[0:3], 0 offset:144
	s_waitcnt vmcnt(10)
	v_fmac_f64_e32 v[98:99], v[122:123], v[108:109]
	s_waitcnt vmcnt(8) lgkmcnt(1)
	v_fmac_f64_e32 v[98:99], v[124:125], v[110:111]
	s_waitcnt vmcnt(6)
	v_fmac_f64_e32 v[98:99], v[126:127], v[112:113]
	s_waitcnt vmcnt(4) lgkmcnt(0)
	v_fmac_f64_e32 v[98:99], v[128:129], v[114:115]
	s_waitcnt vmcnt(2)
	v_fmac_f64_e32 v[98:99], v[102:103], v[116:117]
	ds_read_b128 v[102:105], v100 offset:528
	s_waitcnt vmcnt(0) lgkmcnt(0)
	v_fmac_f64_e32 v[98:99], v[106:107], v[102:103]
	buffer_load_dword v103, off, s[0:3], 0 offset:156
	buffer_load_dword v102, off, s[0:3], 0 offset:152
	buffer_load_dword v107, off, s[0:3], 0 offset:164
	buffer_load_dword v106, off, s[0:3], 0 offset:160
	s_waitcnt vmcnt(2)
	v_fmac_f64_e32 v[98:99], v[102:103], v[104:105]
	ds_read_b128 v[102:105], v100 offset:544
	s_waitcnt vmcnt(0) lgkmcnt(0)
	v_fmac_f64_e32 v[98:99], v[106:107], v[102:103]
	buffer_load_dword v103, off, s[0:3], 0 offset:172
	buffer_load_dword v102, off, s[0:3], 0 offset:168
	buffer_load_dword v107, off, s[0:3], 0 offset:180
	buffer_load_dword v106, off, s[0:3], 0 offset:176
	;; [unrolled: 9-line block ×13, first 2 shown]
	s_waitcnt vmcnt(2)
	v_fmac_f64_e32 v[98:99], v[102:103], v[104:105]
	ds_read_b128 v[102:105], v100 offset:736
	s_waitcnt vmcnt(0) lgkmcnt(0)
	v_fmac_f64_e32 v[98:99], v[106:107], v[102:103]
	buffer_load_dword v103, off, s[0:3], 0 offset:364
	buffer_load_dword v102, off, s[0:3], 0 offset:360
	s_waitcnt vmcnt(0)
	v_fmac_f64_e32 v[98:99], v[102:103], v[104:105]
	buffer_load_dword v103, off, s[0:3], 0 offset:372
	buffer_load_dword v102, off, s[0:3], 0 offset:368
	ds_read_b64 v[104:105], v100 offset:752
	s_waitcnt vmcnt(0) lgkmcnt(0)
	v_fmac_f64_e32 v[98:99], v[102:103], v[104:105]
	v_add_f64 v[96:97], v[96:97], -v[98:99]
	buffer_store_dword v97, off, s[0:3], 0 offset:76
	buffer_store_dword v96, off, s[0:3], 0 offset:72
	s_and_saveexec_b64 s[4:5], vcc
	s_cbranch_execz .LBB110_273
; %bb.272:
	buffer_load_dword v96, off, s[0:3], 0 offset:64
	buffer_load_dword v97, off, s[0:3], 0 offset:68
	s_waitcnt vmcnt(0)
	ds_write_b64 v1, v[96:97]
	buffer_store_dword v100, off, s[0:3], 0 offset:64
	buffer_store_dword v100, off, s[0:3], 0 offset:68
.LBB110_273:
	s_or_b64 exec, exec, s[4:5]
	s_waitcnt lgkmcnt(0)
	; wave barrier
	s_waitcnt lgkmcnt(0)
	buffer_load_dword v96, off, s[0:3], 0 offset:64
	buffer_load_dword v97, off, s[0:3], 0 offset:68
	;; [unrolled: 1-line block ×16, first 2 shown]
	ds_read2_b64 v[102:105], v100 offset0:57 offset1:58
	v_cmp_lt_u32_e32 vcc, 7, v0
	s_waitcnt vmcnt(12) lgkmcnt(0)
	v_fma_f64 v[98:99], v[98:99], v[102:103], 0
	s_waitcnt vmcnt(10)
	v_fmac_f64_e32 v[98:99], v[106:107], v[104:105]
	ds_read2_b64 v[102:105], v100 offset0:59 offset1:60
	s_waitcnt vmcnt(8) lgkmcnt(0)
	v_fmac_f64_e32 v[98:99], v[108:109], v[102:103]
	s_waitcnt vmcnt(6)
	v_fmac_f64_e32 v[98:99], v[110:111], v[104:105]
	ds_read2_b64 v[102:105], v100 offset0:61 offset1:62
	s_waitcnt vmcnt(4) lgkmcnt(0)
	v_fmac_f64_e32 v[98:99], v[112:113], v[102:103]
	;; [unrolled: 5-line block ×3, first 2 shown]
	buffer_load_dword v103, off, s[0:3], 0 offset:132
	buffer_load_dword v102, off, s[0:3], 0 offset:128
	buffer_load_dword v107, off, s[0:3], 0 offset:140
	buffer_load_dword v106, off, s[0:3], 0 offset:136
	s_waitcnt vmcnt(2)
	v_fmac_f64_e32 v[98:99], v[102:103], v[104:105]
	ds_read2_b64 v[102:105], v100 offset0:65 offset1:66
	s_waitcnt vmcnt(0) lgkmcnt(0)
	v_fmac_f64_e32 v[98:99], v[106:107], v[102:103]
	buffer_load_dword v103, off, s[0:3], 0 offset:148
	buffer_load_dword v102, off, s[0:3], 0 offset:144
	buffer_load_dword v107, off, s[0:3], 0 offset:156
	buffer_load_dword v106, off, s[0:3], 0 offset:152
	s_waitcnt vmcnt(2)
	v_fmac_f64_e32 v[98:99], v[102:103], v[104:105]
	ds_read2_b64 v[102:105], v100 offset0:67 offset1:68
	s_waitcnt vmcnt(0) lgkmcnt(0)
	v_fmac_f64_e32 v[98:99], v[106:107], v[102:103]
	;; [unrolled: 9-line block ×14, first 2 shown]
	buffer_load_dword v103, off, s[0:3], 0 offset:356
	buffer_load_dword v102, off, s[0:3], 0 offset:352
	s_waitcnt vmcnt(0)
	v_fmac_f64_e32 v[98:99], v[102:103], v[104:105]
	buffer_load_dword v105, off, s[0:3], 0 offset:364
	buffer_load_dword v104, off, s[0:3], 0 offset:360
	ds_read2_b64 v[100:103], v100 offset0:93 offset1:94
	s_waitcnt vmcnt(0) lgkmcnt(0)
	v_fmac_f64_e32 v[98:99], v[104:105], v[100:101]
	buffer_load_dword v101, off, s[0:3], 0 offset:372
	buffer_load_dword v100, off, s[0:3], 0 offset:368
	s_waitcnt vmcnt(0)
	v_fmac_f64_e32 v[98:99], v[100:101], v[102:103]
	v_add_f64 v[96:97], v[96:97], -v[98:99]
	buffer_store_dword v97, off, s[0:3], 0 offset:68
	buffer_store_dword v96, off, s[0:3], 0 offset:64
	s_and_saveexec_b64 s[4:5], vcc
	s_cbranch_execz .LBB110_275
; %bb.274:
	buffer_load_dword v96, off, s[0:3], 0 offset:56
	buffer_load_dword v97, off, s[0:3], 0 offset:60
	v_mov_b32_e32 v98, 0
	buffer_store_dword v98, off, s[0:3], 0 offset:56
	buffer_store_dword v98, off, s[0:3], 0 offset:60
	s_waitcnt vmcnt(2)
	ds_write_b64 v1, v[96:97]
.LBB110_275:
	s_or_b64 exec, exec, s[4:5]
	s_waitcnt lgkmcnt(0)
	; wave barrier
	s_waitcnt lgkmcnt(0)
	buffer_load_dword v96, off, s[0:3], 0 offset:56
	buffer_load_dword v97, off, s[0:3], 0 offset:60
	;; [unrolled: 1-line block ×16, first 2 shown]
	v_mov_b32_e32 v100, 0
	ds_read_b128 v[102:105], v100 offset:448
	ds_read_b128 v[106:109], v100 offset:464
	;; [unrolled: 1-line block ×4, first 2 shown]
	v_cmp_lt_u32_e32 vcc, 6, v0
	s_waitcnt vmcnt(12) lgkmcnt(3)
	v_fma_f64 v[98:99], v[98:99], v[102:103], 0
	buffer_load_dword v103, off, s[0:3], 0 offset:124
	buffer_load_dword v102, off, s[0:3], 0 offset:120
	s_waitcnt vmcnt(12)
	v_fmac_f64_e32 v[98:99], v[118:119], v[104:105]
	s_waitcnt vmcnt(10) lgkmcnt(2)
	v_fmac_f64_e32 v[98:99], v[120:121], v[106:107]
	buffer_load_dword v107, off, s[0:3], 0 offset:132
	buffer_load_dword v106, off, s[0:3], 0 offset:128
	s_waitcnt vmcnt(10)
	v_fmac_f64_e32 v[98:99], v[122:123], v[108:109]
	s_waitcnt vmcnt(8) lgkmcnt(1)
	v_fmac_f64_e32 v[98:99], v[124:125], v[110:111]
	s_waitcnt vmcnt(6)
	v_fmac_f64_e32 v[98:99], v[126:127], v[112:113]
	s_waitcnt vmcnt(4) lgkmcnt(0)
	v_fmac_f64_e32 v[98:99], v[128:129], v[114:115]
	s_waitcnt vmcnt(2)
	v_fmac_f64_e32 v[98:99], v[102:103], v[116:117]
	ds_read_b128 v[102:105], v100 offset:512
	s_waitcnt vmcnt(0) lgkmcnt(0)
	v_fmac_f64_e32 v[98:99], v[106:107], v[102:103]
	buffer_load_dword v103, off, s[0:3], 0 offset:140
	buffer_load_dword v102, off, s[0:3], 0 offset:136
	buffer_load_dword v107, off, s[0:3], 0 offset:148
	buffer_load_dword v106, off, s[0:3], 0 offset:144
	s_waitcnt vmcnt(2)
	v_fmac_f64_e32 v[98:99], v[102:103], v[104:105]
	ds_read_b128 v[102:105], v100 offset:528
	s_waitcnt vmcnt(0) lgkmcnt(0)
	v_fmac_f64_e32 v[98:99], v[106:107], v[102:103]
	buffer_load_dword v103, off, s[0:3], 0 offset:156
	buffer_load_dword v102, off, s[0:3], 0 offset:152
	buffer_load_dword v107, off, s[0:3], 0 offset:164
	buffer_load_dword v106, off, s[0:3], 0 offset:160
	;; [unrolled: 9-line block ×14, first 2 shown]
	s_waitcnt vmcnt(2)
	v_fmac_f64_e32 v[98:99], v[102:103], v[104:105]
	ds_read_b128 v[102:105], v100 offset:736
	s_waitcnt vmcnt(0) lgkmcnt(0)
	v_fmac_f64_e32 v[98:99], v[106:107], v[102:103]
	buffer_load_dword v103, off, s[0:3], 0 offset:364
	buffer_load_dword v102, off, s[0:3], 0 offset:360
	s_waitcnt vmcnt(0)
	v_fmac_f64_e32 v[98:99], v[102:103], v[104:105]
	buffer_load_dword v103, off, s[0:3], 0 offset:372
	buffer_load_dword v102, off, s[0:3], 0 offset:368
	ds_read_b64 v[104:105], v100 offset:752
	s_waitcnt vmcnt(0) lgkmcnt(0)
	v_fmac_f64_e32 v[98:99], v[102:103], v[104:105]
	v_add_f64 v[96:97], v[96:97], -v[98:99]
	buffer_store_dword v97, off, s[0:3], 0 offset:60
	buffer_store_dword v96, off, s[0:3], 0 offset:56
	s_and_saveexec_b64 s[4:5], vcc
	s_cbranch_execz .LBB110_277
; %bb.276:
	buffer_load_dword v96, off, s[0:3], 0 offset:48
	buffer_load_dword v97, off, s[0:3], 0 offset:52
	s_waitcnt vmcnt(0)
	ds_write_b64 v1, v[96:97]
	buffer_store_dword v100, off, s[0:3], 0 offset:48
	buffer_store_dword v100, off, s[0:3], 0 offset:52
.LBB110_277:
	s_or_b64 exec, exec, s[4:5]
	s_waitcnt lgkmcnt(0)
	; wave barrier
	s_waitcnt lgkmcnt(0)
	buffer_load_dword v96, off, s[0:3], 0 offset:48
	buffer_load_dword v97, off, s[0:3], 0 offset:52
	;; [unrolled: 1-line block ×16, first 2 shown]
	ds_read2_b64 v[102:105], v100 offset0:55 offset1:56
	v_cmp_lt_u32_e32 vcc, 5, v0
	s_waitcnt vmcnt(12) lgkmcnt(0)
	v_fma_f64 v[98:99], v[98:99], v[102:103], 0
	s_waitcnt vmcnt(10)
	v_fmac_f64_e32 v[98:99], v[106:107], v[104:105]
	ds_read2_b64 v[102:105], v100 offset0:57 offset1:58
	s_waitcnt vmcnt(8) lgkmcnt(0)
	v_fmac_f64_e32 v[98:99], v[108:109], v[102:103]
	s_waitcnt vmcnt(6)
	v_fmac_f64_e32 v[98:99], v[110:111], v[104:105]
	ds_read2_b64 v[102:105], v100 offset0:59 offset1:60
	s_waitcnt vmcnt(4) lgkmcnt(0)
	v_fmac_f64_e32 v[98:99], v[112:113], v[102:103]
	;; [unrolled: 5-line block ×3, first 2 shown]
	buffer_load_dword v103, off, s[0:3], 0 offset:116
	buffer_load_dword v102, off, s[0:3], 0 offset:112
	buffer_load_dword v107, off, s[0:3], 0 offset:124
	buffer_load_dword v106, off, s[0:3], 0 offset:120
	s_waitcnt vmcnt(2)
	v_fmac_f64_e32 v[98:99], v[102:103], v[104:105]
	ds_read2_b64 v[102:105], v100 offset0:63 offset1:64
	s_waitcnt vmcnt(0) lgkmcnt(0)
	v_fmac_f64_e32 v[98:99], v[106:107], v[102:103]
	buffer_load_dword v103, off, s[0:3], 0 offset:132
	buffer_load_dword v102, off, s[0:3], 0 offset:128
	buffer_load_dword v107, off, s[0:3], 0 offset:140
	buffer_load_dword v106, off, s[0:3], 0 offset:136
	s_waitcnt vmcnt(2)
	v_fmac_f64_e32 v[98:99], v[102:103], v[104:105]
	ds_read2_b64 v[102:105], v100 offset0:65 offset1:66
	s_waitcnt vmcnt(0) lgkmcnt(0)
	v_fmac_f64_e32 v[98:99], v[106:107], v[102:103]
	;; [unrolled: 9-line block ×15, first 2 shown]
	buffer_load_dword v103, off, s[0:3], 0 offset:356
	buffer_load_dword v102, off, s[0:3], 0 offset:352
	s_waitcnt vmcnt(0)
	v_fmac_f64_e32 v[98:99], v[102:103], v[104:105]
	buffer_load_dword v105, off, s[0:3], 0 offset:364
	buffer_load_dword v104, off, s[0:3], 0 offset:360
	ds_read2_b64 v[100:103], v100 offset0:93 offset1:94
	s_waitcnt vmcnt(0) lgkmcnt(0)
	v_fmac_f64_e32 v[98:99], v[104:105], v[100:101]
	buffer_load_dword v101, off, s[0:3], 0 offset:372
	buffer_load_dword v100, off, s[0:3], 0 offset:368
	s_waitcnt vmcnt(0)
	v_fmac_f64_e32 v[98:99], v[100:101], v[102:103]
	v_add_f64 v[96:97], v[96:97], -v[98:99]
	buffer_store_dword v97, off, s[0:3], 0 offset:52
	buffer_store_dword v96, off, s[0:3], 0 offset:48
	s_and_saveexec_b64 s[4:5], vcc
	s_cbranch_execz .LBB110_279
; %bb.278:
	buffer_load_dword v96, off, s[0:3], 0 offset:40
	buffer_load_dword v97, off, s[0:3], 0 offset:44
	v_mov_b32_e32 v98, 0
	buffer_store_dword v98, off, s[0:3], 0 offset:40
	buffer_store_dword v98, off, s[0:3], 0 offset:44
	s_waitcnt vmcnt(2)
	ds_write_b64 v1, v[96:97]
.LBB110_279:
	s_or_b64 exec, exec, s[4:5]
	s_waitcnt lgkmcnt(0)
	; wave barrier
	s_waitcnt lgkmcnt(0)
	buffer_load_dword v96, off, s[0:3], 0 offset:40
	buffer_load_dword v97, off, s[0:3], 0 offset:44
	;; [unrolled: 1-line block ×16, first 2 shown]
	v_mov_b32_e32 v100, 0
	ds_read_b128 v[102:105], v100 offset:432
	ds_read_b128 v[106:109], v100 offset:448
	;; [unrolled: 1-line block ×4, first 2 shown]
	v_cmp_lt_u32_e32 vcc, 4, v0
	s_waitcnt vmcnt(12) lgkmcnt(3)
	v_fma_f64 v[98:99], v[98:99], v[102:103], 0
	buffer_load_dword v103, off, s[0:3], 0 offset:108
	buffer_load_dword v102, off, s[0:3], 0 offset:104
	s_waitcnt vmcnt(12)
	v_fmac_f64_e32 v[98:99], v[118:119], v[104:105]
	s_waitcnt vmcnt(10) lgkmcnt(2)
	v_fmac_f64_e32 v[98:99], v[120:121], v[106:107]
	buffer_load_dword v107, off, s[0:3], 0 offset:116
	buffer_load_dword v106, off, s[0:3], 0 offset:112
	s_waitcnt vmcnt(10)
	v_fmac_f64_e32 v[98:99], v[122:123], v[108:109]
	s_waitcnt vmcnt(8) lgkmcnt(1)
	v_fmac_f64_e32 v[98:99], v[124:125], v[110:111]
	s_waitcnt vmcnt(6)
	v_fmac_f64_e32 v[98:99], v[126:127], v[112:113]
	s_waitcnt vmcnt(4) lgkmcnt(0)
	v_fmac_f64_e32 v[98:99], v[128:129], v[114:115]
	s_waitcnt vmcnt(2)
	v_fmac_f64_e32 v[98:99], v[102:103], v[116:117]
	ds_read_b128 v[102:105], v100 offset:496
	s_waitcnt vmcnt(0) lgkmcnt(0)
	v_fmac_f64_e32 v[98:99], v[106:107], v[102:103]
	buffer_load_dword v103, off, s[0:3], 0 offset:124
	buffer_load_dword v102, off, s[0:3], 0 offset:120
	buffer_load_dword v107, off, s[0:3], 0 offset:132
	buffer_load_dword v106, off, s[0:3], 0 offset:128
	s_waitcnt vmcnt(2)
	v_fmac_f64_e32 v[98:99], v[102:103], v[104:105]
	ds_read_b128 v[102:105], v100 offset:512
	s_waitcnt vmcnt(0) lgkmcnt(0)
	v_fmac_f64_e32 v[98:99], v[106:107], v[102:103]
	buffer_load_dword v103, off, s[0:3], 0 offset:140
	buffer_load_dword v102, off, s[0:3], 0 offset:136
	buffer_load_dword v107, off, s[0:3], 0 offset:148
	buffer_load_dword v106, off, s[0:3], 0 offset:144
	;; [unrolled: 9-line block ×15, first 2 shown]
	s_waitcnt vmcnt(2)
	v_fmac_f64_e32 v[98:99], v[102:103], v[104:105]
	ds_read_b128 v[102:105], v100 offset:736
	s_waitcnt vmcnt(0) lgkmcnt(0)
	v_fmac_f64_e32 v[98:99], v[106:107], v[102:103]
	buffer_load_dword v103, off, s[0:3], 0 offset:364
	buffer_load_dword v102, off, s[0:3], 0 offset:360
	s_waitcnt vmcnt(0)
	v_fmac_f64_e32 v[98:99], v[102:103], v[104:105]
	buffer_load_dword v103, off, s[0:3], 0 offset:372
	buffer_load_dword v102, off, s[0:3], 0 offset:368
	ds_read_b64 v[104:105], v100 offset:752
	s_waitcnt vmcnt(0) lgkmcnt(0)
	v_fmac_f64_e32 v[98:99], v[102:103], v[104:105]
	v_add_f64 v[96:97], v[96:97], -v[98:99]
	buffer_store_dword v97, off, s[0:3], 0 offset:44
	buffer_store_dword v96, off, s[0:3], 0 offset:40
	s_and_saveexec_b64 s[4:5], vcc
	s_cbranch_execz .LBB110_281
; %bb.280:
	buffer_load_dword v96, off, s[0:3], 0 offset:32
	buffer_load_dword v97, off, s[0:3], 0 offset:36
	s_waitcnt vmcnt(0)
	ds_write_b64 v1, v[96:97]
	buffer_store_dword v100, off, s[0:3], 0 offset:32
	buffer_store_dword v100, off, s[0:3], 0 offset:36
.LBB110_281:
	s_or_b64 exec, exec, s[4:5]
	s_waitcnt lgkmcnt(0)
	; wave barrier
	s_waitcnt lgkmcnt(0)
	buffer_load_dword v96, off, s[0:3], 0 offset:32
	buffer_load_dword v97, off, s[0:3], 0 offset:36
	;; [unrolled: 1-line block ×16, first 2 shown]
	ds_read2_b64 v[102:105], v100 offset0:53 offset1:54
	v_cmp_lt_u32_e32 vcc, 3, v0
	s_waitcnt vmcnt(12) lgkmcnt(0)
	v_fma_f64 v[98:99], v[98:99], v[102:103], 0
	s_waitcnt vmcnt(10)
	v_fmac_f64_e32 v[98:99], v[106:107], v[104:105]
	ds_read2_b64 v[102:105], v100 offset0:55 offset1:56
	s_waitcnt vmcnt(8) lgkmcnt(0)
	v_fmac_f64_e32 v[98:99], v[108:109], v[102:103]
	s_waitcnt vmcnt(6)
	v_fmac_f64_e32 v[98:99], v[110:111], v[104:105]
	ds_read2_b64 v[102:105], v100 offset0:57 offset1:58
	s_waitcnt vmcnt(4) lgkmcnt(0)
	v_fmac_f64_e32 v[98:99], v[112:113], v[102:103]
	;; [unrolled: 5-line block ×3, first 2 shown]
	buffer_load_dword v103, off, s[0:3], 0 offset:100
	buffer_load_dword v102, off, s[0:3], 0 offset:96
	buffer_load_dword v107, off, s[0:3], 0 offset:108
	buffer_load_dword v106, off, s[0:3], 0 offset:104
	s_waitcnt vmcnt(2)
	v_fmac_f64_e32 v[98:99], v[102:103], v[104:105]
	ds_read2_b64 v[102:105], v100 offset0:61 offset1:62
	s_waitcnt vmcnt(0) lgkmcnt(0)
	v_fmac_f64_e32 v[98:99], v[106:107], v[102:103]
	buffer_load_dword v103, off, s[0:3], 0 offset:116
	buffer_load_dword v102, off, s[0:3], 0 offset:112
	buffer_load_dword v107, off, s[0:3], 0 offset:124
	buffer_load_dword v106, off, s[0:3], 0 offset:120
	s_waitcnt vmcnt(2)
	v_fmac_f64_e32 v[98:99], v[102:103], v[104:105]
	ds_read2_b64 v[102:105], v100 offset0:63 offset1:64
	s_waitcnt vmcnt(0) lgkmcnt(0)
	v_fmac_f64_e32 v[98:99], v[106:107], v[102:103]
	;; [unrolled: 9-line block ×16, first 2 shown]
	buffer_load_dword v103, off, s[0:3], 0 offset:356
	buffer_load_dword v102, off, s[0:3], 0 offset:352
	s_waitcnt vmcnt(0)
	v_fmac_f64_e32 v[98:99], v[102:103], v[104:105]
	buffer_load_dword v105, off, s[0:3], 0 offset:364
	buffer_load_dword v104, off, s[0:3], 0 offset:360
	ds_read2_b64 v[100:103], v100 offset0:93 offset1:94
	s_waitcnt vmcnt(0) lgkmcnt(0)
	v_fmac_f64_e32 v[98:99], v[104:105], v[100:101]
	buffer_load_dword v101, off, s[0:3], 0 offset:372
	buffer_load_dword v100, off, s[0:3], 0 offset:368
	s_waitcnt vmcnt(0)
	v_fmac_f64_e32 v[98:99], v[100:101], v[102:103]
	v_add_f64 v[96:97], v[96:97], -v[98:99]
	buffer_store_dword v97, off, s[0:3], 0 offset:36
	buffer_store_dword v96, off, s[0:3], 0 offset:32
	s_and_saveexec_b64 s[4:5], vcc
	s_cbranch_execz .LBB110_283
; %bb.282:
	buffer_load_dword v96, off, s[0:3], 0 offset:24
	buffer_load_dword v97, off, s[0:3], 0 offset:28
	v_mov_b32_e32 v98, 0
	buffer_store_dword v98, off, s[0:3], 0 offset:24
	buffer_store_dword v98, off, s[0:3], 0 offset:28
	s_waitcnt vmcnt(2)
	ds_write_b64 v1, v[96:97]
.LBB110_283:
	s_or_b64 exec, exec, s[4:5]
	s_waitcnt lgkmcnt(0)
	; wave barrier
	s_waitcnt lgkmcnt(0)
	buffer_load_dword v96, off, s[0:3], 0 offset:24
	buffer_load_dword v97, off, s[0:3], 0 offset:28
	buffer_load_dword v98, off, s[0:3], 0 offset:32
	buffer_load_dword v99, off, s[0:3], 0 offset:36
	buffer_load_dword v118, off, s[0:3], 0 offset:40
	buffer_load_dword v119, off, s[0:3], 0 offset:44
	buffer_load_dword v120, off, s[0:3], 0 offset:48
	buffer_load_dword v121, off, s[0:3], 0 offset:52
	buffer_load_dword v122, off, s[0:3], 0 offset:56
	buffer_load_dword v123, off, s[0:3], 0 offset:60
	buffer_load_dword v124, off, s[0:3], 0 offset:64
	buffer_load_dword v125, off, s[0:3], 0 offset:68
	buffer_load_dword v126, off, s[0:3], 0 offset:72
	buffer_load_dword v127, off, s[0:3], 0 offset:76
	buffer_load_dword v128, off, s[0:3], 0 offset:80
	buffer_load_dword v129, off, s[0:3], 0 offset:84
	v_mov_b32_e32 v100, 0
	ds_read_b128 v[102:105], v100 offset:416
	ds_read_b128 v[106:109], v100 offset:432
	;; [unrolled: 1-line block ×4, first 2 shown]
	v_cmp_lt_u32_e32 vcc, 2, v0
	s_waitcnt vmcnt(12) lgkmcnt(3)
	v_fma_f64 v[98:99], v[98:99], v[102:103], 0
	buffer_load_dword v103, off, s[0:3], 0 offset:92
	buffer_load_dword v102, off, s[0:3], 0 offset:88
	s_waitcnt vmcnt(12)
	v_fmac_f64_e32 v[98:99], v[118:119], v[104:105]
	s_waitcnt vmcnt(10) lgkmcnt(2)
	v_fmac_f64_e32 v[98:99], v[120:121], v[106:107]
	buffer_load_dword v107, off, s[0:3], 0 offset:100
	buffer_load_dword v106, off, s[0:3], 0 offset:96
	s_waitcnt vmcnt(10)
	v_fmac_f64_e32 v[98:99], v[122:123], v[108:109]
	s_waitcnt vmcnt(8) lgkmcnt(1)
	v_fmac_f64_e32 v[98:99], v[124:125], v[110:111]
	s_waitcnt vmcnt(6)
	v_fmac_f64_e32 v[98:99], v[126:127], v[112:113]
	s_waitcnt vmcnt(4) lgkmcnt(0)
	v_fmac_f64_e32 v[98:99], v[128:129], v[114:115]
	s_waitcnt vmcnt(2)
	v_fmac_f64_e32 v[98:99], v[102:103], v[116:117]
	ds_read_b128 v[102:105], v100 offset:480
	s_waitcnt vmcnt(0) lgkmcnt(0)
	v_fmac_f64_e32 v[98:99], v[106:107], v[102:103]
	buffer_load_dword v103, off, s[0:3], 0 offset:108
	buffer_load_dword v102, off, s[0:3], 0 offset:104
	buffer_load_dword v107, off, s[0:3], 0 offset:116
	buffer_load_dword v106, off, s[0:3], 0 offset:112
	s_waitcnt vmcnt(2)
	v_fmac_f64_e32 v[98:99], v[102:103], v[104:105]
	ds_read_b128 v[102:105], v100 offset:496
	s_waitcnt vmcnt(0) lgkmcnt(0)
	v_fmac_f64_e32 v[98:99], v[106:107], v[102:103]
	buffer_load_dword v103, off, s[0:3], 0 offset:124
	buffer_load_dword v102, off, s[0:3], 0 offset:120
	buffer_load_dword v107, off, s[0:3], 0 offset:132
	buffer_load_dword v106, off, s[0:3], 0 offset:128
	s_waitcnt vmcnt(2)
	v_fmac_f64_e32 v[98:99], v[102:103], v[104:105]
	ds_read_b128 v[102:105], v100 offset:512
	s_waitcnt vmcnt(0) lgkmcnt(0)
	v_fmac_f64_e32 v[98:99], v[106:107], v[102:103]
	buffer_load_dword v103, off, s[0:3], 0 offset:140
	buffer_load_dword v102, off, s[0:3], 0 offset:136
	buffer_load_dword v107, off, s[0:3], 0 offset:148
	buffer_load_dword v106, off, s[0:3], 0 offset:144
	s_waitcnt vmcnt(2)
	v_fmac_f64_e32 v[98:99], v[102:103], v[104:105]
	ds_read_b128 v[102:105], v100 offset:528
	s_waitcnt vmcnt(0) lgkmcnt(0)
	v_fmac_f64_e32 v[98:99], v[106:107], v[102:103]
	buffer_load_dword v103, off, s[0:3], 0 offset:156
	buffer_load_dword v102, off, s[0:3], 0 offset:152
	buffer_load_dword v107, off, s[0:3], 0 offset:164
	buffer_load_dword v106, off, s[0:3], 0 offset:160
	s_waitcnt vmcnt(2)
	v_fmac_f64_e32 v[98:99], v[102:103], v[104:105]
	ds_read_b128 v[102:105], v100 offset:544
	s_waitcnt vmcnt(0) lgkmcnt(0)
	v_fmac_f64_e32 v[98:99], v[106:107], v[102:103]
	buffer_load_dword v103, off, s[0:3], 0 offset:172
	buffer_load_dword v102, off, s[0:3], 0 offset:168
	buffer_load_dword v107, off, s[0:3], 0 offset:180
	buffer_load_dword v106, off, s[0:3], 0 offset:176
	s_waitcnt vmcnt(2)
	v_fmac_f64_e32 v[98:99], v[102:103], v[104:105]
	ds_read_b128 v[102:105], v100 offset:560
	s_waitcnt vmcnt(0) lgkmcnt(0)
	v_fmac_f64_e32 v[98:99], v[106:107], v[102:103]
	buffer_load_dword v103, off, s[0:3], 0 offset:188
	buffer_load_dword v102, off, s[0:3], 0 offset:184
	buffer_load_dword v107, off, s[0:3], 0 offset:196
	buffer_load_dword v106, off, s[0:3], 0 offset:192
	s_waitcnt vmcnt(2)
	v_fmac_f64_e32 v[98:99], v[102:103], v[104:105]
	ds_read_b128 v[102:105], v100 offset:576
	s_waitcnt vmcnt(0) lgkmcnt(0)
	v_fmac_f64_e32 v[98:99], v[106:107], v[102:103]
	buffer_load_dword v103, off, s[0:3], 0 offset:204
	buffer_load_dword v102, off, s[0:3], 0 offset:200
	buffer_load_dword v107, off, s[0:3], 0 offset:212
	buffer_load_dword v106, off, s[0:3], 0 offset:208
	s_waitcnt vmcnt(2)
	v_fmac_f64_e32 v[98:99], v[102:103], v[104:105]
	ds_read_b128 v[102:105], v100 offset:592
	s_waitcnt vmcnt(0) lgkmcnt(0)
	v_fmac_f64_e32 v[98:99], v[106:107], v[102:103]
	buffer_load_dword v103, off, s[0:3], 0 offset:220
	buffer_load_dword v102, off, s[0:3], 0 offset:216
	buffer_load_dword v107, off, s[0:3], 0 offset:228
	buffer_load_dword v106, off, s[0:3], 0 offset:224
	s_waitcnt vmcnt(2)
	v_fmac_f64_e32 v[98:99], v[102:103], v[104:105]
	ds_read_b128 v[102:105], v100 offset:608
	s_waitcnt vmcnt(0) lgkmcnt(0)
	v_fmac_f64_e32 v[98:99], v[106:107], v[102:103]
	buffer_load_dword v103, off, s[0:3], 0 offset:236
	buffer_load_dword v102, off, s[0:3], 0 offset:232
	buffer_load_dword v107, off, s[0:3], 0 offset:244
	buffer_load_dword v106, off, s[0:3], 0 offset:240
	s_waitcnt vmcnt(2)
	v_fmac_f64_e32 v[98:99], v[102:103], v[104:105]
	ds_read_b128 v[102:105], v100 offset:624
	s_waitcnt vmcnt(0) lgkmcnt(0)
	v_fmac_f64_e32 v[98:99], v[106:107], v[102:103]
	buffer_load_dword v103, off, s[0:3], 0 offset:252
	buffer_load_dword v102, off, s[0:3], 0 offset:248
	buffer_load_dword v107, off, s[0:3], 0 offset:260
	buffer_load_dword v106, off, s[0:3], 0 offset:256
	s_waitcnt vmcnt(2)
	v_fmac_f64_e32 v[98:99], v[102:103], v[104:105]
	ds_read_b128 v[102:105], v100 offset:640
	s_waitcnt vmcnt(0) lgkmcnt(0)
	v_fmac_f64_e32 v[98:99], v[106:107], v[102:103]
	buffer_load_dword v103, off, s[0:3], 0 offset:268
	buffer_load_dword v102, off, s[0:3], 0 offset:264
	buffer_load_dword v107, off, s[0:3], 0 offset:276
	buffer_load_dword v106, off, s[0:3], 0 offset:272
	s_waitcnt vmcnt(2)
	v_fmac_f64_e32 v[98:99], v[102:103], v[104:105]
	ds_read_b128 v[102:105], v100 offset:656
	s_waitcnt vmcnt(0) lgkmcnt(0)
	v_fmac_f64_e32 v[98:99], v[106:107], v[102:103]
	buffer_load_dword v103, off, s[0:3], 0 offset:284
	buffer_load_dword v102, off, s[0:3], 0 offset:280
	buffer_load_dword v107, off, s[0:3], 0 offset:292
	buffer_load_dword v106, off, s[0:3], 0 offset:288
	s_waitcnt vmcnt(2)
	v_fmac_f64_e32 v[98:99], v[102:103], v[104:105]
	ds_read_b128 v[102:105], v100 offset:672
	s_waitcnt vmcnt(0) lgkmcnt(0)
	v_fmac_f64_e32 v[98:99], v[106:107], v[102:103]
	buffer_load_dword v103, off, s[0:3], 0 offset:300
	buffer_load_dword v102, off, s[0:3], 0 offset:296
	buffer_load_dword v107, off, s[0:3], 0 offset:308
	buffer_load_dword v106, off, s[0:3], 0 offset:304
	s_waitcnt vmcnt(2)
	v_fmac_f64_e32 v[98:99], v[102:103], v[104:105]
	ds_read_b128 v[102:105], v100 offset:688
	s_waitcnt vmcnt(0) lgkmcnt(0)
	v_fmac_f64_e32 v[98:99], v[106:107], v[102:103]
	buffer_load_dword v103, off, s[0:3], 0 offset:316
	buffer_load_dword v102, off, s[0:3], 0 offset:312
	buffer_load_dword v107, off, s[0:3], 0 offset:324
	buffer_load_dword v106, off, s[0:3], 0 offset:320
	s_waitcnt vmcnt(2)
	v_fmac_f64_e32 v[98:99], v[102:103], v[104:105]
	ds_read_b128 v[102:105], v100 offset:704
	s_waitcnt vmcnt(0) lgkmcnt(0)
	v_fmac_f64_e32 v[98:99], v[106:107], v[102:103]
	buffer_load_dword v103, off, s[0:3], 0 offset:332
	buffer_load_dword v102, off, s[0:3], 0 offset:328
	buffer_load_dword v107, off, s[0:3], 0 offset:340
	buffer_load_dword v106, off, s[0:3], 0 offset:336
	s_waitcnt vmcnt(2)
	v_fmac_f64_e32 v[98:99], v[102:103], v[104:105]
	ds_read_b128 v[102:105], v100 offset:720
	s_waitcnt vmcnt(0) lgkmcnt(0)
	v_fmac_f64_e32 v[98:99], v[106:107], v[102:103]
	buffer_load_dword v103, off, s[0:3], 0 offset:348
	buffer_load_dword v102, off, s[0:3], 0 offset:344
	buffer_load_dword v107, off, s[0:3], 0 offset:356
	buffer_load_dword v106, off, s[0:3], 0 offset:352
	s_waitcnt vmcnt(2)
	v_fmac_f64_e32 v[98:99], v[102:103], v[104:105]
	ds_read_b128 v[102:105], v100 offset:736
	s_waitcnt vmcnt(0) lgkmcnt(0)
	v_fmac_f64_e32 v[98:99], v[106:107], v[102:103]
	buffer_load_dword v103, off, s[0:3], 0 offset:364
	buffer_load_dword v102, off, s[0:3], 0 offset:360
	s_waitcnt vmcnt(0)
	v_fmac_f64_e32 v[98:99], v[102:103], v[104:105]
	buffer_load_dword v103, off, s[0:3], 0 offset:372
	buffer_load_dword v102, off, s[0:3], 0 offset:368
	ds_read_b64 v[104:105], v100 offset:752
	s_waitcnt vmcnt(0) lgkmcnt(0)
	v_fmac_f64_e32 v[98:99], v[102:103], v[104:105]
	v_add_f64 v[96:97], v[96:97], -v[98:99]
	buffer_store_dword v97, off, s[0:3], 0 offset:28
	buffer_store_dword v96, off, s[0:3], 0 offset:24
	s_and_saveexec_b64 s[4:5], vcc
	s_cbranch_execz .LBB110_285
; %bb.284:
	buffer_load_dword v96, off, s[0:3], 0 offset:16
	buffer_load_dword v97, off, s[0:3], 0 offset:20
	s_waitcnt vmcnt(0)
	ds_write_b64 v1, v[96:97]
	buffer_store_dword v100, off, s[0:3], 0 offset:16
	buffer_store_dword v100, off, s[0:3], 0 offset:20
.LBB110_285:
	s_or_b64 exec, exec, s[4:5]
	s_waitcnt lgkmcnt(0)
	; wave barrier
	s_waitcnt lgkmcnt(0)
	buffer_load_dword v96, off, s[0:3], 0 offset:16
	buffer_load_dword v97, off, s[0:3], 0 offset:20
	buffer_load_dword v98, off, s[0:3], 0 offset:24
	buffer_load_dword v99, off, s[0:3], 0 offset:28
	buffer_load_dword v106, off, s[0:3], 0 offset:32
	buffer_load_dword v107, off, s[0:3], 0 offset:36
	buffer_load_dword v108, off, s[0:3], 0 offset:40
	buffer_load_dword v109, off, s[0:3], 0 offset:44
	buffer_load_dword v110, off, s[0:3], 0 offset:48
	buffer_load_dword v111, off, s[0:3], 0 offset:52
	buffer_load_dword v112, off, s[0:3], 0 offset:56
	buffer_load_dword v113, off, s[0:3], 0 offset:60
	buffer_load_dword v114, off, s[0:3], 0 offset:64
	buffer_load_dword v115, off, s[0:3], 0 offset:68
	buffer_load_dword v116, off, s[0:3], 0 offset:72
	buffer_load_dword v117, off, s[0:3], 0 offset:76
	ds_read2_b64 v[102:105], v100 offset0:51 offset1:52
	v_cmp_lt_u32_e32 vcc, 1, v0
	s_waitcnt vmcnt(12) lgkmcnt(0)
	v_fma_f64 v[98:99], v[98:99], v[102:103], 0
	s_waitcnt vmcnt(10)
	v_fmac_f64_e32 v[98:99], v[106:107], v[104:105]
	ds_read2_b64 v[102:105], v100 offset0:53 offset1:54
	s_waitcnt vmcnt(8) lgkmcnt(0)
	v_fmac_f64_e32 v[98:99], v[108:109], v[102:103]
	s_waitcnt vmcnt(6)
	v_fmac_f64_e32 v[98:99], v[110:111], v[104:105]
	ds_read2_b64 v[102:105], v100 offset0:55 offset1:56
	s_waitcnt vmcnt(4) lgkmcnt(0)
	v_fmac_f64_e32 v[98:99], v[112:113], v[102:103]
	;; [unrolled: 5-line block ×3, first 2 shown]
	buffer_load_dword v103, off, s[0:3], 0 offset:84
	buffer_load_dword v102, off, s[0:3], 0 offset:80
	buffer_load_dword v107, off, s[0:3], 0 offset:92
	buffer_load_dword v106, off, s[0:3], 0 offset:88
	s_waitcnt vmcnt(2)
	v_fmac_f64_e32 v[98:99], v[102:103], v[104:105]
	ds_read2_b64 v[102:105], v100 offset0:59 offset1:60
	s_waitcnt vmcnt(0) lgkmcnt(0)
	v_fmac_f64_e32 v[98:99], v[106:107], v[102:103]
	buffer_load_dword v103, off, s[0:3], 0 offset:100
	buffer_load_dword v102, off, s[0:3], 0 offset:96
	buffer_load_dword v107, off, s[0:3], 0 offset:108
	buffer_load_dword v106, off, s[0:3], 0 offset:104
	s_waitcnt vmcnt(2)
	v_fmac_f64_e32 v[98:99], v[102:103], v[104:105]
	ds_read2_b64 v[102:105], v100 offset0:61 offset1:62
	s_waitcnt vmcnt(0) lgkmcnt(0)
	v_fmac_f64_e32 v[98:99], v[106:107], v[102:103]
	;; [unrolled: 9-line block ×17, first 2 shown]
	buffer_load_dword v103, off, s[0:3], 0 offset:356
	buffer_load_dword v102, off, s[0:3], 0 offset:352
	s_waitcnt vmcnt(0)
	v_fmac_f64_e32 v[98:99], v[102:103], v[104:105]
	buffer_load_dword v105, off, s[0:3], 0 offset:364
	buffer_load_dword v104, off, s[0:3], 0 offset:360
	ds_read2_b64 v[100:103], v100 offset0:93 offset1:94
	s_waitcnt vmcnt(0) lgkmcnt(0)
	v_fmac_f64_e32 v[98:99], v[104:105], v[100:101]
	buffer_load_dword v101, off, s[0:3], 0 offset:372
	buffer_load_dword v100, off, s[0:3], 0 offset:368
	s_waitcnt vmcnt(0)
	v_fmac_f64_e32 v[98:99], v[100:101], v[102:103]
	v_add_f64 v[96:97], v[96:97], -v[98:99]
	buffer_store_dword v97, off, s[0:3], 0 offset:20
	buffer_store_dword v96, off, s[0:3], 0 offset:16
	s_and_saveexec_b64 s[4:5], vcc
	s_cbranch_execz .LBB110_287
; %bb.286:
	buffer_load_dword v96, off, s[0:3], 0 offset:8
	buffer_load_dword v97, off, s[0:3], 0 offset:12
	v_mov_b32_e32 v98, 0
	buffer_store_dword v98, off, s[0:3], 0 offset:8
	buffer_store_dword v98, off, s[0:3], 0 offset:12
	s_waitcnt vmcnt(2)
	ds_write_b64 v1, v[96:97]
.LBB110_287:
	s_or_b64 exec, exec, s[4:5]
	s_waitcnt lgkmcnt(0)
	; wave barrier
	s_waitcnt lgkmcnt(0)
	buffer_load_dword v96, off, s[0:3], 0 offset:8
	buffer_load_dword v97, off, s[0:3], 0 offset:12
	;; [unrolled: 1-line block ×16, first 2 shown]
	v_mov_b32_e32 v100, 0
	ds_read_b128 v[102:105], v100 offset:400
	ds_read_b128 v[106:109], v100 offset:416
	;; [unrolled: 1-line block ×4, first 2 shown]
	v_cmp_ne_u32_e32 vcc, 0, v0
	s_waitcnt vmcnt(12) lgkmcnt(3)
	v_fma_f64 v[98:99], v[98:99], v[102:103], 0
	buffer_load_dword v103, off, s[0:3], 0 offset:76
	buffer_load_dword v102, off, s[0:3], 0 offset:72
	s_waitcnt vmcnt(12)
	v_fmac_f64_e32 v[98:99], v[118:119], v[104:105]
	s_waitcnt vmcnt(10) lgkmcnt(2)
	v_fmac_f64_e32 v[98:99], v[120:121], v[106:107]
	buffer_load_dword v107, off, s[0:3], 0 offset:84
	buffer_load_dword v106, off, s[0:3], 0 offset:80
	s_waitcnt vmcnt(10)
	v_fmac_f64_e32 v[98:99], v[122:123], v[108:109]
	s_waitcnt vmcnt(8) lgkmcnt(1)
	v_fmac_f64_e32 v[98:99], v[124:125], v[110:111]
	s_waitcnt vmcnt(6)
	v_fmac_f64_e32 v[98:99], v[126:127], v[112:113]
	s_waitcnt vmcnt(4) lgkmcnt(0)
	v_fmac_f64_e32 v[98:99], v[128:129], v[114:115]
	s_waitcnt vmcnt(2)
	v_fmac_f64_e32 v[98:99], v[102:103], v[116:117]
	ds_read_b128 v[102:105], v100 offset:464
	s_waitcnt vmcnt(0) lgkmcnt(0)
	v_fmac_f64_e32 v[98:99], v[106:107], v[102:103]
	buffer_load_dword v103, off, s[0:3], 0 offset:92
	buffer_load_dword v102, off, s[0:3], 0 offset:88
	buffer_load_dword v107, off, s[0:3], 0 offset:100
	buffer_load_dword v106, off, s[0:3], 0 offset:96
	s_waitcnt vmcnt(2)
	v_fmac_f64_e32 v[98:99], v[102:103], v[104:105]
	ds_read_b128 v[102:105], v100 offset:480
	s_waitcnt vmcnt(0) lgkmcnt(0)
	v_fmac_f64_e32 v[98:99], v[106:107], v[102:103]
	buffer_load_dword v103, off, s[0:3], 0 offset:108
	buffer_load_dword v102, off, s[0:3], 0 offset:104
	buffer_load_dword v107, off, s[0:3], 0 offset:116
	buffer_load_dword v106, off, s[0:3], 0 offset:112
	;; [unrolled: 9-line block ×17, first 2 shown]
	s_waitcnt vmcnt(2)
	v_fmac_f64_e32 v[98:99], v[102:103], v[104:105]
	ds_read_b128 v[102:105], v100 offset:736
	s_waitcnt vmcnt(0) lgkmcnt(0)
	v_fmac_f64_e32 v[98:99], v[106:107], v[102:103]
	buffer_load_dword v103, off, s[0:3], 0 offset:364
	buffer_load_dword v102, off, s[0:3], 0 offset:360
	s_waitcnt vmcnt(0)
	v_fmac_f64_e32 v[98:99], v[102:103], v[104:105]
	buffer_load_dword v103, off, s[0:3], 0 offset:372
	buffer_load_dword v102, off, s[0:3], 0 offset:368
	ds_read_b64 v[104:105], v100 offset:752
	s_waitcnt vmcnt(0) lgkmcnt(0)
	v_fmac_f64_e32 v[98:99], v[102:103], v[104:105]
	v_add_f64 v[96:97], v[96:97], -v[98:99]
	buffer_store_dword v97, off, s[0:3], 0 offset:12
	buffer_store_dword v96, off, s[0:3], 0 offset:8
	s_and_saveexec_b64 s[4:5], vcc
	s_cbranch_execz .LBB110_289
; %bb.288:
	buffer_load_dword v96, off, s[0:3], 0
	buffer_load_dword v97, off, s[0:3], 0 offset:4
	s_waitcnt vmcnt(0)
	ds_write_b64 v1, v[96:97]
	buffer_store_dword v100, off, s[0:3], 0
	buffer_store_dword v100, off, s[0:3], 0 offset:4
.LBB110_289:
	s_or_b64 exec, exec, s[4:5]
	s_waitcnt lgkmcnt(0)
	; wave barrier
	s_waitcnt lgkmcnt(0)
	buffer_load_dword v0, off, s[0:3], 0
	buffer_load_dword v1, off, s[0:3], 0 offset:4
	buffer_load_dword v102, off, s[0:3], 0 offset:8
	;; [unrolled: 1-line block ×15, first 2 shown]
	ds_read2_b64 v[96:99], v100 offset0:49 offset1:50
	s_and_b64 vcc, exec, s[16:17]
	s_waitcnt vmcnt(12) lgkmcnt(0)
	v_fma_f64 v[96:97], v[102:103], v[96:97], 0
	s_waitcnt vmcnt(10)
	v_fmac_f64_e32 v[96:97], v[104:105], v[98:99]
	ds_read2_b64 v[102:105], v100 offset0:51 offset1:52
	s_waitcnt vmcnt(8) lgkmcnt(0)
	v_fmac_f64_e32 v[96:97], v[106:107], v[102:103]
	s_waitcnt vmcnt(6)
	v_fmac_f64_e32 v[96:97], v[108:109], v[104:105]
	ds_read2_b64 v[102:105], v100 offset0:53 offset1:54
	s_waitcnt vmcnt(4) lgkmcnt(0)
	v_fmac_f64_e32 v[96:97], v[110:111], v[102:103]
	s_waitcnt vmcnt(2)
	v_fmac_f64_e32 v[96:97], v[112:113], v[104:105]
	ds_read2_b64 v[102:105], v100 offset0:55 offset1:56
	buffer_load_dword v99, off, s[0:3], 0 offset:68
	buffer_load_dword v98, off, s[0:3], 0 offset:64
	s_waitcnt vmcnt(2) lgkmcnt(0)
	v_fmac_f64_e32 v[96:97], v[114:115], v[102:103]
	s_waitcnt vmcnt(0)
	v_fmac_f64_e32 v[96:97], v[98:99], v[104:105]
	buffer_load_dword v99, off, s[0:3], 0 offset:76
	buffer_load_dword v98, off, s[0:3], 0 offset:72
	ds_read2_b64 v[102:105], v100 offset0:57 offset1:58
	s_waitcnt vmcnt(0) lgkmcnt(0)
	v_fmac_f64_e32 v[96:97], v[98:99], v[102:103]
	buffer_load_dword v99, off, s[0:3], 0 offset:84
	buffer_load_dword v98, off, s[0:3], 0 offset:80
	s_waitcnt vmcnt(0)
	v_fmac_f64_e32 v[96:97], v[98:99], v[104:105]
	buffer_load_dword v99, off, s[0:3], 0 offset:92
	buffer_load_dword v98, off, s[0:3], 0 offset:88
	ds_read2_b64 v[102:105], v100 offset0:59 offset1:60
	s_waitcnt vmcnt(0) lgkmcnt(0)
	v_fmac_f64_e32 v[96:97], v[98:99], v[102:103]
	buffer_load_dword v99, off, s[0:3], 0 offset:100
	buffer_load_dword v98, off, s[0:3], 0 offset:96
	;; [unrolled: 9-line block ×19, first 2 shown]
	s_waitcnt vmcnt(0)
	v_fmac_f64_e32 v[96:97], v[100:101], v[102:103]
	v_add_f64 v[0:1], v[0:1], -v[96:97]
	buffer_store_dword v1, off, s[0:3], 0 offset:4
	buffer_store_dword v0, off, s[0:3], 0
	s_cbranch_vccz .LBB110_383
; %bb.290:
	v_pk_mov_b32 v[0:1], s[10:11], s[10:11] op_sel:[0,1]
	flat_load_dword v0, v[0:1] offset:180
	s_waitcnt vmcnt(0) lgkmcnt(0)
	v_add_u32_e32 v0, -1, v0
	v_cmp_ne_u32_e32 vcc, 45, v0
	s_and_saveexec_b64 s[4:5], vcc
	s_cbranch_execz .LBB110_292
; %bb.291:
	v_mov_b32_e32 v1, 0
	v_lshl_add_u32 v0, v0, 3, v1
	buffer_load_dword v1, v0, s[0:3], 0 offen
	buffer_load_dword v96, v0, s[0:3], 0 offen offset:4
	s_waitcnt vmcnt(1)
	buffer_store_dword v1, off, s[0:3], 0 offset:360
	s_waitcnt vmcnt(1)
	buffer_store_dword v96, off, s[0:3], 0 offset:364
	buffer_store_dword v98, v0, s[0:3], 0 offen
	buffer_store_dword v99, v0, s[0:3], 0 offen offset:4
.LBB110_292:
	s_or_b64 exec, exec, s[4:5]
	v_pk_mov_b32 v[0:1], s[10:11], s[10:11] op_sel:[0,1]
	flat_load_dword v0, v[0:1] offset:176
	s_waitcnt vmcnt(0) lgkmcnt(0)
	v_add_u32_e32 v0, -1, v0
	v_cmp_ne_u32_e32 vcc, 44, v0
	s_and_saveexec_b64 s[4:5], vcc
	s_cbranch_execz .LBB110_294
; %bb.293:
	v_mov_b32_e32 v1, 0
	v_lshl_add_u32 v0, v0, 3, v1
	buffer_load_dword v1, v0, s[0:3], 0 offen
	buffer_load_dword v96, v0, s[0:3], 0 offen offset:4
	buffer_load_dword v97, off, s[0:3], 0 offset:356
	buffer_load_dword v98, off, s[0:3], 0 offset:352
	s_waitcnt vmcnt(3)
	buffer_store_dword v1, off, s[0:3], 0 offset:352
	s_waitcnt vmcnt(3)
	buffer_store_dword v96, off, s[0:3], 0 offset:356
	s_waitcnt vmcnt(3)
	buffer_store_dword v97, v0, s[0:3], 0 offen offset:4
	s_waitcnt vmcnt(3)
	buffer_store_dword v98, v0, s[0:3], 0 offen
.LBB110_294:
	s_or_b64 exec, exec, s[4:5]
	v_pk_mov_b32 v[0:1], s[10:11], s[10:11] op_sel:[0,1]
	flat_load_dword v0, v[0:1] offset:172
	s_waitcnt vmcnt(0) lgkmcnt(0)
	v_add_u32_e32 v0, -1, v0
	v_cmp_ne_u32_e32 vcc, 43, v0
	s_and_saveexec_b64 s[4:5], vcc
	s_cbranch_execz .LBB110_296
; %bb.295:
	v_mov_b32_e32 v1, 0
	v_lshl_add_u32 v0, v0, 3, v1
	buffer_load_dword v1, v0, s[0:3], 0 offen
	buffer_load_dword v96, v0, s[0:3], 0 offen offset:4
	buffer_load_dword v97, off, s[0:3], 0 offset:344
	buffer_load_dword v98, off, s[0:3], 0 offset:348
	s_waitcnt vmcnt(3)
	buffer_store_dword v1, off, s[0:3], 0 offset:344
	s_waitcnt vmcnt(3)
	buffer_store_dword v96, off, s[0:3], 0 offset:348
	s_waitcnt vmcnt(3)
	buffer_store_dword v97, v0, s[0:3], 0 offen
	s_waitcnt vmcnt(3)
	buffer_store_dword v98, v0, s[0:3], 0 offen offset:4
.LBB110_296:
	s_or_b64 exec, exec, s[4:5]
	v_pk_mov_b32 v[0:1], s[10:11], s[10:11] op_sel:[0,1]
	flat_load_dword v0, v[0:1] offset:168
	s_waitcnt vmcnt(0) lgkmcnt(0)
	v_add_u32_e32 v0, -1, v0
	v_cmp_ne_u32_e32 vcc, 42, v0
	s_and_saveexec_b64 s[4:5], vcc
	s_cbranch_execz .LBB110_298
; %bb.297:
	v_mov_b32_e32 v1, 0
	v_lshl_add_u32 v0, v0, 3, v1
	buffer_load_dword v1, v0, s[0:3], 0 offen
	buffer_load_dword v96, v0, s[0:3], 0 offen offset:4
	buffer_load_dword v97, off, s[0:3], 0 offset:340
	buffer_load_dword v98, off, s[0:3], 0 offset:336
	s_waitcnt vmcnt(3)
	buffer_store_dword v1, off, s[0:3], 0 offset:336
	s_waitcnt vmcnt(3)
	buffer_store_dword v96, off, s[0:3], 0 offset:340
	s_waitcnt vmcnt(3)
	buffer_store_dword v97, v0, s[0:3], 0 offen offset:4
	s_waitcnt vmcnt(3)
	buffer_store_dword v98, v0, s[0:3], 0 offen
.LBB110_298:
	s_or_b64 exec, exec, s[4:5]
	v_pk_mov_b32 v[0:1], s[10:11], s[10:11] op_sel:[0,1]
	flat_load_dword v0, v[0:1] offset:164
	s_waitcnt vmcnt(0) lgkmcnt(0)
	v_add_u32_e32 v0, -1, v0
	v_cmp_ne_u32_e32 vcc, 41, v0
	s_and_saveexec_b64 s[4:5], vcc
	s_cbranch_execz .LBB110_300
; %bb.299:
	v_mov_b32_e32 v1, 0
	v_lshl_add_u32 v0, v0, 3, v1
	buffer_load_dword v1, v0, s[0:3], 0 offen
	buffer_load_dword v96, v0, s[0:3], 0 offen offset:4
	buffer_load_dword v97, off, s[0:3], 0 offset:328
	buffer_load_dword v98, off, s[0:3], 0 offset:332
	s_waitcnt vmcnt(3)
	buffer_store_dword v1, off, s[0:3], 0 offset:328
	s_waitcnt vmcnt(3)
	buffer_store_dword v96, off, s[0:3], 0 offset:332
	s_waitcnt vmcnt(3)
	buffer_store_dword v97, v0, s[0:3], 0 offen
	s_waitcnt vmcnt(3)
	buffer_store_dword v98, v0, s[0:3], 0 offen offset:4
.LBB110_300:
	;; [unrolled: 48-line block ×22, first 2 shown]
	s_or_b64 exec, exec, s[4:5]
	v_pk_mov_b32 v[0:1], s[10:11], s[10:11] op_sel:[0,1]
	flat_load_dword v96, v[0:1]
	s_nop 0
	buffer_load_dword v0, off, s[0:3], 0
	buffer_load_dword v1, off, s[0:3], 0 offset:4
	s_waitcnt vmcnt(0) lgkmcnt(0)
	v_add_u32_e32 v96, -1, v96
	v_cmp_ne_u32_e32 vcc, 0, v96
	s_and_saveexec_b64 s[4:5], vcc
	s_cbranch_execz .LBB110_382
; %bb.381:
	v_mov_b32_e32 v97, 0
	v_lshl_add_u32 v96, v96, 3, v97
	buffer_load_dword v97, v96, s[0:3], 0 offen offset:4
	buffer_load_dword v98, v96, s[0:3], 0 offen
	s_waitcnt vmcnt(1)
	buffer_store_dword v97, off, s[0:3], 0 offset:4
	s_waitcnt vmcnt(1)
	buffer_store_dword v98, off, s[0:3], 0
	buffer_store_dword v1, v96, s[0:3], 0 offen offset:4
	buffer_store_dword v0, v96, s[0:3], 0 offen
	buffer_load_dword v0, off, s[0:3], 0
	s_nop 0
	buffer_load_dword v1, off, s[0:3], 0 offset:4
.LBB110_382:
	s_or_b64 exec, exec, s[4:5]
.LBB110_383:
	s_waitcnt vmcnt(0)
	global_store_dwordx2 v[94:95], v[0:1], off
	buffer_load_dword v0, off, s[0:3], 0 offset:8
	s_nop 0
	buffer_load_dword v1, off, s[0:3], 0 offset:12
	buffer_load_dword v94, off, s[0:3], 0 offset:16
	;; [unrolled: 1-line block ×15, first 2 shown]
	s_waitcnt vmcnt(14)
	global_store_dwordx2 v[92:93], v[0:1], off
	s_waitcnt vmcnt(13)
	global_store_dwordx2 v[2:3], v[94:95], off
	;; [unrolled: 2-line block ×8, first 2 shown]
	buffer_load_dword v0, off, s[0:3], 0 offset:72
	buffer_load_dword v1, off, s[0:3], 0 offset:76
	s_waitcnt vmcnt(0)
	global_store_dwordx2 v[14:15], v[0:1], off
	buffer_load_dword v0, off, s[0:3], 0 offset:80
	s_nop 0
	buffer_load_dword v1, off, s[0:3], 0 offset:84
	s_waitcnt vmcnt(0)
	global_store_dwordx2 v[16:17], v[0:1], off
	buffer_load_dword v0, off, s[0:3], 0 offset:88
	s_nop 0
	;; [unrolled: 5-line block ×37, first 2 shown]
	buffer_load_dword v1, off, s[0:3], 0 offset:372
	s_waitcnt vmcnt(0)
	global_store_dwordx2 v[78:79], v[0:1], off
	s_endpgm
	.section	.rodata,"a",@progbits
	.p2align	6, 0x0
	.amdhsa_kernel _ZN9rocsolver6v33100L18getri_kernel_smallILi47EdPKPdEEvT1_iilPiilS6_bb
		.amdhsa_group_segment_fixed_size 760
		.amdhsa_private_segment_fixed_size 384
		.amdhsa_kernarg_size 60
		.amdhsa_user_sgpr_count 8
		.amdhsa_user_sgpr_private_segment_buffer 1
		.amdhsa_user_sgpr_dispatch_ptr 0
		.amdhsa_user_sgpr_queue_ptr 0
		.amdhsa_user_sgpr_kernarg_segment_ptr 1
		.amdhsa_user_sgpr_dispatch_id 0
		.amdhsa_user_sgpr_flat_scratch_init 1
		.amdhsa_user_sgpr_kernarg_preload_length 0
		.amdhsa_user_sgpr_kernarg_preload_offset 0
		.amdhsa_user_sgpr_private_segment_size 0
		.amdhsa_uses_dynamic_stack 0
		.amdhsa_system_sgpr_private_segment_wavefront_offset 1
		.amdhsa_system_sgpr_workgroup_id_x 1
		.amdhsa_system_sgpr_workgroup_id_y 0
		.amdhsa_system_sgpr_workgroup_id_z 0
		.amdhsa_system_sgpr_workgroup_info 0
		.amdhsa_system_vgpr_workitem_id 0
		.amdhsa_next_free_vgpr 164
		.amdhsa_next_free_sgpr 22
		.amdhsa_accum_offset 164
		.amdhsa_reserve_vcc 1
		.amdhsa_reserve_flat_scratch 1
		.amdhsa_float_round_mode_32 0
		.amdhsa_float_round_mode_16_64 0
		.amdhsa_float_denorm_mode_32 3
		.amdhsa_float_denorm_mode_16_64 3
		.amdhsa_dx10_clamp 1
		.amdhsa_ieee_mode 1
		.amdhsa_fp16_overflow 0
		.amdhsa_tg_split 0
		.amdhsa_exception_fp_ieee_invalid_op 0
		.amdhsa_exception_fp_denorm_src 0
		.amdhsa_exception_fp_ieee_div_zero 0
		.amdhsa_exception_fp_ieee_overflow 0
		.amdhsa_exception_fp_ieee_underflow 0
		.amdhsa_exception_fp_ieee_inexact 0
		.amdhsa_exception_int_div_zero 0
	.end_amdhsa_kernel
	.section	.text._ZN9rocsolver6v33100L18getri_kernel_smallILi47EdPKPdEEvT1_iilPiilS6_bb,"axG",@progbits,_ZN9rocsolver6v33100L18getri_kernel_smallILi47EdPKPdEEvT1_iilPiilS6_bb,comdat
.Lfunc_end110:
	.size	_ZN9rocsolver6v33100L18getri_kernel_smallILi47EdPKPdEEvT1_iilPiilS6_bb, .Lfunc_end110-_ZN9rocsolver6v33100L18getri_kernel_smallILi47EdPKPdEEvT1_iilPiilS6_bb
                                        ; -- End function
	.section	.AMDGPU.csdata,"",@progbits
; Kernel info:
; codeLenInByte = 54928
; NumSgprs: 28
; NumVgprs: 164
; NumAgprs: 0
; TotalNumVgprs: 164
; ScratchSize: 384
; MemoryBound: 1
; FloatMode: 240
; IeeeMode: 1
; LDSByteSize: 760 bytes/workgroup (compile time only)
; SGPRBlocks: 3
; VGPRBlocks: 20
; NumSGPRsForWavesPerEU: 28
; NumVGPRsForWavesPerEU: 164
; AccumOffset: 164
; Occupancy: 3
; WaveLimiterHint : 1
; COMPUTE_PGM_RSRC2:SCRATCH_EN: 1
; COMPUTE_PGM_RSRC2:USER_SGPR: 8
; COMPUTE_PGM_RSRC2:TRAP_HANDLER: 0
; COMPUTE_PGM_RSRC2:TGID_X_EN: 1
; COMPUTE_PGM_RSRC2:TGID_Y_EN: 0
; COMPUTE_PGM_RSRC2:TGID_Z_EN: 0
; COMPUTE_PGM_RSRC2:TIDIG_COMP_CNT: 0
; COMPUTE_PGM_RSRC3_GFX90A:ACCUM_OFFSET: 40
; COMPUTE_PGM_RSRC3_GFX90A:TG_SPLIT: 0
	.section	.text._ZN9rocsolver6v33100L18getri_kernel_smallILi48EdPKPdEEvT1_iilPiilS6_bb,"axG",@progbits,_ZN9rocsolver6v33100L18getri_kernel_smallILi48EdPKPdEEvT1_iilPiilS6_bb,comdat
	.globl	_ZN9rocsolver6v33100L18getri_kernel_smallILi48EdPKPdEEvT1_iilPiilS6_bb ; -- Begin function _ZN9rocsolver6v33100L18getri_kernel_smallILi48EdPKPdEEvT1_iilPiilS6_bb
	.p2align	8
	.type	_ZN9rocsolver6v33100L18getri_kernel_smallILi48EdPKPdEEvT1_iilPiilS6_bb,@function
_ZN9rocsolver6v33100L18getri_kernel_smallILi48EdPKPdEEvT1_iilPiilS6_bb: ; @_ZN9rocsolver6v33100L18getri_kernel_smallILi48EdPKPdEEvT1_iilPiilS6_bb
; %bb.0:
	s_add_u32 flat_scratch_lo, s6, s9
	s_addc_u32 flat_scratch_hi, s7, 0
	s_add_u32 s0, s0, s9
	s_addc_u32 s1, s1, 0
	v_cmp_gt_u32_e32 vcc, 48, v0
	s_and_saveexec_b64 s[6:7], vcc
	s_cbranch_execz .LBB111_200
; %bb.1:
	s_load_dword s18, s[4:5], 0x38
	s_load_dwordx2 s[6:7], s[4:5], 0x0
	s_load_dwordx4 s[12:15], s[4:5], 0x28
	s_waitcnt lgkmcnt(0)
	s_bitcmp1_b32 s18, 8
	s_cselect_b64 s[16:17], -1, 0
	s_ashr_i32 s9, s8, 31
	s_lshl_b64 s[10:11], s[8:9], 3
	s_add_u32 s6, s6, s10
	s_addc_u32 s7, s7, s11
	s_load_dwordx2 s[6:7], s[6:7], 0x0
	s_bfe_u32 s10, s18, 0x10008
	s_cmp_eq_u32 s10, 0
                                        ; implicit-def: $sgpr10_sgpr11
	s_cbranch_scc1 .LBB111_3
; %bb.2:
	s_load_dword s10, s[4:5], 0x20
	s_load_dwordx2 s[20:21], s[4:5], 0x18
	s_mul_i32 s11, s8, s13
	s_mul_hi_u32 s13, s8, s12
	s_add_i32 s13, s13, s11
	s_mul_i32 s19, s9, s12
	s_add_i32 s13, s13, s19
	s_mul_i32 s12, s8, s12
	s_waitcnt lgkmcnt(0)
	s_ashr_i32 s11, s10, 31
	s_lshl_b64 s[12:13], s[12:13], 2
	s_add_u32 s12, s20, s12
	s_addc_u32 s13, s21, s13
	s_lshl_b64 s[10:11], s[10:11], 2
	s_add_u32 s10, s12, s10
	s_addc_u32 s11, s13, s11
.LBB111_3:
	s_load_dwordx2 s[4:5], s[4:5], 0x8
	s_waitcnt lgkmcnt(0)
	s_ashr_i32 s13, s4, 31
	s_mov_b32 s12, s4
	s_lshl_b64 s[12:13], s[12:13], 3
	s_add_u32 s6, s6, s12
	s_addc_u32 s7, s7, s13
	s_add_i32 s4, s5, s5
	v_add_u32_e32 v4, s4, v0
	v_ashrrev_i32_e32 v5, 31, v4
	v_lshlrev_b64 v[2:3], 3, v[4:5]
	v_add_u32_e32 v6, s5, v4
	v_mov_b32_e32 v1, s7
	v_add_co_u32_e32 v2, vcc, s6, v2
	v_ashrrev_i32_e32 v7, 31, v6
	v_addc_co_u32_e32 v3, vcc, v1, v3, vcc
	v_lshlrev_b64 v[4:5], 3, v[6:7]
	v_add_u32_e32 v8, s5, v6
	v_add_co_u32_e32 v4, vcc, s6, v4
	v_ashrrev_i32_e32 v9, 31, v8
	v_addc_co_u32_e32 v5, vcc, v1, v5, vcc
	v_lshlrev_b64 v[6:7], 3, v[8:9]
	v_add_u32_e32 v10, s5, v8
	;; [unrolled: 5-line block ×5, first 2 shown]
	v_add_co_u32_e32 v12, vcc, s6, v12
	v_ashrrev_i32_e32 v15, 31, v14
	v_addc_co_u32_e32 v13, vcc, v1, v13, vcc
	v_lshlrev_b64 v[16:17], 3, v[14:15]
	v_add_co_u32_e32 v18, vcc, s6, v16
	v_add_u32_e32 v16, s5, v14
	v_addc_co_u32_e32 v19, vcc, v1, v17, vcc
	v_ashrrev_i32_e32 v17, 31, v16
	v_lshlrev_b64 v[14:15], 3, v[16:17]
	v_add_u32_e32 v20, s5, v16
	v_add_co_u32_e32 v14, vcc, s6, v14
	v_ashrrev_i32_e32 v21, 31, v20
	v_addc_co_u32_e32 v15, vcc, v1, v15, vcc
	v_lshlrev_b64 v[16:17], 3, v[20:21]
	v_add_u32_e32 v22, s5, v20
	v_add_co_u32_e32 v16, vcc, s6, v16
	v_ashrrev_i32_e32 v23, 31, v22
	v_addc_co_u32_e32 v17, vcc, v1, v17, vcc
	;; [unrolled: 5-line block ×30, first 2 shown]
	v_lshlrev_b64 v[76:77], 3, v[78:79]
	v_add_co_u32_e32 v76, vcc, s6, v76
	v_add_u32_e32 v78, s5, v78
	v_addc_co_u32_e32 v77, vcc, v1, v77, vcc
	v_ashrrev_i32_e32 v79, 31, v78
	v_lshlrev_b32_e32 v1, 3, v0
	v_lshlrev_b64 v[80:81], 3, v[78:79]
	global_load_dwordx2 v[98:99], v1, s[6:7]
	global_load_dwordx2 v[102:103], v[2:3], off
	global_load_dwordx2 v[104:105], v[4:5], off
	;; [unrolled: 1-line block ×3, first 2 shown]
	v_mov_b32_e32 v79, s7
	v_add_co_u32_e32 v96, vcc, s6, v1
	s_ashr_i32 s13, s5, 31
	s_mov_b32 s12, s5
	v_addc_co_u32_e32 v97, vcc, 0, v79, vcc
	s_lshl_b64 s[12:13], s[12:13], 3
	v_mov_b32_e32 v79, s13
	v_add_co_u32_e32 v94, vcc, s12, v96
	v_addc_co_u32_e32 v95, vcc, v97, v79, vcc
	global_load_dwordx2 v[100:101], v[94:95], off
	global_load_dwordx2 v[108:109], v[8:9], off
	;; [unrolled: 1-line block ×11, first 2 shown]
	v_add_u32_e32 v78, s5, v78
	v_mov_b32_e32 v82, s7
	v_add_co_u32_e32 v80, vcc, s6, v80
	v_ashrrev_i32_e32 v79, 31, v78
	v_addc_co_u32_e32 v81, vcc, v82, v81, vcc
	v_lshlrev_b64 v[82:83], 3, v[78:79]
	v_add_u32_e32 v78, s5, v78
	v_mov_b32_e32 v84, s7
	v_add_co_u32_e32 v82, vcc, s6, v82
	v_ashrrev_i32_e32 v79, 31, v78
	v_addc_co_u32_e32 v83, vcc, v84, v83, vcc
	v_lshlrev_b64 v[84:85], 3, v[78:79]
	;; [unrolled: 6-line block ×7, first 2 shown]
	v_add_co_u32_e32 v78, vcc, s6, v78
	v_addc_co_u32_e32 v79, vcc, v128, v79, vcc
	global_load_dwordx2 v[128:129], v[28:29], off
	global_load_dwordx2 v[130:131], v[78:79], off
	;; [unrolled: 1-line block ×18, first 2 shown]
	s_bitcmp0_b32 s18, 0
	s_waitcnt vmcnt(32)
	buffer_store_dword v99, off, s[0:3], 0 offset:4
	buffer_store_dword v98, off, s[0:3], 0
	global_load_dwordx2 v[98:99], v[34:35], off
	s_mov_b64 s[6:7], -1
	s_waitcnt vmcnt(31)
	buffer_store_dword v101, off, s[0:3], 0 offset:12
	buffer_store_dword v100, off, s[0:3], 0 offset:8
	global_load_dwordx2 v[100:101], v[38:39], off
	s_nop 0
	buffer_store_dword v103, off, s[0:3], 0 offset:20
	buffer_store_dword v102, off, s[0:3], 0 offset:16
	global_load_dwordx2 v[102:103], v[42:43], off
	s_nop 0
	;; [unrolled: 4-line block ×3, first 2 shown]
	buffer_store_dword v107, off, s[0:3], 0 offset:36
	buffer_store_dword v106, off, s[0:3], 0 offset:32
	global_load_dwordx2 v[106:107], v[50:51], off
	s_waitcnt vmcnt(42)
	buffer_store_dword v109, off, s[0:3], 0 offset:44
	buffer_store_dword v108, off, s[0:3], 0 offset:40
	global_load_dwordx2 v[108:109], v[54:55], off
	s_waitcnt vmcnt(44)
	;; [unrolled: 4-line block ×6, first 2 shown]
	buffer_store_dword v118, off, s[0:3], 0 offset:80
	buffer_store_dword v119, off, s[0:3], 0 offset:84
	global_load_dwordx2 v[118:119], v[74:75], off
	s_nop 0
	buffer_store_dword v120, off, s[0:3], 0 offset:88
	buffer_store_dword v121, off, s[0:3], 0 offset:92
	global_load_dwordx2 v[120:121], v[80:81], off
	s_waitcnt vmcnt(56)
	buffer_store_dword v122, off, s[0:3], 0 offset:96
	buffer_store_dword v123, off, s[0:3], 0 offset:100
	global_load_dwordx2 v[122:123], v[84:85], off
	s_waitcnt vmcnt(58)
	;; [unrolled: 4-line block ×4, first 2 shown]
	buffer_store_dword v128, off, s[0:3], 0 offset:120
	buffer_store_dword v129, off, s[0:3], 0 offset:124
	s_waitcnt vmcnt(62)
	buffer_store_dword v132, off, s[0:3], 0 offset:128
	buffer_store_dword v133, off, s[0:3], 0 offset:132
	s_waitcnt vmcnt(62)
	;; [unrolled: 3-line block ×3, first 2 shown]
	buffer_store_dword v98, off, s[0:3], 0 offset:144
	buffer_store_dword v99, off, s[0:3], 0 offset:148
	buffer_store_dword v137, off, s[0:3], 0 offset:156
	buffer_store_dword v136, off, s[0:3], 0 offset:152
	s_waitcnt vmcnt(49)
	buffer_store_dword v101, off, s[0:3], 0 offset:164
	buffer_store_dword v100, off, s[0:3], 0 offset:160
	buffer_store_dword v138, off, s[0:3], 0 offset:168
	buffer_store_dword v139, off, s[0:3], 0 offset:172
	s_waitcnt vmcnt(50)
	;; [unrolled: 5-line block ×14, first 2 shown]
	buffer_store_dword v126, off, s[0:3], 0 offset:368
	buffer_store_dword v127, off, s[0:3], 0 offset:372
	;; [unrolled: 1-line block ×4, first 2 shown]
	s_cbranch_scc1 .LBB111_198
; %bb.4:
	v_cmp_eq_u32_e64 s[4:5], 0, v0
	s_and_saveexec_b64 s[6:7], s[4:5]
	s_cbranch_execz .LBB111_6
; %bb.5:
	v_mov_b32_e32 v98, 0
	ds_write_b32 v98, v98 offset:768
.LBB111_6:
	s_or_b64 exec, exec, s[6:7]
	v_mov_b32_e32 v98, 0
	v_lshl_add_u32 v98, v0, 3, v98
	s_waitcnt lgkmcnt(0)
	; wave barrier
	s_waitcnt lgkmcnt(0)
	buffer_load_dword v100, v98, s[0:3], 0 offen
	buffer_load_dword v101, v98, s[0:3], 0 offen offset:4
	s_waitcnt vmcnt(0)
	v_cmp_eq_f64_e32 vcc, 0, v[100:101]
	s_and_saveexec_b64 s[12:13], vcc
	s_cbranch_execz .LBB111_10
; %bb.7:
	v_mov_b32_e32 v99, 0
	ds_read_b32 v101, v99 offset:768
	v_add_u32_e32 v100, 1, v0
	s_waitcnt lgkmcnt(0)
	v_readfirstlane_b32 s6, v101
	s_cmp_eq_u32 s6, 0
	s_cselect_b64 s[18:19], -1, 0
	v_cmp_gt_i32_e32 vcc, s6, v100
	s_or_b64 s[18:19], s[18:19], vcc
	s_and_b64 exec, exec, s[18:19]
	s_cbranch_execz .LBB111_10
; %bb.8:
	s_mov_b64 s[18:19], 0
	v_mov_b32_e32 v101, s6
.LBB111_9:                              ; =>This Inner Loop Header: Depth=1
	ds_cmpst_rtn_b32 v101, v99, v101, v100 offset:768
	s_waitcnt lgkmcnt(0)
	v_cmp_ne_u32_e32 vcc, 0, v101
	v_cmp_le_i32_e64 s[6:7], v101, v100
	s_and_b64 s[6:7], vcc, s[6:7]
	s_and_b64 s[6:7], exec, s[6:7]
	s_or_b64 s[18:19], s[6:7], s[18:19]
	s_andn2_b64 exec, exec, s[18:19]
	s_cbranch_execnz .LBB111_9
.LBB111_10:
	s_or_b64 exec, exec, s[12:13]
	v_mov_b32_e32 v100, 0
	s_waitcnt lgkmcnt(0)
	; wave barrier
	ds_read_b32 v99, v100 offset:768
	s_and_saveexec_b64 s[6:7], s[4:5]
	s_cbranch_execz .LBB111_12
; %bb.11:
	s_lshl_b64 s[12:13], s[8:9], 2
	s_add_u32 s12, s14, s12
	s_addc_u32 s13, s15, s13
	s_waitcnt lgkmcnt(0)
	global_store_dword v100, v99, s[12:13]
.LBB111_12:
	s_or_b64 exec, exec, s[6:7]
	s_waitcnt lgkmcnt(0)
	v_cmp_ne_u32_e32 vcc, 0, v99
	s_mov_b64 s[6:7], 0
	s_cbranch_vccnz .LBB111_198
; %bb.13:
	buffer_load_dword v100, v98, s[0:3], 0 offen
	buffer_load_dword v101, v98, s[0:3], 0 offen offset:4
	s_waitcnt vmcnt(0)
	v_div_scale_f64 v[102:103], s[6:7], v[100:101], v[100:101], 1.0
	v_rcp_f64_e32 v[104:105], v[102:103]
	v_div_scale_f64 v[106:107], vcc, 1.0, v[100:101], 1.0
	v_fma_f64 v[108:109], -v[102:103], v[104:105], 1.0
	v_fmac_f64_e32 v[104:105], v[104:105], v[108:109]
	v_fma_f64 v[108:109], -v[102:103], v[104:105], 1.0
	v_fmac_f64_e32 v[104:105], v[104:105], v[108:109]
	v_mul_f64 v[108:109], v[106:107], v[104:105]
	v_fma_f64 v[102:103], -v[102:103], v[108:109], v[106:107]
	v_div_fmas_f64 v[102:103], v[102:103], v[104:105], v[108:109]
	v_div_fixup_f64 v[102:103], v[102:103], v[100:101], 1.0
	buffer_store_dword v103, v98, s[0:3], 0 offen offset:4
	buffer_store_dword v102, v98, s[0:3], 0 offen
	buffer_load_dword v105, off, s[0:3], 0 offset:12
	buffer_load_dword v104, off, s[0:3], 0 offset:8
	v_add_u32_e32 v100, 0x180, v1
	v_xor_b32_e32 v103, 0x80000000, v103
	s_waitcnt vmcnt(0)
	ds_write2_b64 v1, v[102:103], v[104:105] offset1:48
	s_waitcnt lgkmcnt(0)
	; wave barrier
	s_waitcnt lgkmcnt(0)
	s_and_saveexec_b64 s[6:7], s[4:5]
	s_cbranch_execz .LBB111_15
; %bb.14:
	buffer_load_dword v102, v98, s[0:3], 0 offen
	buffer_load_dword v103, v98, s[0:3], 0 offen offset:4
	v_mov_b32_e32 v99, 0
	ds_read_b64 v[104:105], v100
	ds_read_b64 v[106:107], v99 offset:8
	s_waitcnt vmcnt(0) lgkmcnt(1)
	v_fma_f64 v[102:103], v[102:103], v[104:105], 0
	s_waitcnt lgkmcnt(0)
	v_mul_f64 v[102:103], v[102:103], v[106:107]
	buffer_store_dword v102, off, s[0:3], 0 offset:8
	buffer_store_dword v103, off, s[0:3], 0 offset:12
.LBB111_15:
	s_or_b64 exec, exec, s[6:7]
	s_waitcnt lgkmcnt(0)
	; wave barrier
	buffer_load_dword v102, off, s[0:3], 0 offset:16
	buffer_load_dword v103, off, s[0:3], 0 offset:20
	v_cmp_gt_u32_e32 vcc, 2, v0
	s_waitcnt vmcnt(0)
	ds_write_b64 v100, v[102:103]
	s_waitcnt lgkmcnt(0)
	; wave barrier
	s_waitcnt lgkmcnt(0)
	s_and_saveexec_b64 s[6:7], vcc
	s_cbranch_execz .LBB111_17
; %bb.16:
	buffer_load_dword v99, v98, s[0:3], 0 offen offset:4
	buffer_load_dword v106, off, s[0:3], 0 offset:8
	s_nop 0
	buffer_load_dword v98, v98, s[0:3], 0 offen
	s_nop 0
	buffer_load_dword v107, off, s[0:3], 0 offset:12
	ds_read_b64 v[108:109], v100
	v_mov_b32_e32 v101, 0
	ds_read2_b64 v[102:105], v101 offset0:2 offset1:49
	s_waitcnt vmcnt(1) lgkmcnt(1)
	v_fma_f64 v[98:99], v[98:99], v[108:109], 0
	s_waitcnt vmcnt(0) lgkmcnt(0)
	v_fma_f64 v[104:105], v[106:107], v[104:105], v[98:99]
	v_cndmask_b32_e64 v99, v99, v105, s[4:5]
	v_cndmask_b32_e64 v98, v98, v104, s[4:5]
	v_mul_f64 v[98:99], v[98:99], v[102:103]
	buffer_store_dword v99, off, s[0:3], 0 offset:20
	buffer_store_dword v98, off, s[0:3], 0 offset:16
.LBB111_17:
	s_or_b64 exec, exec, s[6:7]
	s_waitcnt lgkmcnt(0)
	; wave barrier
	buffer_load_dword v98, off, s[0:3], 0 offset:24
	buffer_load_dword v99, off, s[0:3], 0 offset:28
	v_cmp_gt_u32_e32 vcc, 3, v0
	v_add_u32_e32 v101, -1, v0
	s_waitcnt vmcnt(0)
	ds_write_b64 v100, v[98:99]
	s_waitcnt lgkmcnt(0)
	; wave barrier
	s_waitcnt lgkmcnt(0)
	s_and_saveexec_b64 s[4:5], vcc
	s_cbranch_execz .LBB111_21
; %bb.18:
	v_add_u32_e32 v102, -1, v0
	v_add_u32_e32 v103, 0x180, v1
	v_add_u32_e32 v104, 0, v1
	s_mov_b64 s[6:7], 0
	v_pk_mov_b32 v[98:99], 0, 0
.LBB111_19:                             ; =>This Inner Loop Header: Depth=1
	buffer_load_dword v106, v104, s[0:3], 0 offen
	buffer_load_dword v107, v104, s[0:3], 0 offen offset:4
	ds_read_b64 v[108:109], v103
	v_add_u32_e32 v102, 1, v102
	v_cmp_lt_u32_e32 vcc, 1, v102
	v_add_u32_e32 v103, 8, v103
	v_add_u32_e32 v104, 8, v104
	s_or_b64 s[6:7], vcc, s[6:7]
	s_waitcnt vmcnt(0) lgkmcnt(0)
	v_fmac_f64_e32 v[98:99], v[106:107], v[108:109]
	s_andn2_b64 exec, exec, s[6:7]
	s_cbranch_execnz .LBB111_19
; %bb.20:
	s_or_b64 exec, exec, s[6:7]
	v_mov_b32_e32 v102, 0
	ds_read_b64 v[102:103], v102 offset:24
	s_waitcnt lgkmcnt(0)
	v_mul_f64 v[98:99], v[98:99], v[102:103]
	buffer_store_dword v99, off, s[0:3], 0 offset:28
	buffer_store_dword v98, off, s[0:3], 0 offset:24
.LBB111_21:
	s_or_b64 exec, exec, s[4:5]
	s_waitcnt lgkmcnt(0)
	; wave barrier
	buffer_load_dword v98, off, s[0:3], 0 offset:32
	buffer_load_dword v99, off, s[0:3], 0 offset:36
	v_cmp_gt_u32_e32 vcc, 4, v0
	s_waitcnt vmcnt(0)
	ds_write_b64 v100, v[98:99]
	s_waitcnt lgkmcnt(0)
	; wave barrier
	s_waitcnt lgkmcnt(0)
	s_and_saveexec_b64 s[4:5], vcc
	s_cbranch_execz .LBB111_25
; %bb.22:
	v_add_u32_e32 v102, -1, v0
	v_add_u32_e32 v103, 0x180, v1
	v_add_u32_e32 v104, 0, v1
	s_mov_b64 s[6:7], 0
	v_pk_mov_b32 v[98:99], 0, 0
.LBB111_23:                             ; =>This Inner Loop Header: Depth=1
	buffer_load_dword v106, v104, s[0:3], 0 offen
	buffer_load_dword v107, v104, s[0:3], 0 offen offset:4
	ds_read_b64 v[108:109], v103
	v_add_u32_e32 v102, 1, v102
	v_cmp_lt_u32_e32 vcc, 2, v102
	v_add_u32_e32 v103, 8, v103
	v_add_u32_e32 v104, 8, v104
	s_or_b64 s[6:7], vcc, s[6:7]
	s_waitcnt vmcnt(0) lgkmcnt(0)
	v_fmac_f64_e32 v[98:99], v[106:107], v[108:109]
	s_andn2_b64 exec, exec, s[6:7]
	s_cbranch_execnz .LBB111_23
; %bb.24:
	s_or_b64 exec, exec, s[6:7]
	v_mov_b32_e32 v102, 0
	ds_read_b64 v[102:103], v102 offset:32
	s_waitcnt lgkmcnt(0)
	v_mul_f64 v[98:99], v[98:99], v[102:103]
	buffer_store_dword v99, off, s[0:3], 0 offset:36
	buffer_store_dword v98, off, s[0:3], 0 offset:32
.LBB111_25:
	s_or_b64 exec, exec, s[4:5]
	s_waitcnt lgkmcnt(0)
	; wave barrier
	buffer_load_dword v98, off, s[0:3], 0 offset:40
	buffer_load_dword v99, off, s[0:3], 0 offset:44
	v_cmp_gt_u32_e32 vcc, 5, v0
	;; [unrolled: 41-line block ×21, first 2 shown]
	s_waitcnt vmcnt(0)
	ds_write_b64 v100, v[98:99]
	s_waitcnt lgkmcnt(0)
	; wave barrier
	s_waitcnt lgkmcnt(0)
	s_and_saveexec_b64 s[4:5], vcc
	s_cbranch_execz .LBB111_105
; %bb.102:
	v_add_u32_e32 v102, -1, v0
	v_add_u32_e32 v103, 0x180, v1
	v_add_u32_e32 v104, 0, v1
	s_mov_b64 s[6:7], 0
	v_pk_mov_b32 v[98:99], 0, 0
.LBB111_103:                            ; =>This Inner Loop Header: Depth=1
	buffer_load_dword v106, v104, s[0:3], 0 offen
	buffer_load_dword v107, v104, s[0:3], 0 offen offset:4
	ds_read_b64 v[108:109], v103
	v_add_u32_e32 v102, 1, v102
	v_cmp_lt_u32_e32 vcc, 22, v102
	v_add_u32_e32 v103, 8, v103
	v_add_u32_e32 v104, 8, v104
	s_or_b64 s[6:7], vcc, s[6:7]
	s_waitcnt vmcnt(0) lgkmcnt(0)
	v_fmac_f64_e32 v[98:99], v[106:107], v[108:109]
	s_andn2_b64 exec, exec, s[6:7]
	s_cbranch_execnz .LBB111_103
; %bb.104:
	s_or_b64 exec, exec, s[6:7]
	v_mov_b32_e32 v102, 0
	ds_read_b64 v[102:103], v102 offset:192
	s_waitcnt lgkmcnt(0)
	v_mul_f64 v[98:99], v[98:99], v[102:103]
	buffer_store_dword v99, off, s[0:3], 0 offset:196
	buffer_store_dword v98, off, s[0:3], 0 offset:192
.LBB111_105:
	s_or_b64 exec, exec, s[4:5]
	s_waitcnt lgkmcnt(0)
	; wave barrier
	buffer_load_dword v98, off, s[0:3], 0 offset:200
	buffer_load_dword v99, off, s[0:3], 0 offset:204
	v_cmp_gt_u32_e32 vcc, 25, v0
	s_waitcnt vmcnt(0)
	ds_write_b64 v100, v[98:99]
	s_waitcnt lgkmcnt(0)
	; wave barrier
	s_waitcnt lgkmcnt(0)
	s_and_saveexec_b64 s[4:5], vcc
	s_cbranch_execz .LBB111_109
; %bb.106:
	v_add_u32_e32 v102, -1, v0
	v_add_u32_e32 v103, 0x180, v1
	v_add_u32_e32 v104, 0, v1
	s_mov_b64 s[6:7], 0
	v_pk_mov_b32 v[98:99], 0, 0
.LBB111_107:                            ; =>This Inner Loop Header: Depth=1
	buffer_load_dword v106, v104, s[0:3], 0 offen
	buffer_load_dword v107, v104, s[0:3], 0 offen offset:4
	ds_read_b64 v[108:109], v103
	v_add_u32_e32 v102, 1, v102
	v_cmp_lt_u32_e32 vcc, 23, v102
	v_add_u32_e32 v103, 8, v103
	v_add_u32_e32 v104, 8, v104
	s_or_b64 s[6:7], vcc, s[6:7]
	s_waitcnt vmcnt(0) lgkmcnt(0)
	v_fmac_f64_e32 v[98:99], v[106:107], v[108:109]
	s_andn2_b64 exec, exec, s[6:7]
	s_cbranch_execnz .LBB111_107
; %bb.108:
	s_or_b64 exec, exec, s[6:7]
	v_mov_b32_e32 v102, 0
	ds_read_b64 v[102:103], v102 offset:200
	s_waitcnt lgkmcnt(0)
	v_mul_f64 v[98:99], v[98:99], v[102:103]
	buffer_store_dword v99, off, s[0:3], 0 offset:204
	buffer_store_dword v98, off, s[0:3], 0 offset:200
.LBB111_109:
	s_or_b64 exec, exec, s[4:5]
	s_waitcnt lgkmcnt(0)
	; wave barrier
	buffer_load_dword v98, off, s[0:3], 0 offset:208
	buffer_load_dword v99, off, s[0:3], 0 offset:212
	v_cmp_gt_u32_e32 vcc, 26, v0
	;; [unrolled: 41-line block ×22, first 2 shown]
	s_waitcnt vmcnt(0)
	ds_write_b64 v100, v[98:99]
	s_waitcnt lgkmcnt(0)
	; wave barrier
	s_waitcnt lgkmcnt(0)
	s_and_saveexec_b64 s[4:5], vcc
	s_cbranch_execz .LBB111_193
; %bb.190:
	v_add_u32_e32 v102, -1, v0
	v_add_u32_e32 v103, 0x180, v1
	v_add_u32_e32 v104, 0, v1
	s_mov_b64 s[6:7], 0
	v_pk_mov_b32 v[98:99], 0, 0
.LBB111_191:                            ; =>This Inner Loop Header: Depth=1
	buffer_load_dword v106, v104, s[0:3], 0 offen
	buffer_load_dword v107, v104, s[0:3], 0 offen offset:4
	ds_read_b64 v[108:109], v103
	v_add_u32_e32 v102, 1, v102
	v_cmp_lt_u32_e32 vcc, 44, v102
	v_add_u32_e32 v103, 8, v103
	v_add_u32_e32 v104, 8, v104
	s_or_b64 s[6:7], vcc, s[6:7]
	s_waitcnt vmcnt(0) lgkmcnt(0)
	v_fmac_f64_e32 v[98:99], v[106:107], v[108:109]
	s_andn2_b64 exec, exec, s[6:7]
	s_cbranch_execnz .LBB111_191
; %bb.192:
	s_or_b64 exec, exec, s[6:7]
	v_mov_b32_e32 v102, 0
	ds_read_b64 v[102:103], v102 offset:368
	s_waitcnt lgkmcnt(0)
	v_mul_f64 v[98:99], v[98:99], v[102:103]
	buffer_store_dword v99, off, s[0:3], 0 offset:372
	buffer_store_dword v98, off, s[0:3], 0 offset:368
.LBB111_193:
	s_or_b64 exec, exec, s[4:5]
	s_waitcnt lgkmcnt(0)
	; wave barrier
	buffer_load_dword v98, off, s[0:3], 0 offset:376
	buffer_load_dword v99, off, s[0:3], 0 offset:380
	v_cmp_ne_u32_e32 vcc, 47, v0
	s_waitcnt vmcnt(0)
	ds_write_b64 v100, v[98:99]
	s_waitcnt lgkmcnt(0)
	; wave barrier
	s_waitcnt lgkmcnt(0)
	s_and_saveexec_b64 s[4:5], vcc
	s_cbranch_execz .LBB111_197
; %bb.194:
	v_add_u32_e32 v100, 0x180, v1
	v_add_u32_e32 v1, 0, v1
	s_mov_b64 s[6:7], 0
	v_pk_mov_b32 v[98:99], 0, 0
.LBB111_195:                            ; =>This Inner Loop Header: Depth=1
	buffer_load_dword v102, v1, s[0:3], 0 offen
	buffer_load_dword v103, v1, s[0:3], 0 offen offset:4
	ds_read_b64 v[104:105], v100
	v_add_u32_e32 v101, 1, v101
	v_cmp_lt_u32_e32 vcc, 45, v101
	v_add_u32_e32 v100, 8, v100
	v_add_u32_e32 v1, 8, v1
	s_or_b64 s[6:7], vcc, s[6:7]
	s_waitcnt vmcnt(0) lgkmcnt(0)
	v_fmac_f64_e32 v[98:99], v[102:103], v[104:105]
	s_andn2_b64 exec, exec, s[6:7]
	s_cbranch_execnz .LBB111_195
; %bb.196:
	s_or_b64 exec, exec, s[6:7]
	v_mov_b32_e32 v1, 0
	ds_read_b64 v[100:101], v1 offset:376
	s_waitcnt lgkmcnt(0)
	v_mul_f64 v[98:99], v[98:99], v[100:101]
	buffer_store_dword v99, off, s[0:3], 0 offset:380
	buffer_store_dword v98, off, s[0:3], 0 offset:376
.LBB111_197:
	s_or_b64 exec, exec, s[4:5]
	s_mov_b64 s[6:7], -1
	s_waitcnt lgkmcnt(0)
	; wave barrier
.LBB111_198:
	s_and_b64 vcc, exec, s[6:7]
	s_cbranch_vccz .LBB111_200
; %bb.199:
	s_lshl_b64 s[4:5], s[8:9], 2
	s_add_u32 s4, s14, s4
	s_addc_u32 s5, s15, s5
	v_mov_b32_e32 v1, 0
	global_load_dword v1, v1, s[4:5]
	s_waitcnt vmcnt(0)
	v_cmp_ne_u32_e32 vcc, 0, v1
	s_cbranch_vccz .LBB111_201
.LBB111_200:
	s_endpgm
.LBB111_201:
	v_mov_b32_e32 v1, 0x180
	v_lshl_add_u32 v1, v0, 3, v1
	v_cmp_eq_u32_e32 vcc, 47, v0
	s_and_saveexec_b64 s[4:5], vcc
	s_cbranch_execz .LBB111_203
; %bb.202:
	buffer_load_dword v98, off, s[0:3], 0 offset:368
	buffer_load_dword v99, off, s[0:3], 0 offset:372
	v_mov_b32_e32 v100, 0
	buffer_store_dword v100, off, s[0:3], 0 offset:368
	buffer_store_dword v100, off, s[0:3], 0 offset:372
	s_waitcnt vmcnt(2)
	ds_write_b64 v1, v[98:99]
.LBB111_203:
	s_or_b64 exec, exec, s[4:5]
	s_waitcnt lgkmcnt(0)
	; wave barrier
	s_waitcnt lgkmcnt(0)
	buffer_load_dword v100, off, s[0:3], 0 offset:376
	buffer_load_dword v101, off, s[0:3], 0 offset:380
	;; [unrolled: 1-line block ×4, first 2 shown]
	v_mov_b32_e32 v98, 0
	ds_read_b64 v[104:105], v98 offset:760
	v_cmp_lt_u32_e32 vcc, 45, v0
	s_waitcnt vmcnt(2) lgkmcnt(0)
	v_fma_f64 v[100:101], v[100:101], v[104:105], 0
	s_waitcnt vmcnt(0)
	v_add_f64 v[100:101], v[102:103], -v[100:101]
	buffer_store_dword v100, off, s[0:3], 0 offset:368
	buffer_store_dword v101, off, s[0:3], 0 offset:372
	s_and_saveexec_b64 s[4:5], vcc
	s_cbranch_execz .LBB111_205
; %bb.204:
	buffer_load_dword v100, off, s[0:3], 0 offset:360
	buffer_load_dword v101, off, s[0:3], 0 offset:364
	s_waitcnt vmcnt(0)
	ds_write_b64 v1, v[100:101]
	buffer_store_dword v98, off, s[0:3], 0 offset:360
	buffer_store_dword v98, off, s[0:3], 0 offset:364
.LBB111_205:
	s_or_b64 exec, exec, s[4:5]
	s_waitcnt lgkmcnt(0)
	; wave barrier
	s_waitcnt lgkmcnt(0)
	buffer_load_dword v102, off, s[0:3], 0 offset:368
	buffer_load_dword v103, off, s[0:3], 0 offset:372
	;; [unrolled: 1-line block ×6, first 2 shown]
	ds_read_b128 v[98:101], v98 offset:752
	v_cmp_lt_u32_e32 vcc, 44, v0
	s_waitcnt vmcnt(4) lgkmcnt(0)
	v_fma_f64 v[98:99], v[102:103], v[98:99], 0
	s_waitcnt vmcnt(2)
	v_fmac_f64_e32 v[98:99], v[104:105], v[100:101]
	s_waitcnt vmcnt(0)
	v_add_f64 v[98:99], v[106:107], -v[98:99]
	buffer_store_dword v98, off, s[0:3], 0 offset:360
	buffer_store_dword v99, off, s[0:3], 0 offset:364
	s_and_saveexec_b64 s[4:5], vcc
	s_cbranch_execz .LBB111_207
; %bb.206:
	buffer_load_dword v98, off, s[0:3], 0 offset:352
	buffer_load_dword v99, off, s[0:3], 0 offset:356
	v_mov_b32_e32 v100, 0
	buffer_store_dword v100, off, s[0:3], 0 offset:352
	buffer_store_dword v100, off, s[0:3], 0 offset:356
	s_waitcnt vmcnt(2)
	ds_write_b64 v1, v[98:99]
.LBB111_207:
	s_or_b64 exec, exec, s[4:5]
	s_waitcnt lgkmcnt(0)
	; wave barrier
	s_waitcnt lgkmcnt(0)
	buffer_load_dword v104, off, s[0:3], 0 offset:360
	buffer_load_dword v105, off, s[0:3], 0 offset:364
	;; [unrolled: 1-line block ×8, first 2 shown]
	v_mov_b32_e32 v98, 0
	ds_read2_b64 v[100:103], v98 offset0:93 offset1:94
	ds_read_b64 v[112:113], v98 offset:760
	v_cmp_lt_u32_e32 vcc, 43, v0
	s_waitcnt vmcnt(6) lgkmcnt(1)
	v_fma_f64 v[100:101], v[104:105], v[100:101], 0
	s_waitcnt vmcnt(4)
	v_fmac_f64_e32 v[100:101], v[106:107], v[102:103]
	s_waitcnt vmcnt(2) lgkmcnt(0)
	v_fmac_f64_e32 v[100:101], v[108:109], v[112:113]
	s_waitcnt vmcnt(0)
	v_add_f64 v[100:101], v[110:111], -v[100:101]
	buffer_store_dword v100, off, s[0:3], 0 offset:352
	buffer_store_dword v101, off, s[0:3], 0 offset:356
	s_and_saveexec_b64 s[4:5], vcc
	s_cbranch_execz .LBB111_209
; %bb.208:
	buffer_load_dword v100, off, s[0:3], 0 offset:344
	buffer_load_dword v101, off, s[0:3], 0 offset:348
	s_waitcnt vmcnt(0)
	ds_write_b64 v1, v[100:101]
	buffer_store_dword v98, off, s[0:3], 0 offset:344
	buffer_store_dword v98, off, s[0:3], 0 offset:348
.LBB111_209:
	s_or_b64 exec, exec, s[4:5]
	s_waitcnt lgkmcnt(0)
	; wave barrier
	s_waitcnt lgkmcnt(0)
	buffer_load_dword v108, off, s[0:3], 0 offset:352
	buffer_load_dword v109, off, s[0:3], 0 offset:356
	;; [unrolled: 1-line block ×10, first 2 shown]
	ds_read_b128 v[100:103], v98 offset:736
	ds_read_b128 v[104:107], v98 offset:752
	v_cmp_lt_u32_e32 vcc, 42, v0
	s_waitcnt vmcnt(8) lgkmcnt(1)
	v_fma_f64 v[98:99], v[108:109], v[100:101], 0
	s_waitcnt vmcnt(6)
	v_fmac_f64_e32 v[98:99], v[110:111], v[102:103]
	s_waitcnt vmcnt(4) lgkmcnt(0)
	v_fmac_f64_e32 v[98:99], v[112:113], v[104:105]
	s_waitcnt vmcnt(2)
	v_fmac_f64_e32 v[98:99], v[114:115], v[106:107]
	s_waitcnt vmcnt(0)
	v_add_f64 v[98:99], v[116:117], -v[98:99]
	buffer_store_dword v98, off, s[0:3], 0 offset:344
	buffer_store_dword v99, off, s[0:3], 0 offset:348
	s_and_saveexec_b64 s[4:5], vcc
	s_cbranch_execz .LBB111_211
; %bb.210:
	buffer_load_dword v98, off, s[0:3], 0 offset:336
	buffer_load_dword v99, off, s[0:3], 0 offset:340
	v_mov_b32_e32 v100, 0
	buffer_store_dword v100, off, s[0:3], 0 offset:336
	buffer_store_dword v100, off, s[0:3], 0 offset:340
	s_waitcnt vmcnt(2)
	ds_write_b64 v1, v[98:99]
.LBB111_211:
	s_or_b64 exec, exec, s[4:5]
	s_waitcnt lgkmcnt(0)
	; wave barrier
	s_waitcnt lgkmcnt(0)
	buffer_load_dword v108, off, s[0:3], 0 offset:344
	buffer_load_dword v109, off, s[0:3], 0 offset:348
	;; [unrolled: 1-line block ×12, first 2 shown]
	v_mov_b32_e32 v98, 0
	ds_read2_b64 v[100:103], v98 offset0:91 offset1:92
	ds_read2_b64 v[104:107], v98 offset0:93 offset1:94
	ds_read_b64 v[120:121], v98 offset:760
	v_cmp_lt_u32_e32 vcc, 41, v0
	s_waitcnt vmcnt(10) lgkmcnt(2)
	v_fma_f64 v[100:101], v[108:109], v[100:101], 0
	s_waitcnt vmcnt(8)
	v_fmac_f64_e32 v[100:101], v[110:111], v[102:103]
	s_waitcnt vmcnt(6) lgkmcnt(1)
	v_fmac_f64_e32 v[100:101], v[112:113], v[104:105]
	s_waitcnt vmcnt(4)
	v_fmac_f64_e32 v[100:101], v[114:115], v[106:107]
	s_waitcnt vmcnt(2) lgkmcnt(0)
	v_fmac_f64_e32 v[100:101], v[116:117], v[120:121]
	s_waitcnt vmcnt(0)
	v_add_f64 v[100:101], v[118:119], -v[100:101]
	buffer_store_dword v100, off, s[0:3], 0 offset:336
	buffer_store_dword v101, off, s[0:3], 0 offset:340
	s_and_saveexec_b64 s[4:5], vcc
	s_cbranch_execz .LBB111_213
; %bb.212:
	buffer_load_dword v100, off, s[0:3], 0 offset:328
	buffer_load_dword v101, off, s[0:3], 0 offset:332
	s_waitcnt vmcnt(0)
	ds_write_b64 v1, v[100:101]
	buffer_store_dword v98, off, s[0:3], 0 offset:328
	buffer_store_dword v98, off, s[0:3], 0 offset:332
.LBB111_213:
	s_or_b64 exec, exec, s[4:5]
	s_waitcnt lgkmcnt(0)
	; wave barrier
	s_waitcnt lgkmcnt(0)
	buffer_load_dword v112, off, s[0:3], 0 offset:336
	buffer_load_dword v113, off, s[0:3], 0 offset:340
	;; [unrolled: 1-line block ×14, first 2 shown]
	ds_read_b128 v[100:103], v98 offset:720
	ds_read_b128 v[104:107], v98 offset:736
	;; [unrolled: 1-line block ×3, first 2 shown]
	v_cmp_lt_u32_e32 vcc, 40, v0
	s_waitcnt vmcnt(12) lgkmcnt(2)
	v_fma_f64 v[98:99], v[112:113], v[100:101], 0
	s_waitcnt vmcnt(10)
	v_fmac_f64_e32 v[98:99], v[114:115], v[102:103]
	s_waitcnt vmcnt(8) lgkmcnt(1)
	v_fmac_f64_e32 v[98:99], v[116:117], v[104:105]
	s_waitcnt vmcnt(6)
	v_fmac_f64_e32 v[98:99], v[118:119], v[106:107]
	s_waitcnt vmcnt(4) lgkmcnt(0)
	v_fmac_f64_e32 v[98:99], v[120:121], v[108:109]
	s_waitcnt vmcnt(2)
	v_fmac_f64_e32 v[98:99], v[122:123], v[110:111]
	s_waitcnt vmcnt(0)
	v_add_f64 v[98:99], v[124:125], -v[98:99]
	buffer_store_dword v98, off, s[0:3], 0 offset:328
	buffer_store_dword v99, off, s[0:3], 0 offset:332
	s_and_saveexec_b64 s[4:5], vcc
	s_cbranch_execz .LBB111_215
; %bb.214:
	buffer_load_dword v98, off, s[0:3], 0 offset:320
	buffer_load_dword v99, off, s[0:3], 0 offset:324
	v_mov_b32_e32 v100, 0
	buffer_store_dword v100, off, s[0:3], 0 offset:320
	buffer_store_dword v100, off, s[0:3], 0 offset:324
	s_waitcnt vmcnt(2)
	ds_write_b64 v1, v[98:99]
.LBB111_215:
	s_or_b64 exec, exec, s[4:5]
	s_waitcnt lgkmcnt(0)
	; wave barrier
	s_waitcnt lgkmcnt(0)
	buffer_load_dword v104, off, s[0:3], 0 offset:320
	buffer_load_dword v105, off, s[0:3], 0 offset:324
	;; [unrolled: 1-line block ×16, first 2 shown]
	v_mov_b32_e32 v98, 0
	ds_read2_b64 v[100:103], v98 offset0:89 offset1:90
	v_cmp_lt_u32_e32 vcc, 39, v0
	s_waitcnt vmcnt(12) lgkmcnt(0)
	v_fma_f64 v[106:107], v[106:107], v[100:101], 0
	s_waitcnt vmcnt(10)
	v_fmac_f64_e32 v[106:107], v[108:109], v[102:103]
	ds_read2_b64 v[100:103], v98 offset0:91 offset1:92
	s_waitcnt vmcnt(8) lgkmcnt(0)
	v_fmac_f64_e32 v[106:107], v[110:111], v[100:101]
	s_waitcnt vmcnt(6)
	v_fmac_f64_e32 v[106:107], v[112:113], v[102:103]
	ds_read2_b64 v[100:103], v98 offset0:93 offset1:94
	s_waitcnt vmcnt(4) lgkmcnt(0)
	v_fmac_f64_e32 v[106:107], v[114:115], v[100:101]
	ds_read_b64 v[100:101], v98 offset:760
	s_waitcnt vmcnt(2)
	v_fmac_f64_e32 v[106:107], v[116:117], v[102:103]
	s_waitcnt vmcnt(0) lgkmcnt(0)
	v_fmac_f64_e32 v[106:107], v[118:119], v[100:101]
	v_add_f64 v[100:101], v[104:105], -v[106:107]
	buffer_store_dword v100, off, s[0:3], 0 offset:320
	buffer_store_dword v101, off, s[0:3], 0 offset:324
	s_and_saveexec_b64 s[4:5], vcc
	s_cbranch_execz .LBB111_217
; %bb.216:
	buffer_load_dword v100, off, s[0:3], 0 offset:312
	buffer_load_dword v101, off, s[0:3], 0 offset:316
	s_waitcnt vmcnt(0)
	ds_write_b64 v1, v[100:101]
	buffer_store_dword v98, off, s[0:3], 0 offset:312
	buffer_store_dword v98, off, s[0:3], 0 offset:316
.LBB111_217:
	s_or_b64 exec, exec, s[4:5]
	s_waitcnt lgkmcnt(0)
	; wave barrier
	s_waitcnt lgkmcnt(0)
	buffer_load_dword v116, off, s[0:3], 0 offset:320
	buffer_load_dword v117, off, s[0:3], 0 offset:324
	;; [unrolled: 1-line block ×18, first 2 shown]
	ds_read_b128 v[100:103], v98 offset:704
	ds_read_b128 v[104:107], v98 offset:720
	;; [unrolled: 1-line block ×4, first 2 shown]
	v_cmp_lt_u32_e32 vcc, 38, v0
	s_waitcnt vmcnt(16) lgkmcnt(3)
	v_fma_f64 v[98:99], v[116:117], v[100:101], 0
	s_waitcnt vmcnt(14)
	v_fmac_f64_e32 v[98:99], v[118:119], v[102:103]
	s_waitcnt vmcnt(12) lgkmcnt(2)
	v_fmac_f64_e32 v[98:99], v[120:121], v[104:105]
	s_waitcnt vmcnt(10)
	v_fmac_f64_e32 v[98:99], v[122:123], v[106:107]
	s_waitcnt vmcnt(8) lgkmcnt(1)
	v_fmac_f64_e32 v[98:99], v[124:125], v[108:109]
	;; [unrolled: 4-line block ×3, first 2 shown]
	s_waitcnt vmcnt(2)
	v_fmac_f64_e32 v[98:99], v[130:131], v[114:115]
	s_waitcnt vmcnt(0)
	v_add_f64 v[98:99], v[132:133], -v[98:99]
	buffer_store_dword v98, off, s[0:3], 0 offset:312
	buffer_store_dword v99, off, s[0:3], 0 offset:316
	s_and_saveexec_b64 s[4:5], vcc
	s_cbranch_execz .LBB111_219
; %bb.218:
	buffer_load_dword v98, off, s[0:3], 0 offset:304
	buffer_load_dword v99, off, s[0:3], 0 offset:308
	v_mov_b32_e32 v100, 0
	buffer_store_dword v100, off, s[0:3], 0 offset:304
	buffer_store_dword v100, off, s[0:3], 0 offset:308
	s_waitcnt vmcnt(2)
	ds_write_b64 v1, v[98:99]
.LBB111_219:
	s_or_b64 exec, exec, s[4:5]
	s_waitcnt lgkmcnt(0)
	; wave barrier
	s_waitcnt lgkmcnt(0)
	buffer_load_dword v116, off, s[0:3], 0 offset:312
	buffer_load_dword v117, off, s[0:3], 0 offset:316
	;; [unrolled: 1-line block ×20, first 2 shown]
	v_mov_b32_e32 v98, 0
	ds_read2_b64 v[100:103], v98 offset0:87 offset1:88
	ds_read2_b64 v[104:107], v98 offset0:89 offset1:90
	;; [unrolled: 1-line block ×4, first 2 shown]
	ds_read_b64 v[136:137], v98 offset:760
	v_cmp_lt_u32_e32 vcc, 37, v0
	s_waitcnt vmcnt(18) lgkmcnt(4)
	v_fma_f64 v[100:101], v[116:117], v[100:101], 0
	s_waitcnt vmcnt(16)
	v_fmac_f64_e32 v[100:101], v[118:119], v[102:103]
	s_waitcnt vmcnt(14) lgkmcnt(3)
	v_fmac_f64_e32 v[100:101], v[120:121], v[104:105]
	s_waitcnt vmcnt(12)
	v_fmac_f64_e32 v[100:101], v[122:123], v[106:107]
	s_waitcnt vmcnt(10) lgkmcnt(2)
	v_fmac_f64_e32 v[100:101], v[124:125], v[108:109]
	;; [unrolled: 4-line block ×3, first 2 shown]
	s_waitcnt vmcnt(2)
	v_fmac_f64_e32 v[100:101], v[132:133], v[114:115]
	s_waitcnt lgkmcnt(0)
	v_fmac_f64_e32 v[100:101], v[130:131], v[136:137]
	s_waitcnt vmcnt(0)
	v_add_f64 v[100:101], v[134:135], -v[100:101]
	buffer_store_dword v100, off, s[0:3], 0 offset:304
	buffer_store_dword v101, off, s[0:3], 0 offset:308
	s_and_saveexec_b64 s[4:5], vcc
	s_cbranch_execz .LBB111_221
; %bb.220:
	buffer_load_dword v100, off, s[0:3], 0 offset:296
	buffer_load_dword v101, off, s[0:3], 0 offset:300
	s_waitcnt vmcnt(0)
	ds_write_b64 v1, v[100:101]
	buffer_store_dword v98, off, s[0:3], 0 offset:296
	buffer_store_dword v98, off, s[0:3], 0 offset:300
.LBB111_221:
	s_or_b64 exec, exec, s[4:5]
	s_waitcnt lgkmcnt(0)
	; wave barrier
	s_waitcnt lgkmcnt(0)
	buffer_load_dword v120, off, s[0:3], 0 offset:304
	buffer_load_dword v121, off, s[0:3], 0 offset:308
	;; [unrolled: 1-line block ×22, first 2 shown]
	ds_read_b128 v[100:103], v98 offset:688
	ds_read_b128 v[104:107], v98 offset:704
	;; [unrolled: 1-line block ×5, first 2 shown]
	v_cmp_lt_u32_e32 vcc, 36, v0
	s_waitcnt vmcnt(20) lgkmcnt(4)
	v_fma_f64 v[98:99], v[120:121], v[100:101], 0
	s_waitcnt vmcnt(18)
	v_fmac_f64_e32 v[98:99], v[122:123], v[102:103]
	s_waitcnt vmcnt(16) lgkmcnt(3)
	v_fmac_f64_e32 v[98:99], v[124:125], v[104:105]
	s_waitcnt vmcnt(14)
	v_fmac_f64_e32 v[98:99], v[126:127], v[106:107]
	s_waitcnt vmcnt(12) lgkmcnt(2)
	v_fmac_f64_e32 v[98:99], v[128:129], v[108:109]
	s_waitcnt vmcnt(10)
	v_fmac_f64_e32 v[98:99], v[130:131], v[110:111]
	s_waitcnt vmcnt(8) lgkmcnt(1)
	v_fmac_f64_e32 v[98:99], v[132:133], v[112:113]
	s_waitcnt vmcnt(3)
	v_fmac_f64_e32 v[98:99], v[138:139], v[114:115]
	s_waitcnt lgkmcnt(0)
	v_fmac_f64_e32 v[98:99], v[136:137], v[116:117]
	s_waitcnt vmcnt(2)
	v_fmac_f64_e32 v[98:99], v[134:135], v[118:119]
	s_waitcnt vmcnt(0)
	v_add_f64 v[98:99], v[140:141], -v[98:99]
	buffer_store_dword v98, off, s[0:3], 0 offset:296
	buffer_store_dword v99, off, s[0:3], 0 offset:300
	s_and_saveexec_b64 s[4:5], vcc
	s_cbranch_execz .LBB111_223
; %bb.222:
	buffer_load_dword v98, off, s[0:3], 0 offset:288
	buffer_load_dword v99, off, s[0:3], 0 offset:292
	v_mov_b32_e32 v100, 0
	buffer_store_dword v100, off, s[0:3], 0 offset:288
	buffer_store_dword v100, off, s[0:3], 0 offset:292
	s_waitcnt vmcnt(2)
	ds_write_b64 v1, v[98:99]
.LBB111_223:
	s_or_b64 exec, exec, s[4:5]
	s_waitcnt lgkmcnt(0)
	; wave barrier
	s_waitcnt lgkmcnt(0)
	buffer_load_dword v120, off, s[0:3], 0 offset:296
	buffer_load_dword v121, off, s[0:3], 0 offset:300
	buffer_load_dword v122, off, s[0:3], 0 offset:304
	buffer_load_dword v123, off, s[0:3], 0 offset:308
	buffer_load_dword v124, off, s[0:3], 0 offset:312
	buffer_load_dword v125, off, s[0:3], 0 offset:316
	buffer_load_dword v126, off, s[0:3], 0 offset:320
	buffer_load_dword v127, off, s[0:3], 0 offset:324
	buffer_load_dword v128, off, s[0:3], 0 offset:328
	buffer_load_dword v129, off, s[0:3], 0 offset:332
	buffer_load_dword v130, off, s[0:3], 0 offset:336
	buffer_load_dword v131, off, s[0:3], 0 offset:340
	buffer_load_dword v132, off, s[0:3], 0 offset:344
	buffer_load_dword v133, off, s[0:3], 0 offset:348
	buffer_load_dword v134, off, s[0:3], 0 offset:376
	buffer_load_dword v136, off, s[0:3], 0 offset:368
	buffer_load_dword v139, off, s[0:3], 0 offset:364
	buffer_load_dword v138, off, s[0:3], 0 offset:360
	buffer_load_dword v141, off, s[0:3], 0 offset:356
	buffer_load_dword v140, off, s[0:3], 0 offset:352
	buffer_load_dword v137, off, s[0:3], 0 offset:372
	buffer_load_dword v135, off, s[0:3], 0 offset:380
	buffer_load_dword v142, off, s[0:3], 0 offset:288
	buffer_load_dword v143, off, s[0:3], 0 offset:292
	v_mov_b32_e32 v98, 0
	ds_read2_b64 v[100:103], v98 offset0:85 offset1:86
	ds_read2_b64 v[104:107], v98 offset0:87 offset1:88
	;; [unrolled: 1-line block ×5, first 2 shown]
	ds_read_b64 v[144:145], v98 offset:760
	v_cmp_lt_u32_e32 vcc, 35, v0
	s_waitcnt vmcnt(22) lgkmcnt(5)
	v_fma_f64 v[100:101], v[120:121], v[100:101], 0
	s_waitcnt vmcnt(20)
	v_fmac_f64_e32 v[100:101], v[122:123], v[102:103]
	s_waitcnt vmcnt(18) lgkmcnt(4)
	v_fmac_f64_e32 v[100:101], v[124:125], v[104:105]
	s_waitcnt vmcnt(16)
	v_fmac_f64_e32 v[100:101], v[126:127], v[106:107]
	s_waitcnt vmcnt(14) lgkmcnt(3)
	v_fmac_f64_e32 v[100:101], v[128:129], v[108:109]
	;; [unrolled: 4-line block ×3, first 2 shown]
	s_waitcnt vmcnt(4)
	v_fmac_f64_e32 v[100:101], v[140:141], v[114:115]
	s_waitcnt lgkmcnt(1)
	v_fmac_f64_e32 v[100:101], v[138:139], v[116:117]
	s_waitcnt vmcnt(3)
	v_fmac_f64_e32 v[100:101], v[136:137], v[118:119]
	s_waitcnt vmcnt(2) lgkmcnt(0)
	v_fmac_f64_e32 v[100:101], v[134:135], v[144:145]
	s_waitcnt vmcnt(0)
	v_add_f64 v[100:101], v[142:143], -v[100:101]
	buffer_store_dword v101, off, s[0:3], 0 offset:292
	buffer_store_dword v100, off, s[0:3], 0 offset:288
	s_and_saveexec_b64 s[4:5], vcc
	s_cbranch_execz .LBB111_225
; %bb.224:
	buffer_load_dword v100, off, s[0:3], 0 offset:280
	buffer_load_dword v101, off, s[0:3], 0 offset:284
	s_waitcnt vmcnt(0)
	ds_write_b64 v1, v[100:101]
	buffer_store_dword v98, off, s[0:3], 0 offset:280
	buffer_store_dword v98, off, s[0:3], 0 offset:284
.LBB111_225:
	s_or_b64 exec, exec, s[4:5]
	s_waitcnt lgkmcnt(0)
	; wave barrier
	s_waitcnt lgkmcnt(0)
	buffer_load_dword v124, off, s[0:3], 0 offset:288
	buffer_load_dword v125, off, s[0:3], 0 offset:292
	;; [unrolled: 1-line block ×26, first 2 shown]
	ds_read_b128 v[100:103], v98 offset:672
	ds_read_b128 v[104:107], v98 offset:688
	;; [unrolled: 1-line block ×6, first 2 shown]
	v_cmp_lt_u32_e32 vcc, 34, v0
	s_waitcnt vmcnt(24) lgkmcnt(5)
	v_fma_f64 v[98:99], v[124:125], v[100:101], 0
	s_waitcnt vmcnt(22)
	v_fmac_f64_e32 v[98:99], v[126:127], v[102:103]
	s_waitcnt vmcnt(20) lgkmcnt(4)
	v_fmac_f64_e32 v[98:99], v[128:129], v[104:105]
	s_waitcnt vmcnt(18)
	v_fmac_f64_e32 v[98:99], v[130:131], v[106:107]
	s_waitcnt vmcnt(16) lgkmcnt(3)
	v_fmac_f64_e32 v[98:99], v[132:133], v[108:109]
	;; [unrolled: 4-line block ×3, first 2 shown]
	s_waitcnt vmcnt(5)
	v_fmac_f64_e32 v[98:99], v[144:145], v[114:115]
	s_waitcnt lgkmcnt(1)
	v_fmac_f64_e32 v[98:99], v[142:143], v[116:117]
	v_fmac_f64_e32 v[98:99], v[140:141], v[118:119]
	s_waitcnt vmcnt(4) lgkmcnt(0)
	v_fmac_f64_e32 v[98:99], v[138:139], v[120:121]
	s_waitcnt vmcnt(2)
	v_fmac_f64_e32 v[98:99], v[146:147], v[122:123]
	s_waitcnt vmcnt(0)
	v_add_f64 v[98:99], v[148:149], -v[98:99]
	buffer_store_dword v99, off, s[0:3], 0 offset:284
	buffer_store_dword v98, off, s[0:3], 0 offset:280
	s_and_saveexec_b64 s[4:5], vcc
	s_cbranch_execz .LBB111_227
; %bb.226:
	buffer_load_dword v98, off, s[0:3], 0 offset:272
	buffer_load_dword v99, off, s[0:3], 0 offset:276
	v_mov_b32_e32 v100, 0
	buffer_store_dword v100, off, s[0:3], 0 offset:272
	buffer_store_dword v100, off, s[0:3], 0 offset:276
	s_waitcnt vmcnt(2)
	ds_write_b64 v1, v[98:99]
.LBB111_227:
	s_or_b64 exec, exec, s[4:5]
	s_waitcnt lgkmcnt(0)
	; wave barrier
	s_waitcnt lgkmcnt(0)
	buffer_load_dword v124, off, s[0:3], 0 offset:280
	buffer_load_dword v125, off, s[0:3], 0 offset:284
	;; [unrolled: 1-line block ×28, first 2 shown]
	v_mov_b32_e32 v98, 0
	ds_read2_b64 v[100:103], v98 offset0:83 offset1:84
	ds_read2_b64 v[104:107], v98 offset0:85 offset1:86
	;; [unrolled: 1-line block ×6, first 2 shown]
	ds_read_b64 v[152:153], v98 offset:760
	v_cmp_lt_u32_e32 vcc, 33, v0
	s_waitcnt vmcnt(26) lgkmcnt(6)
	v_fma_f64 v[100:101], v[124:125], v[100:101], 0
	s_waitcnt vmcnt(24)
	v_fmac_f64_e32 v[100:101], v[126:127], v[102:103]
	s_waitcnt vmcnt(22) lgkmcnt(5)
	v_fmac_f64_e32 v[100:101], v[128:129], v[104:105]
	s_waitcnt vmcnt(20)
	v_fmac_f64_e32 v[100:101], v[130:131], v[106:107]
	s_waitcnt vmcnt(18) lgkmcnt(4)
	v_fmac_f64_e32 v[100:101], v[132:133], v[108:109]
	;; [unrolled: 4-line block ×3, first 2 shown]
	s_waitcnt vmcnt(6)
	v_fmac_f64_e32 v[100:101], v[144:145], v[114:115]
	s_waitcnt lgkmcnt(2)
	v_fmac_f64_e32 v[100:101], v[142:143], v[116:117]
	v_fmac_f64_e32 v[100:101], v[140:141], v[118:119]
	s_waitcnt lgkmcnt(1)
	v_fmac_f64_e32 v[100:101], v[138:139], v[120:121]
	s_waitcnt vmcnt(2)
	v_fmac_f64_e32 v[100:101], v[148:149], v[122:123]
	s_waitcnt lgkmcnt(0)
	v_fmac_f64_e32 v[100:101], v[146:147], v[152:153]
	s_waitcnt vmcnt(0)
	v_add_f64 v[100:101], v[150:151], -v[100:101]
	buffer_store_dword v101, off, s[0:3], 0 offset:276
	buffer_store_dword v100, off, s[0:3], 0 offset:272
	s_and_saveexec_b64 s[4:5], vcc
	s_cbranch_execz .LBB111_229
; %bb.228:
	buffer_load_dword v100, off, s[0:3], 0 offset:264
	buffer_load_dword v101, off, s[0:3], 0 offset:268
	s_waitcnt vmcnt(0)
	ds_write_b64 v1, v[100:101]
	buffer_store_dword v98, off, s[0:3], 0 offset:264
	buffer_store_dword v98, off, s[0:3], 0 offset:268
.LBB111_229:
	s_or_b64 exec, exec, s[4:5]
	s_waitcnt lgkmcnt(0)
	; wave barrier
	s_waitcnt lgkmcnt(0)
	buffer_load_dword v128, off, s[0:3], 0 offset:272
	buffer_load_dword v129, off, s[0:3], 0 offset:276
	;; [unrolled: 1-line block ×30, first 2 shown]
	ds_read_b128 v[100:103], v98 offset:656
	ds_read_b128 v[104:107], v98 offset:672
	;; [unrolled: 1-line block ×7, first 2 shown]
	v_cmp_lt_u32_e32 vcc, 32, v0
	s_waitcnt vmcnt(28) lgkmcnt(6)
	v_fma_f64 v[98:99], v[128:129], v[100:101], 0
	s_waitcnt vmcnt(26)
	v_fmac_f64_e32 v[98:99], v[130:131], v[102:103]
	s_waitcnt vmcnt(24) lgkmcnt(5)
	v_fmac_f64_e32 v[98:99], v[132:133], v[104:105]
	s_waitcnt vmcnt(22)
	v_fmac_f64_e32 v[98:99], v[134:135], v[106:107]
	s_waitcnt vmcnt(20) lgkmcnt(4)
	v_fmac_f64_e32 v[98:99], v[136:137], v[108:109]
	;; [unrolled: 4-line block ×3, first 2 shown]
	s_waitcnt vmcnt(8)
	v_fmac_f64_e32 v[98:99], v[148:149], v[114:115]
	s_waitcnt lgkmcnt(2)
	v_fmac_f64_e32 v[98:99], v[146:147], v[116:117]
	v_fmac_f64_e32 v[98:99], v[144:145], v[118:119]
	s_waitcnt lgkmcnt(1)
	v_fmac_f64_e32 v[98:99], v[142:143], v[120:121]
	s_waitcnt vmcnt(3)
	v_fmac_f64_e32 v[98:99], v[154:155], v[122:123]
	s_waitcnt lgkmcnt(0)
	v_fmac_f64_e32 v[98:99], v[152:153], v[124:125]
	s_waitcnt vmcnt(2)
	v_fmac_f64_e32 v[98:99], v[150:151], v[126:127]
	s_waitcnt vmcnt(0)
	v_add_f64 v[98:99], v[156:157], -v[98:99]
	buffer_store_dword v99, off, s[0:3], 0 offset:268
	buffer_store_dword v98, off, s[0:3], 0 offset:264
	s_and_saveexec_b64 s[4:5], vcc
	s_cbranch_execz .LBB111_231
; %bb.230:
	buffer_load_dword v98, off, s[0:3], 0 offset:256
	buffer_load_dword v99, off, s[0:3], 0 offset:260
	v_mov_b32_e32 v100, 0
	buffer_store_dword v100, off, s[0:3], 0 offset:256
	buffer_store_dword v100, off, s[0:3], 0 offset:260
	s_waitcnt vmcnt(2)
	ds_write_b64 v1, v[98:99]
.LBB111_231:
	s_or_b64 exec, exec, s[4:5]
	s_waitcnt lgkmcnt(0)
	; wave barrier
	s_waitcnt lgkmcnt(0)
	buffer_load_dword v128, off, s[0:3], 0 offset:264
	buffer_load_dword v129, off, s[0:3], 0 offset:268
	;; [unrolled: 1-line block ×32, first 2 shown]
	v_mov_b32_e32 v98, 0
	ds_read2_b64 v[100:103], v98 offset0:81 offset1:82
	ds_read2_b64 v[104:107], v98 offset0:83 offset1:84
	;; [unrolled: 1-line block ×7, first 2 shown]
	ds_read_b64 v[160:161], v98 offset:760
	v_cmp_lt_u32_e32 vcc, 31, v0
	s_waitcnt vmcnt(30) lgkmcnt(7)
	v_fma_f64 v[100:101], v[128:129], v[100:101], 0
	s_waitcnt vmcnt(28)
	v_fmac_f64_e32 v[100:101], v[130:131], v[102:103]
	s_waitcnt vmcnt(26) lgkmcnt(6)
	v_fmac_f64_e32 v[100:101], v[132:133], v[104:105]
	s_waitcnt vmcnt(24)
	v_fmac_f64_e32 v[100:101], v[134:135], v[106:107]
	s_waitcnt vmcnt(22) lgkmcnt(5)
	v_fmac_f64_e32 v[100:101], v[136:137], v[108:109]
	;; [unrolled: 4-line block ×3, first 2 shown]
	s_waitcnt vmcnt(10)
	v_fmac_f64_e32 v[100:101], v[148:149], v[114:115]
	s_waitcnt lgkmcnt(3)
	v_fmac_f64_e32 v[100:101], v[146:147], v[116:117]
	v_fmac_f64_e32 v[100:101], v[144:145], v[118:119]
	s_waitcnt lgkmcnt(2)
	v_fmac_f64_e32 v[100:101], v[142:143], v[120:121]
	s_waitcnt vmcnt(4)
	v_fmac_f64_e32 v[100:101], v[156:157], v[122:123]
	s_waitcnt lgkmcnt(1)
	v_fmac_f64_e32 v[100:101], v[154:155], v[124:125]
	s_waitcnt vmcnt(3)
	v_fmac_f64_e32 v[100:101], v[152:153], v[126:127]
	s_waitcnt vmcnt(2) lgkmcnt(0)
	v_fmac_f64_e32 v[100:101], v[150:151], v[160:161]
	s_waitcnt vmcnt(0)
	v_add_f64 v[100:101], v[158:159], -v[100:101]
	buffer_store_dword v101, off, s[0:3], 0 offset:260
	buffer_store_dword v100, off, s[0:3], 0 offset:256
	s_and_saveexec_b64 s[4:5], vcc
	s_cbranch_execz .LBB111_233
; %bb.232:
	buffer_load_dword v100, off, s[0:3], 0 offset:248
	buffer_load_dword v101, off, s[0:3], 0 offset:252
	s_waitcnt vmcnt(0)
	ds_write_b64 v1, v[100:101]
	buffer_store_dword v98, off, s[0:3], 0 offset:248
	buffer_store_dword v98, off, s[0:3], 0 offset:252
.LBB111_233:
	s_or_b64 exec, exec, s[4:5]
	s_waitcnt lgkmcnt(0)
	; wave barrier
	s_waitcnt lgkmcnt(0)
	buffer_load_dword v132, off, s[0:3], 0 offset:256
	buffer_load_dword v133, off, s[0:3], 0 offset:260
	;; [unrolled: 1-line block ×34, first 2 shown]
	ds_read_b128 v[100:103], v98 offset:640
	ds_read_b128 v[104:107], v98 offset:656
	;; [unrolled: 1-line block ×8, first 2 shown]
	v_cmp_lt_u32_e32 vcc, 30, v0
	s_waitcnt vmcnt(32) lgkmcnt(7)
	v_fma_f64 v[98:99], v[132:133], v[100:101], 0
	s_waitcnt vmcnt(30)
	v_fmac_f64_e32 v[98:99], v[134:135], v[102:103]
	s_waitcnt vmcnt(28) lgkmcnt(6)
	v_fmac_f64_e32 v[98:99], v[136:137], v[104:105]
	s_waitcnt vmcnt(26)
	v_fmac_f64_e32 v[98:99], v[138:139], v[106:107]
	s_waitcnt vmcnt(24) lgkmcnt(5)
	v_fmac_f64_e32 v[98:99], v[140:141], v[108:109]
	s_waitcnt vmcnt(22)
	v_fmac_f64_e32 v[98:99], v[142:143], v[110:111]
	s_waitcnt vmcnt(20) lgkmcnt(4)
	v_fmac_f64_e32 v[98:99], v[144:145], v[112:113]
	s_waitcnt vmcnt(12)
	v_fmac_f64_e32 v[98:99], v[152:153], v[114:115]
	s_waitcnt lgkmcnt(3)
	v_fmac_f64_e32 v[98:99], v[150:151], v[116:117]
	v_fmac_f64_e32 v[98:99], v[148:149], v[118:119]
	s_waitcnt lgkmcnt(2)
	v_fmac_f64_e32 v[98:99], v[146:147], v[120:121]
	s_waitcnt vmcnt(5)
	v_fmac_f64_e32 v[98:99], v[160:161], v[122:123]
	s_waitcnt lgkmcnt(1)
	v_fmac_f64_e32 v[98:99], v[158:159], v[124:125]
	v_fmac_f64_e32 v[98:99], v[156:157], v[126:127]
	s_waitcnt vmcnt(4) lgkmcnt(0)
	v_fmac_f64_e32 v[98:99], v[154:155], v[128:129]
	s_waitcnt vmcnt(2)
	v_fmac_f64_e32 v[98:99], v[162:163], v[130:131]
	s_waitcnt vmcnt(0)
	v_add_f64 v[98:99], v[164:165], -v[98:99]
	buffer_store_dword v99, off, s[0:3], 0 offset:252
	buffer_store_dword v98, off, s[0:3], 0 offset:248
	s_and_saveexec_b64 s[4:5], vcc
	s_cbranch_execz .LBB111_235
; %bb.234:
	buffer_load_dword v98, off, s[0:3], 0 offset:240
	buffer_load_dword v99, off, s[0:3], 0 offset:244
	v_mov_b32_e32 v100, 0
	buffer_store_dword v100, off, s[0:3], 0 offset:240
	buffer_store_dword v100, off, s[0:3], 0 offset:244
	s_waitcnt vmcnt(2)
	ds_write_b64 v1, v[98:99]
.LBB111_235:
	s_or_b64 exec, exec, s[4:5]
	s_waitcnt lgkmcnt(0)
	; wave barrier
	s_waitcnt lgkmcnt(0)
	buffer_load_dword v98, off, s[0:3], 0 offset:240
	buffer_load_dword v99, off, s[0:3], 0 offset:244
	;; [unrolled: 1-line block ×16, first 2 shown]
	v_mov_b32_e32 v102, 0
	ds_read2_b64 v[104:107], v102 offset0:79 offset1:80
	v_cmp_lt_u32_e32 vcc, 29, v0
	s_waitcnt vmcnt(12) lgkmcnt(0)
	v_fma_f64 v[100:101], v[100:101], v[104:105], 0
	s_waitcnt vmcnt(10)
	v_fmac_f64_e32 v[100:101], v[108:109], v[106:107]
	ds_read2_b64 v[104:107], v102 offset0:81 offset1:82
	s_waitcnt vmcnt(8) lgkmcnt(0)
	v_fmac_f64_e32 v[100:101], v[110:111], v[104:105]
	s_waitcnt vmcnt(6)
	v_fmac_f64_e32 v[100:101], v[112:113], v[106:107]
	ds_read2_b64 v[104:107], v102 offset0:83 offset1:84
	s_waitcnt vmcnt(4) lgkmcnt(0)
	v_fmac_f64_e32 v[100:101], v[114:115], v[104:105]
	;; [unrolled: 5-line block ×3, first 2 shown]
	buffer_load_dword v105, off, s[0:3], 0 offset:308
	buffer_load_dword v104, off, s[0:3], 0 offset:304
	buffer_load_dword v109, off, s[0:3], 0 offset:316
	buffer_load_dword v108, off, s[0:3], 0 offset:312
	s_waitcnt vmcnt(2)
	v_fmac_f64_e32 v[100:101], v[104:105], v[106:107]
	ds_read2_b64 v[104:107], v102 offset0:87 offset1:88
	s_waitcnt vmcnt(0) lgkmcnt(0)
	v_fmac_f64_e32 v[100:101], v[108:109], v[104:105]
	buffer_load_dword v105, off, s[0:3], 0 offset:324
	buffer_load_dword v104, off, s[0:3], 0 offset:320
	buffer_load_dword v109, off, s[0:3], 0 offset:332
	buffer_load_dword v108, off, s[0:3], 0 offset:328
	s_waitcnt vmcnt(2)
	v_fmac_f64_e32 v[100:101], v[104:105], v[106:107]
	ds_read2_b64 v[104:107], v102 offset0:89 offset1:90
	s_waitcnt vmcnt(0) lgkmcnt(0)
	v_fmac_f64_e32 v[100:101], v[108:109], v[104:105]
	;; [unrolled: 9-line block ×4, first 2 shown]
	buffer_load_dword v105, off, s[0:3], 0 offset:372
	buffer_load_dword v104, off, s[0:3], 0 offset:368
	s_waitcnt vmcnt(0)
	v_fmac_f64_e32 v[100:101], v[104:105], v[106:107]
	buffer_load_dword v105, off, s[0:3], 0 offset:380
	buffer_load_dword v104, off, s[0:3], 0 offset:376
	ds_read_b64 v[106:107], v102 offset:760
	s_waitcnt vmcnt(0) lgkmcnt(0)
	v_fmac_f64_e32 v[100:101], v[104:105], v[106:107]
	v_add_f64 v[98:99], v[98:99], -v[100:101]
	buffer_store_dword v99, off, s[0:3], 0 offset:244
	buffer_store_dword v98, off, s[0:3], 0 offset:240
	s_and_saveexec_b64 s[4:5], vcc
	s_cbranch_execz .LBB111_237
; %bb.236:
	buffer_load_dword v98, off, s[0:3], 0 offset:232
	buffer_load_dword v99, off, s[0:3], 0 offset:236
	s_waitcnt vmcnt(0)
	ds_write_b64 v1, v[98:99]
	buffer_store_dword v102, off, s[0:3], 0 offset:232
	buffer_store_dword v102, off, s[0:3], 0 offset:236
.LBB111_237:
	s_or_b64 exec, exec, s[4:5]
	s_waitcnt lgkmcnt(0)
	; wave barrier
	s_waitcnt lgkmcnt(0)
	buffer_load_dword v98, off, s[0:3], 0 offset:232
	buffer_load_dword v99, off, s[0:3], 0 offset:236
	buffer_load_dword v100, off, s[0:3], 0 offset:240
	buffer_load_dword v101, off, s[0:3], 0 offset:244
	buffer_load_dword v120, off, s[0:3], 0 offset:248
	buffer_load_dword v121, off, s[0:3], 0 offset:252
	buffer_load_dword v122, off, s[0:3], 0 offset:256
	buffer_load_dword v123, off, s[0:3], 0 offset:260
	buffer_load_dword v124, off, s[0:3], 0 offset:264
	buffer_load_dword v125, off, s[0:3], 0 offset:268
	buffer_load_dword v126, off, s[0:3], 0 offset:272
	buffer_load_dword v127, off, s[0:3], 0 offset:276
	buffer_load_dword v128, off, s[0:3], 0 offset:280
	buffer_load_dword v129, off, s[0:3], 0 offset:284
	buffer_load_dword v130, off, s[0:3], 0 offset:288
	buffer_load_dword v131, off, s[0:3], 0 offset:292
	ds_read_b128 v[104:107], v102 offset:624
	ds_read_b128 v[108:111], v102 offset:640
	;; [unrolled: 1-line block ×4, first 2 shown]
	v_cmp_lt_u32_e32 vcc, 28, v0
	s_waitcnt vmcnt(12) lgkmcnt(3)
	v_fma_f64 v[100:101], v[100:101], v[104:105], 0
	buffer_load_dword v105, off, s[0:3], 0 offset:300
	buffer_load_dword v104, off, s[0:3], 0 offset:296
	s_waitcnt vmcnt(12)
	v_fmac_f64_e32 v[100:101], v[120:121], v[106:107]
	s_waitcnt vmcnt(10) lgkmcnt(2)
	v_fmac_f64_e32 v[100:101], v[122:123], v[108:109]
	buffer_load_dword v109, off, s[0:3], 0 offset:308
	buffer_load_dword v108, off, s[0:3], 0 offset:304
	s_waitcnt vmcnt(10)
	v_fmac_f64_e32 v[100:101], v[124:125], v[110:111]
	s_waitcnt vmcnt(8) lgkmcnt(1)
	v_fmac_f64_e32 v[100:101], v[126:127], v[112:113]
	s_waitcnt vmcnt(6)
	v_fmac_f64_e32 v[100:101], v[128:129], v[114:115]
	s_waitcnt vmcnt(4) lgkmcnt(0)
	v_fmac_f64_e32 v[100:101], v[130:131], v[116:117]
	s_waitcnt vmcnt(2)
	v_fmac_f64_e32 v[100:101], v[104:105], v[118:119]
	ds_read_b128 v[104:107], v102 offset:688
	s_waitcnt vmcnt(0) lgkmcnt(0)
	v_fmac_f64_e32 v[100:101], v[108:109], v[104:105]
	buffer_load_dword v105, off, s[0:3], 0 offset:316
	buffer_load_dword v104, off, s[0:3], 0 offset:312
	buffer_load_dword v109, off, s[0:3], 0 offset:324
	buffer_load_dword v108, off, s[0:3], 0 offset:320
	s_waitcnt vmcnt(2)
	v_fmac_f64_e32 v[100:101], v[104:105], v[106:107]
	ds_read_b128 v[104:107], v102 offset:704
	s_waitcnt vmcnt(0) lgkmcnt(0)
	v_fmac_f64_e32 v[100:101], v[108:109], v[104:105]
	buffer_load_dword v105, off, s[0:3], 0 offset:332
	buffer_load_dword v104, off, s[0:3], 0 offset:328
	buffer_load_dword v109, off, s[0:3], 0 offset:340
	buffer_load_dword v108, off, s[0:3], 0 offset:336
	;; [unrolled: 9-line block ×3, first 2 shown]
	s_waitcnt vmcnt(2)
	v_fmac_f64_e32 v[100:101], v[104:105], v[106:107]
	ds_read_b128 v[104:107], v102 offset:736
	s_waitcnt vmcnt(0) lgkmcnt(0)
	v_fmac_f64_e32 v[100:101], v[108:109], v[104:105]
	buffer_load_dword v105, off, s[0:3], 0 offset:364
	buffer_load_dword v104, off, s[0:3], 0 offset:360
	s_waitcnt vmcnt(0)
	v_fmac_f64_e32 v[100:101], v[104:105], v[106:107]
	buffer_load_dword v107, off, s[0:3], 0 offset:372
	buffer_load_dword v106, off, s[0:3], 0 offset:368
	ds_read_b128 v[102:105], v102 offset:752
	s_waitcnt vmcnt(0) lgkmcnt(0)
	v_fmac_f64_e32 v[100:101], v[106:107], v[102:103]
	buffer_load_dword v103, off, s[0:3], 0 offset:380
	buffer_load_dword v102, off, s[0:3], 0 offset:376
	s_waitcnt vmcnt(0)
	v_fmac_f64_e32 v[100:101], v[102:103], v[104:105]
	v_add_f64 v[98:99], v[98:99], -v[100:101]
	buffer_store_dword v99, off, s[0:3], 0 offset:236
	buffer_store_dword v98, off, s[0:3], 0 offset:232
	s_and_saveexec_b64 s[4:5], vcc
	s_cbranch_execz .LBB111_239
; %bb.238:
	buffer_load_dword v98, off, s[0:3], 0 offset:224
	buffer_load_dword v99, off, s[0:3], 0 offset:228
	v_mov_b32_e32 v100, 0
	buffer_store_dword v100, off, s[0:3], 0 offset:224
	buffer_store_dword v100, off, s[0:3], 0 offset:228
	s_waitcnt vmcnt(2)
	ds_write_b64 v1, v[98:99]
.LBB111_239:
	s_or_b64 exec, exec, s[4:5]
	s_waitcnt lgkmcnt(0)
	; wave barrier
	s_waitcnt lgkmcnt(0)
	buffer_load_dword v98, off, s[0:3], 0 offset:224
	buffer_load_dword v99, off, s[0:3], 0 offset:228
	;; [unrolled: 1-line block ×16, first 2 shown]
	v_mov_b32_e32 v102, 0
	ds_read2_b64 v[104:107], v102 offset0:77 offset1:78
	v_cmp_lt_u32_e32 vcc, 27, v0
	s_waitcnt vmcnt(12) lgkmcnt(0)
	v_fma_f64 v[100:101], v[100:101], v[104:105], 0
	s_waitcnt vmcnt(10)
	v_fmac_f64_e32 v[100:101], v[108:109], v[106:107]
	ds_read2_b64 v[104:107], v102 offset0:79 offset1:80
	s_waitcnt vmcnt(8) lgkmcnt(0)
	v_fmac_f64_e32 v[100:101], v[110:111], v[104:105]
	s_waitcnt vmcnt(6)
	v_fmac_f64_e32 v[100:101], v[112:113], v[106:107]
	ds_read2_b64 v[104:107], v102 offset0:81 offset1:82
	s_waitcnt vmcnt(4) lgkmcnt(0)
	v_fmac_f64_e32 v[100:101], v[114:115], v[104:105]
	;; [unrolled: 5-line block ×3, first 2 shown]
	buffer_load_dword v105, off, s[0:3], 0 offset:292
	buffer_load_dword v104, off, s[0:3], 0 offset:288
	buffer_load_dword v109, off, s[0:3], 0 offset:300
	buffer_load_dword v108, off, s[0:3], 0 offset:296
	s_waitcnt vmcnt(2)
	v_fmac_f64_e32 v[100:101], v[104:105], v[106:107]
	ds_read2_b64 v[104:107], v102 offset0:85 offset1:86
	s_waitcnt vmcnt(0) lgkmcnt(0)
	v_fmac_f64_e32 v[100:101], v[108:109], v[104:105]
	buffer_load_dword v105, off, s[0:3], 0 offset:308
	buffer_load_dword v104, off, s[0:3], 0 offset:304
	buffer_load_dword v109, off, s[0:3], 0 offset:316
	buffer_load_dword v108, off, s[0:3], 0 offset:312
	s_waitcnt vmcnt(2)
	v_fmac_f64_e32 v[100:101], v[104:105], v[106:107]
	ds_read2_b64 v[104:107], v102 offset0:87 offset1:88
	s_waitcnt vmcnt(0) lgkmcnt(0)
	v_fmac_f64_e32 v[100:101], v[108:109], v[104:105]
	;; [unrolled: 9-line block ×5, first 2 shown]
	buffer_load_dword v105, off, s[0:3], 0 offset:372
	buffer_load_dword v104, off, s[0:3], 0 offset:368
	s_waitcnt vmcnt(0)
	v_fmac_f64_e32 v[100:101], v[104:105], v[106:107]
	buffer_load_dword v105, off, s[0:3], 0 offset:380
	buffer_load_dword v104, off, s[0:3], 0 offset:376
	ds_read_b64 v[106:107], v102 offset:760
	s_waitcnt vmcnt(0) lgkmcnt(0)
	v_fmac_f64_e32 v[100:101], v[104:105], v[106:107]
	v_add_f64 v[98:99], v[98:99], -v[100:101]
	buffer_store_dword v99, off, s[0:3], 0 offset:228
	buffer_store_dword v98, off, s[0:3], 0 offset:224
	s_and_saveexec_b64 s[4:5], vcc
	s_cbranch_execz .LBB111_241
; %bb.240:
	buffer_load_dword v98, off, s[0:3], 0 offset:216
	buffer_load_dword v99, off, s[0:3], 0 offset:220
	s_waitcnt vmcnt(0)
	ds_write_b64 v1, v[98:99]
	buffer_store_dword v102, off, s[0:3], 0 offset:216
	buffer_store_dword v102, off, s[0:3], 0 offset:220
.LBB111_241:
	s_or_b64 exec, exec, s[4:5]
	s_waitcnt lgkmcnt(0)
	; wave barrier
	s_waitcnt lgkmcnt(0)
	buffer_load_dword v98, off, s[0:3], 0 offset:216
	buffer_load_dword v99, off, s[0:3], 0 offset:220
	;; [unrolled: 1-line block ×16, first 2 shown]
	ds_read_b128 v[104:107], v102 offset:608
	ds_read_b128 v[108:111], v102 offset:624
	;; [unrolled: 1-line block ×4, first 2 shown]
	v_cmp_lt_u32_e32 vcc, 26, v0
	s_waitcnt vmcnt(12) lgkmcnt(3)
	v_fma_f64 v[100:101], v[100:101], v[104:105], 0
	buffer_load_dword v105, off, s[0:3], 0 offset:284
	buffer_load_dword v104, off, s[0:3], 0 offset:280
	s_waitcnt vmcnt(12)
	v_fmac_f64_e32 v[100:101], v[120:121], v[106:107]
	s_waitcnt vmcnt(10) lgkmcnt(2)
	v_fmac_f64_e32 v[100:101], v[122:123], v[108:109]
	buffer_load_dword v109, off, s[0:3], 0 offset:292
	buffer_load_dword v108, off, s[0:3], 0 offset:288
	s_waitcnt vmcnt(10)
	v_fmac_f64_e32 v[100:101], v[124:125], v[110:111]
	s_waitcnt vmcnt(8) lgkmcnt(1)
	v_fmac_f64_e32 v[100:101], v[126:127], v[112:113]
	s_waitcnt vmcnt(6)
	v_fmac_f64_e32 v[100:101], v[128:129], v[114:115]
	s_waitcnt vmcnt(4) lgkmcnt(0)
	v_fmac_f64_e32 v[100:101], v[130:131], v[116:117]
	s_waitcnt vmcnt(2)
	v_fmac_f64_e32 v[100:101], v[104:105], v[118:119]
	ds_read_b128 v[104:107], v102 offset:672
	s_waitcnt vmcnt(0) lgkmcnt(0)
	v_fmac_f64_e32 v[100:101], v[108:109], v[104:105]
	buffer_load_dword v105, off, s[0:3], 0 offset:300
	buffer_load_dword v104, off, s[0:3], 0 offset:296
	buffer_load_dword v109, off, s[0:3], 0 offset:308
	buffer_load_dword v108, off, s[0:3], 0 offset:304
	s_waitcnt vmcnt(2)
	v_fmac_f64_e32 v[100:101], v[104:105], v[106:107]
	ds_read_b128 v[104:107], v102 offset:688
	s_waitcnt vmcnt(0) lgkmcnt(0)
	v_fmac_f64_e32 v[100:101], v[108:109], v[104:105]
	buffer_load_dword v105, off, s[0:3], 0 offset:316
	buffer_load_dword v104, off, s[0:3], 0 offset:312
	buffer_load_dword v109, off, s[0:3], 0 offset:324
	buffer_load_dword v108, off, s[0:3], 0 offset:320
	;; [unrolled: 9-line block ×4, first 2 shown]
	s_waitcnt vmcnt(2)
	v_fmac_f64_e32 v[100:101], v[104:105], v[106:107]
	ds_read_b128 v[104:107], v102 offset:736
	s_waitcnt vmcnt(0) lgkmcnt(0)
	v_fmac_f64_e32 v[100:101], v[108:109], v[104:105]
	buffer_load_dword v105, off, s[0:3], 0 offset:364
	buffer_load_dword v104, off, s[0:3], 0 offset:360
	s_waitcnt vmcnt(0)
	v_fmac_f64_e32 v[100:101], v[104:105], v[106:107]
	buffer_load_dword v107, off, s[0:3], 0 offset:372
	buffer_load_dword v106, off, s[0:3], 0 offset:368
	ds_read_b128 v[102:105], v102 offset:752
	s_waitcnt vmcnt(0) lgkmcnt(0)
	v_fmac_f64_e32 v[100:101], v[106:107], v[102:103]
	buffer_load_dword v103, off, s[0:3], 0 offset:380
	buffer_load_dword v102, off, s[0:3], 0 offset:376
	s_waitcnt vmcnt(0)
	v_fmac_f64_e32 v[100:101], v[102:103], v[104:105]
	v_add_f64 v[98:99], v[98:99], -v[100:101]
	buffer_store_dword v99, off, s[0:3], 0 offset:220
	buffer_store_dword v98, off, s[0:3], 0 offset:216
	s_and_saveexec_b64 s[4:5], vcc
	s_cbranch_execz .LBB111_243
; %bb.242:
	buffer_load_dword v98, off, s[0:3], 0 offset:208
	buffer_load_dword v99, off, s[0:3], 0 offset:212
	v_mov_b32_e32 v100, 0
	buffer_store_dword v100, off, s[0:3], 0 offset:208
	buffer_store_dword v100, off, s[0:3], 0 offset:212
	s_waitcnt vmcnt(2)
	ds_write_b64 v1, v[98:99]
.LBB111_243:
	s_or_b64 exec, exec, s[4:5]
	s_waitcnt lgkmcnt(0)
	; wave barrier
	s_waitcnt lgkmcnt(0)
	buffer_load_dword v98, off, s[0:3], 0 offset:208
	buffer_load_dword v99, off, s[0:3], 0 offset:212
	buffer_load_dword v100, off, s[0:3], 0 offset:216
	buffer_load_dword v101, off, s[0:3], 0 offset:220
	buffer_load_dword v108, off, s[0:3], 0 offset:224
	buffer_load_dword v109, off, s[0:3], 0 offset:228
	buffer_load_dword v110, off, s[0:3], 0 offset:232
	buffer_load_dword v111, off, s[0:3], 0 offset:236
	buffer_load_dword v112, off, s[0:3], 0 offset:240
	buffer_load_dword v113, off, s[0:3], 0 offset:244
	buffer_load_dword v114, off, s[0:3], 0 offset:248
	buffer_load_dword v115, off, s[0:3], 0 offset:252
	buffer_load_dword v116, off, s[0:3], 0 offset:256
	buffer_load_dword v117, off, s[0:3], 0 offset:260
	buffer_load_dword v118, off, s[0:3], 0 offset:264
	buffer_load_dword v119, off, s[0:3], 0 offset:268
	v_mov_b32_e32 v102, 0
	ds_read2_b64 v[104:107], v102 offset0:75 offset1:76
	v_cmp_lt_u32_e32 vcc, 25, v0
	s_waitcnt vmcnt(12) lgkmcnt(0)
	v_fma_f64 v[100:101], v[100:101], v[104:105], 0
	s_waitcnt vmcnt(10)
	v_fmac_f64_e32 v[100:101], v[108:109], v[106:107]
	ds_read2_b64 v[104:107], v102 offset0:77 offset1:78
	s_waitcnt vmcnt(8) lgkmcnt(0)
	v_fmac_f64_e32 v[100:101], v[110:111], v[104:105]
	s_waitcnt vmcnt(6)
	v_fmac_f64_e32 v[100:101], v[112:113], v[106:107]
	ds_read2_b64 v[104:107], v102 offset0:79 offset1:80
	s_waitcnt vmcnt(4) lgkmcnt(0)
	v_fmac_f64_e32 v[100:101], v[114:115], v[104:105]
	;; [unrolled: 5-line block ×3, first 2 shown]
	buffer_load_dword v105, off, s[0:3], 0 offset:276
	buffer_load_dword v104, off, s[0:3], 0 offset:272
	buffer_load_dword v109, off, s[0:3], 0 offset:284
	buffer_load_dword v108, off, s[0:3], 0 offset:280
	s_waitcnt vmcnt(2)
	v_fmac_f64_e32 v[100:101], v[104:105], v[106:107]
	ds_read2_b64 v[104:107], v102 offset0:83 offset1:84
	s_waitcnt vmcnt(0) lgkmcnt(0)
	v_fmac_f64_e32 v[100:101], v[108:109], v[104:105]
	buffer_load_dword v105, off, s[0:3], 0 offset:292
	buffer_load_dword v104, off, s[0:3], 0 offset:288
	buffer_load_dword v109, off, s[0:3], 0 offset:300
	buffer_load_dword v108, off, s[0:3], 0 offset:296
	s_waitcnt vmcnt(2)
	v_fmac_f64_e32 v[100:101], v[104:105], v[106:107]
	ds_read2_b64 v[104:107], v102 offset0:85 offset1:86
	s_waitcnt vmcnt(0) lgkmcnt(0)
	v_fmac_f64_e32 v[100:101], v[108:109], v[104:105]
	;; [unrolled: 9-line block ×6, first 2 shown]
	buffer_load_dword v105, off, s[0:3], 0 offset:372
	buffer_load_dword v104, off, s[0:3], 0 offset:368
	s_waitcnt vmcnt(0)
	v_fmac_f64_e32 v[100:101], v[104:105], v[106:107]
	buffer_load_dword v105, off, s[0:3], 0 offset:380
	buffer_load_dword v104, off, s[0:3], 0 offset:376
	ds_read_b64 v[106:107], v102 offset:760
	s_waitcnt vmcnt(0) lgkmcnt(0)
	v_fmac_f64_e32 v[100:101], v[104:105], v[106:107]
	v_add_f64 v[98:99], v[98:99], -v[100:101]
	buffer_store_dword v99, off, s[0:3], 0 offset:212
	buffer_store_dword v98, off, s[0:3], 0 offset:208
	s_and_saveexec_b64 s[4:5], vcc
	s_cbranch_execz .LBB111_245
; %bb.244:
	buffer_load_dword v98, off, s[0:3], 0 offset:200
	buffer_load_dword v99, off, s[0:3], 0 offset:204
	s_waitcnt vmcnt(0)
	ds_write_b64 v1, v[98:99]
	buffer_store_dword v102, off, s[0:3], 0 offset:200
	buffer_store_dword v102, off, s[0:3], 0 offset:204
.LBB111_245:
	s_or_b64 exec, exec, s[4:5]
	s_waitcnt lgkmcnt(0)
	; wave barrier
	s_waitcnt lgkmcnt(0)
	buffer_load_dword v98, off, s[0:3], 0 offset:200
	buffer_load_dword v99, off, s[0:3], 0 offset:204
	;; [unrolled: 1-line block ×16, first 2 shown]
	ds_read_b128 v[104:107], v102 offset:592
	ds_read_b128 v[108:111], v102 offset:608
	;; [unrolled: 1-line block ×4, first 2 shown]
	v_cmp_lt_u32_e32 vcc, 24, v0
	s_waitcnt vmcnt(12) lgkmcnt(3)
	v_fma_f64 v[100:101], v[100:101], v[104:105], 0
	buffer_load_dword v105, off, s[0:3], 0 offset:268
	buffer_load_dword v104, off, s[0:3], 0 offset:264
	s_waitcnt vmcnt(12)
	v_fmac_f64_e32 v[100:101], v[120:121], v[106:107]
	s_waitcnt vmcnt(10) lgkmcnt(2)
	v_fmac_f64_e32 v[100:101], v[122:123], v[108:109]
	buffer_load_dword v109, off, s[0:3], 0 offset:276
	buffer_load_dword v108, off, s[0:3], 0 offset:272
	s_waitcnt vmcnt(10)
	v_fmac_f64_e32 v[100:101], v[124:125], v[110:111]
	s_waitcnt vmcnt(8) lgkmcnt(1)
	v_fmac_f64_e32 v[100:101], v[126:127], v[112:113]
	s_waitcnt vmcnt(6)
	v_fmac_f64_e32 v[100:101], v[128:129], v[114:115]
	s_waitcnt vmcnt(4) lgkmcnt(0)
	v_fmac_f64_e32 v[100:101], v[130:131], v[116:117]
	s_waitcnt vmcnt(2)
	v_fmac_f64_e32 v[100:101], v[104:105], v[118:119]
	ds_read_b128 v[104:107], v102 offset:656
	s_waitcnt vmcnt(0) lgkmcnt(0)
	v_fmac_f64_e32 v[100:101], v[108:109], v[104:105]
	buffer_load_dword v105, off, s[0:3], 0 offset:284
	buffer_load_dword v104, off, s[0:3], 0 offset:280
	buffer_load_dword v109, off, s[0:3], 0 offset:292
	buffer_load_dword v108, off, s[0:3], 0 offset:288
	s_waitcnt vmcnt(2)
	v_fmac_f64_e32 v[100:101], v[104:105], v[106:107]
	ds_read_b128 v[104:107], v102 offset:672
	s_waitcnt vmcnt(0) lgkmcnt(0)
	v_fmac_f64_e32 v[100:101], v[108:109], v[104:105]
	buffer_load_dword v105, off, s[0:3], 0 offset:300
	buffer_load_dword v104, off, s[0:3], 0 offset:296
	buffer_load_dword v109, off, s[0:3], 0 offset:308
	buffer_load_dword v108, off, s[0:3], 0 offset:304
	;; [unrolled: 9-line block ×5, first 2 shown]
	s_waitcnt vmcnt(2)
	v_fmac_f64_e32 v[100:101], v[104:105], v[106:107]
	ds_read_b128 v[104:107], v102 offset:736
	s_waitcnt vmcnt(0) lgkmcnt(0)
	v_fmac_f64_e32 v[100:101], v[108:109], v[104:105]
	buffer_load_dword v105, off, s[0:3], 0 offset:364
	buffer_load_dword v104, off, s[0:3], 0 offset:360
	s_waitcnt vmcnt(0)
	v_fmac_f64_e32 v[100:101], v[104:105], v[106:107]
	buffer_load_dword v107, off, s[0:3], 0 offset:372
	buffer_load_dword v106, off, s[0:3], 0 offset:368
	ds_read_b128 v[102:105], v102 offset:752
	s_waitcnt vmcnt(0) lgkmcnt(0)
	v_fmac_f64_e32 v[100:101], v[106:107], v[102:103]
	buffer_load_dword v103, off, s[0:3], 0 offset:380
	buffer_load_dword v102, off, s[0:3], 0 offset:376
	s_waitcnt vmcnt(0)
	v_fmac_f64_e32 v[100:101], v[102:103], v[104:105]
	v_add_f64 v[98:99], v[98:99], -v[100:101]
	buffer_store_dword v99, off, s[0:3], 0 offset:204
	buffer_store_dword v98, off, s[0:3], 0 offset:200
	s_and_saveexec_b64 s[4:5], vcc
	s_cbranch_execz .LBB111_247
; %bb.246:
	buffer_load_dword v98, off, s[0:3], 0 offset:192
	buffer_load_dword v99, off, s[0:3], 0 offset:196
	v_mov_b32_e32 v100, 0
	buffer_store_dword v100, off, s[0:3], 0 offset:192
	buffer_store_dword v100, off, s[0:3], 0 offset:196
	s_waitcnt vmcnt(2)
	ds_write_b64 v1, v[98:99]
.LBB111_247:
	s_or_b64 exec, exec, s[4:5]
	s_waitcnt lgkmcnt(0)
	; wave barrier
	s_waitcnt lgkmcnt(0)
	buffer_load_dword v98, off, s[0:3], 0 offset:192
	buffer_load_dword v99, off, s[0:3], 0 offset:196
	buffer_load_dword v100, off, s[0:3], 0 offset:200
	buffer_load_dword v101, off, s[0:3], 0 offset:204
	buffer_load_dword v108, off, s[0:3], 0 offset:208
	buffer_load_dword v109, off, s[0:3], 0 offset:212
	buffer_load_dword v110, off, s[0:3], 0 offset:216
	buffer_load_dword v111, off, s[0:3], 0 offset:220
	buffer_load_dword v112, off, s[0:3], 0 offset:224
	buffer_load_dword v113, off, s[0:3], 0 offset:228
	buffer_load_dword v114, off, s[0:3], 0 offset:232
	buffer_load_dword v115, off, s[0:3], 0 offset:236
	buffer_load_dword v116, off, s[0:3], 0 offset:240
	buffer_load_dword v117, off, s[0:3], 0 offset:244
	buffer_load_dword v118, off, s[0:3], 0 offset:248
	buffer_load_dword v119, off, s[0:3], 0 offset:252
	v_mov_b32_e32 v102, 0
	ds_read2_b64 v[104:107], v102 offset0:73 offset1:74
	v_cmp_lt_u32_e32 vcc, 23, v0
	s_waitcnt vmcnt(12) lgkmcnt(0)
	v_fma_f64 v[100:101], v[100:101], v[104:105], 0
	s_waitcnt vmcnt(10)
	v_fmac_f64_e32 v[100:101], v[108:109], v[106:107]
	ds_read2_b64 v[104:107], v102 offset0:75 offset1:76
	s_waitcnt vmcnt(8) lgkmcnt(0)
	v_fmac_f64_e32 v[100:101], v[110:111], v[104:105]
	s_waitcnt vmcnt(6)
	v_fmac_f64_e32 v[100:101], v[112:113], v[106:107]
	ds_read2_b64 v[104:107], v102 offset0:77 offset1:78
	s_waitcnt vmcnt(4) lgkmcnt(0)
	v_fmac_f64_e32 v[100:101], v[114:115], v[104:105]
	;; [unrolled: 5-line block ×3, first 2 shown]
	buffer_load_dword v105, off, s[0:3], 0 offset:260
	buffer_load_dword v104, off, s[0:3], 0 offset:256
	buffer_load_dword v109, off, s[0:3], 0 offset:268
	buffer_load_dword v108, off, s[0:3], 0 offset:264
	s_waitcnt vmcnt(2)
	v_fmac_f64_e32 v[100:101], v[104:105], v[106:107]
	ds_read2_b64 v[104:107], v102 offset0:81 offset1:82
	s_waitcnt vmcnt(0) lgkmcnt(0)
	v_fmac_f64_e32 v[100:101], v[108:109], v[104:105]
	buffer_load_dword v105, off, s[0:3], 0 offset:276
	buffer_load_dword v104, off, s[0:3], 0 offset:272
	buffer_load_dword v109, off, s[0:3], 0 offset:284
	buffer_load_dword v108, off, s[0:3], 0 offset:280
	s_waitcnt vmcnt(2)
	v_fmac_f64_e32 v[100:101], v[104:105], v[106:107]
	ds_read2_b64 v[104:107], v102 offset0:83 offset1:84
	s_waitcnt vmcnt(0) lgkmcnt(0)
	v_fmac_f64_e32 v[100:101], v[108:109], v[104:105]
	;; [unrolled: 9-line block ×7, first 2 shown]
	buffer_load_dword v105, off, s[0:3], 0 offset:372
	buffer_load_dword v104, off, s[0:3], 0 offset:368
	s_waitcnt vmcnt(0)
	v_fmac_f64_e32 v[100:101], v[104:105], v[106:107]
	buffer_load_dword v105, off, s[0:3], 0 offset:380
	buffer_load_dword v104, off, s[0:3], 0 offset:376
	ds_read_b64 v[106:107], v102 offset:760
	s_waitcnt vmcnt(0) lgkmcnt(0)
	v_fmac_f64_e32 v[100:101], v[104:105], v[106:107]
	v_add_f64 v[98:99], v[98:99], -v[100:101]
	buffer_store_dword v99, off, s[0:3], 0 offset:196
	buffer_store_dword v98, off, s[0:3], 0 offset:192
	s_and_saveexec_b64 s[4:5], vcc
	s_cbranch_execz .LBB111_249
; %bb.248:
	buffer_load_dword v98, off, s[0:3], 0 offset:184
	buffer_load_dword v99, off, s[0:3], 0 offset:188
	s_waitcnt vmcnt(0)
	ds_write_b64 v1, v[98:99]
	buffer_store_dword v102, off, s[0:3], 0 offset:184
	buffer_store_dword v102, off, s[0:3], 0 offset:188
.LBB111_249:
	s_or_b64 exec, exec, s[4:5]
	s_waitcnt lgkmcnt(0)
	; wave barrier
	s_waitcnt lgkmcnt(0)
	buffer_load_dword v98, off, s[0:3], 0 offset:184
	buffer_load_dword v99, off, s[0:3], 0 offset:188
	;; [unrolled: 1-line block ×16, first 2 shown]
	ds_read_b128 v[104:107], v102 offset:576
	ds_read_b128 v[108:111], v102 offset:592
	;; [unrolled: 1-line block ×4, first 2 shown]
	v_cmp_lt_u32_e32 vcc, 22, v0
	s_waitcnt vmcnt(12) lgkmcnt(3)
	v_fma_f64 v[100:101], v[100:101], v[104:105], 0
	buffer_load_dword v105, off, s[0:3], 0 offset:252
	buffer_load_dword v104, off, s[0:3], 0 offset:248
	s_waitcnt vmcnt(12)
	v_fmac_f64_e32 v[100:101], v[120:121], v[106:107]
	s_waitcnt vmcnt(10) lgkmcnt(2)
	v_fmac_f64_e32 v[100:101], v[122:123], v[108:109]
	buffer_load_dword v109, off, s[0:3], 0 offset:260
	buffer_load_dword v108, off, s[0:3], 0 offset:256
	s_waitcnt vmcnt(10)
	v_fmac_f64_e32 v[100:101], v[124:125], v[110:111]
	s_waitcnt vmcnt(8) lgkmcnt(1)
	v_fmac_f64_e32 v[100:101], v[126:127], v[112:113]
	s_waitcnt vmcnt(6)
	v_fmac_f64_e32 v[100:101], v[128:129], v[114:115]
	s_waitcnt vmcnt(4) lgkmcnt(0)
	v_fmac_f64_e32 v[100:101], v[130:131], v[116:117]
	s_waitcnt vmcnt(2)
	v_fmac_f64_e32 v[100:101], v[104:105], v[118:119]
	ds_read_b128 v[104:107], v102 offset:640
	s_waitcnt vmcnt(0) lgkmcnt(0)
	v_fmac_f64_e32 v[100:101], v[108:109], v[104:105]
	buffer_load_dword v105, off, s[0:3], 0 offset:268
	buffer_load_dword v104, off, s[0:3], 0 offset:264
	buffer_load_dword v109, off, s[0:3], 0 offset:276
	buffer_load_dword v108, off, s[0:3], 0 offset:272
	s_waitcnt vmcnt(2)
	v_fmac_f64_e32 v[100:101], v[104:105], v[106:107]
	ds_read_b128 v[104:107], v102 offset:656
	s_waitcnt vmcnt(0) lgkmcnt(0)
	v_fmac_f64_e32 v[100:101], v[108:109], v[104:105]
	buffer_load_dword v105, off, s[0:3], 0 offset:284
	buffer_load_dword v104, off, s[0:3], 0 offset:280
	buffer_load_dword v109, off, s[0:3], 0 offset:292
	buffer_load_dword v108, off, s[0:3], 0 offset:288
	;; [unrolled: 9-line block ×6, first 2 shown]
	s_waitcnt vmcnt(2)
	v_fmac_f64_e32 v[100:101], v[104:105], v[106:107]
	ds_read_b128 v[104:107], v102 offset:736
	s_waitcnt vmcnt(0) lgkmcnt(0)
	v_fmac_f64_e32 v[100:101], v[108:109], v[104:105]
	buffer_load_dword v105, off, s[0:3], 0 offset:364
	buffer_load_dword v104, off, s[0:3], 0 offset:360
	s_waitcnt vmcnt(0)
	v_fmac_f64_e32 v[100:101], v[104:105], v[106:107]
	buffer_load_dword v107, off, s[0:3], 0 offset:372
	buffer_load_dword v106, off, s[0:3], 0 offset:368
	ds_read_b128 v[102:105], v102 offset:752
	s_waitcnt vmcnt(0) lgkmcnt(0)
	v_fmac_f64_e32 v[100:101], v[106:107], v[102:103]
	buffer_load_dword v103, off, s[0:3], 0 offset:380
	buffer_load_dword v102, off, s[0:3], 0 offset:376
	s_waitcnt vmcnt(0)
	v_fmac_f64_e32 v[100:101], v[102:103], v[104:105]
	v_add_f64 v[98:99], v[98:99], -v[100:101]
	buffer_store_dword v99, off, s[0:3], 0 offset:188
	buffer_store_dword v98, off, s[0:3], 0 offset:184
	s_and_saveexec_b64 s[4:5], vcc
	s_cbranch_execz .LBB111_251
; %bb.250:
	buffer_load_dword v98, off, s[0:3], 0 offset:176
	buffer_load_dword v99, off, s[0:3], 0 offset:180
	v_mov_b32_e32 v100, 0
	buffer_store_dword v100, off, s[0:3], 0 offset:176
	buffer_store_dword v100, off, s[0:3], 0 offset:180
	s_waitcnt vmcnt(2)
	ds_write_b64 v1, v[98:99]
.LBB111_251:
	s_or_b64 exec, exec, s[4:5]
	s_waitcnt lgkmcnt(0)
	; wave barrier
	s_waitcnt lgkmcnt(0)
	buffer_load_dword v98, off, s[0:3], 0 offset:176
	buffer_load_dword v99, off, s[0:3], 0 offset:180
	;; [unrolled: 1-line block ×16, first 2 shown]
	v_mov_b32_e32 v102, 0
	ds_read2_b64 v[104:107], v102 offset0:71 offset1:72
	v_cmp_lt_u32_e32 vcc, 21, v0
	s_waitcnt vmcnt(12) lgkmcnt(0)
	v_fma_f64 v[100:101], v[100:101], v[104:105], 0
	s_waitcnt vmcnt(10)
	v_fmac_f64_e32 v[100:101], v[108:109], v[106:107]
	ds_read2_b64 v[104:107], v102 offset0:73 offset1:74
	s_waitcnt vmcnt(8) lgkmcnt(0)
	v_fmac_f64_e32 v[100:101], v[110:111], v[104:105]
	s_waitcnt vmcnt(6)
	v_fmac_f64_e32 v[100:101], v[112:113], v[106:107]
	ds_read2_b64 v[104:107], v102 offset0:75 offset1:76
	s_waitcnt vmcnt(4) lgkmcnt(0)
	v_fmac_f64_e32 v[100:101], v[114:115], v[104:105]
	;; [unrolled: 5-line block ×3, first 2 shown]
	buffer_load_dword v105, off, s[0:3], 0 offset:244
	buffer_load_dword v104, off, s[0:3], 0 offset:240
	buffer_load_dword v109, off, s[0:3], 0 offset:252
	buffer_load_dword v108, off, s[0:3], 0 offset:248
	s_waitcnt vmcnt(2)
	v_fmac_f64_e32 v[100:101], v[104:105], v[106:107]
	ds_read2_b64 v[104:107], v102 offset0:79 offset1:80
	s_waitcnt vmcnt(0) lgkmcnt(0)
	v_fmac_f64_e32 v[100:101], v[108:109], v[104:105]
	buffer_load_dword v105, off, s[0:3], 0 offset:260
	buffer_load_dword v104, off, s[0:3], 0 offset:256
	buffer_load_dword v109, off, s[0:3], 0 offset:268
	buffer_load_dword v108, off, s[0:3], 0 offset:264
	s_waitcnt vmcnt(2)
	v_fmac_f64_e32 v[100:101], v[104:105], v[106:107]
	ds_read2_b64 v[104:107], v102 offset0:81 offset1:82
	s_waitcnt vmcnt(0) lgkmcnt(0)
	v_fmac_f64_e32 v[100:101], v[108:109], v[104:105]
	;; [unrolled: 9-line block ×8, first 2 shown]
	buffer_load_dword v105, off, s[0:3], 0 offset:372
	buffer_load_dword v104, off, s[0:3], 0 offset:368
	s_waitcnt vmcnt(0)
	v_fmac_f64_e32 v[100:101], v[104:105], v[106:107]
	buffer_load_dword v105, off, s[0:3], 0 offset:380
	buffer_load_dword v104, off, s[0:3], 0 offset:376
	ds_read_b64 v[106:107], v102 offset:760
	s_waitcnt vmcnt(0) lgkmcnt(0)
	v_fmac_f64_e32 v[100:101], v[104:105], v[106:107]
	v_add_f64 v[98:99], v[98:99], -v[100:101]
	buffer_store_dword v99, off, s[0:3], 0 offset:180
	buffer_store_dword v98, off, s[0:3], 0 offset:176
	s_and_saveexec_b64 s[4:5], vcc
	s_cbranch_execz .LBB111_253
; %bb.252:
	buffer_load_dword v98, off, s[0:3], 0 offset:168
	buffer_load_dword v99, off, s[0:3], 0 offset:172
	s_waitcnt vmcnt(0)
	ds_write_b64 v1, v[98:99]
	buffer_store_dword v102, off, s[0:3], 0 offset:168
	buffer_store_dword v102, off, s[0:3], 0 offset:172
.LBB111_253:
	s_or_b64 exec, exec, s[4:5]
	s_waitcnt lgkmcnt(0)
	; wave barrier
	s_waitcnt lgkmcnt(0)
	buffer_load_dword v98, off, s[0:3], 0 offset:168
	buffer_load_dword v99, off, s[0:3], 0 offset:172
	;; [unrolled: 1-line block ×16, first 2 shown]
	ds_read_b128 v[104:107], v102 offset:560
	ds_read_b128 v[108:111], v102 offset:576
	ds_read_b128 v[112:115], v102 offset:592
	ds_read_b128 v[116:119], v102 offset:608
	v_cmp_lt_u32_e32 vcc, 20, v0
	s_waitcnt vmcnt(12) lgkmcnt(3)
	v_fma_f64 v[100:101], v[100:101], v[104:105], 0
	buffer_load_dword v105, off, s[0:3], 0 offset:236
	buffer_load_dword v104, off, s[0:3], 0 offset:232
	s_waitcnt vmcnt(12)
	v_fmac_f64_e32 v[100:101], v[120:121], v[106:107]
	s_waitcnt vmcnt(10) lgkmcnt(2)
	v_fmac_f64_e32 v[100:101], v[122:123], v[108:109]
	buffer_load_dword v109, off, s[0:3], 0 offset:244
	buffer_load_dword v108, off, s[0:3], 0 offset:240
	s_waitcnt vmcnt(10)
	v_fmac_f64_e32 v[100:101], v[124:125], v[110:111]
	s_waitcnt vmcnt(8) lgkmcnt(1)
	v_fmac_f64_e32 v[100:101], v[126:127], v[112:113]
	s_waitcnt vmcnt(6)
	v_fmac_f64_e32 v[100:101], v[128:129], v[114:115]
	s_waitcnt vmcnt(4) lgkmcnt(0)
	v_fmac_f64_e32 v[100:101], v[130:131], v[116:117]
	s_waitcnt vmcnt(2)
	v_fmac_f64_e32 v[100:101], v[104:105], v[118:119]
	ds_read_b128 v[104:107], v102 offset:624
	s_waitcnt vmcnt(0) lgkmcnt(0)
	v_fmac_f64_e32 v[100:101], v[108:109], v[104:105]
	buffer_load_dword v105, off, s[0:3], 0 offset:252
	buffer_load_dword v104, off, s[0:3], 0 offset:248
	buffer_load_dword v109, off, s[0:3], 0 offset:260
	buffer_load_dword v108, off, s[0:3], 0 offset:256
	s_waitcnt vmcnt(2)
	v_fmac_f64_e32 v[100:101], v[104:105], v[106:107]
	ds_read_b128 v[104:107], v102 offset:640
	s_waitcnt vmcnt(0) lgkmcnt(0)
	v_fmac_f64_e32 v[100:101], v[108:109], v[104:105]
	buffer_load_dword v105, off, s[0:3], 0 offset:268
	buffer_load_dword v104, off, s[0:3], 0 offset:264
	buffer_load_dword v109, off, s[0:3], 0 offset:276
	buffer_load_dword v108, off, s[0:3], 0 offset:272
	;; [unrolled: 9-line block ×7, first 2 shown]
	s_waitcnt vmcnt(2)
	v_fmac_f64_e32 v[100:101], v[104:105], v[106:107]
	ds_read_b128 v[104:107], v102 offset:736
	s_waitcnt vmcnt(0) lgkmcnt(0)
	v_fmac_f64_e32 v[100:101], v[108:109], v[104:105]
	buffer_load_dword v105, off, s[0:3], 0 offset:364
	buffer_load_dword v104, off, s[0:3], 0 offset:360
	s_waitcnt vmcnt(0)
	v_fmac_f64_e32 v[100:101], v[104:105], v[106:107]
	buffer_load_dword v107, off, s[0:3], 0 offset:372
	buffer_load_dword v106, off, s[0:3], 0 offset:368
	ds_read_b128 v[102:105], v102 offset:752
	s_waitcnt vmcnt(0) lgkmcnt(0)
	v_fmac_f64_e32 v[100:101], v[106:107], v[102:103]
	buffer_load_dword v103, off, s[0:3], 0 offset:380
	buffer_load_dword v102, off, s[0:3], 0 offset:376
	s_waitcnt vmcnt(0)
	v_fmac_f64_e32 v[100:101], v[102:103], v[104:105]
	v_add_f64 v[98:99], v[98:99], -v[100:101]
	buffer_store_dword v99, off, s[0:3], 0 offset:172
	buffer_store_dword v98, off, s[0:3], 0 offset:168
	s_and_saveexec_b64 s[4:5], vcc
	s_cbranch_execz .LBB111_255
; %bb.254:
	buffer_load_dword v98, off, s[0:3], 0 offset:160
	buffer_load_dword v99, off, s[0:3], 0 offset:164
	v_mov_b32_e32 v100, 0
	buffer_store_dword v100, off, s[0:3], 0 offset:160
	buffer_store_dword v100, off, s[0:3], 0 offset:164
	s_waitcnt vmcnt(2)
	ds_write_b64 v1, v[98:99]
.LBB111_255:
	s_or_b64 exec, exec, s[4:5]
	s_waitcnt lgkmcnt(0)
	; wave barrier
	s_waitcnt lgkmcnt(0)
	buffer_load_dword v98, off, s[0:3], 0 offset:160
	buffer_load_dword v99, off, s[0:3], 0 offset:164
	buffer_load_dword v100, off, s[0:3], 0 offset:168
	buffer_load_dword v101, off, s[0:3], 0 offset:172
	buffer_load_dword v108, off, s[0:3], 0 offset:176
	buffer_load_dword v109, off, s[0:3], 0 offset:180
	buffer_load_dword v110, off, s[0:3], 0 offset:184
	buffer_load_dword v111, off, s[0:3], 0 offset:188
	buffer_load_dword v112, off, s[0:3], 0 offset:192
	buffer_load_dword v113, off, s[0:3], 0 offset:196
	buffer_load_dword v114, off, s[0:3], 0 offset:200
	buffer_load_dword v115, off, s[0:3], 0 offset:204
	buffer_load_dword v116, off, s[0:3], 0 offset:208
	buffer_load_dword v117, off, s[0:3], 0 offset:212
	buffer_load_dword v118, off, s[0:3], 0 offset:216
	buffer_load_dword v119, off, s[0:3], 0 offset:220
	v_mov_b32_e32 v102, 0
	ds_read2_b64 v[104:107], v102 offset0:69 offset1:70
	v_cmp_lt_u32_e32 vcc, 19, v0
	s_waitcnt vmcnt(12) lgkmcnt(0)
	v_fma_f64 v[100:101], v[100:101], v[104:105], 0
	s_waitcnt vmcnt(10)
	v_fmac_f64_e32 v[100:101], v[108:109], v[106:107]
	ds_read2_b64 v[104:107], v102 offset0:71 offset1:72
	s_waitcnt vmcnt(8) lgkmcnt(0)
	v_fmac_f64_e32 v[100:101], v[110:111], v[104:105]
	s_waitcnt vmcnt(6)
	v_fmac_f64_e32 v[100:101], v[112:113], v[106:107]
	ds_read2_b64 v[104:107], v102 offset0:73 offset1:74
	s_waitcnt vmcnt(4) lgkmcnt(0)
	v_fmac_f64_e32 v[100:101], v[114:115], v[104:105]
	;; [unrolled: 5-line block ×3, first 2 shown]
	buffer_load_dword v105, off, s[0:3], 0 offset:228
	buffer_load_dword v104, off, s[0:3], 0 offset:224
	buffer_load_dword v109, off, s[0:3], 0 offset:236
	buffer_load_dword v108, off, s[0:3], 0 offset:232
	s_waitcnt vmcnt(2)
	v_fmac_f64_e32 v[100:101], v[104:105], v[106:107]
	ds_read2_b64 v[104:107], v102 offset0:77 offset1:78
	s_waitcnt vmcnt(0) lgkmcnt(0)
	v_fmac_f64_e32 v[100:101], v[108:109], v[104:105]
	buffer_load_dword v105, off, s[0:3], 0 offset:244
	buffer_load_dword v104, off, s[0:3], 0 offset:240
	buffer_load_dword v109, off, s[0:3], 0 offset:252
	buffer_load_dword v108, off, s[0:3], 0 offset:248
	s_waitcnt vmcnt(2)
	v_fmac_f64_e32 v[100:101], v[104:105], v[106:107]
	ds_read2_b64 v[104:107], v102 offset0:79 offset1:80
	s_waitcnt vmcnt(0) lgkmcnt(0)
	v_fmac_f64_e32 v[100:101], v[108:109], v[104:105]
	;; [unrolled: 9-line block ×9, first 2 shown]
	buffer_load_dword v105, off, s[0:3], 0 offset:372
	buffer_load_dword v104, off, s[0:3], 0 offset:368
	s_waitcnt vmcnt(0)
	v_fmac_f64_e32 v[100:101], v[104:105], v[106:107]
	buffer_load_dword v105, off, s[0:3], 0 offset:380
	buffer_load_dword v104, off, s[0:3], 0 offset:376
	ds_read_b64 v[106:107], v102 offset:760
	s_waitcnt vmcnt(0) lgkmcnt(0)
	v_fmac_f64_e32 v[100:101], v[104:105], v[106:107]
	v_add_f64 v[98:99], v[98:99], -v[100:101]
	buffer_store_dword v99, off, s[0:3], 0 offset:164
	buffer_store_dword v98, off, s[0:3], 0 offset:160
	s_and_saveexec_b64 s[4:5], vcc
	s_cbranch_execz .LBB111_257
; %bb.256:
	buffer_load_dword v98, off, s[0:3], 0 offset:152
	buffer_load_dword v99, off, s[0:3], 0 offset:156
	s_waitcnt vmcnt(0)
	ds_write_b64 v1, v[98:99]
	buffer_store_dword v102, off, s[0:3], 0 offset:152
	buffer_store_dword v102, off, s[0:3], 0 offset:156
.LBB111_257:
	s_or_b64 exec, exec, s[4:5]
	s_waitcnt lgkmcnt(0)
	; wave barrier
	s_waitcnt lgkmcnt(0)
	buffer_load_dword v98, off, s[0:3], 0 offset:152
	buffer_load_dword v99, off, s[0:3], 0 offset:156
	;; [unrolled: 1-line block ×16, first 2 shown]
	ds_read_b128 v[104:107], v102 offset:544
	ds_read_b128 v[108:111], v102 offset:560
	;; [unrolled: 1-line block ×4, first 2 shown]
	v_cmp_lt_u32_e32 vcc, 18, v0
	s_waitcnt vmcnt(12) lgkmcnt(3)
	v_fma_f64 v[100:101], v[100:101], v[104:105], 0
	buffer_load_dword v105, off, s[0:3], 0 offset:220
	buffer_load_dword v104, off, s[0:3], 0 offset:216
	s_waitcnt vmcnt(12)
	v_fmac_f64_e32 v[100:101], v[120:121], v[106:107]
	s_waitcnt vmcnt(10) lgkmcnt(2)
	v_fmac_f64_e32 v[100:101], v[122:123], v[108:109]
	buffer_load_dword v109, off, s[0:3], 0 offset:228
	buffer_load_dword v108, off, s[0:3], 0 offset:224
	s_waitcnt vmcnt(10)
	v_fmac_f64_e32 v[100:101], v[124:125], v[110:111]
	s_waitcnt vmcnt(8) lgkmcnt(1)
	v_fmac_f64_e32 v[100:101], v[126:127], v[112:113]
	s_waitcnt vmcnt(6)
	v_fmac_f64_e32 v[100:101], v[128:129], v[114:115]
	s_waitcnt vmcnt(4) lgkmcnt(0)
	v_fmac_f64_e32 v[100:101], v[130:131], v[116:117]
	s_waitcnt vmcnt(2)
	v_fmac_f64_e32 v[100:101], v[104:105], v[118:119]
	ds_read_b128 v[104:107], v102 offset:608
	s_waitcnt vmcnt(0) lgkmcnt(0)
	v_fmac_f64_e32 v[100:101], v[108:109], v[104:105]
	buffer_load_dword v105, off, s[0:3], 0 offset:236
	buffer_load_dword v104, off, s[0:3], 0 offset:232
	buffer_load_dword v109, off, s[0:3], 0 offset:244
	buffer_load_dword v108, off, s[0:3], 0 offset:240
	s_waitcnt vmcnt(2)
	v_fmac_f64_e32 v[100:101], v[104:105], v[106:107]
	ds_read_b128 v[104:107], v102 offset:624
	s_waitcnt vmcnt(0) lgkmcnt(0)
	v_fmac_f64_e32 v[100:101], v[108:109], v[104:105]
	buffer_load_dword v105, off, s[0:3], 0 offset:252
	buffer_load_dword v104, off, s[0:3], 0 offset:248
	buffer_load_dword v109, off, s[0:3], 0 offset:260
	buffer_load_dword v108, off, s[0:3], 0 offset:256
	;; [unrolled: 9-line block ×8, first 2 shown]
	s_waitcnt vmcnt(2)
	v_fmac_f64_e32 v[100:101], v[104:105], v[106:107]
	ds_read_b128 v[104:107], v102 offset:736
	s_waitcnt vmcnt(0) lgkmcnt(0)
	v_fmac_f64_e32 v[100:101], v[108:109], v[104:105]
	buffer_load_dword v105, off, s[0:3], 0 offset:364
	buffer_load_dword v104, off, s[0:3], 0 offset:360
	s_waitcnt vmcnt(0)
	v_fmac_f64_e32 v[100:101], v[104:105], v[106:107]
	buffer_load_dword v107, off, s[0:3], 0 offset:372
	buffer_load_dword v106, off, s[0:3], 0 offset:368
	ds_read_b128 v[102:105], v102 offset:752
	s_waitcnt vmcnt(0) lgkmcnt(0)
	v_fmac_f64_e32 v[100:101], v[106:107], v[102:103]
	buffer_load_dword v103, off, s[0:3], 0 offset:380
	buffer_load_dword v102, off, s[0:3], 0 offset:376
	s_waitcnt vmcnt(0)
	v_fmac_f64_e32 v[100:101], v[102:103], v[104:105]
	v_add_f64 v[98:99], v[98:99], -v[100:101]
	buffer_store_dword v99, off, s[0:3], 0 offset:156
	buffer_store_dword v98, off, s[0:3], 0 offset:152
	s_and_saveexec_b64 s[4:5], vcc
	s_cbranch_execz .LBB111_259
; %bb.258:
	buffer_load_dword v98, off, s[0:3], 0 offset:144
	buffer_load_dword v99, off, s[0:3], 0 offset:148
	v_mov_b32_e32 v100, 0
	buffer_store_dword v100, off, s[0:3], 0 offset:144
	buffer_store_dword v100, off, s[0:3], 0 offset:148
	s_waitcnt vmcnt(2)
	ds_write_b64 v1, v[98:99]
.LBB111_259:
	s_or_b64 exec, exec, s[4:5]
	s_waitcnt lgkmcnt(0)
	; wave barrier
	s_waitcnt lgkmcnt(0)
	buffer_load_dword v98, off, s[0:3], 0 offset:144
	buffer_load_dword v99, off, s[0:3], 0 offset:148
	;; [unrolled: 1-line block ×16, first 2 shown]
	v_mov_b32_e32 v102, 0
	ds_read2_b64 v[104:107], v102 offset0:67 offset1:68
	v_cmp_lt_u32_e32 vcc, 17, v0
	s_waitcnt vmcnt(12) lgkmcnt(0)
	v_fma_f64 v[100:101], v[100:101], v[104:105], 0
	s_waitcnt vmcnt(10)
	v_fmac_f64_e32 v[100:101], v[108:109], v[106:107]
	ds_read2_b64 v[104:107], v102 offset0:69 offset1:70
	s_waitcnt vmcnt(8) lgkmcnt(0)
	v_fmac_f64_e32 v[100:101], v[110:111], v[104:105]
	s_waitcnt vmcnt(6)
	v_fmac_f64_e32 v[100:101], v[112:113], v[106:107]
	ds_read2_b64 v[104:107], v102 offset0:71 offset1:72
	s_waitcnt vmcnt(4) lgkmcnt(0)
	v_fmac_f64_e32 v[100:101], v[114:115], v[104:105]
	;; [unrolled: 5-line block ×3, first 2 shown]
	buffer_load_dword v105, off, s[0:3], 0 offset:212
	buffer_load_dword v104, off, s[0:3], 0 offset:208
	buffer_load_dword v109, off, s[0:3], 0 offset:220
	buffer_load_dword v108, off, s[0:3], 0 offset:216
	s_waitcnt vmcnt(2)
	v_fmac_f64_e32 v[100:101], v[104:105], v[106:107]
	ds_read2_b64 v[104:107], v102 offset0:75 offset1:76
	s_waitcnt vmcnt(0) lgkmcnt(0)
	v_fmac_f64_e32 v[100:101], v[108:109], v[104:105]
	buffer_load_dword v105, off, s[0:3], 0 offset:228
	buffer_load_dword v104, off, s[0:3], 0 offset:224
	buffer_load_dword v109, off, s[0:3], 0 offset:236
	buffer_load_dword v108, off, s[0:3], 0 offset:232
	s_waitcnt vmcnt(2)
	v_fmac_f64_e32 v[100:101], v[104:105], v[106:107]
	ds_read2_b64 v[104:107], v102 offset0:77 offset1:78
	s_waitcnt vmcnt(0) lgkmcnt(0)
	v_fmac_f64_e32 v[100:101], v[108:109], v[104:105]
	;; [unrolled: 9-line block ×10, first 2 shown]
	buffer_load_dword v105, off, s[0:3], 0 offset:372
	buffer_load_dword v104, off, s[0:3], 0 offset:368
	s_waitcnt vmcnt(0)
	v_fmac_f64_e32 v[100:101], v[104:105], v[106:107]
	buffer_load_dword v105, off, s[0:3], 0 offset:380
	buffer_load_dword v104, off, s[0:3], 0 offset:376
	ds_read_b64 v[106:107], v102 offset:760
	s_waitcnt vmcnt(0) lgkmcnt(0)
	v_fmac_f64_e32 v[100:101], v[104:105], v[106:107]
	v_add_f64 v[98:99], v[98:99], -v[100:101]
	buffer_store_dword v99, off, s[0:3], 0 offset:148
	buffer_store_dword v98, off, s[0:3], 0 offset:144
	s_and_saveexec_b64 s[4:5], vcc
	s_cbranch_execz .LBB111_261
; %bb.260:
	buffer_load_dword v98, off, s[0:3], 0 offset:136
	buffer_load_dword v99, off, s[0:3], 0 offset:140
	s_waitcnt vmcnt(0)
	ds_write_b64 v1, v[98:99]
	buffer_store_dword v102, off, s[0:3], 0 offset:136
	buffer_store_dword v102, off, s[0:3], 0 offset:140
.LBB111_261:
	s_or_b64 exec, exec, s[4:5]
	s_waitcnt lgkmcnt(0)
	; wave barrier
	s_waitcnt lgkmcnt(0)
	buffer_load_dword v98, off, s[0:3], 0 offset:136
	buffer_load_dword v99, off, s[0:3], 0 offset:140
	;; [unrolled: 1-line block ×16, first 2 shown]
	ds_read_b128 v[104:107], v102 offset:528
	ds_read_b128 v[108:111], v102 offset:544
	;; [unrolled: 1-line block ×4, first 2 shown]
	v_cmp_lt_u32_e32 vcc, 16, v0
	s_waitcnt vmcnt(12) lgkmcnt(3)
	v_fma_f64 v[100:101], v[100:101], v[104:105], 0
	buffer_load_dword v105, off, s[0:3], 0 offset:204
	buffer_load_dword v104, off, s[0:3], 0 offset:200
	s_waitcnt vmcnt(12)
	v_fmac_f64_e32 v[100:101], v[120:121], v[106:107]
	s_waitcnt vmcnt(10) lgkmcnt(2)
	v_fmac_f64_e32 v[100:101], v[122:123], v[108:109]
	buffer_load_dword v109, off, s[0:3], 0 offset:212
	buffer_load_dword v108, off, s[0:3], 0 offset:208
	s_waitcnt vmcnt(10)
	v_fmac_f64_e32 v[100:101], v[124:125], v[110:111]
	s_waitcnt vmcnt(8) lgkmcnt(1)
	v_fmac_f64_e32 v[100:101], v[126:127], v[112:113]
	s_waitcnt vmcnt(6)
	v_fmac_f64_e32 v[100:101], v[128:129], v[114:115]
	s_waitcnt vmcnt(4) lgkmcnt(0)
	v_fmac_f64_e32 v[100:101], v[130:131], v[116:117]
	s_waitcnt vmcnt(2)
	v_fmac_f64_e32 v[100:101], v[104:105], v[118:119]
	ds_read_b128 v[104:107], v102 offset:592
	s_waitcnt vmcnt(0) lgkmcnt(0)
	v_fmac_f64_e32 v[100:101], v[108:109], v[104:105]
	buffer_load_dword v105, off, s[0:3], 0 offset:220
	buffer_load_dword v104, off, s[0:3], 0 offset:216
	buffer_load_dword v109, off, s[0:3], 0 offset:228
	buffer_load_dword v108, off, s[0:3], 0 offset:224
	s_waitcnt vmcnt(2)
	v_fmac_f64_e32 v[100:101], v[104:105], v[106:107]
	ds_read_b128 v[104:107], v102 offset:608
	s_waitcnt vmcnt(0) lgkmcnt(0)
	v_fmac_f64_e32 v[100:101], v[108:109], v[104:105]
	buffer_load_dword v105, off, s[0:3], 0 offset:236
	buffer_load_dword v104, off, s[0:3], 0 offset:232
	buffer_load_dword v109, off, s[0:3], 0 offset:244
	buffer_load_dword v108, off, s[0:3], 0 offset:240
	s_waitcnt vmcnt(2)
	v_fmac_f64_e32 v[100:101], v[104:105], v[106:107]
	ds_read_b128 v[104:107], v102 offset:624
	s_waitcnt vmcnt(0) lgkmcnt(0)
	v_fmac_f64_e32 v[100:101], v[108:109], v[104:105]
	buffer_load_dword v105, off, s[0:3], 0 offset:252
	buffer_load_dword v104, off, s[0:3], 0 offset:248
	buffer_load_dword v109, off, s[0:3], 0 offset:260
	buffer_load_dword v108, off, s[0:3], 0 offset:256
	s_waitcnt vmcnt(2)
	v_fmac_f64_e32 v[100:101], v[104:105], v[106:107]
	ds_read_b128 v[104:107], v102 offset:640
	s_waitcnt vmcnt(0) lgkmcnt(0)
	v_fmac_f64_e32 v[100:101], v[108:109], v[104:105]
	buffer_load_dword v105, off, s[0:3], 0 offset:268
	buffer_load_dword v104, off, s[0:3], 0 offset:264
	buffer_load_dword v109, off, s[0:3], 0 offset:276
	buffer_load_dword v108, off, s[0:3], 0 offset:272
	s_waitcnt vmcnt(2)
	v_fmac_f64_e32 v[100:101], v[104:105], v[106:107]
	ds_read_b128 v[104:107], v102 offset:656
	s_waitcnt vmcnt(0) lgkmcnt(0)
	v_fmac_f64_e32 v[100:101], v[108:109], v[104:105]
	buffer_load_dword v105, off, s[0:3], 0 offset:284
	buffer_load_dword v104, off, s[0:3], 0 offset:280
	buffer_load_dword v109, off, s[0:3], 0 offset:292
	buffer_load_dword v108, off, s[0:3], 0 offset:288
	s_waitcnt vmcnt(2)
	v_fmac_f64_e32 v[100:101], v[104:105], v[106:107]
	ds_read_b128 v[104:107], v102 offset:672
	s_waitcnt vmcnt(0) lgkmcnt(0)
	v_fmac_f64_e32 v[100:101], v[108:109], v[104:105]
	buffer_load_dword v105, off, s[0:3], 0 offset:300
	buffer_load_dword v104, off, s[0:3], 0 offset:296
	buffer_load_dword v109, off, s[0:3], 0 offset:308
	buffer_load_dword v108, off, s[0:3], 0 offset:304
	s_waitcnt vmcnt(2)
	v_fmac_f64_e32 v[100:101], v[104:105], v[106:107]
	ds_read_b128 v[104:107], v102 offset:688
	s_waitcnt vmcnt(0) lgkmcnt(0)
	v_fmac_f64_e32 v[100:101], v[108:109], v[104:105]
	buffer_load_dword v105, off, s[0:3], 0 offset:316
	buffer_load_dword v104, off, s[0:3], 0 offset:312
	buffer_load_dword v109, off, s[0:3], 0 offset:324
	buffer_load_dword v108, off, s[0:3], 0 offset:320
	s_waitcnt vmcnt(2)
	v_fmac_f64_e32 v[100:101], v[104:105], v[106:107]
	ds_read_b128 v[104:107], v102 offset:704
	s_waitcnt vmcnt(0) lgkmcnt(0)
	v_fmac_f64_e32 v[100:101], v[108:109], v[104:105]
	buffer_load_dword v105, off, s[0:3], 0 offset:332
	buffer_load_dword v104, off, s[0:3], 0 offset:328
	buffer_load_dword v109, off, s[0:3], 0 offset:340
	buffer_load_dword v108, off, s[0:3], 0 offset:336
	s_waitcnt vmcnt(2)
	v_fmac_f64_e32 v[100:101], v[104:105], v[106:107]
	ds_read_b128 v[104:107], v102 offset:720
	s_waitcnt vmcnt(0) lgkmcnt(0)
	v_fmac_f64_e32 v[100:101], v[108:109], v[104:105]
	buffer_load_dword v105, off, s[0:3], 0 offset:348
	buffer_load_dword v104, off, s[0:3], 0 offset:344
	buffer_load_dword v109, off, s[0:3], 0 offset:356
	buffer_load_dword v108, off, s[0:3], 0 offset:352
	s_waitcnt vmcnt(2)
	v_fmac_f64_e32 v[100:101], v[104:105], v[106:107]
	ds_read_b128 v[104:107], v102 offset:736
	s_waitcnt vmcnt(0) lgkmcnt(0)
	v_fmac_f64_e32 v[100:101], v[108:109], v[104:105]
	buffer_load_dword v105, off, s[0:3], 0 offset:364
	buffer_load_dword v104, off, s[0:3], 0 offset:360
	s_waitcnt vmcnt(0)
	v_fmac_f64_e32 v[100:101], v[104:105], v[106:107]
	buffer_load_dword v107, off, s[0:3], 0 offset:372
	buffer_load_dword v106, off, s[0:3], 0 offset:368
	ds_read_b128 v[102:105], v102 offset:752
	s_waitcnt vmcnt(0) lgkmcnt(0)
	v_fmac_f64_e32 v[100:101], v[106:107], v[102:103]
	buffer_load_dword v103, off, s[0:3], 0 offset:380
	buffer_load_dword v102, off, s[0:3], 0 offset:376
	s_waitcnt vmcnt(0)
	v_fmac_f64_e32 v[100:101], v[102:103], v[104:105]
	v_add_f64 v[98:99], v[98:99], -v[100:101]
	buffer_store_dword v99, off, s[0:3], 0 offset:140
	buffer_store_dword v98, off, s[0:3], 0 offset:136
	s_and_saveexec_b64 s[4:5], vcc
	s_cbranch_execz .LBB111_263
; %bb.262:
	buffer_load_dword v98, off, s[0:3], 0 offset:128
	buffer_load_dword v99, off, s[0:3], 0 offset:132
	v_mov_b32_e32 v100, 0
	buffer_store_dword v100, off, s[0:3], 0 offset:128
	buffer_store_dword v100, off, s[0:3], 0 offset:132
	s_waitcnt vmcnt(2)
	ds_write_b64 v1, v[98:99]
.LBB111_263:
	s_or_b64 exec, exec, s[4:5]
	s_waitcnt lgkmcnt(0)
	; wave barrier
	s_waitcnt lgkmcnt(0)
	buffer_load_dword v98, off, s[0:3], 0 offset:128
	buffer_load_dword v99, off, s[0:3], 0 offset:132
	;; [unrolled: 1-line block ×16, first 2 shown]
	v_mov_b32_e32 v102, 0
	ds_read2_b64 v[104:107], v102 offset0:65 offset1:66
	v_cmp_lt_u32_e32 vcc, 15, v0
	s_waitcnt vmcnt(12) lgkmcnt(0)
	v_fma_f64 v[100:101], v[100:101], v[104:105], 0
	s_waitcnt vmcnt(10)
	v_fmac_f64_e32 v[100:101], v[108:109], v[106:107]
	ds_read2_b64 v[104:107], v102 offset0:67 offset1:68
	s_waitcnt vmcnt(8) lgkmcnt(0)
	v_fmac_f64_e32 v[100:101], v[110:111], v[104:105]
	s_waitcnt vmcnt(6)
	v_fmac_f64_e32 v[100:101], v[112:113], v[106:107]
	ds_read2_b64 v[104:107], v102 offset0:69 offset1:70
	s_waitcnt vmcnt(4) lgkmcnt(0)
	v_fmac_f64_e32 v[100:101], v[114:115], v[104:105]
	s_waitcnt vmcnt(2)
	v_fmac_f64_e32 v[100:101], v[116:117], v[106:107]
	ds_read2_b64 v[104:107], v102 offset0:71 offset1:72
	s_waitcnt vmcnt(0) lgkmcnt(0)
	v_fmac_f64_e32 v[100:101], v[118:119], v[104:105]
	buffer_load_dword v105, off, s[0:3], 0 offset:196
	buffer_load_dword v104, off, s[0:3], 0 offset:192
	buffer_load_dword v109, off, s[0:3], 0 offset:204
	buffer_load_dword v108, off, s[0:3], 0 offset:200
	s_waitcnt vmcnt(2)
	v_fmac_f64_e32 v[100:101], v[104:105], v[106:107]
	ds_read2_b64 v[104:107], v102 offset0:73 offset1:74
	s_waitcnt vmcnt(0) lgkmcnt(0)
	v_fmac_f64_e32 v[100:101], v[108:109], v[104:105]
	buffer_load_dword v105, off, s[0:3], 0 offset:212
	buffer_load_dword v104, off, s[0:3], 0 offset:208
	buffer_load_dword v109, off, s[0:3], 0 offset:220
	buffer_load_dword v108, off, s[0:3], 0 offset:216
	s_waitcnt vmcnt(2)
	v_fmac_f64_e32 v[100:101], v[104:105], v[106:107]
	ds_read2_b64 v[104:107], v102 offset0:75 offset1:76
	s_waitcnt vmcnt(0) lgkmcnt(0)
	v_fmac_f64_e32 v[100:101], v[108:109], v[104:105]
	;; [unrolled: 9-line block ×11, first 2 shown]
	buffer_load_dword v105, off, s[0:3], 0 offset:372
	buffer_load_dword v104, off, s[0:3], 0 offset:368
	s_waitcnt vmcnt(0)
	v_fmac_f64_e32 v[100:101], v[104:105], v[106:107]
	buffer_load_dword v105, off, s[0:3], 0 offset:380
	buffer_load_dword v104, off, s[0:3], 0 offset:376
	ds_read_b64 v[106:107], v102 offset:760
	s_waitcnt vmcnt(0) lgkmcnt(0)
	v_fmac_f64_e32 v[100:101], v[104:105], v[106:107]
	v_add_f64 v[98:99], v[98:99], -v[100:101]
	buffer_store_dword v99, off, s[0:3], 0 offset:132
	buffer_store_dword v98, off, s[0:3], 0 offset:128
	s_and_saveexec_b64 s[4:5], vcc
	s_cbranch_execz .LBB111_265
; %bb.264:
	buffer_load_dword v98, off, s[0:3], 0 offset:120
	buffer_load_dword v99, off, s[0:3], 0 offset:124
	s_waitcnt vmcnt(0)
	ds_write_b64 v1, v[98:99]
	buffer_store_dword v102, off, s[0:3], 0 offset:120
	buffer_store_dword v102, off, s[0:3], 0 offset:124
.LBB111_265:
	s_or_b64 exec, exec, s[4:5]
	s_waitcnt lgkmcnt(0)
	; wave barrier
	s_waitcnt lgkmcnt(0)
	buffer_load_dword v98, off, s[0:3], 0 offset:120
	buffer_load_dword v99, off, s[0:3], 0 offset:124
	;; [unrolled: 1-line block ×16, first 2 shown]
	ds_read_b128 v[104:107], v102 offset:512
	ds_read_b128 v[108:111], v102 offset:528
	ds_read_b128 v[112:115], v102 offset:544
	ds_read_b128 v[116:119], v102 offset:560
	v_cmp_lt_u32_e32 vcc, 14, v0
	s_waitcnt vmcnt(12) lgkmcnt(3)
	v_fma_f64 v[100:101], v[100:101], v[104:105], 0
	buffer_load_dword v105, off, s[0:3], 0 offset:188
	buffer_load_dword v104, off, s[0:3], 0 offset:184
	s_waitcnt vmcnt(12)
	v_fmac_f64_e32 v[100:101], v[120:121], v[106:107]
	s_waitcnt vmcnt(10) lgkmcnt(2)
	v_fmac_f64_e32 v[100:101], v[122:123], v[108:109]
	buffer_load_dword v109, off, s[0:3], 0 offset:196
	buffer_load_dword v108, off, s[0:3], 0 offset:192
	s_waitcnt vmcnt(10)
	v_fmac_f64_e32 v[100:101], v[124:125], v[110:111]
	s_waitcnt vmcnt(8) lgkmcnt(1)
	v_fmac_f64_e32 v[100:101], v[126:127], v[112:113]
	s_waitcnt vmcnt(6)
	v_fmac_f64_e32 v[100:101], v[128:129], v[114:115]
	s_waitcnt vmcnt(4) lgkmcnt(0)
	v_fmac_f64_e32 v[100:101], v[130:131], v[116:117]
	s_waitcnt vmcnt(2)
	v_fmac_f64_e32 v[100:101], v[104:105], v[118:119]
	ds_read_b128 v[104:107], v102 offset:576
	s_waitcnt vmcnt(0) lgkmcnt(0)
	v_fmac_f64_e32 v[100:101], v[108:109], v[104:105]
	buffer_load_dword v105, off, s[0:3], 0 offset:204
	buffer_load_dword v104, off, s[0:3], 0 offset:200
	buffer_load_dword v109, off, s[0:3], 0 offset:212
	buffer_load_dword v108, off, s[0:3], 0 offset:208
	s_waitcnt vmcnt(2)
	v_fmac_f64_e32 v[100:101], v[104:105], v[106:107]
	ds_read_b128 v[104:107], v102 offset:592
	s_waitcnt vmcnt(0) lgkmcnt(0)
	v_fmac_f64_e32 v[100:101], v[108:109], v[104:105]
	buffer_load_dword v105, off, s[0:3], 0 offset:220
	buffer_load_dword v104, off, s[0:3], 0 offset:216
	buffer_load_dword v109, off, s[0:3], 0 offset:228
	buffer_load_dword v108, off, s[0:3], 0 offset:224
	;; [unrolled: 9-line block ×10, first 2 shown]
	s_waitcnt vmcnt(2)
	v_fmac_f64_e32 v[100:101], v[104:105], v[106:107]
	ds_read_b128 v[104:107], v102 offset:736
	s_waitcnt vmcnt(0) lgkmcnt(0)
	v_fmac_f64_e32 v[100:101], v[108:109], v[104:105]
	buffer_load_dword v105, off, s[0:3], 0 offset:364
	buffer_load_dword v104, off, s[0:3], 0 offset:360
	s_waitcnt vmcnt(0)
	v_fmac_f64_e32 v[100:101], v[104:105], v[106:107]
	buffer_load_dword v107, off, s[0:3], 0 offset:372
	buffer_load_dword v106, off, s[0:3], 0 offset:368
	ds_read_b128 v[102:105], v102 offset:752
	s_waitcnt vmcnt(0) lgkmcnt(0)
	v_fmac_f64_e32 v[100:101], v[106:107], v[102:103]
	buffer_load_dword v103, off, s[0:3], 0 offset:380
	buffer_load_dword v102, off, s[0:3], 0 offset:376
	s_waitcnt vmcnt(0)
	v_fmac_f64_e32 v[100:101], v[102:103], v[104:105]
	v_add_f64 v[98:99], v[98:99], -v[100:101]
	buffer_store_dword v99, off, s[0:3], 0 offset:124
	buffer_store_dword v98, off, s[0:3], 0 offset:120
	s_and_saveexec_b64 s[4:5], vcc
	s_cbranch_execz .LBB111_267
; %bb.266:
	buffer_load_dword v98, off, s[0:3], 0 offset:112
	buffer_load_dword v99, off, s[0:3], 0 offset:116
	v_mov_b32_e32 v100, 0
	buffer_store_dword v100, off, s[0:3], 0 offset:112
	buffer_store_dword v100, off, s[0:3], 0 offset:116
	s_waitcnt vmcnt(2)
	ds_write_b64 v1, v[98:99]
.LBB111_267:
	s_or_b64 exec, exec, s[4:5]
	s_waitcnt lgkmcnt(0)
	; wave barrier
	s_waitcnt lgkmcnt(0)
	buffer_load_dword v98, off, s[0:3], 0 offset:112
	buffer_load_dword v99, off, s[0:3], 0 offset:116
	;; [unrolled: 1-line block ×16, first 2 shown]
	v_mov_b32_e32 v102, 0
	ds_read2_b64 v[104:107], v102 offset0:63 offset1:64
	v_cmp_lt_u32_e32 vcc, 13, v0
	s_waitcnt vmcnt(12) lgkmcnt(0)
	v_fma_f64 v[100:101], v[100:101], v[104:105], 0
	s_waitcnt vmcnt(10)
	v_fmac_f64_e32 v[100:101], v[108:109], v[106:107]
	ds_read2_b64 v[104:107], v102 offset0:65 offset1:66
	s_waitcnt vmcnt(8) lgkmcnt(0)
	v_fmac_f64_e32 v[100:101], v[110:111], v[104:105]
	s_waitcnt vmcnt(6)
	v_fmac_f64_e32 v[100:101], v[112:113], v[106:107]
	ds_read2_b64 v[104:107], v102 offset0:67 offset1:68
	s_waitcnt vmcnt(4) lgkmcnt(0)
	v_fmac_f64_e32 v[100:101], v[114:115], v[104:105]
	;; [unrolled: 5-line block ×3, first 2 shown]
	buffer_load_dword v105, off, s[0:3], 0 offset:180
	buffer_load_dword v104, off, s[0:3], 0 offset:176
	buffer_load_dword v109, off, s[0:3], 0 offset:188
	buffer_load_dword v108, off, s[0:3], 0 offset:184
	s_waitcnt vmcnt(2)
	v_fmac_f64_e32 v[100:101], v[104:105], v[106:107]
	ds_read2_b64 v[104:107], v102 offset0:71 offset1:72
	s_waitcnt vmcnt(0) lgkmcnt(0)
	v_fmac_f64_e32 v[100:101], v[108:109], v[104:105]
	buffer_load_dword v105, off, s[0:3], 0 offset:196
	buffer_load_dword v104, off, s[0:3], 0 offset:192
	buffer_load_dword v109, off, s[0:3], 0 offset:204
	buffer_load_dword v108, off, s[0:3], 0 offset:200
	s_waitcnt vmcnt(2)
	v_fmac_f64_e32 v[100:101], v[104:105], v[106:107]
	ds_read2_b64 v[104:107], v102 offset0:73 offset1:74
	s_waitcnt vmcnt(0) lgkmcnt(0)
	v_fmac_f64_e32 v[100:101], v[108:109], v[104:105]
	;; [unrolled: 9-line block ×12, first 2 shown]
	buffer_load_dword v105, off, s[0:3], 0 offset:372
	buffer_load_dword v104, off, s[0:3], 0 offset:368
	s_waitcnt vmcnt(0)
	v_fmac_f64_e32 v[100:101], v[104:105], v[106:107]
	buffer_load_dword v105, off, s[0:3], 0 offset:380
	buffer_load_dword v104, off, s[0:3], 0 offset:376
	ds_read_b64 v[106:107], v102 offset:760
	s_waitcnt vmcnt(0) lgkmcnt(0)
	v_fmac_f64_e32 v[100:101], v[104:105], v[106:107]
	v_add_f64 v[98:99], v[98:99], -v[100:101]
	buffer_store_dword v99, off, s[0:3], 0 offset:116
	buffer_store_dword v98, off, s[0:3], 0 offset:112
	s_and_saveexec_b64 s[4:5], vcc
	s_cbranch_execz .LBB111_269
; %bb.268:
	buffer_load_dword v98, off, s[0:3], 0 offset:104
	buffer_load_dword v99, off, s[0:3], 0 offset:108
	s_waitcnt vmcnt(0)
	ds_write_b64 v1, v[98:99]
	buffer_store_dword v102, off, s[0:3], 0 offset:104
	buffer_store_dword v102, off, s[0:3], 0 offset:108
.LBB111_269:
	s_or_b64 exec, exec, s[4:5]
	s_waitcnt lgkmcnt(0)
	; wave barrier
	s_waitcnt lgkmcnt(0)
	buffer_load_dword v98, off, s[0:3], 0 offset:104
	buffer_load_dword v99, off, s[0:3], 0 offset:108
	;; [unrolled: 1-line block ×16, first 2 shown]
	ds_read_b128 v[104:107], v102 offset:496
	ds_read_b128 v[108:111], v102 offset:512
	ds_read_b128 v[112:115], v102 offset:528
	ds_read_b128 v[116:119], v102 offset:544
	v_cmp_lt_u32_e32 vcc, 12, v0
	s_waitcnt vmcnt(12) lgkmcnt(3)
	v_fma_f64 v[100:101], v[100:101], v[104:105], 0
	buffer_load_dword v105, off, s[0:3], 0 offset:172
	buffer_load_dword v104, off, s[0:3], 0 offset:168
	s_waitcnt vmcnt(12)
	v_fmac_f64_e32 v[100:101], v[120:121], v[106:107]
	s_waitcnt vmcnt(10) lgkmcnt(2)
	v_fmac_f64_e32 v[100:101], v[122:123], v[108:109]
	buffer_load_dword v109, off, s[0:3], 0 offset:180
	buffer_load_dword v108, off, s[0:3], 0 offset:176
	s_waitcnt vmcnt(10)
	v_fmac_f64_e32 v[100:101], v[124:125], v[110:111]
	s_waitcnt vmcnt(8) lgkmcnt(1)
	v_fmac_f64_e32 v[100:101], v[126:127], v[112:113]
	s_waitcnt vmcnt(6)
	v_fmac_f64_e32 v[100:101], v[128:129], v[114:115]
	s_waitcnt vmcnt(4) lgkmcnt(0)
	v_fmac_f64_e32 v[100:101], v[130:131], v[116:117]
	s_waitcnt vmcnt(2)
	v_fmac_f64_e32 v[100:101], v[104:105], v[118:119]
	ds_read_b128 v[104:107], v102 offset:560
	s_waitcnt vmcnt(0) lgkmcnt(0)
	v_fmac_f64_e32 v[100:101], v[108:109], v[104:105]
	buffer_load_dword v105, off, s[0:3], 0 offset:188
	buffer_load_dword v104, off, s[0:3], 0 offset:184
	buffer_load_dword v109, off, s[0:3], 0 offset:196
	buffer_load_dword v108, off, s[0:3], 0 offset:192
	s_waitcnt vmcnt(2)
	v_fmac_f64_e32 v[100:101], v[104:105], v[106:107]
	ds_read_b128 v[104:107], v102 offset:576
	s_waitcnt vmcnt(0) lgkmcnt(0)
	v_fmac_f64_e32 v[100:101], v[108:109], v[104:105]
	buffer_load_dword v105, off, s[0:3], 0 offset:204
	buffer_load_dword v104, off, s[0:3], 0 offset:200
	buffer_load_dword v109, off, s[0:3], 0 offset:212
	buffer_load_dword v108, off, s[0:3], 0 offset:208
	;; [unrolled: 9-line block ×11, first 2 shown]
	s_waitcnt vmcnt(2)
	v_fmac_f64_e32 v[100:101], v[104:105], v[106:107]
	ds_read_b128 v[104:107], v102 offset:736
	s_waitcnt vmcnt(0) lgkmcnt(0)
	v_fmac_f64_e32 v[100:101], v[108:109], v[104:105]
	buffer_load_dword v105, off, s[0:3], 0 offset:364
	buffer_load_dword v104, off, s[0:3], 0 offset:360
	s_waitcnt vmcnt(0)
	v_fmac_f64_e32 v[100:101], v[104:105], v[106:107]
	buffer_load_dword v107, off, s[0:3], 0 offset:372
	buffer_load_dword v106, off, s[0:3], 0 offset:368
	ds_read_b128 v[102:105], v102 offset:752
	s_waitcnt vmcnt(0) lgkmcnt(0)
	v_fmac_f64_e32 v[100:101], v[106:107], v[102:103]
	buffer_load_dword v103, off, s[0:3], 0 offset:380
	buffer_load_dword v102, off, s[0:3], 0 offset:376
	s_waitcnt vmcnt(0)
	v_fmac_f64_e32 v[100:101], v[102:103], v[104:105]
	v_add_f64 v[98:99], v[98:99], -v[100:101]
	buffer_store_dword v99, off, s[0:3], 0 offset:108
	buffer_store_dword v98, off, s[0:3], 0 offset:104
	s_and_saveexec_b64 s[4:5], vcc
	s_cbranch_execz .LBB111_271
; %bb.270:
	buffer_load_dword v98, off, s[0:3], 0 offset:96
	buffer_load_dword v99, off, s[0:3], 0 offset:100
	v_mov_b32_e32 v100, 0
	buffer_store_dword v100, off, s[0:3], 0 offset:96
	buffer_store_dword v100, off, s[0:3], 0 offset:100
	s_waitcnt vmcnt(2)
	ds_write_b64 v1, v[98:99]
.LBB111_271:
	s_or_b64 exec, exec, s[4:5]
	s_waitcnt lgkmcnt(0)
	; wave barrier
	s_waitcnt lgkmcnt(0)
	buffer_load_dword v98, off, s[0:3], 0 offset:96
	buffer_load_dword v99, off, s[0:3], 0 offset:100
	;; [unrolled: 1-line block ×16, first 2 shown]
	v_mov_b32_e32 v102, 0
	ds_read2_b64 v[104:107], v102 offset0:61 offset1:62
	v_cmp_lt_u32_e32 vcc, 11, v0
	s_waitcnt vmcnt(12) lgkmcnt(0)
	v_fma_f64 v[100:101], v[100:101], v[104:105], 0
	s_waitcnt vmcnt(10)
	v_fmac_f64_e32 v[100:101], v[108:109], v[106:107]
	ds_read2_b64 v[104:107], v102 offset0:63 offset1:64
	s_waitcnt vmcnt(8) lgkmcnt(0)
	v_fmac_f64_e32 v[100:101], v[110:111], v[104:105]
	s_waitcnt vmcnt(6)
	v_fmac_f64_e32 v[100:101], v[112:113], v[106:107]
	ds_read2_b64 v[104:107], v102 offset0:65 offset1:66
	s_waitcnt vmcnt(4) lgkmcnt(0)
	v_fmac_f64_e32 v[100:101], v[114:115], v[104:105]
	;; [unrolled: 5-line block ×3, first 2 shown]
	buffer_load_dword v105, off, s[0:3], 0 offset:164
	buffer_load_dword v104, off, s[0:3], 0 offset:160
	buffer_load_dword v109, off, s[0:3], 0 offset:172
	buffer_load_dword v108, off, s[0:3], 0 offset:168
	s_waitcnt vmcnt(2)
	v_fmac_f64_e32 v[100:101], v[104:105], v[106:107]
	ds_read2_b64 v[104:107], v102 offset0:69 offset1:70
	s_waitcnt vmcnt(0) lgkmcnt(0)
	v_fmac_f64_e32 v[100:101], v[108:109], v[104:105]
	buffer_load_dword v105, off, s[0:3], 0 offset:180
	buffer_load_dword v104, off, s[0:3], 0 offset:176
	buffer_load_dword v109, off, s[0:3], 0 offset:188
	buffer_load_dword v108, off, s[0:3], 0 offset:184
	s_waitcnt vmcnt(2)
	v_fmac_f64_e32 v[100:101], v[104:105], v[106:107]
	ds_read2_b64 v[104:107], v102 offset0:71 offset1:72
	s_waitcnt vmcnt(0) lgkmcnt(0)
	v_fmac_f64_e32 v[100:101], v[108:109], v[104:105]
	;; [unrolled: 9-line block ×13, first 2 shown]
	buffer_load_dword v105, off, s[0:3], 0 offset:372
	buffer_load_dword v104, off, s[0:3], 0 offset:368
	s_waitcnt vmcnt(0)
	v_fmac_f64_e32 v[100:101], v[104:105], v[106:107]
	buffer_load_dword v105, off, s[0:3], 0 offset:380
	buffer_load_dword v104, off, s[0:3], 0 offset:376
	ds_read_b64 v[106:107], v102 offset:760
	s_waitcnt vmcnt(0) lgkmcnt(0)
	v_fmac_f64_e32 v[100:101], v[104:105], v[106:107]
	v_add_f64 v[98:99], v[98:99], -v[100:101]
	buffer_store_dword v99, off, s[0:3], 0 offset:100
	buffer_store_dword v98, off, s[0:3], 0 offset:96
	s_and_saveexec_b64 s[4:5], vcc
	s_cbranch_execz .LBB111_273
; %bb.272:
	buffer_load_dword v98, off, s[0:3], 0 offset:88
	buffer_load_dword v99, off, s[0:3], 0 offset:92
	s_waitcnt vmcnt(0)
	ds_write_b64 v1, v[98:99]
	buffer_store_dword v102, off, s[0:3], 0 offset:88
	buffer_store_dword v102, off, s[0:3], 0 offset:92
.LBB111_273:
	s_or_b64 exec, exec, s[4:5]
	s_waitcnt lgkmcnt(0)
	; wave barrier
	s_waitcnt lgkmcnt(0)
	buffer_load_dword v98, off, s[0:3], 0 offset:88
	buffer_load_dword v99, off, s[0:3], 0 offset:92
	;; [unrolled: 1-line block ×16, first 2 shown]
	ds_read_b128 v[104:107], v102 offset:480
	ds_read_b128 v[108:111], v102 offset:496
	;; [unrolled: 1-line block ×4, first 2 shown]
	v_cmp_lt_u32_e32 vcc, 10, v0
	s_waitcnt vmcnt(12) lgkmcnt(3)
	v_fma_f64 v[100:101], v[100:101], v[104:105], 0
	buffer_load_dword v105, off, s[0:3], 0 offset:156
	buffer_load_dword v104, off, s[0:3], 0 offset:152
	s_waitcnt vmcnt(12)
	v_fmac_f64_e32 v[100:101], v[120:121], v[106:107]
	s_waitcnt vmcnt(10) lgkmcnt(2)
	v_fmac_f64_e32 v[100:101], v[122:123], v[108:109]
	buffer_load_dword v109, off, s[0:3], 0 offset:164
	buffer_load_dword v108, off, s[0:3], 0 offset:160
	s_waitcnt vmcnt(10)
	v_fmac_f64_e32 v[100:101], v[124:125], v[110:111]
	s_waitcnt vmcnt(8) lgkmcnt(1)
	v_fmac_f64_e32 v[100:101], v[126:127], v[112:113]
	s_waitcnt vmcnt(6)
	v_fmac_f64_e32 v[100:101], v[128:129], v[114:115]
	s_waitcnt vmcnt(4) lgkmcnt(0)
	v_fmac_f64_e32 v[100:101], v[130:131], v[116:117]
	s_waitcnt vmcnt(2)
	v_fmac_f64_e32 v[100:101], v[104:105], v[118:119]
	ds_read_b128 v[104:107], v102 offset:544
	s_waitcnt vmcnt(0) lgkmcnt(0)
	v_fmac_f64_e32 v[100:101], v[108:109], v[104:105]
	buffer_load_dword v105, off, s[0:3], 0 offset:172
	buffer_load_dword v104, off, s[0:3], 0 offset:168
	buffer_load_dword v109, off, s[0:3], 0 offset:180
	buffer_load_dword v108, off, s[0:3], 0 offset:176
	s_waitcnt vmcnt(2)
	v_fmac_f64_e32 v[100:101], v[104:105], v[106:107]
	ds_read_b128 v[104:107], v102 offset:560
	s_waitcnt vmcnt(0) lgkmcnt(0)
	v_fmac_f64_e32 v[100:101], v[108:109], v[104:105]
	buffer_load_dword v105, off, s[0:3], 0 offset:188
	buffer_load_dword v104, off, s[0:3], 0 offset:184
	buffer_load_dword v109, off, s[0:3], 0 offset:196
	buffer_load_dword v108, off, s[0:3], 0 offset:192
	;; [unrolled: 9-line block ×12, first 2 shown]
	s_waitcnt vmcnt(2)
	v_fmac_f64_e32 v[100:101], v[104:105], v[106:107]
	ds_read_b128 v[104:107], v102 offset:736
	s_waitcnt vmcnt(0) lgkmcnt(0)
	v_fmac_f64_e32 v[100:101], v[108:109], v[104:105]
	buffer_load_dword v105, off, s[0:3], 0 offset:364
	buffer_load_dword v104, off, s[0:3], 0 offset:360
	s_waitcnt vmcnt(0)
	v_fmac_f64_e32 v[100:101], v[104:105], v[106:107]
	buffer_load_dword v107, off, s[0:3], 0 offset:372
	buffer_load_dword v106, off, s[0:3], 0 offset:368
	ds_read_b128 v[102:105], v102 offset:752
	s_waitcnt vmcnt(0) lgkmcnt(0)
	v_fmac_f64_e32 v[100:101], v[106:107], v[102:103]
	buffer_load_dword v103, off, s[0:3], 0 offset:380
	buffer_load_dword v102, off, s[0:3], 0 offset:376
	s_waitcnt vmcnt(0)
	v_fmac_f64_e32 v[100:101], v[102:103], v[104:105]
	v_add_f64 v[98:99], v[98:99], -v[100:101]
	buffer_store_dword v99, off, s[0:3], 0 offset:92
	buffer_store_dword v98, off, s[0:3], 0 offset:88
	s_and_saveexec_b64 s[4:5], vcc
	s_cbranch_execz .LBB111_275
; %bb.274:
	buffer_load_dword v98, off, s[0:3], 0 offset:80
	buffer_load_dword v99, off, s[0:3], 0 offset:84
	v_mov_b32_e32 v100, 0
	buffer_store_dword v100, off, s[0:3], 0 offset:80
	buffer_store_dword v100, off, s[0:3], 0 offset:84
	s_waitcnt vmcnt(2)
	ds_write_b64 v1, v[98:99]
.LBB111_275:
	s_or_b64 exec, exec, s[4:5]
	s_waitcnt lgkmcnt(0)
	; wave barrier
	s_waitcnt lgkmcnt(0)
	buffer_load_dword v98, off, s[0:3], 0 offset:80
	buffer_load_dword v99, off, s[0:3], 0 offset:84
	;; [unrolled: 1-line block ×16, first 2 shown]
	v_mov_b32_e32 v102, 0
	ds_read2_b64 v[104:107], v102 offset0:59 offset1:60
	v_cmp_lt_u32_e32 vcc, 9, v0
	s_waitcnt vmcnt(12) lgkmcnt(0)
	v_fma_f64 v[100:101], v[100:101], v[104:105], 0
	s_waitcnt vmcnt(10)
	v_fmac_f64_e32 v[100:101], v[108:109], v[106:107]
	ds_read2_b64 v[104:107], v102 offset0:61 offset1:62
	s_waitcnt vmcnt(8) lgkmcnt(0)
	v_fmac_f64_e32 v[100:101], v[110:111], v[104:105]
	s_waitcnt vmcnt(6)
	v_fmac_f64_e32 v[100:101], v[112:113], v[106:107]
	ds_read2_b64 v[104:107], v102 offset0:63 offset1:64
	s_waitcnt vmcnt(4) lgkmcnt(0)
	v_fmac_f64_e32 v[100:101], v[114:115], v[104:105]
	;; [unrolled: 5-line block ×3, first 2 shown]
	buffer_load_dword v105, off, s[0:3], 0 offset:148
	buffer_load_dword v104, off, s[0:3], 0 offset:144
	buffer_load_dword v109, off, s[0:3], 0 offset:156
	buffer_load_dword v108, off, s[0:3], 0 offset:152
	s_waitcnt vmcnt(2)
	v_fmac_f64_e32 v[100:101], v[104:105], v[106:107]
	ds_read2_b64 v[104:107], v102 offset0:67 offset1:68
	s_waitcnt vmcnt(0) lgkmcnt(0)
	v_fmac_f64_e32 v[100:101], v[108:109], v[104:105]
	buffer_load_dword v105, off, s[0:3], 0 offset:164
	buffer_load_dword v104, off, s[0:3], 0 offset:160
	buffer_load_dword v109, off, s[0:3], 0 offset:172
	buffer_load_dword v108, off, s[0:3], 0 offset:168
	s_waitcnt vmcnt(2)
	v_fmac_f64_e32 v[100:101], v[104:105], v[106:107]
	ds_read2_b64 v[104:107], v102 offset0:69 offset1:70
	s_waitcnt vmcnt(0) lgkmcnt(0)
	v_fmac_f64_e32 v[100:101], v[108:109], v[104:105]
	buffer_load_dword v105, off, s[0:3], 0 offset:180
	buffer_load_dword v104, off, s[0:3], 0 offset:176
	buffer_load_dword v109, off, s[0:3], 0 offset:188
	buffer_load_dword v108, off, s[0:3], 0 offset:184
	s_waitcnt vmcnt(2)
	v_fmac_f64_e32 v[100:101], v[104:105], v[106:107]
	ds_read2_b64 v[104:107], v102 offset0:71 offset1:72
	s_waitcnt vmcnt(0) lgkmcnt(0)
	v_fmac_f64_e32 v[100:101], v[108:109], v[104:105]
	buffer_load_dword v105, off, s[0:3], 0 offset:196
	buffer_load_dword v104, off, s[0:3], 0 offset:192
	buffer_load_dword v109, off, s[0:3], 0 offset:204
	buffer_load_dword v108, off, s[0:3], 0 offset:200
	s_waitcnt vmcnt(2)
	v_fmac_f64_e32 v[100:101], v[104:105], v[106:107]
	ds_read2_b64 v[104:107], v102 offset0:73 offset1:74
	s_waitcnt vmcnt(0) lgkmcnt(0)
	v_fmac_f64_e32 v[100:101], v[108:109], v[104:105]
	buffer_load_dword v105, off, s[0:3], 0 offset:212
	buffer_load_dword v104, off, s[0:3], 0 offset:208
	buffer_load_dword v109, off, s[0:3], 0 offset:220
	buffer_load_dword v108, off, s[0:3], 0 offset:216
	s_waitcnt vmcnt(2)
	v_fmac_f64_e32 v[100:101], v[104:105], v[106:107]
	ds_read2_b64 v[104:107], v102 offset0:75 offset1:76
	s_waitcnt vmcnt(0) lgkmcnt(0)
	v_fmac_f64_e32 v[100:101], v[108:109], v[104:105]
	buffer_load_dword v105, off, s[0:3], 0 offset:228
	buffer_load_dword v104, off, s[0:3], 0 offset:224
	buffer_load_dword v109, off, s[0:3], 0 offset:236
	buffer_load_dword v108, off, s[0:3], 0 offset:232
	s_waitcnt vmcnt(2)
	v_fmac_f64_e32 v[100:101], v[104:105], v[106:107]
	ds_read2_b64 v[104:107], v102 offset0:77 offset1:78
	s_waitcnt vmcnt(0) lgkmcnt(0)
	v_fmac_f64_e32 v[100:101], v[108:109], v[104:105]
	buffer_load_dword v105, off, s[0:3], 0 offset:244
	buffer_load_dword v104, off, s[0:3], 0 offset:240
	buffer_load_dword v109, off, s[0:3], 0 offset:252
	buffer_load_dword v108, off, s[0:3], 0 offset:248
	s_waitcnt vmcnt(2)
	v_fmac_f64_e32 v[100:101], v[104:105], v[106:107]
	ds_read2_b64 v[104:107], v102 offset0:79 offset1:80
	s_waitcnt vmcnt(0) lgkmcnt(0)
	v_fmac_f64_e32 v[100:101], v[108:109], v[104:105]
	buffer_load_dword v105, off, s[0:3], 0 offset:260
	buffer_load_dword v104, off, s[0:3], 0 offset:256
	buffer_load_dword v109, off, s[0:3], 0 offset:268
	buffer_load_dword v108, off, s[0:3], 0 offset:264
	s_waitcnt vmcnt(2)
	v_fmac_f64_e32 v[100:101], v[104:105], v[106:107]
	ds_read2_b64 v[104:107], v102 offset0:81 offset1:82
	s_waitcnt vmcnt(0) lgkmcnt(0)
	v_fmac_f64_e32 v[100:101], v[108:109], v[104:105]
	buffer_load_dword v105, off, s[0:3], 0 offset:276
	buffer_load_dword v104, off, s[0:3], 0 offset:272
	buffer_load_dword v109, off, s[0:3], 0 offset:284
	buffer_load_dword v108, off, s[0:3], 0 offset:280
	s_waitcnt vmcnt(2)
	v_fmac_f64_e32 v[100:101], v[104:105], v[106:107]
	ds_read2_b64 v[104:107], v102 offset0:83 offset1:84
	s_waitcnt vmcnt(0) lgkmcnt(0)
	v_fmac_f64_e32 v[100:101], v[108:109], v[104:105]
	buffer_load_dword v105, off, s[0:3], 0 offset:292
	buffer_load_dword v104, off, s[0:3], 0 offset:288
	buffer_load_dword v109, off, s[0:3], 0 offset:300
	buffer_load_dword v108, off, s[0:3], 0 offset:296
	s_waitcnt vmcnt(2)
	v_fmac_f64_e32 v[100:101], v[104:105], v[106:107]
	ds_read2_b64 v[104:107], v102 offset0:85 offset1:86
	s_waitcnt vmcnt(0) lgkmcnt(0)
	v_fmac_f64_e32 v[100:101], v[108:109], v[104:105]
	buffer_load_dword v105, off, s[0:3], 0 offset:308
	buffer_load_dword v104, off, s[0:3], 0 offset:304
	buffer_load_dword v109, off, s[0:3], 0 offset:316
	buffer_load_dword v108, off, s[0:3], 0 offset:312
	s_waitcnt vmcnt(2)
	v_fmac_f64_e32 v[100:101], v[104:105], v[106:107]
	ds_read2_b64 v[104:107], v102 offset0:87 offset1:88
	s_waitcnt vmcnt(0) lgkmcnt(0)
	v_fmac_f64_e32 v[100:101], v[108:109], v[104:105]
	buffer_load_dword v105, off, s[0:3], 0 offset:324
	buffer_load_dword v104, off, s[0:3], 0 offset:320
	buffer_load_dword v109, off, s[0:3], 0 offset:332
	buffer_load_dword v108, off, s[0:3], 0 offset:328
	s_waitcnt vmcnt(2)
	v_fmac_f64_e32 v[100:101], v[104:105], v[106:107]
	ds_read2_b64 v[104:107], v102 offset0:89 offset1:90
	s_waitcnt vmcnt(0) lgkmcnt(0)
	v_fmac_f64_e32 v[100:101], v[108:109], v[104:105]
	buffer_load_dword v105, off, s[0:3], 0 offset:340
	buffer_load_dword v104, off, s[0:3], 0 offset:336
	buffer_load_dword v109, off, s[0:3], 0 offset:348
	buffer_load_dword v108, off, s[0:3], 0 offset:344
	s_waitcnt vmcnt(2)
	v_fmac_f64_e32 v[100:101], v[104:105], v[106:107]
	ds_read2_b64 v[104:107], v102 offset0:91 offset1:92
	s_waitcnt vmcnt(0) lgkmcnt(0)
	v_fmac_f64_e32 v[100:101], v[108:109], v[104:105]
	buffer_load_dword v105, off, s[0:3], 0 offset:356
	buffer_load_dword v104, off, s[0:3], 0 offset:352
	buffer_load_dword v109, off, s[0:3], 0 offset:364
	buffer_load_dword v108, off, s[0:3], 0 offset:360
	s_waitcnt vmcnt(2)
	v_fmac_f64_e32 v[100:101], v[104:105], v[106:107]
	ds_read2_b64 v[104:107], v102 offset0:93 offset1:94
	s_waitcnt vmcnt(0) lgkmcnt(0)
	v_fmac_f64_e32 v[100:101], v[108:109], v[104:105]
	buffer_load_dword v105, off, s[0:3], 0 offset:372
	buffer_load_dword v104, off, s[0:3], 0 offset:368
	s_waitcnt vmcnt(0)
	v_fmac_f64_e32 v[100:101], v[104:105], v[106:107]
	buffer_load_dword v105, off, s[0:3], 0 offset:380
	buffer_load_dword v104, off, s[0:3], 0 offset:376
	ds_read_b64 v[106:107], v102 offset:760
	s_waitcnt vmcnt(0) lgkmcnt(0)
	v_fmac_f64_e32 v[100:101], v[104:105], v[106:107]
	v_add_f64 v[98:99], v[98:99], -v[100:101]
	buffer_store_dword v99, off, s[0:3], 0 offset:84
	buffer_store_dword v98, off, s[0:3], 0 offset:80
	s_and_saveexec_b64 s[4:5], vcc
	s_cbranch_execz .LBB111_277
; %bb.276:
	buffer_load_dword v98, off, s[0:3], 0 offset:72
	buffer_load_dword v99, off, s[0:3], 0 offset:76
	s_waitcnt vmcnt(0)
	ds_write_b64 v1, v[98:99]
	buffer_store_dword v102, off, s[0:3], 0 offset:72
	buffer_store_dword v102, off, s[0:3], 0 offset:76
.LBB111_277:
	s_or_b64 exec, exec, s[4:5]
	s_waitcnt lgkmcnt(0)
	; wave barrier
	s_waitcnt lgkmcnt(0)
	buffer_load_dword v98, off, s[0:3], 0 offset:72
	buffer_load_dword v99, off, s[0:3], 0 offset:76
	;; [unrolled: 1-line block ×16, first 2 shown]
	ds_read_b128 v[104:107], v102 offset:464
	ds_read_b128 v[108:111], v102 offset:480
	;; [unrolled: 1-line block ×4, first 2 shown]
	v_cmp_lt_u32_e32 vcc, 8, v0
	s_waitcnt vmcnt(12) lgkmcnt(3)
	v_fma_f64 v[100:101], v[100:101], v[104:105], 0
	buffer_load_dword v105, off, s[0:3], 0 offset:140
	buffer_load_dword v104, off, s[0:3], 0 offset:136
	s_waitcnt vmcnt(12)
	v_fmac_f64_e32 v[100:101], v[120:121], v[106:107]
	s_waitcnt vmcnt(10) lgkmcnt(2)
	v_fmac_f64_e32 v[100:101], v[122:123], v[108:109]
	buffer_load_dword v109, off, s[0:3], 0 offset:148
	buffer_load_dword v108, off, s[0:3], 0 offset:144
	s_waitcnt vmcnt(10)
	v_fmac_f64_e32 v[100:101], v[124:125], v[110:111]
	s_waitcnt vmcnt(8) lgkmcnt(1)
	v_fmac_f64_e32 v[100:101], v[126:127], v[112:113]
	s_waitcnt vmcnt(6)
	v_fmac_f64_e32 v[100:101], v[128:129], v[114:115]
	s_waitcnt vmcnt(4) lgkmcnt(0)
	v_fmac_f64_e32 v[100:101], v[130:131], v[116:117]
	s_waitcnt vmcnt(2)
	v_fmac_f64_e32 v[100:101], v[104:105], v[118:119]
	ds_read_b128 v[104:107], v102 offset:528
	s_waitcnt vmcnt(0) lgkmcnt(0)
	v_fmac_f64_e32 v[100:101], v[108:109], v[104:105]
	buffer_load_dword v105, off, s[0:3], 0 offset:156
	buffer_load_dword v104, off, s[0:3], 0 offset:152
	buffer_load_dword v109, off, s[0:3], 0 offset:164
	buffer_load_dword v108, off, s[0:3], 0 offset:160
	s_waitcnt vmcnt(2)
	v_fmac_f64_e32 v[100:101], v[104:105], v[106:107]
	ds_read_b128 v[104:107], v102 offset:544
	s_waitcnt vmcnt(0) lgkmcnt(0)
	v_fmac_f64_e32 v[100:101], v[108:109], v[104:105]
	buffer_load_dword v105, off, s[0:3], 0 offset:172
	buffer_load_dword v104, off, s[0:3], 0 offset:168
	buffer_load_dword v109, off, s[0:3], 0 offset:180
	buffer_load_dword v108, off, s[0:3], 0 offset:176
	;; [unrolled: 9-line block ×13, first 2 shown]
	s_waitcnt vmcnt(2)
	v_fmac_f64_e32 v[100:101], v[104:105], v[106:107]
	ds_read_b128 v[104:107], v102 offset:736
	s_waitcnt vmcnt(0) lgkmcnt(0)
	v_fmac_f64_e32 v[100:101], v[108:109], v[104:105]
	buffer_load_dword v105, off, s[0:3], 0 offset:364
	buffer_load_dword v104, off, s[0:3], 0 offset:360
	s_waitcnt vmcnt(0)
	v_fmac_f64_e32 v[100:101], v[104:105], v[106:107]
	buffer_load_dword v107, off, s[0:3], 0 offset:372
	buffer_load_dword v106, off, s[0:3], 0 offset:368
	ds_read_b128 v[102:105], v102 offset:752
	s_waitcnt vmcnt(0) lgkmcnt(0)
	v_fmac_f64_e32 v[100:101], v[106:107], v[102:103]
	buffer_load_dword v103, off, s[0:3], 0 offset:380
	buffer_load_dword v102, off, s[0:3], 0 offset:376
	s_waitcnt vmcnt(0)
	v_fmac_f64_e32 v[100:101], v[102:103], v[104:105]
	v_add_f64 v[98:99], v[98:99], -v[100:101]
	buffer_store_dword v99, off, s[0:3], 0 offset:76
	buffer_store_dword v98, off, s[0:3], 0 offset:72
	s_and_saveexec_b64 s[4:5], vcc
	s_cbranch_execz .LBB111_279
; %bb.278:
	buffer_load_dword v98, off, s[0:3], 0 offset:64
	buffer_load_dword v99, off, s[0:3], 0 offset:68
	v_mov_b32_e32 v100, 0
	buffer_store_dword v100, off, s[0:3], 0 offset:64
	buffer_store_dword v100, off, s[0:3], 0 offset:68
	s_waitcnt vmcnt(2)
	ds_write_b64 v1, v[98:99]
.LBB111_279:
	s_or_b64 exec, exec, s[4:5]
	s_waitcnt lgkmcnt(0)
	; wave barrier
	s_waitcnt lgkmcnt(0)
	buffer_load_dword v98, off, s[0:3], 0 offset:64
	buffer_load_dword v99, off, s[0:3], 0 offset:68
	;; [unrolled: 1-line block ×16, first 2 shown]
	v_mov_b32_e32 v102, 0
	ds_read2_b64 v[104:107], v102 offset0:57 offset1:58
	v_cmp_lt_u32_e32 vcc, 7, v0
	s_waitcnt vmcnt(12) lgkmcnt(0)
	v_fma_f64 v[100:101], v[100:101], v[104:105], 0
	s_waitcnt vmcnt(10)
	v_fmac_f64_e32 v[100:101], v[108:109], v[106:107]
	ds_read2_b64 v[104:107], v102 offset0:59 offset1:60
	s_waitcnt vmcnt(8) lgkmcnt(0)
	v_fmac_f64_e32 v[100:101], v[110:111], v[104:105]
	s_waitcnt vmcnt(6)
	v_fmac_f64_e32 v[100:101], v[112:113], v[106:107]
	ds_read2_b64 v[104:107], v102 offset0:61 offset1:62
	s_waitcnt vmcnt(4) lgkmcnt(0)
	v_fmac_f64_e32 v[100:101], v[114:115], v[104:105]
	s_waitcnt vmcnt(2)
	v_fmac_f64_e32 v[100:101], v[116:117], v[106:107]
	ds_read2_b64 v[104:107], v102 offset0:63 offset1:64
	s_waitcnt vmcnt(0) lgkmcnt(0)
	v_fmac_f64_e32 v[100:101], v[118:119], v[104:105]
	buffer_load_dword v105, off, s[0:3], 0 offset:132
	buffer_load_dword v104, off, s[0:3], 0 offset:128
	buffer_load_dword v109, off, s[0:3], 0 offset:140
	buffer_load_dword v108, off, s[0:3], 0 offset:136
	s_waitcnt vmcnt(2)
	v_fmac_f64_e32 v[100:101], v[104:105], v[106:107]
	ds_read2_b64 v[104:107], v102 offset0:65 offset1:66
	s_waitcnt vmcnt(0) lgkmcnt(0)
	v_fmac_f64_e32 v[100:101], v[108:109], v[104:105]
	buffer_load_dword v105, off, s[0:3], 0 offset:148
	buffer_load_dword v104, off, s[0:3], 0 offset:144
	buffer_load_dword v109, off, s[0:3], 0 offset:156
	buffer_load_dword v108, off, s[0:3], 0 offset:152
	s_waitcnt vmcnt(2)
	v_fmac_f64_e32 v[100:101], v[104:105], v[106:107]
	ds_read2_b64 v[104:107], v102 offset0:67 offset1:68
	s_waitcnt vmcnt(0) lgkmcnt(0)
	v_fmac_f64_e32 v[100:101], v[108:109], v[104:105]
	;; [unrolled: 9-line block ×15, first 2 shown]
	buffer_load_dword v105, off, s[0:3], 0 offset:372
	buffer_load_dword v104, off, s[0:3], 0 offset:368
	s_waitcnt vmcnt(0)
	v_fmac_f64_e32 v[100:101], v[104:105], v[106:107]
	buffer_load_dword v105, off, s[0:3], 0 offset:380
	buffer_load_dword v104, off, s[0:3], 0 offset:376
	ds_read_b64 v[106:107], v102 offset:760
	s_waitcnt vmcnt(0) lgkmcnt(0)
	v_fmac_f64_e32 v[100:101], v[104:105], v[106:107]
	v_add_f64 v[98:99], v[98:99], -v[100:101]
	buffer_store_dword v99, off, s[0:3], 0 offset:68
	buffer_store_dword v98, off, s[0:3], 0 offset:64
	s_and_saveexec_b64 s[4:5], vcc
	s_cbranch_execz .LBB111_281
; %bb.280:
	buffer_load_dword v98, off, s[0:3], 0 offset:56
	buffer_load_dword v99, off, s[0:3], 0 offset:60
	s_waitcnt vmcnt(0)
	ds_write_b64 v1, v[98:99]
	buffer_store_dword v102, off, s[0:3], 0 offset:56
	buffer_store_dword v102, off, s[0:3], 0 offset:60
.LBB111_281:
	s_or_b64 exec, exec, s[4:5]
	s_waitcnt lgkmcnt(0)
	; wave barrier
	s_waitcnt lgkmcnt(0)
	buffer_load_dword v98, off, s[0:3], 0 offset:56
	buffer_load_dword v99, off, s[0:3], 0 offset:60
	;; [unrolled: 1-line block ×16, first 2 shown]
	ds_read_b128 v[104:107], v102 offset:448
	ds_read_b128 v[108:111], v102 offset:464
	;; [unrolled: 1-line block ×4, first 2 shown]
	v_cmp_lt_u32_e32 vcc, 6, v0
	s_waitcnt vmcnt(12) lgkmcnt(3)
	v_fma_f64 v[100:101], v[100:101], v[104:105], 0
	buffer_load_dword v105, off, s[0:3], 0 offset:124
	buffer_load_dword v104, off, s[0:3], 0 offset:120
	s_waitcnt vmcnt(12)
	v_fmac_f64_e32 v[100:101], v[120:121], v[106:107]
	s_waitcnt vmcnt(10) lgkmcnt(2)
	v_fmac_f64_e32 v[100:101], v[122:123], v[108:109]
	buffer_load_dword v109, off, s[0:3], 0 offset:132
	buffer_load_dword v108, off, s[0:3], 0 offset:128
	s_waitcnt vmcnt(10)
	v_fmac_f64_e32 v[100:101], v[124:125], v[110:111]
	s_waitcnt vmcnt(8) lgkmcnt(1)
	v_fmac_f64_e32 v[100:101], v[126:127], v[112:113]
	s_waitcnt vmcnt(6)
	v_fmac_f64_e32 v[100:101], v[128:129], v[114:115]
	s_waitcnt vmcnt(4) lgkmcnt(0)
	v_fmac_f64_e32 v[100:101], v[130:131], v[116:117]
	s_waitcnt vmcnt(2)
	v_fmac_f64_e32 v[100:101], v[104:105], v[118:119]
	ds_read_b128 v[104:107], v102 offset:512
	s_waitcnt vmcnt(0) lgkmcnt(0)
	v_fmac_f64_e32 v[100:101], v[108:109], v[104:105]
	buffer_load_dword v105, off, s[0:3], 0 offset:140
	buffer_load_dword v104, off, s[0:3], 0 offset:136
	buffer_load_dword v109, off, s[0:3], 0 offset:148
	buffer_load_dword v108, off, s[0:3], 0 offset:144
	s_waitcnt vmcnt(2)
	v_fmac_f64_e32 v[100:101], v[104:105], v[106:107]
	ds_read_b128 v[104:107], v102 offset:528
	s_waitcnt vmcnt(0) lgkmcnt(0)
	v_fmac_f64_e32 v[100:101], v[108:109], v[104:105]
	buffer_load_dword v105, off, s[0:3], 0 offset:156
	buffer_load_dword v104, off, s[0:3], 0 offset:152
	buffer_load_dword v109, off, s[0:3], 0 offset:164
	buffer_load_dword v108, off, s[0:3], 0 offset:160
	;; [unrolled: 9-line block ×14, first 2 shown]
	s_waitcnt vmcnt(2)
	v_fmac_f64_e32 v[100:101], v[104:105], v[106:107]
	ds_read_b128 v[104:107], v102 offset:736
	s_waitcnt vmcnt(0) lgkmcnt(0)
	v_fmac_f64_e32 v[100:101], v[108:109], v[104:105]
	buffer_load_dword v105, off, s[0:3], 0 offset:364
	buffer_load_dword v104, off, s[0:3], 0 offset:360
	s_waitcnt vmcnt(0)
	v_fmac_f64_e32 v[100:101], v[104:105], v[106:107]
	buffer_load_dword v107, off, s[0:3], 0 offset:372
	buffer_load_dword v106, off, s[0:3], 0 offset:368
	ds_read_b128 v[102:105], v102 offset:752
	s_waitcnt vmcnt(0) lgkmcnt(0)
	v_fmac_f64_e32 v[100:101], v[106:107], v[102:103]
	buffer_load_dword v103, off, s[0:3], 0 offset:380
	buffer_load_dword v102, off, s[0:3], 0 offset:376
	s_waitcnt vmcnt(0)
	v_fmac_f64_e32 v[100:101], v[102:103], v[104:105]
	v_add_f64 v[98:99], v[98:99], -v[100:101]
	buffer_store_dword v99, off, s[0:3], 0 offset:60
	buffer_store_dword v98, off, s[0:3], 0 offset:56
	s_and_saveexec_b64 s[4:5], vcc
	s_cbranch_execz .LBB111_283
; %bb.282:
	buffer_load_dword v98, off, s[0:3], 0 offset:48
	buffer_load_dword v99, off, s[0:3], 0 offset:52
	v_mov_b32_e32 v100, 0
	buffer_store_dword v100, off, s[0:3], 0 offset:48
	buffer_store_dword v100, off, s[0:3], 0 offset:52
	s_waitcnt vmcnt(2)
	ds_write_b64 v1, v[98:99]
.LBB111_283:
	s_or_b64 exec, exec, s[4:5]
	s_waitcnt lgkmcnt(0)
	; wave barrier
	s_waitcnt lgkmcnt(0)
	buffer_load_dword v98, off, s[0:3], 0 offset:48
	buffer_load_dword v99, off, s[0:3], 0 offset:52
	;; [unrolled: 1-line block ×16, first 2 shown]
	v_mov_b32_e32 v102, 0
	ds_read2_b64 v[104:107], v102 offset0:55 offset1:56
	v_cmp_lt_u32_e32 vcc, 5, v0
	s_waitcnt vmcnt(12) lgkmcnt(0)
	v_fma_f64 v[100:101], v[100:101], v[104:105], 0
	s_waitcnt vmcnt(10)
	v_fmac_f64_e32 v[100:101], v[108:109], v[106:107]
	ds_read2_b64 v[104:107], v102 offset0:57 offset1:58
	s_waitcnt vmcnt(8) lgkmcnt(0)
	v_fmac_f64_e32 v[100:101], v[110:111], v[104:105]
	s_waitcnt vmcnt(6)
	v_fmac_f64_e32 v[100:101], v[112:113], v[106:107]
	ds_read2_b64 v[104:107], v102 offset0:59 offset1:60
	s_waitcnt vmcnt(4) lgkmcnt(0)
	v_fmac_f64_e32 v[100:101], v[114:115], v[104:105]
	;; [unrolled: 5-line block ×3, first 2 shown]
	buffer_load_dword v105, off, s[0:3], 0 offset:116
	buffer_load_dword v104, off, s[0:3], 0 offset:112
	buffer_load_dword v109, off, s[0:3], 0 offset:124
	buffer_load_dword v108, off, s[0:3], 0 offset:120
	s_waitcnt vmcnt(2)
	v_fmac_f64_e32 v[100:101], v[104:105], v[106:107]
	ds_read2_b64 v[104:107], v102 offset0:63 offset1:64
	s_waitcnt vmcnt(0) lgkmcnt(0)
	v_fmac_f64_e32 v[100:101], v[108:109], v[104:105]
	buffer_load_dword v105, off, s[0:3], 0 offset:132
	buffer_load_dword v104, off, s[0:3], 0 offset:128
	buffer_load_dword v109, off, s[0:3], 0 offset:140
	buffer_load_dword v108, off, s[0:3], 0 offset:136
	s_waitcnt vmcnt(2)
	v_fmac_f64_e32 v[100:101], v[104:105], v[106:107]
	ds_read2_b64 v[104:107], v102 offset0:65 offset1:66
	s_waitcnt vmcnt(0) lgkmcnt(0)
	v_fmac_f64_e32 v[100:101], v[108:109], v[104:105]
	buffer_load_dword v105, off, s[0:3], 0 offset:148
	buffer_load_dword v104, off, s[0:3], 0 offset:144
	buffer_load_dword v109, off, s[0:3], 0 offset:156
	buffer_load_dword v108, off, s[0:3], 0 offset:152
	s_waitcnt vmcnt(2)
	v_fmac_f64_e32 v[100:101], v[104:105], v[106:107]
	ds_read2_b64 v[104:107], v102 offset0:67 offset1:68
	s_waitcnt vmcnt(0) lgkmcnt(0)
	v_fmac_f64_e32 v[100:101], v[108:109], v[104:105]
	buffer_load_dword v105, off, s[0:3], 0 offset:164
	buffer_load_dword v104, off, s[0:3], 0 offset:160
	buffer_load_dword v109, off, s[0:3], 0 offset:172
	buffer_load_dword v108, off, s[0:3], 0 offset:168
	s_waitcnt vmcnt(2)
	v_fmac_f64_e32 v[100:101], v[104:105], v[106:107]
	ds_read2_b64 v[104:107], v102 offset0:69 offset1:70
	s_waitcnt vmcnt(0) lgkmcnt(0)
	v_fmac_f64_e32 v[100:101], v[108:109], v[104:105]
	buffer_load_dword v105, off, s[0:3], 0 offset:180
	buffer_load_dword v104, off, s[0:3], 0 offset:176
	buffer_load_dword v109, off, s[0:3], 0 offset:188
	buffer_load_dword v108, off, s[0:3], 0 offset:184
	s_waitcnt vmcnt(2)
	v_fmac_f64_e32 v[100:101], v[104:105], v[106:107]
	ds_read2_b64 v[104:107], v102 offset0:71 offset1:72
	s_waitcnt vmcnt(0) lgkmcnt(0)
	v_fmac_f64_e32 v[100:101], v[108:109], v[104:105]
	buffer_load_dword v105, off, s[0:3], 0 offset:196
	buffer_load_dword v104, off, s[0:3], 0 offset:192
	buffer_load_dword v109, off, s[0:3], 0 offset:204
	buffer_load_dword v108, off, s[0:3], 0 offset:200
	s_waitcnt vmcnt(2)
	v_fmac_f64_e32 v[100:101], v[104:105], v[106:107]
	ds_read2_b64 v[104:107], v102 offset0:73 offset1:74
	s_waitcnt vmcnt(0) lgkmcnt(0)
	v_fmac_f64_e32 v[100:101], v[108:109], v[104:105]
	buffer_load_dword v105, off, s[0:3], 0 offset:212
	buffer_load_dword v104, off, s[0:3], 0 offset:208
	buffer_load_dword v109, off, s[0:3], 0 offset:220
	buffer_load_dword v108, off, s[0:3], 0 offset:216
	s_waitcnt vmcnt(2)
	v_fmac_f64_e32 v[100:101], v[104:105], v[106:107]
	ds_read2_b64 v[104:107], v102 offset0:75 offset1:76
	s_waitcnt vmcnt(0) lgkmcnt(0)
	v_fmac_f64_e32 v[100:101], v[108:109], v[104:105]
	buffer_load_dword v105, off, s[0:3], 0 offset:228
	buffer_load_dword v104, off, s[0:3], 0 offset:224
	buffer_load_dword v109, off, s[0:3], 0 offset:236
	buffer_load_dword v108, off, s[0:3], 0 offset:232
	s_waitcnt vmcnt(2)
	v_fmac_f64_e32 v[100:101], v[104:105], v[106:107]
	ds_read2_b64 v[104:107], v102 offset0:77 offset1:78
	s_waitcnt vmcnt(0) lgkmcnt(0)
	v_fmac_f64_e32 v[100:101], v[108:109], v[104:105]
	buffer_load_dword v105, off, s[0:3], 0 offset:244
	buffer_load_dword v104, off, s[0:3], 0 offset:240
	buffer_load_dword v109, off, s[0:3], 0 offset:252
	buffer_load_dword v108, off, s[0:3], 0 offset:248
	s_waitcnt vmcnt(2)
	v_fmac_f64_e32 v[100:101], v[104:105], v[106:107]
	ds_read2_b64 v[104:107], v102 offset0:79 offset1:80
	s_waitcnt vmcnt(0) lgkmcnt(0)
	v_fmac_f64_e32 v[100:101], v[108:109], v[104:105]
	buffer_load_dword v105, off, s[0:3], 0 offset:260
	buffer_load_dword v104, off, s[0:3], 0 offset:256
	buffer_load_dword v109, off, s[0:3], 0 offset:268
	buffer_load_dword v108, off, s[0:3], 0 offset:264
	s_waitcnt vmcnt(2)
	v_fmac_f64_e32 v[100:101], v[104:105], v[106:107]
	ds_read2_b64 v[104:107], v102 offset0:81 offset1:82
	s_waitcnt vmcnt(0) lgkmcnt(0)
	v_fmac_f64_e32 v[100:101], v[108:109], v[104:105]
	buffer_load_dword v105, off, s[0:3], 0 offset:276
	buffer_load_dword v104, off, s[0:3], 0 offset:272
	buffer_load_dword v109, off, s[0:3], 0 offset:284
	buffer_load_dword v108, off, s[0:3], 0 offset:280
	s_waitcnt vmcnt(2)
	v_fmac_f64_e32 v[100:101], v[104:105], v[106:107]
	ds_read2_b64 v[104:107], v102 offset0:83 offset1:84
	s_waitcnt vmcnt(0) lgkmcnt(0)
	v_fmac_f64_e32 v[100:101], v[108:109], v[104:105]
	buffer_load_dword v105, off, s[0:3], 0 offset:292
	buffer_load_dword v104, off, s[0:3], 0 offset:288
	buffer_load_dword v109, off, s[0:3], 0 offset:300
	buffer_load_dword v108, off, s[0:3], 0 offset:296
	s_waitcnt vmcnt(2)
	v_fmac_f64_e32 v[100:101], v[104:105], v[106:107]
	ds_read2_b64 v[104:107], v102 offset0:85 offset1:86
	s_waitcnt vmcnt(0) lgkmcnt(0)
	v_fmac_f64_e32 v[100:101], v[108:109], v[104:105]
	buffer_load_dword v105, off, s[0:3], 0 offset:308
	buffer_load_dword v104, off, s[0:3], 0 offset:304
	buffer_load_dword v109, off, s[0:3], 0 offset:316
	buffer_load_dword v108, off, s[0:3], 0 offset:312
	s_waitcnt vmcnt(2)
	v_fmac_f64_e32 v[100:101], v[104:105], v[106:107]
	ds_read2_b64 v[104:107], v102 offset0:87 offset1:88
	s_waitcnt vmcnt(0) lgkmcnt(0)
	v_fmac_f64_e32 v[100:101], v[108:109], v[104:105]
	buffer_load_dword v105, off, s[0:3], 0 offset:324
	buffer_load_dword v104, off, s[0:3], 0 offset:320
	buffer_load_dword v109, off, s[0:3], 0 offset:332
	buffer_load_dword v108, off, s[0:3], 0 offset:328
	s_waitcnt vmcnt(2)
	v_fmac_f64_e32 v[100:101], v[104:105], v[106:107]
	ds_read2_b64 v[104:107], v102 offset0:89 offset1:90
	s_waitcnt vmcnt(0) lgkmcnt(0)
	v_fmac_f64_e32 v[100:101], v[108:109], v[104:105]
	buffer_load_dword v105, off, s[0:3], 0 offset:340
	buffer_load_dword v104, off, s[0:3], 0 offset:336
	buffer_load_dword v109, off, s[0:3], 0 offset:348
	buffer_load_dword v108, off, s[0:3], 0 offset:344
	s_waitcnt vmcnt(2)
	v_fmac_f64_e32 v[100:101], v[104:105], v[106:107]
	ds_read2_b64 v[104:107], v102 offset0:91 offset1:92
	s_waitcnt vmcnt(0) lgkmcnt(0)
	v_fmac_f64_e32 v[100:101], v[108:109], v[104:105]
	buffer_load_dword v105, off, s[0:3], 0 offset:356
	buffer_load_dword v104, off, s[0:3], 0 offset:352
	buffer_load_dword v109, off, s[0:3], 0 offset:364
	buffer_load_dword v108, off, s[0:3], 0 offset:360
	s_waitcnt vmcnt(2)
	v_fmac_f64_e32 v[100:101], v[104:105], v[106:107]
	ds_read2_b64 v[104:107], v102 offset0:93 offset1:94
	s_waitcnt vmcnt(0) lgkmcnt(0)
	v_fmac_f64_e32 v[100:101], v[108:109], v[104:105]
	buffer_load_dword v105, off, s[0:3], 0 offset:372
	buffer_load_dword v104, off, s[0:3], 0 offset:368
	s_waitcnt vmcnt(0)
	v_fmac_f64_e32 v[100:101], v[104:105], v[106:107]
	buffer_load_dword v105, off, s[0:3], 0 offset:380
	buffer_load_dword v104, off, s[0:3], 0 offset:376
	ds_read_b64 v[106:107], v102 offset:760
	s_waitcnt vmcnt(0) lgkmcnt(0)
	v_fmac_f64_e32 v[100:101], v[104:105], v[106:107]
	v_add_f64 v[98:99], v[98:99], -v[100:101]
	buffer_store_dword v99, off, s[0:3], 0 offset:52
	buffer_store_dword v98, off, s[0:3], 0 offset:48
	s_and_saveexec_b64 s[4:5], vcc
	s_cbranch_execz .LBB111_285
; %bb.284:
	buffer_load_dword v98, off, s[0:3], 0 offset:40
	buffer_load_dword v99, off, s[0:3], 0 offset:44
	s_waitcnt vmcnt(0)
	ds_write_b64 v1, v[98:99]
	buffer_store_dword v102, off, s[0:3], 0 offset:40
	buffer_store_dword v102, off, s[0:3], 0 offset:44
.LBB111_285:
	s_or_b64 exec, exec, s[4:5]
	s_waitcnt lgkmcnt(0)
	; wave barrier
	s_waitcnt lgkmcnt(0)
	buffer_load_dword v98, off, s[0:3], 0 offset:40
	buffer_load_dword v99, off, s[0:3], 0 offset:44
	;; [unrolled: 1-line block ×16, first 2 shown]
	ds_read_b128 v[104:107], v102 offset:432
	ds_read_b128 v[108:111], v102 offset:448
	;; [unrolled: 1-line block ×4, first 2 shown]
	v_cmp_lt_u32_e32 vcc, 4, v0
	s_waitcnt vmcnt(12) lgkmcnt(3)
	v_fma_f64 v[100:101], v[100:101], v[104:105], 0
	buffer_load_dword v105, off, s[0:3], 0 offset:108
	buffer_load_dword v104, off, s[0:3], 0 offset:104
	s_waitcnt vmcnt(12)
	v_fmac_f64_e32 v[100:101], v[120:121], v[106:107]
	s_waitcnt vmcnt(10) lgkmcnt(2)
	v_fmac_f64_e32 v[100:101], v[122:123], v[108:109]
	buffer_load_dword v109, off, s[0:3], 0 offset:116
	buffer_load_dword v108, off, s[0:3], 0 offset:112
	s_waitcnt vmcnt(10)
	v_fmac_f64_e32 v[100:101], v[124:125], v[110:111]
	s_waitcnt vmcnt(8) lgkmcnt(1)
	v_fmac_f64_e32 v[100:101], v[126:127], v[112:113]
	s_waitcnt vmcnt(6)
	v_fmac_f64_e32 v[100:101], v[128:129], v[114:115]
	s_waitcnt vmcnt(4) lgkmcnt(0)
	v_fmac_f64_e32 v[100:101], v[130:131], v[116:117]
	s_waitcnt vmcnt(2)
	v_fmac_f64_e32 v[100:101], v[104:105], v[118:119]
	ds_read_b128 v[104:107], v102 offset:496
	s_waitcnt vmcnt(0) lgkmcnt(0)
	v_fmac_f64_e32 v[100:101], v[108:109], v[104:105]
	buffer_load_dword v105, off, s[0:3], 0 offset:124
	buffer_load_dword v104, off, s[0:3], 0 offset:120
	buffer_load_dword v109, off, s[0:3], 0 offset:132
	buffer_load_dword v108, off, s[0:3], 0 offset:128
	s_waitcnt vmcnt(2)
	v_fmac_f64_e32 v[100:101], v[104:105], v[106:107]
	ds_read_b128 v[104:107], v102 offset:512
	s_waitcnt vmcnt(0) lgkmcnt(0)
	v_fmac_f64_e32 v[100:101], v[108:109], v[104:105]
	buffer_load_dword v105, off, s[0:3], 0 offset:140
	buffer_load_dword v104, off, s[0:3], 0 offset:136
	buffer_load_dword v109, off, s[0:3], 0 offset:148
	buffer_load_dword v108, off, s[0:3], 0 offset:144
	;; [unrolled: 9-line block ×15, first 2 shown]
	s_waitcnt vmcnt(2)
	v_fmac_f64_e32 v[100:101], v[104:105], v[106:107]
	ds_read_b128 v[104:107], v102 offset:736
	s_waitcnt vmcnt(0) lgkmcnt(0)
	v_fmac_f64_e32 v[100:101], v[108:109], v[104:105]
	buffer_load_dword v105, off, s[0:3], 0 offset:364
	buffer_load_dword v104, off, s[0:3], 0 offset:360
	s_waitcnt vmcnt(0)
	v_fmac_f64_e32 v[100:101], v[104:105], v[106:107]
	buffer_load_dword v107, off, s[0:3], 0 offset:372
	buffer_load_dword v106, off, s[0:3], 0 offset:368
	ds_read_b128 v[102:105], v102 offset:752
	s_waitcnt vmcnt(0) lgkmcnt(0)
	v_fmac_f64_e32 v[100:101], v[106:107], v[102:103]
	buffer_load_dword v103, off, s[0:3], 0 offset:380
	buffer_load_dword v102, off, s[0:3], 0 offset:376
	s_waitcnt vmcnt(0)
	v_fmac_f64_e32 v[100:101], v[102:103], v[104:105]
	v_add_f64 v[98:99], v[98:99], -v[100:101]
	buffer_store_dword v99, off, s[0:3], 0 offset:44
	buffer_store_dword v98, off, s[0:3], 0 offset:40
	s_and_saveexec_b64 s[4:5], vcc
	s_cbranch_execz .LBB111_287
; %bb.286:
	buffer_load_dword v98, off, s[0:3], 0 offset:32
	buffer_load_dword v99, off, s[0:3], 0 offset:36
	v_mov_b32_e32 v100, 0
	buffer_store_dword v100, off, s[0:3], 0 offset:32
	buffer_store_dword v100, off, s[0:3], 0 offset:36
	s_waitcnt vmcnt(2)
	ds_write_b64 v1, v[98:99]
.LBB111_287:
	s_or_b64 exec, exec, s[4:5]
	s_waitcnt lgkmcnt(0)
	; wave barrier
	s_waitcnt lgkmcnt(0)
	buffer_load_dword v98, off, s[0:3], 0 offset:32
	buffer_load_dword v99, off, s[0:3], 0 offset:36
	;; [unrolled: 1-line block ×16, first 2 shown]
	v_mov_b32_e32 v102, 0
	ds_read2_b64 v[104:107], v102 offset0:53 offset1:54
	v_cmp_lt_u32_e32 vcc, 3, v0
	s_waitcnt vmcnt(12) lgkmcnt(0)
	v_fma_f64 v[100:101], v[100:101], v[104:105], 0
	s_waitcnt vmcnt(10)
	v_fmac_f64_e32 v[100:101], v[108:109], v[106:107]
	ds_read2_b64 v[104:107], v102 offset0:55 offset1:56
	s_waitcnt vmcnt(8) lgkmcnt(0)
	v_fmac_f64_e32 v[100:101], v[110:111], v[104:105]
	s_waitcnt vmcnt(6)
	v_fmac_f64_e32 v[100:101], v[112:113], v[106:107]
	ds_read2_b64 v[104:107], v102 offset0:57 offset1:58
	s_waitcnt vmcnt(4) lgkmcnt(0)
	v_fmac_f64_e32 v[100:101], v[114:115], v[104:105]
	;; [unrolled: 5-line block ×3, first 2 shown]
	buffer_load_dword v105, off, s[0:3], 0 offset:100
	buffer_load_dword v104, off, s[0:3], 0 offset:96
	buffer_load_dword v109, off, s[0:3], 0 offset:108
	buffer_load_dword v108, off, s[0:3], 0 offset:104
	s_waitcnt vmcnt(2)
	v_fmac_f64_e32 v[100:101], v[104:105], v[106:107]
	ds_read2_b64 v[104:107], v102 offset0:61 offset1:62
	s_waitcnt vmcnt(0) lgkmcnt(0)
	v_fmac_f64_e32 v[100:101], v[108:109], v[104:105]
	buffer_load_dword v105, off, s[0:3], 0 offset:116
	buffer_load_dword v104, off, s[0:3], 0 offset:112
	buffer_load_dword v109, off, s[0:3], 0 offset:124
	buffer_load_dword v108, off, s[0:3], 0 offset:120
	s_waitcnt vmcnt(2)
	v_fmac_f64_e32 v[100:101], v[104:105], v[106:107]
	ds_read2_b64 v[104:107], v102 offset0:63 offset1:64
	s_waitcnt vmcnt(0) lgkmcnt(0)
	v_fmac_f64_e32 v[100:101], v[108:109], v[104:105]
	;; [unrolled: 9-line block ×17, first 2 shown]
	buffer_load_dword v105, off, s[0:3], 0 offset:372
	buffer_load_dword v104, off, s[0:3], 0 offset:368
	s_waitcnt vmcnt(0)
	v_fmac_f64_e32 v[100:101], v[104:105], v[106:107]
	buffer_load_dword v105, off, s[0:3], 0 offset:380
	buffer_load_dword v104, off, s[0:3], 0 offset:376
	ds_read_b64 v[106:107], v102 offset:760
	s_waitcnt vmcnt(0) lgkmcnt(0)
	v_fmac_f64_e32 v[100:101], v[104:105], v[106:107]
	v_add_f64 v[98:99], v[98:99], -v[100:101]
	buffer_store_dword v99, off, s[0:3], 0 offset:36
	buffer_store_dword v98, off, s[0:3], 0 offset:32
	s_and_saveexec_b64 s[4:5], vcc
	s_cbranch_execz .LBB111_289
; %bb.288:
	buffer_load_dword v98, off, s[0:3], 0 offset:24
	buffer_load_dword v99, off, s[0:3], 0 offset:28
	s_waitcnt vmcnt(0)
	ds_write_b64 v1, v[98:99]
	buffer_store_dword v102, off, s[0:3], 0 offset:24
	buffer_store_dword v102, off, s[0:3], 0 offset:28
.LBB111_289:
	s_or_b64 exec, exec, s[4:5]
	s_waitcnt lgkmcnt(0)
	; wave barrier
	s_waitcnt lgkmcnt(0)
	buffer_load_dword v98, off, s[0:3], 0 offset:24
	buffer_load_dword v99, off, s[0:3], 0 offset:28
	;; [unrolled: 1-line block ×16, first 2 shown]
	ds_read_b128 v[104:107], v102 offset:416
	ds_read_b128 v[108:111], v102 offset:432
	;; [unrolled: 1-line block ×4, first 2 shown]
	v_cmp_lt_u32_e32 vcc, 2, v0
	s_waitcnt vmcnt(12) lgkmcnt(3)
	v_fma_f64 v[100:101], v[100:101], v[104:105], 0
	buffer_load_dword v105, off, s[0:3], 0 offset:92
	buffer_load_dword v104, off, s[0:3], 0 offset:88
	s_waitcnt vmcnt(12)
	v_fmac_f64_e32 v[100:101], v[120:121], v[106:107]
	s_waitcnt vmcnt(10) lgkmcnt(2)
	v_fmac_f64_e32 v[100:101], v[122:123], v[108:109]
	buffer_load_dword v109, off, s[0:3], 0 offset:100
	buffer_load_dword v108, off, s[0:3], 0 offset:96
	s_waitcnt vmcnt(10)
	v_fmac_f64_e32 v[100:101], v[124:125], v[110:111]
	s_waitcnt vmcnt(8) lgkmcnt(1)
	v_fmac_f64_e32 v[100:101], v[126:127], v[112:113]
	s_waitcnt vmcnt(6)
	v_fmac_f64_e32 v[100:101], v[128:129], v[114:115]
	s_waitcnt vmcnt(4) lgkmcnt(0)
	v_fmac_f64_e32 v[100:101], v[130:131], v[116:117]
	s_waitcnt vmcnt(2)
	v_fmac_f64_e32 v[100:101], v[104:105], v[118:119]
	ds_read_b128 v[104:107], v102 offset:480
	s_waitcnt vmcnt(0) lgkmcnt(0)
	v_fmac_f64_e32 v[100:101], v[108:109], v[104:105]
	buffer_load_dword v105, off, s[0:3], 0 offset:108
	buffer_load_dword v104, off, s[0:3], 0 offset:104
	buffer_load_dword v109, off, s[0:3], 0 offset:116
	buffer_load_dword v108, off, s[0:3], 0 offset:112
	s_waitcnt vmcnt(2)
	v_fmac_f64_e32 v[100:101], v[104:105], v[106:107]
	ds_read_b128 v[104:107], v102 offset:496
	s_waitcnt vmcnt(0) lgkmcnt(0)
	v_fmac_f64_e32 v[100:101], v[108:109], v[104:105]
	buffer_load_dword v105, off, s[0:3], 0 offset:124
	buffer_load_dword v104, off, s[0:3], 0 offset:120
	buffer_load_dword v109, off, s[0:3], 0 offset:132
	buffer_load_dword v108, off, s[0:3], 0 offset:128
	;; [unrolled: 9-line block ×16, first 2 shown]
	s_waitcnt vmcnt(2)
	v_fmac_f64_e32 v[100:101], v[104:105], v[106:107]
	ds_read_b128 v[104:107], v102 offset:736
	s_waitcnt vmcnt(0) lgkmcnt(0)
	v_fmac_f64_e32 v[100:101], v[108:109], v[104:105]
	buffer_load_dword v105, off, s[0:3], 0 offset:364
	buffer_load_dword v104, off, s[0:3], 0 offset:360
	s_waitcnt vmcnt(0)
	v_fmac_f64_e32 v[100:101], v[104:105], v[106:107]
	buffer_load_dword v107, off, s[0:3], 0 offset:372
	buffer_load_dword v106, off, s[0:3], 0 offset:368
	ds_read_b128 v[102:105], v102 offset:752
	s_waitcnt vmcnt(0) lgkmcnt(0)
	v_fmac_f64_e32 v[100:101], v[106:107], v[102:103]
	buffer_load_dword v103, off, s[0:3], 0 offset:380
	buffer_load_dword v102, off, s[0:3], 0 offset:376
	s_waitcnt vmcnt(0)
	v_fmac_f64_e32 v[100:101], v[102:103], v[104:105]
	v_add_f64 v[98:99], v[98:99], -v[100:101]
	buffer_store_dword v99, off, s[0:3], 0 offset:28
	buffer_store_dword v98, off, s[0:3], 0 offset:24
	s_and_saveexec_b64 s[4:5], vcc
	s_cbranch_execz .LBB111_291
; %bb.290:
	buffer_load_dword v98, off, s[0:3], 0 offset:16
	buffer_load_dword v99, off, s[0:3], 0 offset:20
	v_mov_b32_e32 v100, 0
	buffer_store_dword v100, off, s[0:3], 0 offset:16
	buffer_store_dword v100, off, s[0:3], 0 offset:20
	s_waitcnt vmcnt(2)
	ds_write_b64 v1, v[98:99]
.LBB111_291:
	s_or_b64 exec, exec, s[4:5]
	s_waitcnt lgkmcnt(0)
	; wave barrier
	s_waitcnt lgkmcnt(0)
	buffer_load_dword v98, off, s[0:3], 0 offset:16
	buffer_load_dword v99, off, s[0:3], 0 offset:20
	;; [unrolled: 1-line block ×16, first 2 shown]
	v_mov_b32_e32 v102, 0
	ds_read2_b64 v[104:107], v102 offset0:51 offset1:52
	v_cmp_lt_u32_e32 vcc, 1, v0
	s_waitcnt vmcnt(12) lgkmcnt(0)
	v_fma_f64 v[100:101], v[100:101], v[104:105], 0
	s_waitcnt vmcnt(10)
	v_fmac_f64_e32 v[100:101], v[108:109], v[106:107]
	ds_read2_b64 v[104:107], v102 offset0:53 offset1:54
	s_waitcnt vmcnt(8) lgkmcnt(0)
	v_fmac_f64_e32 v[100:101], v[110:111], v[104:105]
	s_waitcnt vmcnt(6)
	v_fmac_f64_e32 v[100:101], v[112:113], v[106:107]
	ds_read2_b64 v[104:107], v102 offset0:55 offset1:56
	s_waitcnt vmcnt(4) lgkmcnt(0)
	v_fmac_f64_e32 v[100:101], v[114:115], v[104:105]
	;; [unrolled: 5-line block ×3, first 2 shown]
	buffer_load_dword v105, off, s[0:3], 0 offset:84
	buffer_load_dword v104, off, s[0:3], 0 offset:80
	buffer_load_dword v109, off, s[0:3], 0 offset:92
	buffer_load_dword v108, off, s[0:3], 0 offset:88
	s_waitcnt vmcnt(2)
	v_fmac_f64_e32 v[100:101], v[104:105], v[106:107]
	ds_read2_b64 v[104:107], v102 offset0:59 offset1:60
	s_waitcnt vmcnt(0) lgkmcnt(0)
	v_fmac_f64_e32 v[100:101], v[108:109], v[104:105]
	buffer_load_dword v105, off, s[0:3], 0 offset:100
	buffer_load_dword v104, off, s[0:3], 0 offset:96
	buffer_load_dword v109, off, s[0:3], 0 offset:108
	buffer_load_dword v108, off, s[0:3], 0 offset:104
	s_waitcnt vmcnt(2)
	v_fmac_f64_e32 v[100:101], v[104:105], v[106:107]
	ds_read2_b64 v[104:107], v102 offset0:61 offset1:62
	s_waitcnt vmcnt(0) lgkmcnt(0)
	v_fmac_f64_e32 v[100:101], v[108:109], v[104:105]
	;; [unrolled: 9-line block ×18, first 2 shown]
	buffer_load_dword v105, off, s[0:3], 0 offset:372
	buffer_load_dword v104, off, s[0:3], 0 offset:368
	s_waitcnt vmcnt(0)
	v_fmac_f64_e32 v[100:101], v[104:105], v[106:107]
	buffer_load_dword v105, off, s[0:3], 0 offset:380
	buffer_load_dword v104, off, s[0:3], 0 offset:376
	ds_read_b64 v[106:107], v102 offset:760
	s_waitcnt vmcnt(0) lgkmcnt(0)
	v_fmac_f64_e32 v[100:101], v[104:105], v[106:107]
	v_add_f64 v[98:99], v[98:99], -v[100:101]
	buffer_store_dword v99, off, s[0:3], 0 offset:20
	buffer_store_dword v98, off, s[0:3], 0 offset:16
	s_and_saveexec_b64 s[4:5], vcc
	s_cbranch_execz .LBB111_293
; %bb.292:
	buffer_load_dword v98, off, s[0:3], 0 offset:8
	buffer_load_dword v99, off, s[0:3], 0 offset:12
	s_waitcnt vmcnt(0)
	ds_write_b64 v1, v[98:99]
	buffer_store_dword v102, off, s[0:3], 0 offset:8
	buffer_store_dword v102, off, s[0:3], 0 offset:12
.LBB111_293:
	s_or_b64 exec, exec, s[4:5]
	s_waitcnt lgkmcnt(0)
	; wave barrier
	s_waitcnt lgkmcnt(0)
	buffer_load_dword v98, off, s[0:3], 0 offset:8
	buffer_load_dword v99, off, s[0:3], 0 offset:12
	;; [unrolled: 1-line block ×16, first 2 shown]
	ds_read_b128 v[104:107], v102 offset:400
	ds_read_b128 v[108:111], v102 offset:416
	;; [unrolled: 1-line block ×4, first 2 shown]
	v_cmp_ne_u32_e32 vcc, 0, v0
	s_waitcnt vmcnt(12) lgkmcnt(3)
	v_fma_f64 v[100:101], v[100:101], v[104:105], 0
	buffer_load_dword v105, off, s[0:3], 0 offset:76
	buffer_load_dword v104, off, s[0:3], 0 offset:72
	s_waitcnt vmcnt(12)
	v_fmac_f64_e32 v[100:101], v[120:121], v[106:107]
	s_waitcnt vmcnt(10) lgkmcnt(2)
	v_fmac_f64_e32 v[100:101], v[122:123], v[108:109]
	buffer_load_dword v109, off, s[0:3], 0 offset:84
	buffer_load_dword v108, off, s[0:3], 0 offset:80
	s_waitcnt vmcnt(10)
	v_fmac_f64_e32 v[100:101], v[124:125], v[110:111]
	s_waitcnt vmcnt(8) lgkmcnt(1)
	v_fmac_f64_e32 v[100:101], v[126:127], v[112:113]
	s_waitcnt vmcnt(6)
	v_fmac_f64_e32 v[100:101], v[128:129], v[114:115]
	s_waitcnt vmcnt(4) lgkmcnt(0)
	v_fmac_f64_e32 v[100:101], v[130:131], v[116:117]
	s_waitcnt vmcnt(2)
	v_fmac_f64_e32 v[100:101], v[104:105], v[118:119]
	ds_read_b128 v[104:107], v102 offset:464
	s_waitcnt vmcnt(0) lgkmcnt(0)
	v_fmac_f64_e32 v[100:101], v[108:109], v[104:105]
	buffer_load_dword v105, off, s[0:3], 0 offset:92
	buffer_load_dword v104, off, s[0:3], 0 offset:88
	buffer_load_dword v109, off, s[0:3], 0 offset:100
	buffer_load_dword v108, off, s[0:3], 0 offset:96
	s_waitcnt vmcnt(2)
	v_fmac_f64_e32 v[100:101], v[104:105], v[106:107]
	ds_read_b128 v[104:107], v102 offset:480
	s_waitcnt vmcnt(0) lgkmcnt(0)
	v_fmac_f64_e32 v[100:101], v[108:109], v[104:105]
	buffer_load_dword v105, off, s[0:3], 0 offset:108
	buffer_load_dword v104, off, s[0:3], 0 offset:104
	buffer_load_dword v109, off, s[0:3], 0 offset:116
	buffer_load_dword v108, off, s[0:3], 0 offset:112
	;; [unrolled: 9-line block ×17, first 2 shown]
	s_waitcnt vmcnt(2)
	v_fmac_f64_e32 v[100:101], v[104:105], v[106:107]
	ds_read_b128 v[104:107], v102 offset:736
	s_waitcnt vmcnt(0) lgkmcnt(0)
	v_fmac_f64_e32 v[100:101], v[108:109], v[104:105]
	buffer_load_dword v105, off, s[0:3], 0 offset:364
	buffer_load_dword v104, off, s[0:3], 0 offset:360
	s_waitcnt vmcnt(0)
	v_fmac_f64_e32 v[100:101], v[104:105], v[106:107]
	buffer_load_dword v107, off, s[0:3], 0 offset:372
	buffer_load_dword v106, off, s[0:3], 0 offset:368
	ds_read_b128 v[102:105], v102 offset:752
	s_waitcnt vmcnt(0) lgkmcnt(0)
	v_fmac_f64_e32 v[100:101], v[106:107], v[102:103]
	buffer_load_dword v103, off, s[0:3], 0 offset:380
	buffer_load_dword v102, off, s[0:3], 0 offset:376
	s_waitcnt vmcnt(0)
	v_fmac_f64_e32 v[100:101], v[102:103], v[104:105]
	v_add_f64 v[98:99], v[98:99], -v[100:101]
	buffer_store_dword v99, off, s[0:3], 0 offset:12
	buffer_store_dword v98, off, s[0:3], 0 offset:8
	s_and_saveexec_b64 s[4:5], vcc
	s_cbranch_execz .LBB111_295
; %bb.294:
	buffer_load_dword v98, off, s[0:3], 0
	buffer_load_dword v99, off, s[0:3], 0 offset:4
	v_mov_b32_e32 v0, 0
	buffer_store_dword v0, off, s[0:3], 0
	buffer_store_dword v0, off, s[0:3], 0 offset:4
	s_waitcnt vmcnt(2)
	ds_write_b64 v1, v[98:99]
.LBB111_295:
	s_or_b64 exec, exec, s[4:5]
	s_waitcnt lgkmcnt(0)
	; wave barrier
	s_waitcnt lgkmcnt(0)
	buffer_load_dword v0, off, s[0:3], 0
	buffer_load_dword v1, off, s[0:3], 0 offset:4
	buffer_load_dword v104, off, s[0:3], 0 offset:8
	;; [unrolled: 1-line block ×15, first 2 shown]
	v_mov_b32_e32 v102, 0
	ds_read2_b64 v[98:101], v102 offset0:49 offset1:50
	s_and_b64 vcc, exec, s[16:17]
	s_waitcnt vmcnt(12) lgkmcnt(0)
	v_fma_f64 v[98:99], v[104:105], v[98:99], 0
	s_waitcnt vmcnt(10)
	v_fmac_f64_e32 v[98:99], v[106:107], v[100:101]
	ds_read2_b64 v[104:107], v102 offset0:51 offset1:52
	s_waitcnt vmcnt(8) lgkmcnt(0)
	v_fmac_f64_e32 v[98:99], v[108:109], v[104:105]
	s_waitcnt vmcnt(6)
	v_fmac_f64_e32 v[98:99], v[110:111], v[106:107]
	ds_read2_b64 v[104:107], v102 offset0:53 offset1:54
	s_waitcnt vmcnt(4) lgkmcnt(0)
	v_fmac_f64_e32 v[98:99], v[112:113], v[104:105]
	s_waitcnt vmcnt(2)
	v_fmac_f64_e32 v[98:99], v[114:115], v[106:107]
	ds_read2_b64 v[104:107], v102 offset0:55 offset1:56
	buffer_load_dword v101, off, s[0:3], 0 offset:68
	buffer_load_dword v100, off, s[0:3], 0 offset:64
	s_waitcnt vmcnt(2) lgkmcnt(0)
	v_fmac_f64_e32 v[98:99], v[116:117], v[104:105]
	s_waitcnt vmcnt(0)
	v_fmac_f64_e32 v[98:99], v[100:101], v[106:107]
	buffer_load_dword v101, off, s[0:3], 0 offset:76
	buffer_load_dword v100, off, s[0:3], 0 offset:72
	ds_read2_b64 v[104:107], v102 offset0:57 offset1:58
	s_waitcnt vmcnt(0) lgkmcnt(0)
	v_fmac_f64_e32 v[98:99], v[100:101], v[104:105]
	buffer_load_dword v101, off, s[0:3], 0 offset:84
	buffer_load_dword v100, off, s[0:3], 0 offset:80
	s_waitcnt vmcnt(0)
	v_fmac_f64_e32 v[98:99], v[100:101], v[106:107]
	buffer_load_dword v101, off, s[0:3], 0 offset:92
	buffer_load_dword v100, off, s[0:3], 0 offset:88
	ds_read2_b64 v[104:107], v102 offset0:59 offset1:60
	s_waitcnt vmcnt(0) lgkmcnt(0)
	v_fmac_f64_e32 v[98:99], v[100:101], v[104:105]
	buffer_load_dword v101, off, s[0:3], 0 offset:100
	buffer_load_dword v100, off, s[0:3], 0 offset:96
	s_waitcnt vmcnt(0)
	v_fmac_f64_e32 v[98:99], v[100:101], v[106:107]
	buffer_load_dword v101, off, s[0:3], 0 offset:108
	buffer_load_dword v100, off, s[0:3], 0 offset:104
	ds_read2_b64 v[104:107], v102 offset0:61 offset1:62
	s_waitcnt vmcnt(0) lgkmcnt(0)
	v_fmac_f64_e32 v[98:99], v[100:101], v[104:105]
	buffer_load_dword v101, off, s[0:3], 0 offset:116
	buffer_load_dword v100, off, s[0:3], 0 offset:112
	s_waitcnt vmcnt(0)
	v_fmac_f64_e32 v[98:99], v[100:101], v[106:107]
	buffer_load_dword v101, off, s[0:3], 0 offset:124
	buffer_load_dword v100, off, s[0:3], 0 offset:120
	ds_read2_b64 v[104:107], v102 offset0:63 offset1:64
	s_waitcnt vmcnt(0) lgkmcnt(0)
	v_fmac_f64_e32 v[98:99], v[100:101], v[104:105]
	buffer_load_dword v101, off, s[0:3], 0 offset:132
	buffer_load_dword v100, off, s[0:3], 0 offset:128
	s_waitcnt vmcnt(0)
	v_fmac_f64_e32 v[98:99], v[100:101], v[106:107]
	buffer_load_dword v101, off, s[0:3], 0 offset:140
	buffer_load_dword v100, off, s[0:3], 0 offset:136
	ds_read2_b64 v[104:107], v102 offset0:65 offset1:66
	s_waitcnt vmcnt(0) lgkmcnt(0)
	v_fmac_f64_e32 v[98:99], v[100:101], v[104:105]
	buffer_load_dword v101, off, s[0:3], 0 offset:148
	buffer_load_dword v100, off, s[0:3], 0 offset:144
	s_waitcnt vmcnt(0)
	v_fmac_f64_e32 v[98:99], v[100:101], v[106:107]
	buffer_load_dword v101, off, s[0:3], 0 offset:156
	buffer_load_dword v100, off, s[0:3], 0 offset:152
	ds_read2_b64 v[104:107], v102 offset0:67 offset1:68
	s_waitcnt vmcnt(0) lgkmcnt(0)
	v_fmac_f64_e32 v[98:99], v[100:101], v[104:105]
	buffer_load_dword v101, off, s[0:3], 0 offset:164
	buffer_load_dword v100, off, s[0:3], 0 offset:160
	s_waitcnt vmcnt(0)
	v_fmac_f64_e32 v[98:99], v[100:101], v[106:107]
	buffer_load_dword v101, off, s[0:3], 0 offset:172
	buffer_load_dword v100, off, s[0:3], 0 offset:168
	ds_read2_b64 v[104:107], v102 offset0:69 offset1:70
	s_waitcnt vmcnt(0) lgkmcnt(0)
	v_fmac_f64_e32 v[98:99], v[100:101], v[104:105]
	buffer_load_dword v101, off, s[0:3], 0 offset:180
	buffer_load_dword v100, off, s[0:3], 0 offset:176
	s_waitcnt vmcnt(0)
	v_fmac_f64_e32 v[98:99], v[100:101], v[106:107]
	buffer_load_dword v101, off, s[0:3], 0 offset:188
	buffer_load_dword v100, off, s[0:3], 0 offset:184
	ds_read2_b64 v[104:107], v102 offset0:71 offset1:72
	s_waitcnt vmcnt(0) lgkmcnt(0)
	v_fmac_f64_e32 v[98:99], v[100:101], v[104:105]
	buffer_load_dword v101, off, s[0:3], 0 offset:196
	buffer_load_dword v100, off, s[0:3], 0 offset:192
	s_waitcnt vmcnt(0)
	v_fmac_f64_e32 v[98:99], v[100:101], v[106:107]
	buffer_load_dword v101, off, s[0:3], 0 offset:204
	buffer_load_dword v100, off, s[0:3], 0 offset:200
	ds_read2_b64 v[104:107], v102 offset0:73 offset1:74
	s_waitcnt vmcnt(0) lgkmcnt(0)
	v_fmac_f64_e32 v[98:99], v[100:101], v[104:105]
	buffer_load_dword v101, off, s[0:3], 0 offset:212
	buffer_load_dword v100, off, s[0:3], 0 offset:208
	s_waitcnt vmcnt(0)
	v_fmac_f64_e32 v[98:99], v[100:101], v[106:107]
	buffer_load_dword v101, off, s[0:3], 0 offset:220
	buffer_load_dword v100, off, s[0:3], 0 offset:216
	ds_read2_b64 v[104:107], v102 offset0:75 offset1:76
	s_waitcnt vmcnt(0) lgkmcnt(0)
	v_fmac_f64_e32 v[98:99], v[100:101], v[104:105]
	buffer_load_dword v101, off, s[0:3], 0 offset:228
	buffer_load_dword v100, off, s[0:3], 0 offset:224
	s_waitcnt vmcnt(0)
	v_fmac_f64_e32 v[98:99], v[100:101], v[106:107]
	buffer_load_dword v101, off, s[0:3], 0 offset:236
	buffer_load_dword v100, off, s[0:3], 0 offset:232
	ds_read2_b64 v[104:107], v102 offset0:77 offset1:78
	s_waitcnt vmcnt(0) lgkmcnt(0)
	v_fmac_f64_e32 v[98:99], v[100:101], v[104:105]
	buffer_load_dword v101, off, s[0:3], 0 offset:244
	buffer_load_dword v100, off, s[0:3], 0 offset:240
	s_waitcnt vmcnt(0)
	v_fmac_f64_e32 v[98:99], v[100:101], v[106:107]
	buffer_load_dword v101, off, s[0:3], 0 offset:252
	buffer_load_dword v100, off, s[0:3], 0 offset:248
	ds_read2_b64 v[104:107], v102 offset0:79 offset1:80
	s_waitcnt vmcnt(0) lgkmcnt(0)
	v_fmac_f64_e32 v[98:99], v[100:101], v[104:105]
	buffer_load_dword v101, off, s[0:3], 0 offset:260
	buffer_load_dword v100, off, s[0:3], 0 offset:256
	s_waitcnt vmcnt(0)
	v_fmac_f64_e32 v[98:99], v[100:101], v[106:107]
	buffer_load_dword v101, off, s[0:3], 0 offset:268
	buffer_load_dword v100, off, s[0:3], 0 offset:264
	ds_read2_b64 v[104:107], v102 offset0:81 offset1:82
	s_waitcnt vmcnt(0) lgkmcnt(0)
	v_fmac_f64_e32 v[98:99], v[100:101], v[104:105]
	buffer_load_dword v101, off, s[0:3], 0 offset:276
	buffer_load_dword v100, off, s[0:3], 0 offset:272
	s_waitcnt vmcnt(0)
	v_fmac_f64_e32 v[98:99], v[100:101], v[106:107]
	buffer_load_dword v101, off, s[0:3], 0 offset:284
	buffer_load_dword v100, off, s[0:3], 0 offset:280
	ds_read2_b64 v[104:107], v102 offset0:83 offset1:84
	s_waitcnt vmcnt(0) lgkmcnt(0)
	v_fmac_f64_e32 v[98:99], v[100:101], v[104:105]
	buffer_load_dword v101, off, s[0:3], 0 offset:292
	buffer_load_dword v100, off, s[0:3], 0 offset:288
	s_waitcnt vmcnt(0)
	v_fmac_f64_e32 v[98:99], v[100:101], v[106:107]
	buffer_load_dword v101, off, s[0:3], 0 offset:300
	buffer_load_dword v100, off, s[0:3], 0 offset:296
	ds_read2_b64 v[104:107], v102 offset0:85 offset1:86
	s_waitcnt vmcnt(0) lgkmcnt(0)
	v_fmac_f64_e32 v[98:99], v[100:101], v[104:105]
	buffer_load_dword v101, off, s[0:3], 0 offset:308
	buffer_load_dword v100, off, s[0:3], 0 offset:304
	s_waitcnt vmcnt(0)
	v_fmac_f64_e32 v[98:99], v[100:101], v[106:107]
	buffer_load_dword v101, off, s[0:3], 0 offset:316
	buffer_load_dword v100, off, s[0:3], 0 offset:312
	ds_read2_b64 v[104:107], v102 offset0:87 offset1:88
	s_waitcnt vmcnt(0) lgkmcnt(0)
	v_fmac_f64_e32 v[98:99], v[100:101], v[104:105]
	buffer_load_dword v101, off, s[0:3], 0 offset:324
	buffer_load_dword v100, off, s[0:3], 0 offset:320
	s_waitcnt vmcnt(0)
	v_fmac_f64_e32 v[98:99], v[100:101], v[106:107]
	buffer_load_dword v101, off, s[0:3], 0 offset:332
	buffer_load_dword v100, off, s[0:3], 0 offset:328
	ds_read2_b64 v[104:107], v102 offset0:89 offset1:90
	s_waitcnt vmcnt(0) lgkmcnt(0)
	v_fmac_f64_e32 v[98:99], v[100:101], v[104:105]
	buffer_load_dword v101, off, s[0:3], 0 offset:340
	buffer_load_dword v100, off, s[0:3], 0 offset:336
	s_waitcnt vmcnt(0)
	v_fmac_f64_e32 v[98:99], v[100:101], v[106:107]
	buffer_load_dword v101, off, s[0:3], 0 offset:348
	buffer_load_dword v100, off, s[0:3], 0 offset:344
	ds_read2_b64 v[104:107], v102 offset0:91 offset1:92
	s_waitcnt vmcnt(0) lgkmcnt(0)
	v_fmac_f64_e32 v[98:99], v[100:101], v[104:105]
	buffer_load_dword v101, off, s[0:3], 0 offset:356
	buffer_load_dword v100, off, s[0:3], 0 offset:352
	s_waitcnt vmcnt(0)
	v_fmac_f64_e32 v[98:99], v[100:101], v[106:107]
	buffer_load_dword v101, off, s[0:3], 0 offset:364
	buffer_load_dword v100, off, s[0:3], 0 offset:360
	ds_read2_b64 v[104:107], v102 offset0:93 offset1:94
	s_waitcnt vmcnt(0) lgkmcnt(0)
	v_fmac_f64_e32 v[98:99], v[100:101], v[104:105]
	buffer_load_dword v101, off, s[0:3], 0 offset:372
	buffer_load_dword v100, off, s[0:3], 0 offset:368
	buffer_load_dword v105, off, s[0:3], 0 offset:380
	buffer_load_dword v104, off, s[0:3], 0 offset:376
	ds_read_b64 v[102:103], v102 offset:760
	s_waitcnt vmcnt(2)
	v_fmac_f64_e32 v[98:99], v[100:101], v[106:107]
	s_waitcnt vmcnt(0) lgkmcnt(0)
	v_fmac_f64_e32 v[98:99], v[104:105], v[102:103]
	v_add_f64 v[0:1], v[0:1], -v[98:99]
	buffer_store_dword v1, off, s[0:3], 0 offset:4
	buffer_store_dword v0, off, s[0:3], 0
	s_cbranch_vccz .LBB111_391
; %bb.296:
	v_pk_mov_b32 v[0:1], s[10:11], s[10:11] op_sel:[0,1]
	flat_load_dword v0, v[0:1] offset:184
	s_waitcnt vmcnt(0) lgkmcnt(0)
	v_add_u32_e32 v0, -1, v0
	v_cmp_ne_u32_e32 vcc, 46, v0
	s_and_saveexec_b64 s[4:5], vcc
	s_cbranch_execz .LBB111_298
; %bb.297:
	v_mov_b32_e32 v1, 0
	v_lshl_add_u32 v0, v0, 3, v1
	buffer_load_dword v1, v0, s[0:3], 0 offen offset:4
	buffer_load_dword v98, v0, s[0:3], 0 offen
	s_waitcnt vmcnt(1)
	buffer_store_dword v1, off, s[0:3], 0 offset:372
	s_waitcnt vmcnt(1)
	buffer_store_dword v98, off, s[0:3], 0 offset:368
	buffer_store_dword v101, v0, s[0:3], 0 offen offset:4
	buffer_store_dword v100, v0, s[0:3], 0 offen
.LBB111_298:
	s_or_b64 exec, exec, s[4:5]
	v_pk_mov_b32 v[0:1], s[10:11], s[10:11] op_sel:[0,1]
	flat_load_dword v0, v[0:1] offset:180
	s_waitcnt vmcnt(0) lgkmcnt(0)
	v_add_u32_e32 v0, -1, v0
	v_cmp_ne_u32_e32 vcc, 45, v0
	s_and_saveexec_b64 s[4:5], vcc
	s_cbranch_execz .LBB111_300
; %bb.299:
	v_mov_b32_e32 v1, 0
	v_lshl_add_u32 v0, v0, 3, v1
	buffer_load_dword v1, v0, s[0:3], 0 offen
	buffer_load_dword v98, v0, s[0:3], 0 offen offset:4
	buffer_load_dword v99, off, s[0:3], 0 offset:360
	buffer_load_dword v100, off, s[0:3], 0 offset:364
	s_waitcnt vmcnt(3)
	buffer_store_dword v1, off, s[0:3], 0 offset:360
	s_waitcnt vmcnt(3)
	buffer_store_dword v98, off, s[0:3], 0 offset:364
	s_waitcnt vmcnt(3)
	buffer_store_dword v99, v0, s[0:3], 0 offen
	s_waitcnt vmcnt(3)
	buffer_store_dword v100, v0, s[0:3], 0 offen offset:4
.LBB111_300:
	s_or_b64 exec, exec, s[4:5]
	v_pk_mov_b32 v[0:1], s[10:11], s[10:11] op_sel:[0,1]
	flat_load_dword v0, v[0:1] offset:176
	s_waitcnt vmcnt(0) lgkmcnt(0)
	v_add_u32_e32 v0, -1, v0
	v_cmp_ne_u32_e32 vcc, 44, v0
	s_and_saveexec_b64 s[4:5], vcc
	s_cbranch_execz .LBB111_302
; %bb.301:
	v_mov_b32_e32 v1, 0
	v_lshl_add_u32 v0, v0, 3, v1
	buffer_load_dword v1, v0, s[0:3], 0 offen
	buffer_load_dword v98, v0, s[0:3], 0 offen offset:4
	buffer_load_dword v99, off, s[0:3], 0 offset:356
	buffer_load_dword v100, off, s[0:3], 0 offset:352
	s_waitcnt vmcnt(3)
	buffer_store_dword v1, off, s[0:3], 0 offset:352
	s_waitcnt vmcnt(3)
	buffer_store_dword v98, off, s[0:3], 0 offset:356
	s_waitcnt vmcnt(3)
	buffer_store_dword v99, v0, s[0:3], 0 offen offset:4
	s_waitcnt vmcnt(3)
	buffer_store_dword v100, v0, s[0:3], 0 offen
.LBB111_302:
	s_or_b64 exec, exec, s[4:5]
	v_pk_mov_b32 v[0:1], s[10:11], s[10:11] op_sel:[0,1]
	flat_load_dword v0, v[0:1] offset:172
	s_waitcnt vmcnt(0) lgkmcnt(0)
	v_add_u32_e32 v0, -1, v0
	v_cmp_ne_u32_e32 vcc, 43, v0
	s_and_saveexec_b64 s[4:5], vcc
	s_cbranch_execz .LBB111_304
; %bb.303:
	v_mov_b32_e32 v1, 0
	v_lshl_add_u32 v0, v0, 3, v1
	buffer_load_dword v1, v0, s[0:3], 0 offen
	buffer_load_dword v98, v0, s[0:3], 0 offen offset:4
	buffer_load_dword v99, off, s[0:3], 0 offset:344
	buffer_load_dword v100, off, s[0:3], 0 offset:348
	s_waitcnt vmcnt(3)
	buffer_store_dword v1, off, s[0:3], 0 offset:344
	s_waitcnt vmcnt(3)
	buffer_store_dword v98, off, s[0:3], 0 offset:348
	s_waitcnt vmcnt(3)
	buffer_store_dword v99, v0, s[0:3], 0 offen
	s_waitcnt vmcnt(3)
	buffer_store_dword v100, v0, s[0:3], 0 offen offset:4
.LBB111_304:
	s_or_b64 exec, exec, s[4:5]
	v_pk_mov_b32 v[0:1], s[10:11], s[10:11] op_sel:[0,1]
	flat_load_dword v0, v[0:1] offset:168
	s_waitcnt vmcnt(0) lgkmcnt(0)
	v_add_u32_e32 v0, -1, v0
	v_cmp_ne_u32_e32 vcc, 42, v0
	s_and_saveexec_b64 s[4:5], vcc
	s_cbranch_execz .LBB111_306
; %bb.305:
	v_mov_b32_e32 v1, 0
	v_lshl_add_u32 v0, v0, 3, v1
	buffer_load_dword v1, v0, s[0:3], 0 offen
	buffer_load_dword v98, v0, s[0:3], 0 offen offset:4
	buffer_load_dword v99, off, s[0:3], 0 offset:340
	buffer_load_dword v100, off, s[0:3], 0 offset:336
	s_waitcnt vmcnt(3)
	buffer_store_dword v1, off, s[0:3], 0 offset:336
	s_waitcnt vmcnt(3)
	buffer_store_dword v98, off, s[0:3], 0 offset:340
	s_waitcnt vmcnt(3)
	buffer_store_dword v99, v0, s[0:3], 0 offen offset:4
	s_waitcnt vmcnt(3)
	buffer_store_dword v100, v0, s[0:3], 0 offen
.LBB111_306:
	;; [unrolled: 48-line block ×22, first 2 shown]
	s_or_b64 exec, exec, s[4:5]
	v_pk_mov_b32 v[0:1], s[10:11], s[10:11] op_sel:[0,1]
	flat_load_dword v0, v[0:1] offset:4
	s_waitcnt vmcnt(0) lgkmcnt(0)
	v_add_u32_e32 v0, -1, v0
	v_cmp_ne_u32_e32 vcc, 1, v0
	s_and_saveexec_b64 s[4:5], vcc
	s_cbranch_execz .LBB111_388
; %bb.387:
	v_mov_b32_e32 v1, 0
	v_lshl_add_u32 v0, v0, 3, v1
	buffer_load_dword v1, v0, s[0:3], 0 offen
	buffer_load_dword v98, v0, s[0:3], 0 offen offset:4
	buffer_load_dword v99, off, s[0:3], 0 offset:8
	buffer_load_dword v100, off, s[0:3], 0 offset:12
	s_waitcnt vmcnt(3)
	buffer_store_dword v1, off, s[0:3], 0 offset:8
	s_waitcnt vmcnt(3)
	buffer_store_dword v98, off, s[0:3], 0 offset:12
	s_waitcnt vmcnt(3)
	buffer_store_dword v99, v0, s[0:3], 0 offen
	s_waitcnt vmcnt(3)
	buffer_store_dword v100, v0, s[0:3], 0 offen offset:4
.LBB111_388:
	s_or_b64 exec, exec, s[4:5]
	v_pk_mov_b32 v[0:1], s[10:11], s[10:11] op_sel:[0,1]
	flat_load_dword v98, v[0:1]
	s_nop 0
	buffer_load_dword v0, off, s[0:3], 0
	buffer_load_dword v1, off, s[0:3], 0 offset:4
	s_waitcnt vmcnt(0) lgkmcnt(0)
	v_add_u32_e32 v98, -1, v98
	v_cmp_ne_u32_e32 vcc, 0, v98
	s_and_saveexec_b64 s[4:5], vcc
	s_cbranch_execz .LBB111_390
; %bb.389:
	v_mov_b32_e32 v99, 0
	v_lshl_add_u32 v98, v98, 3, v99
	buffer_load_dword v99, v98, s[0:3], 0 offen offset:4
	buffer_load_dword v100, v98, s[0:3], 0 offen
	s_waitcnt vmcnt(1)
	buffer_store_dword v99, off, s[0:3], 0 offset:4
	s_waitcnt vmcnt(1)
	buffer_store_dword v100, off, s[0:3], 0
	buffer_store_dword v1, v98, s[0:3], 0 offen offset:4
	buffer_store_dword v0, v98, s[0:3], 0 offen
	buffer_load_dword v0, off, s[0:3], 0
	s_nop 0
	buffer_load_dword v1, off, s[0:3], 0 offset:4
.LBB111_390:
	s_or_b64 exec, exec, s[4:5]
.LBB111_391:
	s_waitcnt vmcnt(0)
	global_store_dwordx2 v[96:97], v[0:1], off
	buffer_load_dword v0, off, s[0:3], 0 offset:8
	s_nop 0
	buffer_load_dword v1, off, s[0:3], 0 offset:12
	buffer_load_dword v96, off, s[0:3], 0 offset:16
	;; [unrolled: 1-line block ×15, first 2 shown]
	s_waitcnt vmcnt(14)
	global_store_dwordx2 v[94:95], v[0:1], off
	s_waitcnt vmcnt(13)
	global_store_dwordx2 v[2:3], v[96:97], off
	;; [unrolled: 2-line block ×8, first 2 shown]
	buffer_load_dword v0, off, s[0:3], 0 offset:72
	buffer_load_dword v1, off, s[0:3], 0 offset:76
	s_waitcnt vmcnt(0)
	global_store_dwordx2 v[14:15], v[0:1], off
	buffer_load_dword v0, off, s[0:3], 0 offset:80
	s_nop 0
	buffer_load_dword v1, off, s[0:3], 0 offset:84
	s_waitcnt vmcnt(0)
	global_store_dwordx2 v[16:17], v[0:1], off
	buffer_load_dword v0, off, s[0:3], 0 offset:88
	s_nop 0
	;; [unrolled: 5-line block ×38, first 2 shown]
	buffer_load_dword v1, off, s[0:3], 0 offset:380
	s_waitcnt vmcnt(0)
	global_store_dwordx2 v[78:79], v[0:1], off
	s_endpgm
	.section	.rodata,"a",@progbits
	.p2align	6, 0x0
	.amdhsa_kernel _ZN9rocsolver6v33100L18getri_kernel_smallILi48EdPKPdEEvT1_iilPiilS6_bb
		.amdhsa_group_segment_fixed_size 776
		.amdhsa_private_segment_fixed_size 400
		.amdhsa_kernarg_size 60
		.amdhsa_user_sgpr_count 8
		.amdhsa_user_sgpr_private_segment_buffer 1
		.amdhsa_user_sgpr_dispatch_ptr 0
		.amdhsa_user_sgpr_queue_ptr 0
		.amdhsa_user_sgpr_kernarg_segment_ptr 1
		.amdhsa_user_sgpr_dispatch_id 0
		.amdhsa_user_sgpr_flat_scratch_init 1
		.amdhsa_user_sgpr_kernarg_preload_length 0
		.amdhsa_user_sgpr_kernarg_preload_offset 0
		.amdhsa_user_sgpr_private_segment_size 0
		.amdhsa_uses_dynamic_stack 0
		.amdhsa_system_sgpr_private_segment_wavefront_offset 1
		.amdhsa_system_sgpr_workgroup_id_x 1
		.amdhsa_system_sgpr_workgroup_id_y 0
		.amdhsa_system_sgpr_workgroup_id_z 0
		.amdhsa_system_sgpr_workgroup_info 0
		.amdhsa_system_vgpr_workitem_id 0
		.amdhsa_next_free_vgpr 166
		.amdhsa_next_free_sgpr 22
		.amdhsa_accum_offset 168
		.amdhsa_reserve_vcc 1
		.amdhsa_reserve_flat_scratch 1
		.amdhsa_float_round_mode_32 0
		.amdhsa_float_round_mode_16_64 0
		.amdhsa_float_denorm_mode_32 3
		.amdhsa_float_denorm_mode_16_64 3
		.amdhsa_dx10_clamp 1
		.amdhsa_ieee_mode 1
		.amdhsa_fp16_overflow 0
		.amdhsa_tg_split 0
		.amdhsa_exception_fp_ieee_invalid_op 0
		.amdhsa_exception_fp_denorm_src 0
		.amdhsa_exception_fp_ieee_div_zero 0
		.amdhsa_exception_fp_ieee_overflow 0
		.amdhsa_exception_fp_ieee_underflow 0
		.amdhsa_exception_fp_ieee_inexact 0
		.amdhsa_exception_int_div_zero 0
	.end_amdhsa_kernel
	.section	.text._ZN9rocsolver6v33100L18getri_kernel_smallILi48EdPKPdEEvT1_iilPiilS6_bb,"axG",@progbits,_ZN9rocsolver6v33100L18getri_kernel_smallILi48EdPKPdEEvT1_iilPiilS6_bb,comdat
.Lfunc_end111:
	.size	_ZN9rocsolver6v33100L18getri_kernel_smallILi48EdPKPdEEvT1_iilPiilS6_bb, .Lfunc_end111-_ZN9rocsolver6v33100L18getri_kernel_smallILi48EdPKPdEEvT1_iilPiilS6_bb
                                        ; -- End function
	.section	.AMDGPU.csdata,"",@progbits
; Kernel info:
; codeLenInByte = 56768
; NumSgprs: 28
; NumVgprs: 166
; NumAgprs: 0
; TotalNumVgprs: 166
; ScratchSize: 400
; MemoryBound: 1
; FloatMode: 240
; IeeeMode: 1
; LDSByteSize: 776 bytes/workgroup (compile time only)
; SGPRBlocks: 3
; VGPRBlocks: 20
; NumSGPRsForWavesPerEU: 28
; NumVGPRsForWavesPerEU: 166
; AccumOffset: 168
; Occupancy: 3
; WaveLimiterHint : 1
; COMPUTE_PGM_RSRC2:SCRATCH_EN: 1
; COMPUTE_PGM_RSRC2:USER_SGPR: 8
; COMPUTE_PGM_RSRC2:TRAP_HANDLER: 0
; COMPUTE_PGM_RSRC2:TGID_X_EN: 1
; COMPUTE_PGM_RSRC2:TGID_Y_EN: 0
; COMPUTE_PGM_RSRC2:TGID_Z_EN: 0
; COMPUTE_PGM_RSRC2:TIDIG_COMP_CNT: 0
; COMPUTE_PGM_RSRC3_GFX90A:ACCUM_OFFSET: 41
; COMPUTE_PGM_RSRC3_GFX90A:TG_SPLIT: 0
	.section	.text._ZN9rocsolver6v33100L18getri_kernel_smallILi49EdPKPdEEvT1_iilPiilS6_bb,"axG",@progbits,_ZN9rocsolver6v33100L18getri_kernel_smallILi49EdPKPdEEvT1_iilPiilS6_bb,comdat
	.globl	_ZN9rocsolver6v33100L18getri_kernel_smallILi49EdPKPdEEvT1_iilPiilS6_bb ; -- Begin function _ZN9rocsolver6v33100L18getri_kernel_smallILi49EdPKPdEEvT1_iilPiilS6_bb
	.p2align	8
	.type	_ZN9rocsolver6v33100L18getri_kernel_smallILi49EdPKPdEEvT1_iilPiilS6_bb,@function
_ZN9rocsolver6v33100L18getri_kernel_smallILi49EdPKPdEEvT1_iilPiilS6_bb: ; @_ZN9rocsolver6v33100L18getri_kernel_smallILi49EdPKPdEEvT1_iilPiilS6_bb
; %bb.0:
	s_add_u32 flat_scratch_lo, s6, s9
	s_addc_u32 flat_scratch_hi, s7, 0
	s_add_u32 s0, s0, s9
	s_addc_u32 s1, s1, 0
	v_cmp_gt_u32_e32 vcc, 49, v0
	s_and_saveexec_b64 s[6:7], vcc
	s_cbranch_execz .LBB112_204
; %bb.1:
	s_load_dword s18, s[4:5], 0x38
	s_load_dwordx2 s[6:7], s[4:5], 0x0
	s_load_dwordx4 s[12:15], s[4:5], 0x28
	s_waitcnt lgkmcnt(0)
	s_bitcmp1_b32 s18, 8
	s_cselect_b64 s[16:17], -1, 0
	s_ashr_i32 s9, s8, 31
	s_lshl_b64 s[10:11], s[8:9], 3
	s_add_u32 s6, s6, s10
	s_addc_u32 s7, s7, s11
	s_load_dwordx2 s[6:7], s[6:7], 0x0
	s_bfe_u32 s10, s18, 0x10008
	s_cmp_eq_u32 s10, 0
                                        ; implicit-def: $sgpr10_sgpr11
	s_cbranch_scc1 .LBB112_3
; %bb.2:
	s_load_dword s10, s[4:5], 0x20
	s_load_dwordx2 s[20:21], s[4:5], 0x18
	s_mul_i32 s11, s8, s13
	s_mul_hi_u32 s13, s8, s12
	s_add_i32 s13, s13, s11
	s_mul_i32 s19, s9, s12
	s_add_i32 s13, s13, s19
	s_mul_i32 s12, s8, s12
	s_waitcnt lgkmcnt(0)
	s_ashr_i32 s11, s10, 31
	s_lshl_b64 s[12:13], s[12:13], 2
	s_add_u32 s12, s20, s12
	s_addc_u32 s13, s21, s13
	s_lshl_b64 s[10:11], s[10:11], 2
	s_add_u32 s10, s12, s10
	s_addc_u32 s11, s13, s11
.LBB112_3:
	s_load_dwordx2 s[4:5], s[4:5], 0x8
	s_waitcnt lgkmcnt(0)
	s_ashr_i32 s13, s4, 31
	s_mov_b32 s12, s4
	s_lshl_b64 s[12:13], s[12:13], 3
	s_add_u32 s6, s6, s12
	s_addc_u32 s7, s7, s13
	s_add_i32 s4, s5, s5
	v_add_u32_e32 v4, s4, v0
	v_ashrrev_i32_e32 v5, 31, v4
	v_lshlrev_b64 v[2:3], 3, v[4:5]
	v_add_u32_e32 v6, s5, v4
	v_mov_b32_e32 v1, s7
	v_add_co_u32_e32 v2, vcc, s6, v2
	v_ashrrev_i32_e32 v7, 31, v6
	v_addc_co_u32_e32 v3, vcc, v1, v3, vcc
	v_lshlrev_b64 v[4:5], 3, v[6:7]
	v_add_u32_e32 v8, s5, v6
	v_add_co_u32_e32 v4, vcc, s6, v4
	v_ashrrev_i32_e32 v9, 31, v8
	v_addc_co_u32_e32 v5, vcc, v1, v5, vcc
	v_lshlrev_b64 v[6:7], 3, v[8:9]
	v_add_u32_e32 v10, s5, v8
	;; [unrolled: 5-line block ×5, first 2 shown]
	v_add_co_u32_e32 v12, vcc, s6, v12
	v_ashrrev_i32_e32 v15, 31, v14
	v_addc_co_u32_e32 v13, vcc, v1, v13, vcc
	v_lshlrev_b64 v[16:17], 3, v[14:15]
	v_add_co_u32_e32 v18, vcc, s6, v16
	v_add_u32_e32 v16, s5, v14
	v_addc_co_u32_e32 v19, vcc, v1, v17, vcc
	v_ashrrev_i32_e32 v17, 31, v16
	v_lshlrev_b64 v[14:15], 3, v[16:17]
	v_add_u32_e32 v20, s5, v16
	v_add_co_u32_e32 v14, vcc, s6, v14
	v_ashrrev_i32_e32 v21, 31, v20
	v_addc_co_u32_e32 v15, vcc, v1, v15, vcc
	v_lshlrev_b64 v[16:17], 3, v[20:21]
	v_add_u32_e32 v22, s5, v20
	v_add_co_u32_e32 v16, vcc, s6, v16
	v_ashrrev_i32_e32 v23, 31, v22
	v_addc_co_u32_e32 v17, vcc, v1, v17, vcc
	;; [unrolled: 5-line block ×31, first 2 shown]
	v_lshlrev_b64 v[78:79], 3, v[80:81]
	v_add_co_u32_e32 v78, vcc, s6, v78
	v_addc_co_u32_e32 v79, vcc, v1, v79, vcc
	v_lshlrev_b32_e32 v1, 3, v0
	v_mov_b32_e32 v82, s7
	v_add_co_u32_e32 v98, vcc, s6, v1
	s_ashr_i32 s13, s5, 31
	s_mov_b32 s12, s5
	v_addc_co_u32_e32 v99, vcc, 0, v82, vcc
	s_lshl_b64 s[12:13], s[12:13], 3
	global_load_dwordx2 v[100:101], v1, s[6:7]
	global_load_dwordx2 v[104:105], v[2:3], off
	global_load_dwordx2 v[106:107], v[4:5], off
	;; [unrolled: 1-line block ×3, first 2 shown]
	v_mov_b32_e32 v82, s13
	v_add_co_u32_e32 v96, vcc, s12, v98
	v_addc_co_u32_e32 v97, vcc, v99, v82, vcc
	global_load_dwordx2 v[102:103], v[96:97], off
	global_load_dwordx2 v[112:113], v[10:11], off
	;; [unrolled: 1-line block ×13, first 2 shown]
	v_add_u32_e32 v80, s5, v80
	v_ashrrev_i32_e32 v81, 31, v80
	v_lshlrev_b64 v[82:83], 3, v[80:81]
	v_add_u32_e32 v80, s5, v80
	v_mov_b32_e32 v84, s7
	v_add_co_u32_e32 v82, vcc, s6, v82
	v_ashrrev_i32_e32 v81, 31, v80
	v_addc_co_u32_e32 v83, vcc, v84, v83, vcc
	v_lshlrev_b64 v[84:85], 3, v[80:81]
	v_add_u32_e32 v80, s5, v80
	v_mov_b32_e32 v86, s7
	v_add_co_u32_e32 v84, vcc, s6, v84
	v_ashrrev_i32_e32 v81, 31, v80
	v_addc_co_u32_e32 v85, vcc, v86, v85, vcc
	;; [unrolled: 6-line block ×5, first 2 shown]
	v_lshlrev_b64 v[92:93], 3, v[80:81]
	v_add_u32_e32 v80, s5, v80
	v_mov_b32_e32 v94, s7
	v_add_co_u32_e32 v92, vcc, s6, v92
	v_ashrrev_i32_e32 v81, 31, v80
	s_waitcnt vmcnt(16)
	buffer_store_dword v101, off, s[0:3], 0 offset:4
	buffer_store_dword v100, off, s[0:3], 0
	s_waitcnt vmcnt(14)
	buffer_store_dword v103, off, s[0:3], 0 offset:12
	v_addc_co_u32_e32 v93, vcc, v94, v93, vcc
	v_lshlrev_b64 v[94:95], 3, v[80:81]
	v_add_u32_e32 v80, s5, v80
	global_load_dwordx2 v[100:101], v[32:33], off
	v_mov_b32_e32 v134, s7
	v_add_co_u32_e32 v94, vcc, s6, v94
	v_ashrrev_i32_e32 v81, 31, v80
	v_addc_co_u32_e32 v95, vcc, v134, v95, vcc
	v_lshlrev_b64 v[80:81], 3, v[80:81]
	buffer_store_dword v102, off, s[0:3], 0 offset:8
	global_load_dwordx2 v[102:103], v[34:35], off
	v_add_co_u32_e32 v80, vcc, s6, v80
	v_addc_co_u32_e32 v81, vcc, v134, v81, vcc
	global_load_dwordx2 v[134:135], v[36:37], off
	global_load_dwordx2 v[136:137], v[40:41], off
	;; [unrolled: 1-line block ×15, first 2 shown]
	s_bitcmp0_b32 s18, 0
	buffer_store_dword v105, off, s[0:3], 0 offset:20
	buffer_store_dword v104, off, s[0:3], 0 offset:16
	global_load_dwordx2 v[104:105], v[38:39], off
	s_mov_b64 s[6:7], -1
	buffer_store_dword v107, off, s[0:3], 0 offset:28
	buffer_store_dword v106, off, s[0:3], 0 offset:24
	global_load_dwordx2 v[106:107], v[42:43], off
	s_nop 0
	buffer_store_dword v109, off, s[0:3], 0 offset:36
	buffer_store_dword v108, off, s[0:3], 0 offset:32
	global_load_dwordx2 v[108:109], v[46:47], off
	s_waitcnt vmcnt(40)
	buffer_store_dword v111, off, s[0:3], 0 offset:44
	buffer_store_dword v110, off, s[0:3], 0 offset:40
	global_load_dwordx2 v[110:111], v[50:51], off
	s_nop 0
	buffer_store_dword v113, off, s[0:3], 0 offset:52
	buffer_store_dword v112, off, s[0:3], 0 offset:48
	global_load_dwordx2 v[112:113], v[54:55], off
	s_waitcnt vmcnt(45)
	buffer_store_dword v115, off, s[0:3], 0 offset:60
	buffer_store_dword v114, off, s[0:3], 0 offset:56
	global_load_dwordx2 v[114:115], v[58:59], off
	s_waitcnt vmcnt(47)
	buffer_store_dword v117, off, s[0:3], 0 offset:68
	buffer_store_dword v116, off, s[0:3], 0 offset:64
	global_load_dwordx2 v[116:117], v[62:63], off
	s_waitcnt vmcnt(49)
	buffer_store_dword v118, off, s[0:3], 0 offset:72
	buffer_store_dword v119, off, s[0:3], 0 offset:76
	global_load_dwordx2 v[118:119], v[66:67], off
	s_waitcnt vmcnt(51)
	buffer_store_dword v120, off, s[0:3], 0 offset:80
	buffer_store_dword v121, off, s[0:3], 0 offset:84
	global_load_dwordx2 v[120:121], v[70:71], off
	s_waitcnt vmcnt(53)
	buffer_store_dword v122, off, s[0:3], 0 offset:88
	buffer_store_dword v123, off, s[0:3], 0 offset:92
	global_load_dwordx2 v[122:123], v[74:75], off
	s_waitcnt vmcnt(55)
	buffer_store_dword v124, off, s[0:3], 0 offset:96
	buffer_store_dword v125, off, s[0:3], 0 offset:100
	global_load_dwordx2 v[124:125], v[78:79], off
	s_waitcnt vmcnt(57)
	buffer_store_dword v126, off, s[0:3], 0 offset:104
	buffer_store_dword v127, off, s[0:3], 0 offset:108
	global_load_dwordx2 v[126:127], v[84:85], off
	s_waitcnt vmcnt(59)
	buffer_store_dword v129, off, s[0:3], 0 offset:116
	buffer_store_dword v128, off, s[0:3], 0 offset:112
	global_load_dwordx2 v[128:129], v[88:89], off
	s_waitcnt vmcnt(61)
	buffer_store_dword v130, off, s[0:3], 0 offset:120
	buffer_store_dword v131, off, s[0:3], 0 offset:124
	global_load_dwordx2 v[130:131], v[92:93], off
	s_waitcnt vmcnt(62)
	buffer_store_dword v132, off, s[0:3], 0 offset:128
	buffer_store_dword v133, off, s[0:3], 0 offset:132
	global_load_dwordx2 v[132:133], v[80:81], off
	s_waitcnt vmcnt(62)
	buffer_store_dword v100, off, s[0:3], 0 offset:136
	buffer_store_dword v101, off, s[0:3], 0 offset:140
	s_waitcnt vmcnt(62)
	buffer_store_dword v102, off, s[0:3], 0 offset:144
	buffer_store_dword v103, off, s[0:3], 0 offset:148
	s_waitcnt vmcnt(62)
	;; [unrolled: 3-line block ×3, first 2 shown]
	buffer_store_dword v105, off, s[0:3], 0 offset:164
	buffer_store_dword v104, off, s[0:3], 0 offset:160
	buffer_store_dword v136, off, s[0:3], 0 offset:168
	buffer_store_dword v137, off, s[0:3], 0 offset:172
	s_waitcnt vmcnt(49)
	buffer_store_dword v106, off, s[0:3], 0 offset:176
	buffer_store_dword v107, off, s[0:3], 0 offset:180
	buffer_store_dword v138, off, s[0:3], 0 offset:184
	buffer_store_dword v139, off, s[0:3], 0 offset:188
	s_waitcnt vmcnt(50)
	;; [unrolled: 5-line block ×14, first 2 shown]
	buffer_store_dword v132, off, s[0:3], 0 offset:384
	buffer_store_dword v133, off, s[0:3], 0 offset:388
	s_cbranch_scc1 .LBB112_202
; %bb.4:
	v_cmp_eq_u32_e64 s[4:5], 0, v0
	s_and_saveexec_b64 s[6:7], s[4:5]
	s_cbranch_execz .LBB112_6
; %bb.5:
	v_mov_b32_e32 v100, 0
	ds_write_b32 v100, v100 offset:392
.LBB112_6:
	s_or_b64 exec, exec, s[6:7]
	v_mov_b32_e32 v100, 0
	v_lshl_add_u32 v100, v0, 3, v100
	s_waitcnt lgkmcnt(0)
	; wave barrier
	s_waitcnt lgkmcnt(0)
	buffer_load_dword v102, v100, s[0:3], 0 offen
	buffer_load_dword v103, v100, s[0:3], 0 offen offset:4
	s_waitcnt vmcnt(0)
	v_cmp_eq_f64_e32 vcc, 0, v[102:103]
	s_and_saveexec_b64 s[12:13], vcc
	s_cbranch_execz .LBB112_10
; %bb.7:
	v_mov_b32_e32 v101, 0
	ds_read_b32 v103, v101 offset:392
	v_add_u32_e32 v102, 1, v0
	s_waitcnt lgkmcnt(0)
	v_readfirstlane_b32 s6, v103
	s_cmp_eq_u32 s6, 0
	s_cselect_b64 s[18:19], -1, 0
	v_cmp_gt_i32_e32 vcc, s6, v102
	s_or_b64 s[18:19], s[18:19], vcc
	s_and_b64 exec, exec, s[18:19]
	s_cbranch_execz .LBB112_10
; %bb.8:
	s_mov_b64 s[18:19], 0
	v_mov_b32_e32 v103, s6
.LBB112_9:                              ; =>This Inner Loop Header: Depth=1
	ds_cmpst_rtn_b32 v103, v101, v103, v102 offset:392
	s_waitcnt lgkmcnt(0)
	v_cmp_ne_u32_e32 vcc, 0, v103
	v_cmp_le_i32_e64 s[6:7], v103, v102
	s_and_b64 s[6:7], vcc, s[6:7]
	s_and_b64 s[6:7], exec, s[6:7]
	s_or_b64 s[18:19], s[6:7], s[18:19]
	s_andn2_b64 exec, exec, s[18:19]
	s_cbranch_execnz .LBB112_9
.LBB112_10:
	s_or_b64 exec, exec, s[12:13]
	v_mov_b32_e32 v102, 0
	s_waitcnt lgkmcnt(0)
	; wave barrier
	ds_read_b32 v101, v102 offset:392
	s_and_saveexec_b64 s[6:7], s[4:5]
	s_cbranch_execz .LBB112_12
; %bb.11:
	s_lshl_b64 s[12:13], s[8:9], 2
	s_add_u32 s12, s14, s12
	s_addc_u32 s13, s15, s13
	s_waitcnt lgkmcnt(0)
	global_store_dword v102, v101, s[12:13]
.LBB112_12:
	s_or_b64 exec, exec, s[6:7]
	s_waitcnt lgkmcnt(0)
	v_cmp_ne_u32_e32 vcc, 0, v101
	s_mov_b64 s[6:7], 0
	s_cbranch_vccnz .LBB112_202
; %bb.13:
	buffer_load_dword v102, v100, s[0:3], 0 offen
	buffer_load_dword v103, v100, s[0:3], 0 offen offset:4
	s_waitcnt vmcnt(0)
	v_div_scale_f64 v[104:105], s[6:7], v[102:103], v[102:103], 1.0
	v_rcp_f64_e32 v[106:107], v[104:105]
	v_div_scale_f64 v[108:109], vcc, 1.0, v[102:103], 1.0
	v_fma_f64 v[110:111], -v[104:105], v[106:107], 1.0
	v_fmac_f64_e32 v[106:107], v[106:107], v[110:111]
	v_fma_f64 v[110:111], -v[104:105], v[106:107], 1.0
	v_fmac_f64_e32 v[106:107], v[106:107], v[110:111]
	v_mul_f64 v[110:111], v[108:109], v[106:107]
	v_fma_f64 v[104:105], -v[104:105], v[110:111], v[108:109]
	v_div_fmas_f64 v[104:105], v[104:105], v[106:107], v[110:111]
	v_div_fixup_f64 v[104:105], v[104:105], v[102:103], 1.0
	buffer_store_dword v105, v100, s[0:3], 0 offen offset:4
	buffer_store_dword v104, v100, s[0:3], 0 offen
	buffer_load_dword v107, off, s[0:3], 0 offset:12
	buffer_load_dword v106, off, s[0:3], 0 offset:8
	v_add_u32_e32 v102, 0x190, v1
	v_xor_b32_e32 v105, 0x80000000, v105
	s_waitcnt vmcnt(0)
	ds_write2_b64 v1, v[104:105], v[106:107] offset1:50
	s_waitcnt lgkmcnt(0)
	; wave barrier
	s_waitcnt lgkmcnt(0)
	s_and_saveexec_b64 s[6:7], s[4:5]
	s_cbranch_execz .LBB112_15
; %bb.14:
	buffer_load_dword v104, v100, s[0:3], 0 offen
	buffer_load_dword v105, v100, s[0:3], 0 offen offset:4
	v_mov_b32_e32 v101, 0
	ds_read_b64 v[106:107], v102
	ds_read_b64 v[108:109], v101 offset:8
	s_waitcnt vmcnt(0) lgkmcnt(1)
	v_fma_f64 v[104:105], v[104:105], v[106:107], 0
	s_waitcnt lgkmcnt(0)
	v_mul_f64 v[104:105], v[104:105], v[108:109]
	buffer_store_dword v104, off, s[0:3], 0 offset:8
	buffer_store_dword v105, off, s[0:3], 0 offset:12
.LBB112_15:
	s_or_b64 exec, exec, s[6:7]
	s_waitcnt lgkmcnt(0)
	; wave barrier
	buffer_load_dword v104, off, s[0:3], 0 offset:16
	buffer_load_dword v105, off, s[0:3], 0 offset:20
	v_cmp_gt_u32_e32 vcc, 2, v0
	s_waitcnt vmcnt(0)
	ds_write_b64 v102, v[104:105]
	s_waitcnt lgkmcnt(0)
	; wave barrier
	s_waitcnt lgkmcnt(0)
	s_and_saveexec_b64 s[6:7], vcc
	s_cbranch_execz .LBB112_17
; %bb.16:
	buffer_load_dword v101, v100, s[0:3], 0 offen offset:4
	buffer_load_dword v108, off, s[0:3], 0 offset:8
	s_nop 0
	buffer_load_dword v100, v100, s[0:3], 0 offen
	s_nop 0
	buffer_load_dword v109, off, s[0:3], 0 offset:12
	ds_read_b64 v[110:111], v102
	v_mov_b32_e32 v103, 0
	ds_read2_b64 v[104:107], v103 offset0:2 offset1:51
	s_waitcnt vmcnt(1) lgkmcnt(1)
	v_fma_f64 v[100:101], v[100:101], v[110:111], 0
	s_waitcnt vmcnt(0) lgkmcnt(0)
	v_fma_f64 v[106:107], v[108:109], v[106:107], v[100:101]
	v_cndmask_b32_e64 v101, v101, v107, s[4:5]
	v_cndmask_b32_e64 v100, v100, v106, s[4:5]
	v_mul_f64 v[100:101], v[100:101], v[104:105]
	buffer_store_dword v101, off, s[0:3], 0 offset:20
	buffer_store_dword v100, off, s[0:3], 0 offset:16
.LBB112_17:
	s_or_b64 exec, exec, s[6:7]
	s_waitcnt lgkmcnt(0)
	; wave barrier
	buffer_load_dword v100, off, s[0:3], 0 offset:24
	buffer_load_dword v101, off, s[0:3], 0 offset:28
	v_cmp_gt_u32_e32 vcc, 3, v0
	v_add_u32_e32 v103, -1, v0
	s_waitcnt vmcnt(0)
	ds_write_b64 v102, v[100:101]
	s_waitcnt lgkmcnt(0)
	; wave barrier
	s_waitcnt lgkmcnt(0)
	s_and_saveexec_b64 s[4:5], vcc
	s_cbranch_execz .LBB112_21
; %bb.18:
	v_add_u32_e32 v104, -1, v0
	v_add_u32_e32 v105, 0x190, v1
	v_add_u32_e32 v106, 0, v1
	s_mov_b64 s[6:7], 0
	v_pk_mov_b32 v[100:101], 0, 0
.LBB112_19:                             ; =>This Inner Loop Header: Depth=1
	buffer_load_dword v108, v106, s[0:3], 0 offen
	buffer_load_dword v109, v106, s[0:3], 0 offen offset:4
	ds_read_b64 v[110:111], v105
	v_add_u32_e32 v104, 1, v104
	v_cmp_lt_u32_e32 vcc, 1, v104
	v_add_u32_e32 v105, 8, v105
	v_add_u32_e32 v106, 8, v106
	s_or_b64 s[6:7], vcc, s[6:7]
	s_waitcnt vmcnt(0) lgkmcnt(0)
	v_fmac_f64_e32 v[100:101], v[108:109], v[110:111]
	s_andn2_b64 exec, exec, s[6:7]
	s_cbranch_execnz .LBB112_19
; %bb.20:
	s_or_b64 exec, exec, s[6:7]
	v_mov_b32_e32 v104, 0
	ds_read_b64 v[104:105], v104 offset:24
	s_waitcnt lgkmcnt(0)
	v_mul_f64 v[100:101], v[100:101], v[104:105]
	buffer_store_dword v101, off, s[0:3], 0 offset:28
	buffer_store_dword v100, off, s[0:3], 0 offset:24
.LBB112_21:
	s_or_b64 exec, exec, s[4:5]
	s_waitcnt lgkmcnt(0)
	; wave barrier
	buffer_load_dword v100, off, s[0:3], 0 offset:32
	buffer_load_dword v101, off, s[0:3], 0 offset:36
	v_cmp_gt_u32_e32 vcc, 4, v0
	s_waitcnt vmcnt(0)
	ds_write_b64 v102, v[100:101]
	s_waitcnt lgkmcnt(0)
	; wave barrier
	s_waitcnt lgkmcnt(0)
	s_and_saveexec_b64 s[4:5], vcc
	s_cbranch_execz .LBB112_25
; %bb.22:
	v_add_u32_e32 v104, -1, v0
	v_add_u32_e32 v105, 0x190, v1
	v_add_u32_e32 v106, 0, v1
	s_mov_b64 s[6:7], 0
	v_pk_mov_b32 v[100:101], 0, 0
.LBB112_23:                             ; =>This Inner Loop Header: Depth=1
	buffer_load_dword v108, v106, s[0:3], 0 offen
	buffer_load_dword v109, v106, s[0:3], 0 offen offset:4
	ds_read_b64 v[110:111], v105
	v_add_u32_e32 v104, 1, v104
	v_cmp_lt_u32_e32 vcc, 2, v104
	v_add_u32_e32 v105, 8, v105
	v_add_u32_e32 v106, 8, v106
	s_or_b64 s[6:7], vcc, s[6:7]
	s_waitcnt vmcnt(0) lgkmcnt(0)
	v_fmac_f64_e32 v[100:101], v[108:109], v[110:111]
	s_andn2_b64 exec, exec, s[6:7]
	s_cbranch_execnz .LBB112_23
; %bb.24:
	s_or_b64 exec, exec, s[6:7]
	v_mov_b32_e32 v104, 0
	ds_read_b64 v[104:105], v104 offset:32
	s_waitcnt lgkmcnt(0)
	v_mul_f64 v[100:101], v[100:101], v[104:105]
	buffer_store_dword v101, off, s[0:3], 0 offset:36
	buffer_store_dword v100, off, s[0:3], 0 offset:32
.LBB112_25:
	s_or_b64 exec, exec, s[4:5]
	s_waitcnt lgkmcnt(0)
	; wave barrier
	buffer_load_dword v100, off, s[0:3], 0 offset:40
	buffer_load_dword v101, off, s[0:3], 0 offset:44
	v_cmp_gt_u32_e32 vcc, 5, v0
	;; [unrolled: 41-line block ×21, first 2 shown]
	s_waitcnt vmcnt(0)
	ds_write_b64 v102, v[100:101]
	s_waitcnt lgkmcnt(0)
	; wave barrier
	s_waitcnt lgkmcnt(0)
	s_and_saveexec_b64 s[4:5], vcc
	s_cbranch_execz .LBB112_105
; %bb.102:
	v_add_u32_e32 v104, -1, v0
	v_add_u32_e32 v105, 0x190, v1
	v_add_u32_e32 v106, 0, v1
	s_mov_b64 s[6:7], 0
	v_pk_mov_b32 v[100:101], 0, 0
.LBB112_103:                            ; =>This Inner Loop Header: Depth=1
	buffer_load_dword v108, v106, s[0:3], 0 offen
	buffer_load_dword v109, v106, s[0:3], 0 offen offset:4
	ds_read_b64 v[110:111], v105
	v_add_u32_e32 v104, 1, v104
	v_cmp_lt_u32_e32 vcc, 22, v104
	v_add_u32_e32 v105, 8, v105
	v_add_u32_e32 v106, 8, v106
	s_or_b64 s[6:7], vcc, s[6:7]
	s_waitcnt vmcnt(0) lgkmcnt(0)
	v_fmac_f64_e32 v[100:101], v[108:109], v[110:111]
	s_andn2_b64 exec, exec, s[6:7]
	s_cbranch_execnz .LBB112_103
; %bb.104:
	s_or_b64 exec, exec, s[6:7]
	v_mov_b32_e32 v104, 0
	ds_read_b64 v[104:105], v104 offset:192
	s_waitcnt lgkmcnt(0)
	v_mul_f64 v[100:101], v[100:101], v[104:105]
	buffer_store_dword v101, off, s[0:3], 0 offset:196
	buffer_store_dword v100, off, s[0:3], 0 offset:192
.LBB112_105:
	s_or_b64 exec, exec, s[4:5]
	s_waitcnt lgkmcnt(0)
	; wave barrier
	buffer_load_dword v100, off, s[0:3], 0 offset:200
	buffer_load_dword v101, off, s[0:3], 0 offset:204
	v_cmp_gt_u32_e32 vcc, 25, v0
	s_waitcnt vmcnt(0)
	ds_write_b64 v102, v[100:101]
	s_waitcnt lgkmcnt(0)
	; wave barrier
	s_waitcnt lgkmcnt(0)
	s_and_saveexec_b64 s[4:5], vcc
	s_cbranch_execz .LBB112_109
; %bb.106:
	v_add_u32_e32 v104, -1, v0
	v_add_u32_e32 v105, 0x190, v1
	v_add_u32_e32 v106, 0, v1
	s_mov_b64 s[6:7], 0
	v_pk_mov_b32 v[100:101], 0, 0
.LBB112_107:                            ; =>This Inner Loop Header: Depth=1
	buffer_load_dword v108, v106, s[0:3], 0 offen
	buffer_load_dword v109, v106, s[0:3], 0 offen offset:4
	ds_read_b64 v[110:111], v105
	v_add_u32_e32 v104, 1, v104
	v_cmp_lt_u32_e32 vcc, 23, v104
	v_add_u32_e32 v105, 8, v105
	v_add_u32_e32 v106, 8, v106
	s_or_b64 s[6:7], vcc, s[6:7]
	s_waitcnt vmcnt(0) lgkmcnt(0)
	v_fmac_f64_e32 v[100:101], v[108:109], v[110:111]
	s_andn2_b64 exec, exec, s[6:7]
	s_cbranch_execnz .LBB112_107
; %bb.108:
	s_or_b64 exec, exec, s[6:7]
	v_mov_b32_e32 v104, 0
	ds_read_b64 v[104:105], v104 offset:200
	s_waitcnt lgkmcnt(0)
	v_mul_f64 v[100:101], v[100:101], v[104:105]
	buffer_store_dword v101, off, s[0:3], 0 offset:204
	buffer_store_dword v100, off, s[0:3], 0 offset:200
.LBB112_109:
	s_or_b64 exec, exec, s[4:5]
	s_waitcnt lgkmcnt(0)
	; wave barrier
	buffer_load_dword v100, off, s[0:3], 0 offset:208
	buffer_load_dword v101, off, s[0:3], 0 offset:212
	v_cmp_gt_u32_e32 vcc, 26, v0
	;; [unrolled: 41-line block ×23, first 2 shown]
	s_waitcnt vmcnt(0)
	ds_write_b64 v102, v[100:101]
	s_waitcnt lgkmcnt(0)
	; wave barrier
	s_waitcnt lgkmcnt(0)
	s_and_saveexec_b64 s[4:5], vcc
	s_cbranch_execz .LBB112_197
; %bb.194:
	v_add_u32_e32 v104, -1, v0
	v_add_u32_e32 v105, 0x190, v1
	v_add_u32_e32 v106, 0, v1
	s_mov_b64 s[6:7], 0
	v_pk_mov_b32 v[100:101], 0, 0
.LBB112_195:                            ; =>This Inner Loop Header: Depth=1
	buffer_load_dword v108, v106, s[0:3], 0 offen
	buffer_load_dword v109, v106, s[0:3], 0 offen offset:4
	ds_read_b64 v[110:111], v105
	v_add_u32_e32 v104, 1, v104
	v_cmp_lt_u32_e32 vcc, 45, v104
	v_add_u32_e32 v105, 8, v105
	v_add_u32_e32 v106, 8, v106
	s_or_b64 s[6:7], vcc, s[6:7]
	s_waitcnt vmcnt(0) lgkmcnt(0)
	v_fmac_f64_e32 v[100:101], v[108:109], v[110:111]
	s_andn2_b64 exec, exec, s[6:7]
	s_cbranch_execnz .LBB112_195
; %bb.196:
	s_or_b64 exec, exec, s[6:7]
	v_mov_b32_e32 v104, 0
	ds_read_b64 v[104:105], v104 offset:376
	s_waitcnt lgkmcnt(0)
	v_mul_f64 v[100:101], v[100:101], v[104:105]
	buffer_store_dword v101, off, s[0:3], 0 offset:380
	buffer_store_dword v100, off, s[0:3], 0 offset:376
.LBB112_197:
	s_or_b64 exec, exec, s[4:5]
	s_waitcnt lgkmcnt(0)
	; wave barrier
	buffer_load_dword v100, off, s[0:3], 0 offset:384
	buffer_load_dword v101, off, s[0:3], 0 offset:388
	v_cmp_ne_u32_e32 vcc, 48, v0
	s_waitcnt vmcnt(0)
	ds_write_b64 v102, v[100:101]
	s_waitcnt lgkmcnt(0)
	; wave barrier
	s_waitcnt lgkmcnt(0)
	s_and_saveexec_b64 s[4:5], vcc
	s_cbranch_execz .LBB112_201
; %bb.198:
	v_add_u32_e32 v102, 0x190, v1
	v_add_u32_e32 v1, 0, v1
	s_mov_b64 s[6:7], 0
	v_pk_mov_b32 v[100:101], 0, 0
.LBB112_199:                            ; =>This Inner Loop Header: Depth=1
	buffer_load_dword v104, v1, s[0:3], 0 offen
	buffer_load_dword v105, v1, s[0:3], 0 offen offset:4
	ds_read_b64 v[106:107], v102
	v_add_u32_e32 v103, 1, v103
	v_cmp_lt_u32_e32 vcc, 46, v103
	v_add_u32_e32 v102, 8, v102
	v_add_u32_e32 v1, 8, v1
	s_or_b64 s[6:7], vcc, s[6:7]
	s_waitcnt vmcnt(0) lgkmcnt(0)
	v_fmac_f64_e32 v[100:101], v[104:105], v[106:107]
	s_andn2_b64 exec, exec, s[6:7]
	s_cbranch_execnz .LBB112_199
; %bb.200:
	s_or_b64 exec, exec, s[6:7]
	v_mov_b32_e32 v1, 0
	ds_read_b64 v[102:103], v1 offset:384
	s_waitcnt lgkmcnt(0)
	v_mul_f64 v[100:101], v[100:101], v[102:103]
	buffer_store_dword v101, off, s[0:3], 0 offset:388
	buffer_store_dword v100, off, s[0:3], 0 offset:384
.LBB112_201:
	s_or_b64 exec, exec, s[4:5]
	s_mov_b64 s[6:7], -1
	s_waitcnt lgkmcnt(0)
	; wave barrier
.LBB112_202:
	s_and_b64 vcc, exec, s[6:7]
	s_cbranch_vccz .LBB112_204
; %bb.203:
	s_lshl_b64 s[4:5], s[8:9], 2
	s_add_u32 s4, s14, s4
	s_addc_u32 s5, s15, s5
	v_mov_b32_e32 v1, 0
	global_load_dword v1, v1, s[4:5]
	s_waitcnt vmcnt(0)
	v_cmp_ne_u32_e32 vcc, 0, v1
	s_cbranch_vccz .LBB112_205
.LBB112_204:
	s_endpgm
.LBB112_205:
	v_mov_b32_e32 v1, 0x190
	v_lshl_add_u32 v1, v0, 3, v1
	v_cmp_eq_u32_e32 vcc, 48, v0
	s_and_saveexec_b64 s[4:5], vcc
	s_cbranch_execz .LBB112_207
; %bb.206:
	buffer_load_dword v100, off, s[0:3], 0 offset:376
	buffer_load_dword v101, off, s[0:3], 0 offset:380
	v_mov_b32_e32 v102, 0
	buffer_store_dword v102, off, s[0:3], 0 offset:376
	buffer_store_dword v102, off, s[0:3], 0 offset:380
	s_waitcnt vmcnt(2)
	ds_write_b64 v1, v[100:101]
.LBB112_207:
	s_or_b64 exec, exec, s[4:5]
	s_waitcnt lgkmcnt(0)
	; wave barrier
	s_waitcnt lgkmcnt(0)
	buffer_load_dword v102, off, s[0:3], 0 offset:384
	buffer_load_dword v103, off, s[0:3], 0 offset:388
	buffer_load_dword v104, off, s[0:3], 0 offset:376
	buffer_load_dword v105, off, s[0:3], 0 offset:380
	v_mov_b32_e32 v100, 0
	ds_read_b64 v[106:107], v100 offset:784
	v_cmp_lt_u32_e32 vcc, 46, v0
	s_waitcnt vmcnt(2) lgkmcnt(0)
	v_fma_f64 v[102:103], v[102:103], v[106:107], 0
	s_waitcnt vmcnt(0)
	v_add_f64 v[102:103], v[104:105], -v[102:103]
	buffer_store_dword v102, off, s[0:3], 0 offset:376
	buffer_store_dword v103, off, s[0:3], 0 offset:380
	s_and_saveexec_b64 s[4:5], vcc
	s_cbranch_execz .LBB112_209
; %bb.208:
	buffer_load_dword v102, off, s[0:3], 0 offset:368
	buffer_load_dword v103, off, s[0:3], 0 offset:372
	s_waitcnt vmcnt(0)
	ds_write_b64 v1, v[102:103]
	buffer_store_dword v100, off, s[0:3], 0 offset:368
	buffer_store_dword v100, off, s[0:3], 0 offset:372
.LBB112_209:
	s_or_b64 exec, exec, s[4:5]
	s_waitcnt lgkmcnt(0)
	; wave barrier
	s_waitcnt lgkmcnt(0)
	buffer_load_dword v104, off, s[0:3], 0 offset:376
	buffer_load_dword v105, off, s[0:3], 0 offset:380
	;; [unrolled: 1-line block ×6, first 2 shown]
	ds_read2_b64 v[100:103], v100 offset0:97 offset1:98
	v_cmp_lt_u32_e32 vcc, 45, v0
	s_waitcnt vmcnt(4) lgkmcnt(0)
	v_fma_f64 v[100:101], v[104:105], v[100:101], 0
	s_waitcnt vmcnt(2)
	v_fmac_f64_e32 v[100:101], v[106:107], v[102:103]
	s_waitcnt vmcnt(0)
	v_add_f64 v[100:101], v[108:109], -v[100:101]
	buffer_store_dword v100, off, s[0:3], 0 offset:368
	buffer_store_dword v101, off, s[0:3], 0 offset:372
	s_and_saveexec_b64 s[4:5], vcc
	s_cbranch_execz .LBB112_211
; %bb.210:
	buffer_load_dword v100, off, s[0:3], 0 offset:360
	buffer_load_dword v101, off, s[0:3], 0 offset:364
	v_mov_b32_e32 v102, 0
	buffer_store_dword v102, off, s[0:3], 0 offset:360
	buffer_store_dword v102, off, s[0:3], 0 offset:364
	s_waitcnt vmcnt(2)
	ds_write_b64 v1, v[100:101]
.LBB112_211:
	s_or_b64 exec, exec, s[4:5]
	s_waitcnt lgkmcnt(0)
	; wave barrier
	s_waitcnt lgkmcnt(0)
	buffer_load_dword v106, off, s[0:3], 0 offset:368
	buffer_load_dword v107, off, s[0:3], 0 offset:372
	;; [unrolled: 1-line block ×8, first 2 shown]
	v_mov_b32_e32 v100, 0
	ds_read_b128 v[102:105], v100 offset:768
	ds_read_b64 v[114:115], v100 offset:784
	v_cmp_lt_u32_e32 vcc, 44, v0
	s_waitcnt vmcnt(6) lgkmcnt(1)
	v_fma_f64 v[102:103], v[106:107], v[102:103], 0
	s_waitcnt vmcnt(4)
	v_fmac_f64_e32 v[102:103], v[108:109], v[104:105]
	s_waitcnt vmcnt(2) lgkmcnt(0)
	v_fmac_f64_e32 v[102:103], v[110:111], v[114:115]
	s_waitcnt vmcnt(0)
	v_add_f64 v[102:103], v[112:113], -v[102:103]
	buffer_store_dword v102, off, s[0:3], 0 offset:360
	buffer_store_dword v103, off, s[0:3], 0 offset:364
	s_and_saveexec_b64 s[4:5], vcc
	s_cbranch_execz .LBB112_213
; %bb.212:
	buffer_load_dword v102, off, s[0:3], 0 offset:352
	buffer_load_dword v103, off, s[0:3], 0 offset:356
	s_waitcnt vmcnt(0)
	ds_write_b64 v1, v[102:103]
	buffer_store_dword v100, off, s[0:3], 0 offset:352
	buffer_store_dword v100, off, s[0:3], 0 offset:356
.LBB112_213:
	s_or_b64 exec, exec, s[4:5]
	s_waitcnt lgkmcnt(0)
	; wave barrier
	s_waitcnt lgkmcnt(0)
	buffer_load_dword v110, off, s[0:3], 0 offset:360
	buffer_load_dword v111, off, s[0:3], 0 offset:364
	;; [unrolled: 1-line block ×10, first 2 shown]
	ds_read2_b64 v[102:105], v100 offset0:95 offset1:96
	ds_read2_b64 v[106:109], v100 offset0:97 offset1:98
	v_cmp_lt_u32_e32 vcc, 43, v0
	s_waitcnt vmcnt(8) lgkmcnt(1)
	v_fma_f64 v[100:101], v[110:111], v[102:103], 0
	s_waitcnt vmcnt(6)
	v_fmac_f64_e32 v[100:101], v[112:113], v[104:105]
	s_waitcnt vmcnt(4) lgkmcnt(0)
	v_fmac_f64_e32 v[100:101], v[114:115], v[106:107]
	s_waitcnt vmcnt(2)
	v_fmac_f64_e32 v[100:101], v[116:117], v[108:109]
	s_waitcnt vmcnt(0)
	v_add_f64 v[100:101], v[118:119], -v[100:101]
	buffer_store_dword v100, off, s[0:3], 0 offset:352
	buffer_store_dword v101, off, s[0:3], 0 offset:356
	s_and_saveexec_b64 s[4:5], vcc
	s_cbranch_execz .LBB112_215
; %bb.214:
	buffer_load_dword v100, off, s[0:3], 0 offset:344
	buffer_load_dword v101, off, s[0:3], 0 offset:348
	v_mov_b32_e32 v102, 0
	buffer_store_dword v102, off, s[0:3], 0 offset:344
	buffer_store_dword v102, off, s[0:3], 0 offset:348
	s_waitcnt vmcnt(2)
	ds_write_b64 v1, v[100:101]
.LBB112_215:
	s_or_b64 exec, exec, s[4:5]
	s_waitcnt lgkmcnt(0)
	; wave barrier
	s_waitcnt lgkmcnt(0)
	buffer_load_dword v110, off, s[0:3], 0 offset:352
	buffer_load_dword v111, off, s[0:3], 0 offset:356
	;; [unrolled: 1-line block ×12, first 2 shown]
	v_mov_b32_e32 v100, 0
	ds_read_b128 v[102:105], v100 offset:752
	ds_read_b128 v[106:109], v100 offset:768
	ds_read_b64 v[122:123], v100 offset:784
	v_cmp_lt_u32_e32 vcc, 42, v0
	s_waitcnt vmcnt(10) lgkmcnt(2)
	v_fma_f64 v[102:103], v[110:111], v[102:103], 0
	s_waitcnt vmcnt(8)
	v_fmac_f64_e32 v[102:103], v[112:113], v[104:105]
	s_waitcnt vmcnt(6) lgkmcnt(1)
	v_fmac_f64_e32 v[102:103], v[114:115], v[106:107]
	s_waitcnt vmcnt(4)
	v_fmac_f64_e32 v[102:103], v[116:117], v[108:109]
	s_waitcnt vmcnt(2) lgkmcnt(0)
	v_fmac_f64_e32 v[102:103], v[118:119], v[122:123]
	s_waitcnt vmcnt(0)
	v_add_f64 v[102:103], v[120:121], -v[102:103]
	buffer_store_dword v102, off, s[0:3], 0 offset:344
	buffer_store_dword v103, off, s[0:3], 0 offset:348
	s_and_saveexec_b64 s[4:5], vcc
	s_cbranch_execz .LBB112_217
; %bb.216:
	buffer_load_dword v102, off, s[0:3], 0 offset:336
	buffer_load_dword v103, off, s[0:3], 0 offset:340
	s_waitcnt vmcnt(0)
	ds_write_b64 v1, v[102:103]
	buffer_store_dword v100, off, s[0:3], 0 offset:336
	buffer_store_dword v100, off, s[0:3], 0 offset:340
.LBB112_217:
	s_or_b64 exec, exec, s[4:5]
	s_waitcnt lgkmcnt(0)
	; wave barrier
	s_waitcnt lgkmcnt(0)
	buffer_load_dword v114, off, s[0:3], 0 offset:344
	buffer_load_dword v115, off, s[0:3], 0 offset:348
	;; [unrolled: 1-line block ×14, first 2 shown]
	ds_read2_b64 v[102:105], v100 offset0:93 offset1:94
	ds_read2_b64 v[106:109], v100 offset0:95 offset1:96
	;; [unrolled: 1-line block ×3, first 2 shown]
	v_cmp_lt_u32_e32 vcc, 41, v0
	s_waitcnt vmcnt(12) lgkmcnt(2)
	v_fma_f64 v[100:101], v[114:115], v[102:103], 0
	s_waitcnt vmcnt(10)
	v_fmac_f64_e32 v[100:101], v[116:117], v[104:105]
	s_waitcnt vmcnt(8) lgkmcnt(1)
	v_fmac_f64_e32 v[100:101], v[118:119], v[106:107]
	s_waitcnt vmcnt(6)
	v_fmac_f64_e32 v[100:101], v[120:121], v[108:109]
	s_waitcnt vmcnt(4) lgkmcnt(0)
	v_fmac_f64_e32 v[100:101], v[122:123], v[110:111]
	s_waitcnt vmcnt(2)
	v_fmac_f64_e32 v[100:101], v[124:125], v[112:113]
	s_waitcnt vmcnt(0)
	v_add_f64 v[100:101], v[126:127], -v[100:101]
	buffer_store_dword v100, off, s[0:3], 0 offset:336
	buffer_store_dword v101, off, s[0:3], 0 offset:340
	s_and_saveexec_b64 s[4:5], vcc
	s_cbranch_execz .LBB112_219
; %bb.218:
	buffer_load_dword v100, off, s[0:3], 0 offset:328
	buffer_load_dword v101, off, s[0:3], 0 offset:332
	v_mov_b32_e32 v102, 0
	buffer_store_dword v102, off, s[0:3], 0 offset:328
	buffer_store_dword v102, off, s[0:3], 0 offset:332
	s_waitcnt vmcnt(2)
	ds_write_b64 v1, v[100:101]
.LBB112_219:
	s_or_b64 exec, exec, s[4:5]
	s_waitcnt lgkmcnt(0)
	; wave barrier
	s_waitcnt lgkmcnt(0)
	buffer_load_dword v114, off, s[0:3], 0 offset:336
	buffer_load_dword v115, off, s[0:3], 0 offset:340
	;; [unrolled: 1-line block ×16, first 2 shown]
	v_mov_b32_e32 v100, 0
	ds_read_b128 v[102:105], v100 offset:736
	ds_read_b128 v[106:109], v100 offset:752
	;; [unrolled: 1-line block ×3, first 2 shown]
	ds_read_b64 v[130:131], v100 offset:784
	v_cmp_lt_u32_e32 vcc, 40, v0
	s_waitcnt vmcnt(14) lgkmcnt(3)
	v_fma_f64 v[102:103], v[114:115], v[102:103], 0
	s_waitcnt vmcnt(12)
	v_fmac_f64_e32 v[102:103], v[116:117], v[104:105]
	s_waitcnt vmcnt(10) lgkmcnt(2)
	v_fmac_f64_e32 v[102:103], v[118:119], v[106:107]
	s_waitcnt vmcnt(8)
	v_fmac_f64_e32 v[102:103], v[120:121], v[108:109]
	s_waitcnt vmcnt(6) lgkmcnt(1)
	v_fmac_f64_e32 v[102:103], v[122:123], v[110:111]
	;; [unrolled: 4-line block ×3, first 2 shown]
	s_waitcnt vmcnt(0)
	v_add_f64 v[102:103], v[128:129], -v[102:103]
	buffer_store_dword v102, off, s[0:3], 0 offset:328
	buffer_store_dword v103, off, s[0:3], 0 offset:332
	s_and_saveexec_b64 s[4:5], vcc
	s_cbranch_execz .LBB112_221
; %bb.220:
	buffer_load_dword v102, off, s[0:3], 0 offset:320
	buffer_load_dword v103, off, s[0:3], 0 offset:324
	s_waitcnt vmcnt(0)
	ds_write_b64 v1, v[102:103]
	buffer_store_dword v100, off, s[0:3], 0 offset:320
	buffer_store_dword v100, off, s[0:3], 0 offset:324
.LBB112_221:
	s_or_b64 exec, exec, s[4:5]
	s_waitcnt lgkmcnt(0)
	; wave barrier
	s_waitcnt lgkmcnt(0)
	buffer_load_dword v118, off, s[0:3], 0 offset:328
	buffer_load_dword v119, off, s[0:3], 0 offset:332
	;; [unrolled: 1-line block ×18, first 2 shown]
	ds_read2_b64 v[102:105], v100 offset0:91 offset1:92
	ds_read2_b64 v[106:109], v100 offset0:93 offset1:94
	;; [unrolled: 1-line block ×4, first 2 shown]
	v_cmp_lt_u32_e32 vcc, 39, v0
	s_waitcnt vmcnt(16) lgkmcnt(3)
	v_fma_f64 v[100:101], v[118:119], v[102:103], 0
	s_waitcnt vmcnt(14)
	v_fmac_f64_e32 v[100:101], v[120:121], v[104:105]
	s_waitcnt vmcnt(12) lgkmcnt(2)
	v_fmac_f64_e32 v[100:101], v[122:123], v[106:107]
	s_waitcnt vmcnt(10)
	v_fmac_f64_e32 v[100:101], v[124:125], v[108:109]
	s_waitcnt vmcnt(8) lgkmcnt(1)
	v_fmac_f64_e32 v[100:101], v[126:127], v[110:111]
	;; [unrolled: 4-line block ×3, first 2 shown]
	s_waitcnt vmcnt(2)
	v_fmac_f64_e32 v[100:101], v[132:133], v[116:117]
	s_waitcnt vmcnt(0)
	v_add_f64 v[100:101], v[134:135], -v[100:101]
	buffer_store_dword v100, off, s[0:3], 0 offset:320
	buffer_store_dword v101, off, s[0:3], 0 offset:324
	s_and_saveexec_b64 s[4:5], vcc
	s_cbranch_execz .LBB112_223
; %bb.222:
	buffer_load_dword v100, off, s[0:3], 0 offset:312
	buffer_load_dword v101, off, s[0:3], 0 offset:316
	v_mov_b32_e32 v102, 0
	buffer_store_dword v102, off, s[0:3], 0 offset:312
	buffer_store_dword v102, off, s[0:3], 0 offset:316
	s_waitcnt vmcnt(2)
	ds_write_b64 v1, v[100:101]
.LBB112_223:
	s_or_b64 exec, exec, s[4:5]
	s_waitcnt lgkmcnt(0)
	; wave barrier
	s_waitcnt lgkmcnt(0)
	buffer_load_dword v118, off, s[0:3], 0 offset:320
	buffer_load_dword v119, off, s[0:3], 0 offset:324
	;; [unrolled: 1-line block ×20, first 2 shown]
	v_mov_b32_e32 v100, 0
	ds_read_b128 v[102:105], v100 offset:720
	ds_read_b128 v[106:109], v100 offset:736
	;; [unrolled: 1-line block ×4, first 2 shown]
	ds_read_b64 v[138:139], v100 offset:784
	v_cmp_lt_u32_e32 vcc, 38, v0
	s_waitcnt vmcnt(18) lgkmcnt(4)
	v_fma_f64 v[102:103], v[118:119], v[102:103], 0
	s_waitcnt vmcnt(16)
	v_fmac_f64_e32 v[102:103], v[120:121], v[104:105]
	s_waitcnt vmcnt(14) lgkmcnt(3)
	v_fmac_f64_e32 v[102:103], v[122:123], v[106:107]
	s_waitcnt vmcnt(12)
	v_fmac_f64_e32 v[102:103], v[124:125], v[108:109]
	s_waitcnt vmcnt(10) lgkmcnt(2)
	v_fmac_f64_e32 v[102:103], v[126:127], v[110:111]
	;; [unrolled: 4-line block ×3, first 2 shown]
	s_waitcnt vmcnt(2)
	v_fmac_f64_e32 v[102:103], v[134:135], v[116:117]
	s_waitcnt lgkmcnt(0)
	v_fmac_f64_e32 v[102:103], v[132:133], v[138:139]
	s_waitcnt vmcnt(0)
	v_add_f64 v[102:103], v[136:137], -v[102:103]
	buffer_store_dword v102, off, s[0:3], 0 offset:312
	buffer_store_dword v103, off, s[0:3], 0 offset:316
	s_and_saveexec_b64 s[4:5], vcc
	s_cbranch_execz .LBB112_225
; %bb.224:
	buffer_load_dword v102, off, s[0:3], 0 offset:304
	buffer_load_dword v103, off, s[0:3], 0 offset:308
	s_waitcnt vmcnt(0)
	ds_write_b64 v1, v[102:103]
	buffer_store_dword v100, off, s[0:3], 0 offset:304
	buffer_store_dword v100, off, s[0:3], 0 offset:308
.LBB112_225:
	s_or_b64 exec, exec, s[4:5]
	s_waitcnt lgkmcnt(0)
	; wave barrier
	s_waitcnt lgkmcnt(0)
	buffer_load_dword v122, off, s[0:3], 0 offset:312
	buffer_load_dword v123, off, s[0:3], 0 offset:316
	;; [unrolled: 1-line block ×22, first 2 shown]
	ds_read2_b64 v[102:105], v100 offset0:89 offset1:90
	ds_read2_b64 v[106:109], v100 offset0:91 offset1:92
	;; [unrolled: 1-line block ×5, first 2 shown]
	v_cmp_lt_u32_e32 vcc, 37, v0
	s_waitcnt vmcnt(20) lgkmcnt(4)
	v_fma_f64 v[100:101], v[122:123], v[102:103], 0
	s_waitcnt vmcnt(18)
	v_fmac_f64_e32 v[100:101], v[124:125], v[104:105]
	s_waitcnt vmcnt(16) lgkmcnt(3)
	v_fmac_f64_e32 v[100:101], v[126:127], v[106:107]
	s_waitcnt vmcnt(14)
	v_fmac_f64_e32 v[100:101], v[128:129], v[108:109]
	s_waitcnt vmcnt(12) lgkmcnt(2)
	v_fmac_f64_e32 v[100:101], v[130:131], v[110:111]
	s_waitcnt vmcnt(10)
	v_fmac_f64_e32 v[100:101], v[132:133], v[112:113]
	s_waitcnt vmcnt(8) lgkmcnt(1)
	v_fmac_f64_e32 v[100:101], v[134:135], v[114:115]
	s_waitcnt vmcnt(3)
	v_fmac_f64_e32 v[100:101], v[140:141], v[116:117]
	s_waitcnt lgkmcnt(0)
	v_fmac_f64_e32 v[100:101], v[138:139], v[118:119]
	s_waitcnt vmcnt(2)
	v_fmac_f64_e32 v[100:101], v[136:137], v[120:121]
	s_waitcnt vmcnt(0)
	v_add_f64 v[100:101], v[142:143], -v[100:101]
	buffer_store_dword v100, off, s[0:3], 0 offset:304
	buffer_store_dword v101, off, s[0:3], 0 offset:308
	s_and_saveexec_b64 s[4:5], vcc
	s_cbranch_execz .LBB112_227
; %bb.226:
	buffer_load_dword v100, off, s[0:3], 0 offset:296
	buffer_load_dword v101, off, s[0:3], 0 offset:300
	v_mov_b32_e32 v102, 0
	buffer_store_dword v102, off, s[0:3], 0 offset:296
	buffer_store_dword v102, off, s[0:3], 0 offset:300
	s_waitcnt vmcnt(2)
	ds_write_b64 v1, v[100:101]
.LBB112_227:
	s_or_b64 exec, exec, s[4:5]
	s_waitcnt lgkmcnt(0)
	; wave barrier
	s_waitcnt lgkmcnt(0)
	buffer_load_dword v122, off, s[0:3], 0 offset:304
	buffer_load_dword v123, off, s[0:3], 0 offset:308
	;; [unrolled: 1-line block ×24, first 2 shown]
	v_mov_b32_e32 v100, 0
	ds_read_b128 v[102:105], v100 offset:704
	ds_read_b128 v[106:109], v100 offset:720
	;; [unrolled: 1-line block ×5, first 2 shown]
	ds_read_b64 v[146:147], v100 offset:784
	v_cmp_lt_u32_e32 vcc, 36, v0
	s_waitcnt vmcnt(22) lgkmcnt(5)
	v_fma_f64 v[102:103], v[122:123], v[102:103], 0
	s_waitcnt vmcnt(20)
	v_fmac_f64_e32 v[102:103], v[124:125], v[104:105]
	s_waitcnt vmcnt(18) lgkmcnt(4)
	v_fmac_f64_e32 v[102:103], v[126:127], v[106:107]
	s_waitcnt vmcnt(16)
	v_fmac_f64_e32 v[102:103], v[128:129], v[108:109]
	s_waitcnt vmcnt(14) lgkmcnt(3)
	v_fmac_f64_e32 v[102:103], v[130:131], v[110:111]
	s_waitcnt vmcnt(12)
	v_fmac_f64_e32 v[102:103], v[132:133], v[112:113]
	s_waitcnt vmcnt(10) lgkmcnt(2)
	v_fmac_f64_e32 v[102:103], v[134:135], v[114:115]
	s_waitcnt vmcnt(4)
	v_fmac_f64_e32 v[102:103], v[142:143], v[116:117]
	s_waitcnt lgkmcnt(1)
	v_fmac_f64_e32 v[102:103], v[140:141], v[118:119]
	s_waitcnt vmcnt(3)
	v_fmac_f64_e32 v[102:103], v[138:139], v[120:121]
	s_waitcnt vmcnt(2) lgkmcnt(0)
	v_fmac_f64_e32 v[102:103], v[136:137], v[146:147]
	s_waitcnt vmcnt(0)
	v_add_f64 v[102:103], v[144:145], -v[102:103]
	buffer_store_dword v103, off, s[0:3], 0 offset:300
	buffer_store_dword v102, off, s[0:3], 0 offset:296
	s_and_saveexec_b64 s[4:5], vcc
	s_cbranch_execz .LBB112_229
; %bb.228:
	buffer_load_dword v102, off, s[0:3], 0 offset:288
	buffer_load_dword v103, off, s[0:3], 0 offset:292
	s_waitcnt vmcnt(0)
	ds_write_b64 v1, v[102:103]
	buffer_store_dword v100, off, s[0:3], 0 offset:288
	buffer_store_dword v100, off, s[0:3], 0 offset:292
.LBB112_229:
	s_or_b64 exec, exec, s[4:5]
	s_waitcnt lgkmcnt(0)
	; wave barrier
	s_waitcnt lgkmcnt(0)
	buffer_load_dword v126, off, s[0:3], 0 offset:296
	buffer_load_dword v127, off, s[0:3], 0 offset:300
	buffer_load_dword v128, off, s[0:3], 0 offset:304
	buffer_load_dword v129, off, s[0:3], 0 offset:308
	buffer_load_dword v130, off, s[0:3], 0 offset:312
	buffer_load_dword v131, off, s[0:3], 0 offset:316
	buffer_load_dword v132, off, s[0:3], 0 offset:320
	buffer_load_dword v133, off, s[0:3], 0 offset:324
	buffer_load_dword v134, off, s[0:3], 0 offset:328
	buffer_load_dword v135, off, s[0:3], 0 offset:332
	buffer_load_dword v136, off, s[0:3], 0 offset:336
	buffer_load_dword v137, off, s[0:3], 0 offset:340
	buffer_load_dword v138, off, s[0:3], 0 offset:344
	buffer_load_dword v139, off, s[0:3], 0 offset:348
	buffer_load_dword v140, off, s[0:3], 0 offset:376
	buffer_load_dword v143, off, s[0:3], 0 offset:372
	buffer_load_dword v142, off, s[0:3], 0 offset:368
	buffer_load_dword v145, off, s[0:3], 0 offset:364
	buffer_load_dword v144, off, s[0:3], 0 offset:360
	buffer_load_dword v147, off, s[0:3], 0 offset:356
	buffer_load_dword v146, off, s[0:3], 0 offset:352
	buffer_load_dword v141, off, s[0:3], 0 offset:380
	buffer_load_dword v149, off, s[0:3], 0 offset:388
	buffer_load_dword v148, off, s[0:3], 0 offset:384
	buffer_load_dword v150, off, s[0:3], 0 offset:288
	buffer_load_dword v151, off, s[0:3], 0 offset:292
	ds_read2_b64 v[102:105], v100 offset0:87 offset1:88
	ds_read2_b64 v[106:109], v100 offset0:89 offset1:90
	;; [unrolled: 1-line block ×6, first 2 shown]
	v_cmp_lt_u32_e32 vcc, 35, v0
	s_waitcnt vmcnt(24) lgkmcnt(5)
	v_fma_f64 v[100:101], v[126:127], v[102:103], 0
	s_waitcnt vmcnt(22)
	v_fmac_f64_e32 v[100:101], v[128:129], v[104:105]
	s_waitcnt vmcnt(20) lgkmcnt(4)
	v_fmac_f64_e32 v[100:101], v[130:131], v[106:107]
	s_waitcnt vmcnt(18)
	v_fmac_f64_e32 v[100:101], v[132:133], v[108:109]
	s_waitcnt vmcnt(16) lgkmcnt(3)
	v_fmac_f64_e32 v[100:101], v[134:135], v[110:111]
	;; [unrolled: 4-line block ×3, first 2 shown]
	s_waitcnt vmcnt(5)
	v_fmac_f64_e32 v[100:101], v[146:147], v[116:117]
	s_waitcnt lgkmcnt(1)
	v_fmac_f64_e32 v[100:101], v[144:145], v[118:119]
	v_fmac_f64_e32 v[100:101], v[142:143], v[120:121]
	s_waitcnt vmcnt(4) lgkmcnt(0)
	v_fmac_f64_e32 v[100:101], v[140:141], v[122:123]
	s_waitcnt vmcnt(2)
	v_fmac_f64_e32 v[100:101], v[148:149], v[124:125]
	s_waitcnt vmcnt(0)
	v_add_f64 v[100:101], v[150:151], -v[100:101]
	buffer_store_dword v101, off, s[0:3], 0 offset:292
	buffer_store_dword v100, off, s[0:3], 0 offset:288
	s_and_saveexec_b64 s[4:5], vcc
	s_cbranch_execz .LBB112_231
; %bb.230:
	buffer_load_dword v100, off, s[0:3], 0 offset:280
	buffer_load_dword v101, off, s[0:3], 0 offset:284
	v_mov_b32_e32 v102, 0
	buffer_store_dword v102, off, s[0:3], 0 offset:280
	buffer_store_dword v102, off, s[0:3], 0 offset:284
	s_waitcnt vmcnt(2)
	ds_write_b64 v1, v[100:101]
.LBB112_231:
	s_or_b64 exec, exec, s[4:5]
	s_waitcnt lgkmcnt(0)
	; wave barrier
	s_waitcnt lgkmcnt(0)
	buffer_load_dword v126, off, s[0:3], 0 offset:288
	buffer_load_dword v127, off, s[0:3], 0 offset:292
	;; [unrolled: 1-line block ×28, first 2 shown]
	v_mov_b32_e32 v100, 0
	ds_read_b128 v[102:105], v100 offset:688
	ds_read_b128 v[106:109], v100 offset:704
	;; [unrolled: 1-line block ×6, first 2 shown]
	ds_read_b64 v[154:155], v100 offset:784
	v_cmp_lt_u32_e32 vcc, 34, v0
	s_waitcnt vmcnt(26) lgkmcnt(6)
	v_fma_f64 v[102:103], v[126:127], v[102:103], 0
	s_waitcnt vmcnt(24)
	v_fmac_f64_e32 v[102:103], v[128:129], v[104:105]
	s_waitcnt vmcnt(22) lgkmcnt(5)
	v_fmac_f64_e32 v[102:103], v[130:131], v[106:107]
	s_waitcnt vmcnt(20)
	v_fmac_f64_e32 v[102:103], v[132:133], v[108:109]
	s_waitcnt vmcnt(18) lgkmcnt(4)
	v_fmac_f64_e32 v[102:103], v[134:135], v[110:111]
	;; [unrolled: 4-line block ×3, first 2 shown]
	s_waitcnt vmcnt(6)
	v_fmac_f64_e32 v[102:103], v[146:147], v[116:117]
	s_waitcnt lgkmcnt(2)
	v_fmac_f64_e32 v[102:103], v[144:145], v[118:119]
	v_fmac_f64_e32 v[102:103], v[142:143], v[120:121]
	s_waitcnt lgkmcnt(1)
	v_fmac_f64_e32 v[102:103], v[140:141], v[122:123]
	s_waitcnt vmcnt(2)
	v_fmac_f64_e32 v[102:103], v[150:151], v[124:125]
	s_waitcnt lgkmcnt(0)
	v_fmac_f64_e32 v[102:103], v[148:149], v[154:155]
	s_waitcnt vmcnt(0)
	v_add_f64 v[102:103], v[152:153], -v[102:103]
	buffer_store_dword v103, off, s[0:3], 0 offset:284
	buffer_store_dword v102, off, s[0:3], 0 offset:280
	s_and_saveexec_b64 s[4:5], vcc
	s_cbranch_execz .LBB112_233
; %bb.232:
	buffer_load_dword v102, off, s[0:3], 0 offset:272
	buffer_load_dword v103, off, s[0:3], 0 offset:276
	s_waitcnt vmcnt(0)
	ds_write_b64 v1, v[102:103]
	buffer_store_dword v100, off, s[0:3], 0 offset:272
	buffer_store_dword v100, off, s[0:3], 0 offset:276
.LBB112_233:
	s_or_b64 exec, exec, s[4:5]
	s_waitcnt lgkmcnt(0)
	; wave barrier
	s_waitcnt lgkmcnt(0)
	buffer_load_dword v130, off, s[0:3], 0 offset:280
	buffer_load_dword v131, off, s[0:3], 0 offset:284
	;; [unrolled: 1-line block ×30, first 2 shown]
	ds_read2_b64 v[102:105], v100 offset0:85 offset1:86
	ds_read2_b64 v[106:109], v100 offset0:87 offset1:88
	;; [unrolled: 1-line block ×7, first 2 shown]
	v_cmp_lt_u32_e32 vcc, 33, v0
	s_waitcnt vmcnt(28) lgkmcnt(6)
	v_fma_f64 v[100:101], v[130:131], v[102:103], 0
	s_waitcnt vmcnt(26)
	v_fmac_f64_e32 v[100:101], v[132:133], v[104:105]
	s_waitcnt vmcnt(24) lgkmcnt(5)
	v_fmac_f64_e32 v[100:101], v[134:135], v[106:107]
	s_waitcnt vmcnt(22)
	v_fmac_f64_e32 v[100:101], v[136:137], v[108:109]
	s_waitcnt vmcnt(20) lgkmcnt(4)
	v_fmac_f64_e32 v[100:101], v[138:139], v[110:111]
	;; [unrolled: 4-line block ×3, first 2 shown]
	s_waitcnt vmcnt(8)
	v_fmac_f64_e32 v[100:101], v[150:151], v[116:117]
	s_waitcnt lgkmcnt(2)
	v_fmac_f64_e32 v[100:101], v[148:149], v[118:119]
	v_fmac_f64_e32 v[100:101], v[146:147], v[120:121]
	s_waitcnt lgkmcnt(1)
	v_fmac_f64_e32 v[100:101], v[144:145], v[122:123]
	s_waitcnt vmcnt(3)
	v_fmac_f64_e32 v[100:101], v[156:157], v[124:125]
	s_waitcnt lgkmcnt(0)
	v_fmac_f64_e32 v[100:101], v[154:155], v[126:127]
	s_waitcnt vmcnt(2)
	v_fmac_f64_e32 v[100:101], v[152:153], v[128:129]
	s_waitcnt vmcnt(0)
	v_add_f64 v[100:101], v[158:159], -v[100:101]
	buffer_store_dword v101, off, s[0:3], 0 offset:276
	buffer_store_dword v100, off, s[0:3], 0 offset:272
	s_and_saveexec_b64 s[4:5], vcc
	s_cbranch_execz .LBB112_235
; %bb.234:
	buffer_load_dword v100, off, s[0:3], 0 offset:264
	buffer_load_dword v101, off, s[0:3], 0 offset:268
	v_mov_b32_e32 v102, 0
	buffer_store_dword v102, off, s[0:3], 0 offset:264
	buffer_store_dword v102, off, s[0:3], 0 offset:268
	s_waitcnt vmcnt(2)
	ds_write_b64 v1, v[100:101]
.LBB112_235:
	s_or_b64 exec, exec, s[4:5]
	s_waitcnt lgkmcnt(0)
	; wave barrier
	s_waitcnt lgkmcnt(0)
	buffer_load_dword v130, off, s[0:3], 0 offset:272
	buffer_load_dword v131, off, s[0:3], 0 offset:276
	;; [unrolled: 1-line block ×32, first 2 shown]
	v_mov_b32_e32 v100, 0
	ds_read_b128 v[102:105], v100 offset:672
	ds_read_b128 v[106:109], v100 offset:688
	;; [unrolled: 1-line block ×7, first 2 shown]
	ds_read_b64 v[162:163], v100 offset:784
	v_cmp_lt_u32_e32 vcc, 32, v0
	s_waitcnt vmcnt(30) lgkmcnt(7)
	v_fma_f64 v[102:103], v[130:131], v[102:103], 0
	s_waitcnt vmcnt(28)
	v_fmac_f64_e32 v[102:103], v[132:133], v[104:105]
	s_waitcnt vmcnt(26) lgkmcnt(6)
	v_fmac_f64_e32 v[102:103], v[134:135], v[106:107]
	s_waitcnt vmcnt(24)
	v_fmac_f64_e32 v[102:103], v[136:137], v[108:109]
	s_waitcnt vmcnt(22) lgkmcnt(5)
	v_fmac_f64_e32 v[102:103], v[138:139], v[110:111]
	;; [unrolled: 4-line block ×3, first 2 shown]
	s_waitcnt vmcnt(10)
	v_fmac_f64_e32 v[102:103], v[150:151], v[116:117]
	s_waitcnt lgkmcnt(3)
	v_fmac_f64_e32 v[102:103], v[148:149], v[118:119]
	v_fmac_f64_e32 v[102:103], v[146:147], v[120:121]
	s_waitcnt lgkmcnt(2)
	v_fmac_f64_e32 v[102:103], v[144:145], v[122:123]
	s_waitcnt vmcnt(4)
	v_fmac_f64_e32 v[102:103], v[158:159], v[124:125]
	s_waitcnt lgkmcnt(1)
	v_fmac_f64_e32 v[102:103], v[156:157], v[126:127]
	s_waitcnt vmcnt(3)
	v_fmac_f64_e32 v[102:103], v[154:155], v[128:129]
	s_waitcnt vmcnt(2) lgkmcnt(0)
	v_fmac_f64_e32 v[102:103], v[152:153], v[162:163]
	s_waitcnt vmcnt(0)
	v_add_f64 v[102:103], v[160:161], -v[102:103]
	buffer_store_dword v103, off, s[0:3], 0 offset:268
	buffer_store_dword v102, off, s[0:3], 0 offset:264
	s_and_saveexec_b64 s[4:5], vcc
	s_cbranch_execz .LBB112_237
; %bb.236:
	buffer_load_dword v102, off, s[0:3], 0 offset:256
	buffer_load_dword v103, off, s[0:3], 0 offset:260
	s_waitcnt vmcnt(0)
	ds_write_b64 v1, v[102:103]
	buffer_store_dword v100, off, s[0:3], 0 offset:256
	buffer_store_dword v100, off, s[0:3], 0 offset:260
.LBB112_237:
	s_or_b64 exec, exec, s[4:5]
	s_waitcnt lgkmcnt(0)
	; wave barrier
	s_waitcnt lgkmcnt(0)
	buffer_load_dword v134, off, s[0:3], 0 offset:264
	buffer_load_dword v135, off, s[0:3], 0 offset:268
	;; [unrolled: 1-line block ×34, first 2 shown]
	ds_read2_b64 v[102:105], v100 offset0:83 offset1:84
	ds_read2_b64 v[106:109], v100 offset0:85 offset1:86
	;; [unrolled: 1-line block ×8, first 2 shown]
	v_cmp_lt_u32_e32 vcc, 31, v0
	s_waitcnt vmcnt(32) lgkmcnt(7)
	v_fma_f64 v[100:101], v[134:135], v[102:103], 0
	s_waitcnt vmcnt(30)
	v_fmac_f64_e32 v[100:101], v[136:137], v[104:105]
	s_waitcnt vmcnt(28) lgkmcnt(6)
	v_fmac_f64_e32 v[100:101], v[138:139], v[106:107]
	s_waitcnt vmcnt(26)
	v_fmac_f64_e32 v[100:101], v[140:141], v[108:109]
	s_waitcnt vmcnt(24) lgkmcnt(5)
	v_fmac_f64_e32 v[100:101], v[142:143], v[110:111]
	;; [unrolled: 4-line block ×3, first 2 shown]
	s_waitcnt vmcnt(12)
	v_fmac_f64_e32 v[100:101], v[154:155], v[116:117]
	s_waitcnt lgkmcnt(3)
	v_fmac_f64_e32 v[100:101], v[152:153], v[118:119]
	v_fmac_f64_e32 v[100:101], v[150:151], v[120:121]
	s_waitcnt lgkmcnt(2)
	v_fmac_f64_e32 v[100:101], v[148:149], v[122:123]
	s_waitcnt vmcnt(5)
	v_fmac_f64_e32 v[100:101], v[162:163], v[124:125]
	s_waitcnt lgkmcnt(1)
	v_fmac_f64_e32 v[100:101], v[160:161], v[126:127]
	v_fmac_f64_e32 v[100:101], v[158:159], v[128:129]
	s_waitcnt vmcnt(4) lgkmcnt(0)
	v_fmac_f64_e32 v[100:101], v[156:157], v[130:131]
	s_waitcnt vmcnt(2)
	v_fmac_f64_e32 v[100:101], v[164:165], v[132:133]
	s_waitcnt vmcnt(0)
	v_add_f64 v[100:101], v[166:167], -v[100:101]
	buffer_store_dword v101, off, s[0:3], 0 offset:260
	buffer_store_dword v100, off, s[0:3], 0 offset:256
	s_and_saveexec_b64 s[4:5], vcc
	s_cbranch_execz .LBB112_239
; %bb.238:
	buffer_load_dword v100, off, s[0:3], 0 offset:248
	buffer_load_dword v101, off, s[0:3], 0 offset:252
	v_mov_b32_e32 v102, 0
	buffer_store_dword v102, off, s[0:3], 0 offset:248
	buffer_store_dword v102, off, s[0:3], 0 offset:252
	s_waitcnt vmcnt(2)
	ds_write_b64 v1, v[100:101]
.LBB112_239:
	s_or_b64 exec, exec, s[4:5]
	s_waitcnt lgkmcnt(0)
	; wave barrier
	s_waitcnt lgkmcnt(0)
	buffer_load_dword v100, off, s[0:3], 0 offset:248
	buffer_load_dword v101, off, s[0:3], 0 offset:252
	;; [unrolled: 1-line block ×16, first 2 shown]
	v_mov_b32_e32 v104, 0
	ds_read_b128 v[106:109], v104 offset:656
	ds_read_b128 v[110:113], v104 offset:672
	;; [unrolled: 1-line block ×4, first 2 shown]
	v_cmp_lt_u32_e32 vcc, 30, v0
	s_waitcnt vmcnt(12) lgkmcnt(3)
	v_fma_f64 v[102:103], v[102:103], v[106:107], 0
	buffer_load_dword v107, off, s[0:3], 0 offset:316
	buffer_load_dword v106, off, s[0:3], 0 offset:312
	s_waitcnt vmcnt(12)
	v_fmac_f64_e32 v[102:103], v[122:123], v[108:109]
	s_waitcnt vmcnt(10) lgkmcnt(2)
	v_fmac_f64_e32 v[102:103], v[124:125], v[110:111]
	buffer_load_dword v111, off, s[0:3], 0 offset:324
	buffer_load_dword v110, off, s[0:3], 0 offset:320
	s_waitcnt vmcnt(10)
	v_fmac_f64_e32 v[102:103], v[126:127], v[112:113]
	s_waitcnt vmcnt(8) lgkmcnt(1)
	v_fmac_f64_e32 v[102:103], v[128:129], v[114:115]
	s_waitcnt vmcnt(6)
	v_fmac_f64_e32 v[102:103], v[130:131], v[116:117]
	s_waitcnt vmcnt(4) lgkmcnt(0)
	v_fmac_f64_e32 v[102:103], v[132:133], v[118:119]
	s_waitcnt vmcnt(2)
	v_fmac_f64_e32 v[102:103], v[106:107], v[120:121]
	ds_read_b128 v[106:109], v104 offset:720
	s_waitcnt vmcnt(0) lgkmcnt(0)
	v_fmac_f64_e32 v[102:103], v[110:111], v[106:107]
	buffer_load_dword v107, off, s[0:3], 0 offset:332
	buffer_load_dword v106, off, s[0:3], 0 offset:328
	buffer_load_dword v111, off, s[0:3], 0 offset:340
	buffer_load_dword v110, off, s[0:3], 0 offset:336
	s_waitcnt vmcnt(2)
	v_fmac_f64_e32 v[102:103], v[106:107], v[108:109]
	ds_read_b128 v[106:109], v104 offset:736
	s_waitcnt vmcnt(0) lgkmcnt(0)
	v_fmac_f64_e32 v[102:103], v[110:111], v[106:107]
	buffer_load_dword v107, off, s[0:3], 0 offset:348
	buffer_load_dword v106, off, s[0:3], 0 offset:344
	buffer_load_dword v111, off, s[0:3], 0 offset:356
	buffer_load_dword v110, off, s[0:3], 0 offset:352
	;; [unrolled: 9-line block ×3, first 2 shown]
	s_waitcnt vmcnt(2)
	v_fmac_f64_e32 v[102:103], v[106:107], v[108:109]
	ds_read_b128 v[106:109], v104 offset:768
	s_waitcnt vmcnt(0) lgkmcnt(0)
	v_fmac_f64_e32 v[102:103], v[110:111], v[106:107]
	buffer_load_dword v107, off, s[0:3], 0 offset:380
	buffer_load_dword v106, off, s[0:3], 0 offset:376
	s_waitcnt vmcnt(0)
	v_fmac_f64_e32 v[102:103], v[106:107], v[108:109]
	buffer_load_dword v107, off, s[0:3], 0 offset:388
	buffer_load_dword v106, off, s[0:3], 0 offset:384
	ds_read_b64 v[108:109], v104 offset:784
	s_waitcnt vmcnt(0) lgkmcnt(0)
	v_fmac_f64_e32 v[102:103], v[106:107], v[108:109]
	v_add_f64 v[100:101], v[100:101], -v[102:103]
	buffer_store_dword v101, off, s[0:3], 0 offset:252
	buffer_store_dword v100, off, s[0:3], 0 offset:248
	s_and_saveexec_b64 s[4:5], vcc
	s_cbranch_execz .LBB112_241
; %bb.240:
	buffer_load_dword v100, off, s[0:3], 0 offset:240
	buffer_load_dword v101, off, s[0:3], 0 offset:244
	s_waitcnt vmcnt(0)
	ds_write_b64 v1, v[100:101]
	buffer_store_dword v104, off, s[0:3], 0 offset:240
	buffer_store_dword v104, off, s[0:3], 0 offset:244
.LBB112_241:
	s_or_b64 exec, exec, s[4:5]
	s_waitcnt lgkmcnt(0)
	; wave barrier
	s_waitcnt lgkmcnt(0)
	buffer_load_dword v100, off, s[0:3], 0 offset:240
	buffer_load_dword v101, off, s[0:3], 0 offset:244
	;; [unrolled: 1-line block ×16, first 2 shown]
	ds_read2_b64 v[106:109], v104 offset0:81 offset1:82
	v_cmp_lt_u32_e32 vcc, 29, v0
	s_waitcnt vmcnt(12) lgkmcnt(0)
	v_fma_f64 v[102:103], v[102:103], v[106:107], 0
	s_waitcnt vmcnt(10)
	v_fmac_f64_e32 v[102:103], v[110:111], v[108:109]
	ds_read2_b64 v[106:109], v104 offset0:83 offset1:84
	s_waitcnt vmcnt(8) lgkmcnt(0)
	v_fmac_f64_e32 v[102:103], v[112:113], v[106:107]
	s_waitcnt vmcnt(6)
	v_fmac_f64_e32 v[102:103], v[114:115], v[108:109]
	ds_read2_b64 v[106:109], v104 offset0:85 offset1:86
	s_waitcnt vmcnt(4) lgkmcnt(0)
	v_fmac_f64_e32 v[102:103], v[116:117], v[106:107]
	;; [unrolled: 5-line block ×3, first 2 shown]
	buffer_load_dword v107, off, s[0:3], 0 offset:308
	buffer_load_dword v106, off, s[0:3], 0 offset:304
	buffer_load_dword v111, off, s[0:3], 0 offset:316
	buffer_load_dword v110, off, s[0:3], 0 offset:312
	s_waitcnt vmcnt(2)
	v_fmac_f64_e32 v[102:103], v[106:107], v[108:109]
	ds_read2_b64 v[106:109], v104 offset0:89 offset1:90
	s_waitcnt vmcnt(0) lgkmcnt(0)
	v_fmac_f64_e32 v[102:103], v[110:111], v[106:107]
	buffer_load_dword v107, off, s[0:3], 0 offset:324
	buffer_load_dword v106, off, s[0:3], 0 offset:320
	buffer_load_dword v111, off, s[0:3], 0 offset:332
	buffer_load_dword v110, off, s[0:3], 0 offset:328
	s_waitcnt vmcnt(2)
	v_fmac_f64_e32 v[102:103], v[106:107], v[108:109]
	ds_read2_b64 v[106:109], v104 offset0:91 offset1:92
	s_waitcnt vmcnt(0) lgkmcnt(0)
	v_fmac_f64_e32 v[102:103], v[110:111], v[106:107]
	;; [unrolled: 9-line block ×4, first 2 shown]
	buffer_load_dword v107, off, s[0:3], 0 offset:372
	buffer_load_dword v106, off, s[0:3], 0 offset:368
	s_waitcnt vmcnt(0)
	v_fmac_f64_e32 v[102:103], v[106:107], v[108:109]
	buffer_load_dword v109, off, s[0:3], 0 offset:380
	buffer_load_dword v108, off, s[0:3], 0 offset:376
	ds_read2_b64 v[104:107], v104 offset0:97 offset1:98
	s_waitcnt vmcnt(0) lgkmcnt(0)
	v_fmac_f64_e32 v[102:103], v[108:109], v[104:105]
	buffer_load_dword v105, off, s[0:3], 0 offset:388
	buffer_load_dword v104, off, s[0:3], 0 offset:384
	s_waitcnt vmcnt(0)
	v_fmac_f64_e32 v[102:103], v[104:105], v[106:107]
	v_add_f64 v[100:101], v[100:101], -v[102:103]
	buffer_store_dword v101, off, s[0:3], 0 offset:244
	buffer_store_dword v100, off, s[0:3], 0 offset:240
	s_and_saveexec_b64 s[4:5], vcc
	s_cbranch_execz .LBB112_243
; %bb.242:
	buffer_load_dword v100, off, s[0:3], 0 offset:232
	buffer_load_dword v101, off, s[0:3], 0 offset:236
	v_mov_b32_e32 v102, 0
	buffer_store_dword v102, off, s[0:3], 0 offset:232
	buffer_store_dword v102, off, s[0:3], 0 offset:236
	s_waitcnt vmcnt(2)
	ds_write_b64 v1, v[100:101]
.LBB112_243:
	s_or_b64 exec, exec, s[4:5]
	s_waitcnt lgkmcnt(0)
	; wave barrier
	s_waitcnt lgkmcnt(0)
	buffer_load_dword v100, off, s[0:3], 0 offset:232
	buffer_load_dword v101, off, s[0:3], 0 offset:236
	;; [unrolled: 1-line block ×16, first 2 shown]
	v_mov_b32_e32 v104, 0
	ds_read_b128 v[106:109], v104 offset:640
	ds_read_b128 v[110:113], v104 offset:656
	ds_read_b128 v[114:117], v104 offset:672
	ds_read_b128 v[118:121], v104 offset:688
	v_cmp_lt_u32_e32 vcc, 28, v0
	s_waitcnt vmcnt(12) lgkmcnt(3)
	v_fma_f64 v[102:103], v[102:103], v[106:107], 0
	buffer_load_dword v107, off, s[0:3], 0 offset:300
	buffer_load_dword v106, off, s[0:3], 0 offset:296
	s_waitcnt vmcnt(12)
	v_fmac_f64_e32 v[102:103], v[122:123], v[108:109]
	s_waitcnt vmcnt(10) lgkmcnt(2)
	v_fmac_f64_e32 v[102:103], v[124:125], v[110:111]
	buffer_load_dword v111, off, s[0:3], 0 offset:308
	buffer_load_dword v110, off, s[0:3], 0 offset:304
	s_waitcnt vmcnt(10)
	v_fmac_f64_e32 v[102:103], v[126:127], v[112:113]
	s_waitcnt vmcnt(8) lgkmcnt(1)
	v_fmac_f64_e32 v[102:103], v[128:129], v[114:115]
	s_waitcnt vmcnt(6)
	v_fmac_f64_e32 v[102:103], v[130:131], v[116:117]
	s_waitcnt vmcnt(4) lgkmcnt(0)
	v_fmac_f64_e32 v[102:103], v[132:133], v[118:119]
	s_waitcnt vmcnt(2)
	v_fmac_f64_e32 v[102:103], v[106:107], v[120:121]
	ds_read_b128 v[106:109], v104 offset:704
	s_waitcnt vmcnt(0) lgkmcnt(0)
	v_fmac_f64_e32 v[102:103], v[110:111], v[106:107]
	buffer_load_dword v107, off, s[0:3], 0 offset:316
	buffer_load_dword v106, off, s[0:3], 0 offset:312
	buffer_load_dword v111, off, s[0:3], 0 offset:324
	buffer_load_dword v110, off, s[0:3], 0 offset:320
	s_waitcnt vmcnt(2)
	v_fmac_f64_e32 v[102:103], v[106:107], v[108:109]
	ds_read_b128 v[106:109], v104 offset:720
	s_waitcnt vmcnt(0) lgkmcnt(0)
	v_fmac_f64_e32 v[102:103], v[110:111], v[106:107]
	buffer_load_dword v107, off, s[0:3], 0 offset:332
	buffer_load_dword v106, off, s[0:3], 0 offset:328
	buffer_load_dword v111, off, s[0:3], 0 offset:340
	buffer_load_dword v110, off, s[0:3], 0 offset:336
	;; [unrolled: 9-line block ×4, first 2 shown]
	s_waitcnt vmcnt(2)
	v_fmac_f64_e32 v[102:103], v[106:107], v[108:109]
	ds_read_b128 v[106:109], v104 offset:768
	s_waitcnt vmcnt(0) lgkmcnt(0)
	v_fmac_f64_e32 v[102:103], v[110:111], v[106:107]
	buffer_load_dword v107, off, s[0:3], 0 offset:380
	buffer_load_dword v106, off, s[0:3], 0 offset:376
	s_waitcnt vmcnt(0)
	v_fmac_f64_e32 v[102:103], v[106:107], v[108:109]
	buffer_load_dword v107, off, s[0:3], 0 offset:388
	buffer_load_dword v106, off, s[0:3], 0 offset:384
	ds_read_b64 v[108:109], v104 offset:784
	s_waitcnt vmcnt(0) lgkmcnt(0)
	v_fmac_f64_e32 v[102:103], v[106:107], v[108:109]
	v_add_f64 v[100:101], v[100:101], -v[102:103]
	buffer_store_dword v101, off, s[0:3], 0 offset:236
	buffer_store_dword v100, off, s[0:3], 0 offset:232
	s_and_saveexec_b64 s[4:5], vcc
	s_cbranch_execz .LBB112_245
; %bb.244:
	buffer_load_dword v100, off, s[0:3], 0 offset:224
	buffer_load_dword v101, off, s[0:3], 0 offset:228
	s_waitcnt vmcnt(0)
	ds_write_b64 v1, v[100:101]
	buffer_store_dword v104, off, s[0:3], 0 offset:224
	buffer_store_dword v104, off, s[0:3], 0 offset:228
.LBB112_245:
	s_or_b64 exec, exec, s[4:5]
	s_waitcnt lgkmcnt(0)
	; wave barrier
	s_waitcnt lgkmcnt(0)
	buffer_load_dword v100, off, s[0:3], 0 offset:224
	buffer_load_dword v101, off, s[0:3], 0 offset:228
	;; [unrolled: 1-line block ×16, first 2 shown]
	ds_read2_b64 v[106:109], v104 offset0:79 offset1:80
	v_cmp_lt_u32_e32 vcc, 27, v0
	s_waitcnt vmcnt(12) lgkmcnt(0)
	v_fma_f64 v[102:103], v[102:103], v[106:107], 0
	s_waitcnt vmcnt(10)
	v_fmac_f64_e32 v[102:103], v[110:111], v[108:109]
	ds_read2_b64 v[106:109], v104 offset0:81 offset1:82
	s_waitcnt vmcnt(8) lgkmcnt(0)
	v_fmac_f64_e32 v[102:103], v[112:113], v[106:107]
	s_waitcnt vmcnt(6)
	v_fmac_f64_e32 v[102:103], v[114:115], v[108:109]
	ds_read2_b64 v[106:109], v104 offset0:83 offset1:84
	s_waitcnt vmcnt(4) lgkmcnt(0)
	v_fmac_f64_e32 v[102:103], v[116:117], v[106:107]
	;; [unrolled: 5-line block ×3, first 2 shown]
	buffer_load_dword v107, off, s[0:3], 0 offset:292
	buffer_load_dword v106, off, s[0:3], 0 offset:288
	buffer_load_dword v111, off, s[0:3], 0 offset:300
	buffer_load_dword v110, off, s[0:3], 0 offset:296
	s_waitcnt vmcnt(2)
	v_fmac_f64_e32 v[102:103], v[106:107], v[108:109]
	ds_read2_b64 v[106:109], v104 offset0:87 offset1:88
	s_waitcnt vmcnt(0) lgkmcnt(0)
	v_fmac_f64_e32 v[102:103], v[110:111], v[106:107]
	buffer_load_dword v107, off, s[0:3], 0 offset:308
	buffer_load_dword v106, off, s[0:3], 0 offset:304
	buffer_load_dword v111, off, s[0:3], 0 offset:316
	buffer_load_dword v110, off, s[0:3], 0 offset:312
	s_waitcnt vmcnt(2)
	v_fmac_f64_e32 v[102:103], v[106:107], v[108:109]
	ds_read2_b64 v[106:109], v104 offset0:89 offset1:90
	s_waitcnt vmcnt(0) lgkmcnt(0)
	v_fmac_f64_e32 v[102:103], v[110:111], v[106:107]
	;; [unrolled: 9-line block ×5, first 2 shown]
	buffer_load_dword v107, off, s[0:3], 0 offset:372
	buffer_load_dword v106, off, s[0:3], 0 offset:368
	s_waitcnt vmcnt(0)
	v_fmac_f64_e32 v[102:103], v[106:107], v[108:109]
	buffer_load_dword v109, off, s[0:3], 0 offset:380
	buffer_load_dword v108, off, s[0:3], 0 offset:376
	ds_read2_b64 v[104:107], v104 offset0:97 offset1:98
	s_waitcnt vmcnt(0) lgkmcnt(0)
	v_fmac_f64_e32 v[102:103], v[108:109], v[104:105]
	buffer_load_dword v105, off, s[0:3], 0 offset:388
	buffer_load_dword v104, off, s[0:3], 0 offset:384
	s_waitcnt vmcnt(0)
	v_fmac_f64_e32 v[102:103], v[104:105], v[106:107]
	v_add_f64 v[100:101], v[100:101], -v[102:103]
	buffer_store_dword v101, off, s[0:3], 0 offset:228
	buffer_store_dword v100, off, s[0:3], 0 offset:224
	s_and_saveexec_b64 s[4:5], vcc
	s_cbranch_execz .LBB112_247
; %bb.246:
	buffer_load_dword v100, off, s[0:3], 0 offset:216
	buffer_load_dword v101, off, s[0:3], 0 offset:220
	v_mov_b32_e32 v102, 0
	buffer_store_dword v102, off, s[0:3], 0 offset:216
	buffer_store_dword v102, off, s[0:3], 0 offset:220
	s_waitcnt vmcnt(2)
	ds_write_b64 v1, v[100:101]
.LBB112_247:
	s_or_b64 exec, exec, s[4:5]
	s_waitcnt lgkmcnt(0)
	; wave barrier
	s_waitcnt lgkmcnt(0)
	buffer_load_dword v100, off, s[0:3], 0 offset:216
	buffer_load_dword v101, off, s[0:3], 0 offset:220
	buffer_load_dword v102, off, s[0:3], 0 offset:224
	buffer_load_dword v103, off, s[0:3], 0 offset:228
	buffer_load_dword v122, off, s[0:3], 0 offset:232
	buffer_load_dword v123, off, s[0:3], 0 offset:236
	buffer_load_dword v124, off, s[0:3], 0 offset:240
	buffer_load_dword v125, off, s[0:3], 0 offset:244
	buffer_load_dword v126, off, s[0:3], 0 offset:248
	buffer_load_dword v127, off, s[0:3], 0 offset:252
	buffer_load_dword v128, off, s[0:3], 0 offset:256
	buffer_load_dword v129, off, s[0:3], 0 offset:260
	buffer_load_dword v130, off, s[0:3], 0 offset:264
	buffer_load_dword v131, off, s[0:3], 0 offset:268
	buffer_load_dword v132, off, s[0:3], 0 offset:272
	buffer_load_dword v133, off, s[0:3], 0 offset:276
	v_mov_b32_e32 v104, 0
	ds_read_b128 v[106:109], v104 offset:624
	ds_read_b128 v[110:113], v104 offset:640
	;; [unrolled: 1-line block ×4, first 2 shown]
	v_cmp_lt_u32_e32 vcc, 26, v0
	s_waitcnt vmcnt(12) lgkmcnt(3)
	v_fma_f64 v[102:103], v[102:103], v[106:107], 0
	buffer_load_dword v107, off, s[0:3], 0 offset:284
	buffer_load_dword v106, off, s[0:3], 0 offset:280
	s_waitcnt vmcnt(12)
	v_fmac_f64_e32 v[102:103], v[122:123], v[108:109]
	s_waitcnt vmcnt(10) lgkmcnt(2)
	v_fmac_f64_e32 v[102:103], v[124:125], v[110:111]
	buffer_load_dword v111, off, s[0:3], 0 offset:292
	buffer_load_dword v110, off, s[0:3], 0 offset:288
	s_waitcnt vmcnt(10)
	v_fmac_f64_e32 v[102:103], v[126:127], v[112:113]
	s_waitcnt vmcnt(8) lgkmcnt(1)
	v_fmac_f64_e32 v[102:103], v[128:129], v[114:115]
	s_waitcnt vmcnt(6)
	v_fmac_f64_e32 v[102:103], v[130:131], v[116:117]
	s_waitcnt vmcnt(4) lgkmcnt(0)
	v_fmac_f64_e32 v[102:103], v[132:133], v[118:119]
	s_waitcnt vmcnt(2)
	v_fmac_f64_e32 v[102:103], v[106:107], v[120:121]
	ds_read_b128 v[106:109], v104 offset:688
	s_waitcnt vmcnt(0) lgkmcnt(0)
	v_fmac_f64_e32 v[102:103], v[110:111], v[106:107]
	buffer_load_dword v107, off, s[0:3], 0 offset:300
	buffer_load_dword v106, off, s[0:3], 0 offset:296
	buffer_load_dword v111, off, s[0:3], 0 offset:308
	buffer_load_dword v110, off, s[0:3], 0 offset:304
	s_waitcnt vmcnt(2)
	v_fmac_f64_e32 v[102:103], v[106:107], v[108:109]
	ds_read_b128 v[106:109], v104 offset:704
	s_waitcnt vmcnt(0) lgkmcnt(0)
	v_fmac_f64_e32 v[102:103], v[110:111], v[106:107]
	buffer_load_dword v107, off, s[0:3], 0 offset:316
	buffer_load_dword v106, off, s[0:3], 0 offset:312
	buffer_load_dword v111, off, s[0:3], 0 offset:324
	buffer_load_dword v110, off, s[0:3], 0 offset:320
	;; [unrolled: 9-line block ×5, first 2 shown]
	s_waitcnt vmcnt(2)
	v_fmac_f64_e32 v[102:103], v[106:107], v[108:109]
	ds_read_b128 v[106:109], v104 offset:768
	s_waitcnt vmcnt(0) lgkmcnt(0)
	v_fmac_f64_e32 v[102:103], v[110:111], v[106:107]
	buffer_load_dword v107, off, s[0:3], 0 offset:380
	buffer_load_dword v106, off, s[0:3], 0 offset:376
	s_waitcnt vmcnt(0)
	v_fmac_f64_e32 v[102:103], v[106:107], v[108:109]
	buffer_load_dword v107, off, s[0:3], 0 offset:388
	buffer_load_dword v106, off, s[0:3], 0 offset:384
	ds_read_b64 v[108:109], v104 offset:784
	s_waitcnt vmcnt(0) lgkmcnt(0)
	v_fmac_f64_e32 v[102:103], v[106:107], v[108:109]
	v_add_f64 v[100:101], v[100:101], -v[102:103]
	buffer_store_dword v101, off, s[0:3], 0 offset:220
	buffer_store_dword v100, off, s[0:3], 0 offset:216
	s_and_saveexec_b64 s[4:5], vcc
	s_cbranch_execz .LBB112_249
; %bb.248:
	buffer_load_dword v100, off, s[0:3], 0 offset:208
	buffer_load_dword v101, off, s[0:3], 0 offset:212
	s_waitcnt vmcnt(0)
	ds_write_b64 v1, v[100:101]
	buffer_store_dword v104, off, s[0:3], 0 offset:208
	buffer_store_dword v104, off, s[0:3], 0 offset:212
.LBB112_249:
	s_or_b64 exec, exec, s[4:5]
	s_waitcnt lgkmcnt(0)
	; wave barrier
	s_waitcnt lgkmcnt(0)
	buffer_load_dword v100, off, s[0:3], 0 offset:208
	buffer_load_dword v101, off, s[0:3], 0 offset:212
	;; [unrolled: 1-line block ×16, first 2 shown]
	ds_read2_b64 v[106:109], v104 offset0:77 offset1:78
	v_cmp_lt_u32_e32 vcc, 25, v0
	s_waitcnt vmcnt(12) lgkmcnt(0)
	v_fma_f64 v[102:103], v[102:103], v[106:107], 0
	s_waitcnt vmcnt(10)
	v_fmac_f64_e32 v[102:103], v[110:111], v[108:109]
	ds_read2_b64 v[106:109], v104 offset0:79 offset1:80
	s_waitcnt vmcnt(8) lgkmcnt(0)
	v_fmac_f64_e32 v[102:103], v[112:113], v[106:107]
	s_waitcnt vmcnt(6)
	v_fmac_f64_e32 v[102:103], v[114:115], v[108:109]
	ds_read2_b64 v[106:109], v104 offset0:81 offset1:82
	s_waitcnt vmcnt(4) lgkmcnt(0)
	v_fmac_f64_e32 v[102:103], v[116:117], v[106:107]
	s_waitcnt vmcnt(2)
	v_fmac_f64_e32 v[102:103], v[118:119], v[108:109]
	ds_read2_b64 v[106:109], v104 offset0:83 offset1:84
	s_waitcnt vmcnt(0) lgkmcnt(0)
	v_fmac_f64_e32 v[102:103], v[120:121], v[106:107]
	buffer_load_dword v107, off, s[0:3], 0 offset:276
	buffer_load_dword v106, off, s[0:3], 0 offset:272
	buffer_load_dword v111, off, s[0:3], 0 offset:284
	buffer_load_dword v110, off, s[0:3], 0 offset:280
	s_waitcnt vmcnt(2)
	v_fmac_f64_e32 v[102:103], v[106:107], v[108:109]
	ds_read2_b64 v[106:109], v104 offset0:85 offset1:86
	s_waitcnt vmcnt(0) lgkmcnt(0)
	v_fmac_f64_e32 v[102:103], v[110:111], v[106:107]
	buffer_load_dword v107, off, s[0:3], 0 offset:292
	buffer_load_dword v106, off, s[0:3], 0 offset:288
	buffer_load_dword v111, off, s[0:3], 0 offset:300
	buffer_load_dword v110, off, s[0:3], 0 offset:296
	s_waitcnt vmcnt(2)
	v_fmac_f64_e32 v[102:103], v[106:107], v[108:109]
	ds_read2_b64 v[106:109], v104 offset0:87 offset1:88
	s_waitcnt vmcnt(0) lgkmcnt(0)
	v_fmac_f64_e32 v[102:103], v[110:111], v[106:107]
	;; [unrolled: 9-line block ×6, first 2 shown]
	buffer_load_dword v107, off, s[0:3], 0 offset:372
	buffer_load_dword v106, off, s[0:3], 0 offset:368
	s_waitcnt vmcnt(0)
	v_fmac_f64_e32 v[102:103], v[106:107], v[108:109]
	buffer_load_dword v109, off, s[0:3], 0 offset:380
	buffer_load_dword v108, off, s[0:3], 0 offset:376
	ds_read2_b64 v[104:107], v104 offset0:97 offset1:98
	s_waitcnt vmcnt(0) lgkmcnt(0)
	v_fmac_f64_e32 v[102:103], v[108:109], v[104:105]
	buffer_load_dword v105, off, s[0:3], 0 offset:388
	buffer_load_dword v104, off, s[0:3], 0 offset:384
	s_waitcnt vmcnt(0)
	v_fmac_f64_e32 v[102:103], v[104:105], v[106:107]
	v_add_f64 v[100:101], v[100:101], -v[102:103]
	buffer_store_dword v101, off, s[0:3], 0 offset:212
	buffer_store_dword v100, off, s[0:3], 0 offset:208
	s_and_saveexec_b64 s[4:5], vcc
	s_cbranch_execz .LBB112_251
; %bb.250:
	buffer_load_dword v100, off, s[0:3], 0 offset:200
	buffer_load_dword v101, off, s[0:3], 0 offset:204
	v_mov_b32_e32 v102, 0
	buffer_store_dword v102, off, s[0:3], 0 offset:200
	buffer_store_dword v102, off, s[0:3], 0 offset:204
	s_waitcnt vmcnt(2)
	ds_write_b64 v1, v[100:101]
.LBB112_251:
	s_or_b64 exec, exec, s[4:5]
	s_waitcnt lgkmcnt(0)
	; wave barrier
	s_waitcnt lgkmcnt(0)
	buffer_load_dword v100, off, s[0:3], 0 offset:200
	buffer_load_dword v101, off, s[0:3], 0 offset:204
	;; [unrolled: 1-line block ×16, first 2 shown]
	v_mov_b32_e32 v104, 0
	ds_read_b128 v[106:109], v104 offset:608
	ds_read_b128 v[110:113], v104 offset:624
	;; [unrolled: 1-line block ×4, first 2 shown]
	v_cmp_lt_u32_e32 vcc, 24, v0
	s_waitcnt vmcnt(12) lgkmcnt(3)
	v_fma_f64 v[102:103], v[102:103], v[106:107], 0
	buffer_load_dword v107, off, s[0:3], 0 offset:268
	buffer_load_dword v106, off, s[0:3], 0 offset:264
	s_waitcnt vmcnt(12)
	v_fmac_f64_e32 v[102:103], v[122:123], v[108:109]
	s_waitcnt vmcnt(10) lgkmcnt(2)
	v_fmac_f64_e32 v[102:103], v[124:125], v[110:111]
	buffer_load_dword v111, off, s[0:3], 0 offset:276
	buffer_load_dword v110, off, s[0:3], 0 offset:272
	s_waitcnt vmcnt(10)
	v_fmac_f64_e32 v[102:103], v[126:127], v[112:113]
	s_waitcnt vmcnt(8) lgkmcnt(1)
	v_fmac_f64_e32 v[102:103], v[128:129], v[114:115]
	s_waitcnt vmcnt(6)
	v_fmac_f64_e32 v[102:103], v[130:131], v[116:117]
	s_waitcnt vmcnt(4) lgkmcnt(0)
	v_fmac_f64_e32 v[102:103], v[132:133], v[118:119]
	s_waitcnt vmcnt(2)
	v_fmac_f64_e32 v[102:103], v[106:107], v[120:121]
	ds_read_b128 v[106:109], v104 offset:672
	s_waitcnt vmcnt(0) lgkmcnt(0)
	v_fmac_f64_e32 v[102:103], v[110:111], v[106:107]
	buffer_load_dword v107, off, s[0:3], 0 offset:284
	buffer_load_dword v106, off, s[0:3], 0 offset:280
	buffer_load_dword v111, off, s[0:3], 0 offset:292
	buffer_load_dword v110, off, s[0:3], 0 offset:288
	s_waitcnt vmcnt(2)
	v_fmac_f64_e32 v[102:103], v[106:107], v[108:109]
	ds_read_b128 v[106:109], v104 offset:688
	s_waitcnt vmcnt(0) lgkmcnt(0)
	v_fmac_f64_e32 v[102:103], v[110:111], v[106:107]
	buffer_load_dword v107, off, s[0:3], 0 offset:300
	buffer_load_dword v106, off, s[0:3], 0 offset:296
	buffer_load_dword v111, off, s[0:3], 0 offset:308
	buffer_load_dword v110, off, s[0:3], 0 offset:304
	;; [unrolled: 9-line block ×6, first 2 shown]
	s_waitcnt vmcnt(2)
	v_fmac_f64_e32 v[102:103], v[106:107], v[108:109]
	ds_read_b128 v[106:109], v104 offset:768
	s_waitcnt vmcnt(0) lgkmcnt(0)
	v_fmac_f64_e32 v[102:103], v[110:111], v[106:107]
	buffer_load_dword v107, off, s[0:3], 0 offset:380
	buffer_load_dword v106, off, s[0:3], 0 offset:376
	s_waitcnt vmcnt(0)
	v_fmac_f64_e32 v[102:103], v[106:107], v[108:109]
	buffer_load_dword v107, off, s[0:3], 0 offset:388
	buffer_load_dword v106, off, s[0:3], 0 offset:384
	ds_read_b64 v[108:109], v104 offset:784
	s_waitcnt vmcnt(0) lgkmcnt(0)
	v_fmac_f64_e32 v[102:103], v[106:107], v[108:109]
	v_add_f64 v[100:101], v[100:101], -v[102:103]
	buffer_store_dword v101, off, s[0:3], 0 offset:204
	buffer_store_dword v100, off, s[0:3], 0 offset:200
	s_and_saveexec_b64 s[4:5], vcc
	s_cbranch_execz .LBB112_253
; %bb.252:
	buffer_load_dword v100, off, s[0:3], 0 offset:192
	buffer_load_dword v101, off, s[0:3], 0 offset:196
	s_waitcnt vmcnt(0)
	ds_write_b64 v1, v[100:101]
	buffer_store_dword v104, off, s[0:3], 0 offset:192
	buffer_store_dword v104, off, s[0:3], 0 offset:196
.LBB112_253:
	s_or_b64 exec, exec, s[4:5]
	s_waitcnt lgkmcnt(0)
	; wave barrier
	s_waitcnt lgkmcnt(0)
	buffer_load_dword v100, off, s[0:3], 0 offset:192
	buffer_load_dword v101, off, s[0:3], 0 offset:196
	;; [unrolled: 1-line block ×16, first 2 shown]
	ds_read2_b64 v[106:109], v104 offset0:75 offset1:76
	v_cmp_lt_u32_e32 vcc, 23, v0
	s_waitcnt vmcnt(12) lgkmcnt(0)
	v_fma_f64 v[102:103], v[102:103], v[106:107], 0
	s_waitcnt vmcnt(10)
	v_fmac_f64_e32 v[102:103], v[110:111], v[108:109]
	ds_read2_b64 v[106:109], v104 offset0:77 offset1:78
	s_waitcnt vmcnt(8) lgkmcnt(0)
	v_fmac_f64_e32 v[102:103], v[112:113], v[106:107]
	s_waitcnt vmcnt(6)
	v_fmac_f64_e32 v[102:103], v[114:115], v[108:109]
	ds_read2_b64 v[106:109], v104 offset0:79 offset1:80
	s_waitcnt vmcnt(4) lgkmcnt(0)
	v_fmac_f64_e32 v[102:103], v[116:117], v[106:107]
	;; [unrolled: 5-line block ×3, first 2 shown]
	buffer_load_dword v107, off, s[0:3], 0 offset:260
	buffer_load_dword v106, off, s[0:3], 0 offset:256
	buffer_load_dword v111, off, s[0:3], 0 offset:268
	buffer_load_dword v110, off, s[0:3], 0 offset:264
	s_waitcnt vmcnt(2)
	v_fmac_f64_e32 v[102:103], v[106:107], v[108:109]
	ds_read2_b64 v[106:109], v104 offset0:83 offset1:84
	s_waitcnt vmcnt(0) lgkmcnt(0)
	v_fmac_f64_e32 v[102:103], v[110:111], v[106:107]
	buffer_load_dword v107, off, s[0:3], 0 offset:276
	buffer_load_dword v106, off, s[0:3], 0 offset:272
	buffer_load_dword v111, off, s[0:3], 0 offset:284
	buffer_load_dword v110, off, s[0:3], 0 offset:280
	s_waitcnt vmcnt(2)
	v_fmac_f64_e32 v[102:103], v[106:107], v[108:109]
	ds_read2_b64 v[106:109], v104 offset0:85 offset1:86
	s_waitcnt vmcnt(0) lgkmcnt(0)
	v_fmac_f64_e32 v[102:103], v[110:111], v[106:107]
	;; [unrolled: 9-line block ×7, first 2 shown]
	buffer_load_dword v107, off, s[0:3], 0 offset:372
	buffer_load_dword v106, off, s[0:3], 0 offset:368
	s_waitcnt vmcnt(0)
	v_fmac_f64_e32 v[102:103], v[106:107], v[108:109]
	buffer_load_dword v109, off, s[0:3], 0 offset:380
	buffer_load_dword v108, off, s[0:3], 0 offset:376
	ds_read2_b64 v[104:107], v104 offset0:97 offset1:98
	s_waitcnt vmcnt(0) lgkmcnt(0)
	v_fmac_f64_e32 v[102:103], v[108:109], v[104:105]
	buffer_load_dword v105, off, s[0:3], 0 offset:388
	buffer_load_dword v104, off, s[0:3], 0 offset:384
	s_waitcnt vmcnt(0)
	v_fmac_f64_e32 v[102:103], v[104:105], v[106:107]
	v_add_f64 v[100:101], v[100:101], -v[102:103]
	buffer_store_dword v101, off, s[0:3], 0 offset:196
	buffer_store_dword v100, off, s[0:3], 0 offset:192
	s_and_saveexec_b64 s[4:5], vcc
	s_cbranch_execz .LBB112_255
; %bb.254:
	buffer_load_dword v100, off, s[0:3], 0 offset:184
	buffer_load_dword v101, off, s[0:3], 0 offset:188
	v_mov_b32_e32 v102, 0
	buffer_store_dword v102, off, s[0:3], 0 offset:184
	buffer_store_dword v102, off, s[0:3], 0 offset:188
	s_waitcnt vmcnt(2)
	ds_write_b64 v1, v[100:101]
.LBB112_255:
	s_or_b64 exec, exec, s[4:5]
	s_waitcnt lgkmcnt(0)
	; wave barrier
	s_waitcnt lgkmcnt(0)
	buffer_load_dword v100, off, s[0:3], 0 offset:184
	buffer_load_dword v101, off, s[0:3], 0 offset:188
	;; [unrolled: 1-line block ×16, first 2 shown]
	v_mov_b32_e32 v104, 0
	ds_read_b128 v[106:109], v104 offset:592
	ds_read_b128 v[110:113], v104 offset:608
	;; [unrolled: 1-line block ×4, first 2 shown]
	v_cmp_lt_u32_e32 vcc, 22, v0
	s_waitcnt vmcnt(12) lgkmcnt(3)
	v_fma_f64 v[102:103], v[102:103], v[106:107], 0
	buffer_load_dword v107, off, s[0:3], 0 offset:252
	buffer_load_dword v106, off, s[0:3], 0 offset:248
	s_waitcnt vmcnt(12)
	v_fmac_f64_e32 v[102:103], v[122:123], v[108:109]
	s_waitcnt vmcnt(10) lgkmcnt(2)
	v_fmac_f64_e32 v[102:103], v[124:125], v[110:111]
	buffer_load_dword v111, off, s[0:3], 0 offset:260
	buffer_load_dword v110, off, s[0:3], 0 offset:256
	s_waitcnt vmcnt(10)
	v_fmac_f64_e32 v[102:103], v[126:127], v[112:113]
	s_waitcnt vmcnt(8) lgkmcnt(1)
	v_fmac_f64_e32 v[102:103], v[128:129], v[114:115]
	s_waitcnt vmcnt(6)
	v_fmac_f64_e32 v[102:103], v[130:131], v[116:117]
	s_waitcnt vmcnt(4) lgkmcnt(0)
	v_fmac_f64_e32 v[102:103], v[132:133], v[118:119]
	s_waitcnt vmcnt(2)
	v_fmac_f64_e32 v[102:103], v[106:107], v[120:121]
	ds_read_b128 v[106:109], v104 offset:656
	s_waitcnt vmcnt(0) lgkmcnt(0)
	v_fmac_f64_e32 v[102:103], v[110:111], v[106:107]
	buffer_load_dword v107, off, s[0:3], 0 offset:268
	buffer_load_dword v106, off, s[0:3], 0 offset:264
	buffer_load_dword v111, off, s[0:3], 0 offset:276
	buffer_load_dword v110, off, s[0:3], 0 offset:272
	s_waitcnt vmcnt(2)
	v_fmac_f64_e32 v[102:103], v[106:107], v[108:109]
	ds_read_b128 v[106:109], v104 offset:672
	s_waitcnt vmcnt(0) lgkmcnt(0)
	v_fmac_f64_e32 v[102:103], v[110:111], v[106:107]
	buffer_load_dword v107, off, s[0:3], 0 offset:284
	buffer_load_dword v106, off, s[0:3], 0 offset:280
	buffer_load_dword v111, off, s[0:3], 0 offset:292
	buffer_load_dword v110, off, s[0:3], 0 offset:288
	;; [unrolled: 9-line block ×7, first 2 shown]
	s_waitcnt vmcnt(2)
	v_fmac_f64_e32 v[102:103], v[106:107], v[108:109]
	ds_read_b128 v[106:109], v104 offset:768
	s_waitcnt vmcnt(0) lgkmcnt(0)
	v_fmac_f64_e32 v[102:103], v[110:111], v[106:107]
	buffer_load_dword v107, off, s[0:3], 0 offset:380
	buffer_load_dword v106, off, s[0:3], 0 offset:376
	s_waitcnt vmcnt(0)
	v_fmac_f64_e32 v[102:103], v[106:107], v[108:109]
	buffer_load_dword v107, off, s[0:3], 0 offset:388
	buffer_load_dword v106, off, s[0:3], 0 offset:384
	ds_read_b64 v[108:109], v104 offset:784
	s_waitcnt vmcnt(0) lgkmcnt(0)
	v_fmac_f64_e32 v[102:103], v[106:107], v[108:109]
	v_add_f64 v[100:101], v[100:101], -v[102:103]
	buffer_store_dword v101, off, s[0:3], 0 offset:188
	buffer_store_dword v100, off, s[0:3], 0 offset:184
	s_and_saveexec_b64 s[4:5], vcc
	s_cbranch_execz .LBB112_257
; %bb.256:
	buffer_load_dword v100, off, s[0:3], 0 offset:176
	buffer_load_dword v101, off, s[0:3], 0 offset:180
	s_waitcnt vmcnt(0)
	ds_write_b64 v1, v[100:101]
	buffer_store_dword v104, off, s[0:3], 0 offset:176
	buffer_store_dword v104, off, s[0:3], 0 offset:180
.LBB112_257:
	s_or_b64 exec, exec, s[4:5]
	s_waitcnt lgkmcnt(0)
	; wave barrier
	s_waitcnt lgkmcnt(0)
	buffer_load_dword v100, off, s[0:3], 0 offset:176
	buffer_load_dword v101, off, s[0:3], 0 offset:180
	;; [unrolled: 1-line block ×16, first 2 shown]
	ds_read2_b64 v[106:109], v104 offset0:73 offset1:74
	v_cmp_lt_u32_e32 vcc, 21, v0
	s_waitcnt vmcnt(12) lgkmcnt(0)
	v_fma_f64 v[102:103], v[102:103], v[106:107], 0
	s_waitcnt vmcnt(10)
	v_fmac_f64_e32 v[102:103], v[110:111], v[108:109]
	ds_read2_b64 v[106:109], v104 offset0:75 offset1:76
	s_waitcnt vmcnt(8) lgkmcnt(0)
	v_fmac_f64_e32 v[102:103], v[112:113], v[106:107]
	s_waitcnt vmcnt(6)
	v_fmac_f64_e32 v[102:103], v[114:115], v[108:109]
	ds_read2_b64 v[106:109], v104 offset0:77 offset1:78
	s_waitcnt vmcnt(4) lgkmcnt(0)
	v_fmac_f64_e32 v[102:103], v[116:117], v[106:107]
	s_waitcnt vmcnt(2)
	v_fmac_f64_e32 v[102:103], v[118:119], v[108:109]
	ds_read2_b64 v[106:109], v104 offset0:79 offset1:80
	s_waitcnt vmcnt(0) lgkmcnt(0)
	v_fmac_f64_e32 v[102:103], v[120:121], v[106:107]
	buffer_load_dword v107, off, s[0:3], 0 offset:244
	buffer_load_dword v106, off, s[0:3], 0 offset:240
	buffer_load_dword v111, off, s[0:3], 0 offset:252
	buffer_load_dword v110, off, s[0:3], 0 offset:248
	s_waitcnt vmcnt(2)
	v_fmac_f64_e32 v[102:103], v[106:107], v[108:109]
	ds_read2_b64 v[106:109], v104 offset0:81 offset1:82
	s_waitcnt vmcnt(0) lgkmcnt(0)
	v_fmac_f64_e32 v[102:103], v[110:111], v[106:107]
	buffer_load_dword v107, off, s[0:3], 0 offset:260
	buffer_load_dword v106, off, s[0:3], 0 offset:256
	buffer_load_dword v111, off, s[0:3], 0 offset:268
	buffer_load_dword v110, off, s[0:3], 0 offset:264
	s_waitcnt vmcnt(2)
	v_fmac_f64_e32 v[102:103], v[106:107], v[108:109]
	ds_read2_b64 v[106:109], v104 offset0:83 offset1:84
	s_waitcnt vmcnt(0) lgkmcnt(0)
	v_fmac_f64_e32 v[102:103], v[110:111], v[106:107]
	;; [unrolled: 9-line block ×8, first 2 shown]
	buffer_load_dword v107, off, s[0:3], 0 offset:372
	buffer_load_dword v106, off, s[0:3], 0 offset:368
	s_waitcnt vmcnt(0)
	v_fmac_f64_e32 v[102:103], v[106:107], v[108:109]
	buffer_load_dword v109, off, s[0:3], 0 offset:380
	buffer_load_dword v108, off, s[0:3], 0 offset:376
	ds_read2_b64 v[104:107], v104 offset0:97 offset1:98
	s_waitcnt vmcnt(0) lgkmcnt(0)
	v_fmac_f64_e32 v[102:103], v[108:109], v[104:105]
	buffer_load_dword v105, off, s[0:3], 0 offset:388
	buffer_load_dword v104, off, s[0:3], 0 offset:384
	s_waitcnt vmcnt(0)
	v_fmac_f64_e32 v[102:103], v[104:105], v[106:107]
	v_add_f64 v[100:101], v[100:101], -v[102:103]
	buffer_store_dword v101, off, s[0:3], 0 offset:180
	buffer_store_dword v100, off, s[0:3], 0 offset:176
	s_and_saveexec_b64 s[4:5], vcc
	s_cbranch_execz .LBB112_259
; %bb.258:
	buffer_load_dword v100, off, s[0:3], 0 offset:168
	buffer_load_dword v101, off, s[0:3], 0 offset:172
	v_mov_b32_e32 v102, 0
	buffer_store_dword v102, off, s[0:3], 0 offset:168
	buffer_store_dword v102, off, s[0:3], 0 offset:172
	s_waitcnt vmcnt(2)
	ds_write_b64 v1, v[100:101]
.LBB112_259:
	s_or_b64 exec, exec, s[4:5]
	s_waitcnt lgkmcnt(0)
	; wave barrier
	s_waitcnt lgkmcnt(0)
	buffer_load_dword v100, off, s[0:3], 0 offset:168
	buffer_load_dword v101, off, s[0:3], 0 offset:172
	;; [unrolled: 1-line block ×16, first 2 shown]
	v_mov_b32_e32 v104, 0
	ds_read_b128 v[106:109], v104 offset:576
	ds_read_b128 v[110:113], v104 offset:592
	;; [unrolled: 1-line block ×4, first 2 shown]
	v_cmp_lt_u32_e32 vcc, 20, v0
	s_waitcnt vmcnt(12) lgkmcnt(3)
	v_fma_f64 v[102:103], v[102:103], v[106:107], 0
	buffer_load_dword v107, off, s[0:3], 0 offset:236
	buffer_load_dword v106, off, s[0:3], 0 offset:232
	s_waitcnt vmcnt(12)
	v_fmac_f64_e32 v[102:103], v[122:123], v[108:109]
	s_waitcnt vmcnt(10) lgkmcnt(2)
	v_fmac_f64_e32 v[102:103], v[124:125], v[110:111]
	buffer_load_dword v111, off, s[0:3], 0 offset:244
	buffer_load_dword v110, off, s[0:3], 0 offset:240
	s_waitcnt vmcnt(10)
	v_fmac_f64_e32 v[102:103], v[126:127], v[112:113]
	s_waitcnt vmcnt(8) lgkmcnt(1)
	v_fmac_f64_e32 v[102:103], v[128:129], v[114:115]
	s_waitcnt vmcnt(6)
	v_fmac_f64_e32 v[102:103], v[130:131], v[116:117]
	s_waitcnt vmcnt(4) lgkmcnt(0)
	v_fmac_f64_e32 v[102:103], v[132:133], v[118:119]
	s_waitcnt vmcnt(2)
	v_fmac_f64_e32 v[102:103], v[106:107], v[120:121]
	ds_read_b128 v[106:109], v104 offset:640
	s_waitcnt vmcnt(0) lgkmcnt(0)
	v_fmac_f64_e32 v[102:103], v[110:111], v[106:107]
	buffer_load_dword v107, off, s[0:3], 0 offset:252
	buffer_load_dword v106, off, s[0:3], 0 offset:248
	buffer_load_dword v111, off, s[0:3], 0 offset:260
	buffer_load_dword v110, off, s[0:3], 0 offset:256
	s_waitcnt vmcnt(2)
	v_fmac_f64_e32 v[102:103], v[106:107], v[108:109]
	ds_read_b128 v[106:109], v104 offset:656
	s_waitcnt vmcnt(0) lgkmcnt(0)
	v_fmac_f64_e32 v[102:103], v[110:111], v[106:107]
	buffer_load_dword v107, off, s[0:3], 0 offset:268
	buffer_load_dword v106, off, s[0:3], 0 offset:264
	buffer_load_dword v111, off, s[0:3], 0 offset:276
	buffer_load_dword v110, off, s[0:3], 0 offset:272
	;; [unrolled: 9-line block ×8, first 2 shown]
	s_waitcnt vmcnt(2)
	v_fmac_f64_e32 v[102:103], v[106:107], v[108:109]
	ds_read_b128 v[106:109], v104 offset:768
	s_waitcnt vmcnt(0) lgkmcnt(0)
	v_fmac_f64_e32 v[102:103], v[110:111], v[106:107]
	buffer_load_dword v107, off, s[0:3], 0 offset:380
	buffer_load_dword v106, off, s[0:3], 0 offset:376
	s_waitcnt vmcnt(0)
	v_fmac_f64_e32 v[102:103], v[106:107], v[108:109]
	buffer_load_dword v107, off, s[0:3], 0 offset:388
	buffer_load_dword v106, off, s[0:3], 0 offset:384
	ds_read_b64 v[108:109], v104 offset:784
	s_waitcnt vmcnt(0) lgkmcnt(0)
	v_fmac_f64_e32 v[102:103], v[106:107], v[108:109]
	v_add_f64 v[100:101], v[100:101], -v[102:103]
	buffer_store_dword v101, off, s[0:3], 0 offset:172
	buffer_store_dword v100, off, s[0:3], 0 offset:168
	s_and_saveexec_b64 s[4:5], vcc
	s_cbranch_execz .LBB112_261
; %bb.260:
	buffer_load_dword v100, off, s[0:3], 0 offset:160
	buffer_load_dword v101, off, s[0:3], 0 offset:164
	s_waitcnt vmcnt(0)
	ds_write_b64 v1, v[100:101]
	buffer_store_dword v104, off, s[0:3], 0 offset:160
	buffer_store_dword v104, off, s[0:3], 0 offset:164
.LBB112_261:
	s_or_b64 exec, exec, s[4:5]
	s_waitcnt lgkmcnt(0)
	; wave barrier
	s_waitcnt lgkmcnt(0)
	buffer_load_dword v100, off, s[0:3], 0 offset:160
	buffer_load_dword v101, off, s[0:3], 0 offset:164
	;; [unrolled: 1-line block ×16, first 2 shown]
	ds_read2_b64 v[106:109], v104 offset0:71 offset1:72
	v_cmp_lt_u32_e32 vcc, 19, v0
	s_waitcnt vmcnt(12) lgkmcnt(0)
	v_fma_f64 v[102:103], v[102:103], v[106:107], 0
	s_waitcnt vmcnt(10)
	v_fmac_f64_e32 v[102:103], v[110:111], v[108:109]
	ds_read2_b64 v[106:109], v104 offset0:73 offset1:74
	s_waitcnt vmcnt(8) lgkmcnt(0)
	v_fmac_f64_e32 v[102:103], v[112:113], v[106:107]
	s_waitcnt vmcnt(6)
	v_fmac_f64_e32 v[102:103], v[114:115], v[108:109]
	ds_read2_b64 v[106:109], v104 offset0:75 offset1:76
	s_waitcnt vmcnt(4) lgkmcnt(0)
	v_fmac_f64_e32 v[102:103], v[116:117], v[106:107]
	;; [unrolled: 5-line block ×3, first 2 shown]
	buffer_load_dword v107, off, s[0:3], 0 offset:228
	buffer_load_dword v106, off, s[0:3], 0 offset:224
	buffer_load_dword v111, off, s[0:3], 0 offset:236
	buffer_load_dword v110, off, s[0:3], 0 offset:232
	s_waitcnt vmcnt(2)
	v_fmac_f64_e32 v[102:103], v[106:107], v[108:109]
	ds_read2_b64 v[106:109], v104 offset0:79 offset1:80
	s_waitcnt vmcnt(0) lgkmcnt(0)
	v_fmac_f64_e32 v[102:103], v[110:111], v[106:107]
	buffer_load_dword v107, off, s[0:3], 0 offset:244
	buffer_load_dword v106, off, s[0:3], 0 offset:240
	buffer_load_dword v111, off, s[0:3], 0 offset:252
	buffer_load_dword v110, off, s[0:3], 0 offset:248
	s_waitcnt vmcnt(2)
	v_fmac_f64_e32 v[102:103], v[106:107], v[108:109]
	ds_read2_b64 v[106:109], v104 offset0:81 offset1:82
	s_waitcnt vmcnt(0) lgkmcnt(0)
	v_fmac_f64_e32 v[102:103], v[110:111], v[106:107]
	;; [unrolled: 9-line block ×9, first 2 shown]
	buffer_load_dword v107, off, s[0:3], 0 offset:372
	buffer_load_dword v106, off, s[0:3], 0 offset:368
	s_waitcnt vmcnt(0)
	v_fmac_f64_e32 v[102:103], v[106:107], v[108:109]
	buffer_load_dword v109, off, s[0:3], 0 offset:380
	buffer_load_dword v108, off, s[0:3], 0 offset:376
	ds_read2_b64 v[104:107], v104 offset0:97 offset1:98
	s_waitcnt vmcnt(0) lgkmcnt(0)
	v_fmac_f64_e32 v[102:103], v[108:109], v[104:105]
	buffer_load_dword v105, off, s[0:3], 0 offset:388
	buffer_load_dword v104, off, s[0:3], 0 offset:384
	s_waitcnt vmcnt(0)
	v_fmac_f64_e32 v[102:103], v[104:105], v[106:107]
	v_add_f64 v[100:101], v[100:101], -v[102:103]
	buffer_store_dword v101, off, s[0:3], 0 offset:164
	buffer_store_dword v100, off, s[0:3], 0 offset:160
	s_and_saveexec_b64 s[4:5], vcc
	s_cbranch_execz .LBB112_263
; %bb.262:
	buffer_load_dword v100, off, s[0:3], 0 offset:152
	buffer_load_dword v101, off, s[0:3], 0 offset:156
	v_mov_b32_e32 v102, 0
	buffer_store_dword v102, off, s[0:3], 0 offset:152
	buffer_store_dword v102, off, s[0:3], 0 offset:156
	s_waitcnt vmcnt(2)
	ds_write_b64 v1, v[100:101]
.LBB112_263:
	s_or_b64 exec, exec, s[4:5]
	s_waitcnt lgkmcnt(0)
	; wave barrier
	s_waitcnt lgkmcnt(0)
	buffer_load_dword v100, off, s[0:3], 0 offset:152
	buffer_load_dword v101, off, s[0:3], 0 offset:156
	;; [unrolled: 1-line block ×16, first 2 shown]
	v_mov_b32_e32 v104, 0
	ds_read_b128 v[106:109], v104 offset:560
	ds_read_b128 v[110:113], v104 offset:576
	;; [unrolled: 1-line block ×4, first 2 shown]
	v_cmp_lt_u32_e32 vcc, 18, v0
	s_waitcnt vmcnt(12) lgkmcnt(3)
	v_fma_f64 v[102:103], v[102:103], v[106:107], 0
	buffer_load_dword v107, off, s[0:3], 0 offset:220
	buffer_load_dword v106, off, s[0:3], 0 offset:216
	s_waitcnt vmcnt(12)
	v_fmac_f64_e32 v[102:103], v[122:123], v[108:109]
	s_waitcnt vmcnt(10) lgkmcnt(2)
	v_fmac_f64_e32 v[102:103], v[124:125], v[110:111]
	buffer_load_dword v111, off, s[0:3], 0 offset:228
	buffer_load_dword v110, off, s[0:3], 0 offset:224
	s_waitcnt vmcnt(10)
	v_fmac_f64_e32 v[102:103], v[126:127], v[112:113]
	s_waitcnt vmcnt(8) lgkmcnt(1)
	v_fmac_f64_e32 v[102:103], v[128:129], v[114:115]
	s_waitcnt vmcnt(6)
	v_fmac_f64_e32 v[102:103], v[130:131], v[116:117]
	s_waitcnt vmcnt(4) lgkmcnt(0)
	v_fmac_f64_e32 v[102:103], v[132:133], v[118:119]
	s_waitcnt vmcnt(2)
	v_fmac_f64_e32 v[102:103], v[106:107], v[120:121]
	ds_read_b128 v[106:109], v104 offset:624
	s_waitcnt vmcnt(0) lgkmcnt(0)
	v_fmac_f64_e32 v[102:103], v[110:111], v[106:107]
	buffer_load_dword v107, off, s[0:3], 0 offset:236
	buffer_load_dword v106, off, s[0:3], 0 offset:232
	buffer_load_dword v111, off, s[0:3], 0 offset:244
	buffer_load_dword v110, off, s[0:3], 0 offset:240
	s_waitcnt vmcnt(2)
	v_fmac_f64_e32 v[102:103], v[106:107], v[108:109]
	ds_read_b128 v[106:109], v104 offset:640
	s_waitcnt vmcnt(0) lgkmcnt(0)
	v_fmac_f64_e32 v[102:103], v[110:111], v[106:107]
	buffer_load_dword v107, off, s[0:3], 0 offset:252
	buffer_load_dword v106, off, s[0:3], 0 offset:248
	buffer_load_dword v111, off, s[0:3], 0 offset:260
	buffer_load_dword v110, off, s[0:3], 0 offset:256
	;; [unrolled: 9-line block ×9, first 2 shown]
	s_waitcnt vmcnt(2)
	v_fmac_f64_e32 v[102:103], v[106:107], v[108:109]
	ds_read_b128 v[106:109], v104 offset:768
	s_waitcnt vmcnt(0) lgkmcnt(0)
	v_fmac_f64_e32 v[102:103], v[110:111], v[106:107]
	buffer_load_dword v107, off, s[0:3], 0 offset:380
	buffer_load_dword v106, off, s[0:3], 0 offset:376
	s_waitcnt vmcnt(0)
	v_fmac_f64_e32 v[102:103], v[106:107], v[108:109]
	buffer_load_dword v107, off, s[0:3], 0 offset:388
	buffer_load_dword v106, off, s[0:3], 0 offset:384
	ds_read_b64 v[108:109], v104 offset:784
	s_waitcnt vmcnt(0) lgkmcnt(0)
	v_fmac_f64_e32 v[102:103], v[106:107], v[108:109]
	v_add_f64 v[100:101], v[100:101], -v[102:103]
	buffer_store_dword v101, off, s[0:3], 0 offset:156
	buffer_store_dword v100, off, s[0:3], 0 offset:152
	s_and_saveexec_b64 s[4:5], vcc
	s_cbranch_execz .LBB112_265
; %bb.264:
	buffer_load_dword v100, off, s[0:3], 0 offset:144
	buffer_load_dword v101, off, s[0:3], 0 offset:148
	s_waitcnt vmcnt(0)
	ds_write_b64 v1, v[100:101]
	buffer_store_dword v104, off, s[0:3], 0 offset:144
	buffer_store_dword v104, off, s[0:3], 0 offset:148
.LBB112_265:
	s_or_b64 exec, exec, s[4:5]
	s_waitcnt lgkmcnt(0)
	; wave barrier
	s_waitcnt lgkmcnt(0)
	buffer_load_dword v100, off, s[0:3], 0 offset:144
	buffer_load_dword v101, off, s[0:3], 0 offset:148
	;; [unrolled: 1-line block ×16, first 2 shown]
	ds_read2_b64 v[106:109], v104 offset0:69 offset1:70
	v_cmp_lt_u32_e32 vcc, 17, v0
	s_waitcnt vmcnt(12) lgkmcnt(0)
	v_fma_f64 v[102:103], v[102:103], v[106:107], 0
	s_waitcnt vmcnt(10)
	v_fmac_f64_e32 v[102:103], v[110:111], v[108:109]
	ds_read2_b64 v[106:109], v104 offset0:71 offset1:72
	s_waitcnt vmcnt(8) lgkmcnt(0)
	v_fmac_f64_e32 v[102:103], v[112:113], v[106:107]
	s_waitcnt vmcnt(6)
	v_fmac_f64_e32 v[102:103], v[114:115], v[108:109]
	ds_read2_b64 v[106:109], v104 offset0:73 offset1:74
	s_waitcnt vmcnt(4) lgkmcnt(0)
	v_fmac_f64_e32 v[102:103], v[116:117], v[106:107]
	;; [unrolled: 5-line block ×3, first 2 shown]
	buffer_load_dword v107, off, s[0:3], 0 offset:212
	buffer_load_dword v106, off, s[0:3], 0 offset:208
	buffer_load_dword v111, off, s[0:3], 0 offset:220
	buffer_load_dword v110, off, s[0:3], 0 offset:216
	s_waitcnt vmcnt(2)
	v_fmac_f64_e32 v[102:103], v[106:107], v[108:109]
	ds_read2_b64 v[106:109], v104 offset0:77 offset1:78
	s_waitcnt vmcnt(0) lgkmcnt(0)
	v_fmac_f64_e32 v[102:103], v[110:111], v[106:107]
	buffer_load_dword v107, off, s[0:3], 0 offset:228
	buffer_load_dword v106, off, s[0:3], 0 offset:224
	buffer_load_dword v111, off, s[0:3], 0 offset:236
	buffer_load_dword v110, off, s[0:3], 0 offset:232
	s_waitcnt vmcnt(2)
	v_fmac_f64_e32 v[102:103], v[106:107], v[108:109]
	ds_read2_b64 v[106:109], v104 offset0:79 offset1:80
	s_waitcnt vmcnt(0) lgkmcnt(0)
	v_fmac_f64_e32 v[102:103], v[110:111], v[106:107]
	;; [unrolled: 9-line block ×10, first 2 shown]
	buffer_load_dword v107, off, s[0:3], 0 offset:372
	buffer_load_dword v106, off, s[0:3], 0 offset:368
	s_waitcnt vmcnt(0)
	v_fmac_f64_e32 v[102:103], v[106:107], v[108:109]
	buffer_load_dword v109, off, s[0:3], 0 offset:380
	buffer_load_dword v108, off, s[0:3], 0 offset:376
	ds_read2_b64 v[104:107], v104 offset0:97 offset1:98
	s_waitcnt vmcnt(0) lgkmcnt(0)
	v_fmac_f64_e32 v[102:103], v[108:109], v[104:105]
	buffer_load_dword v105, off, s[0:3], 0 offset:388
	buffer_load_dword v104, off, s[0:3], 0 offset:384
	s_waitcnt vmcnt(0)
	v_fmac_f64_e32 v[102:103], v[104:105], v[106:107]
	v_add_f64 v[100:101], v[100:101], -v[102:103]
	buffer_store_dword v101, off, s[0:3], 0 offset:148
	buffer_store_dword v100, off, s[0:3], 0 offset:144
	s_and_saveexec_b64 s[4:5], vcc
	s_cbranch_execz .LBB112_267
; %bb.266:
	buffer_load_dword v100, off, s[0:3], 0 offset:136
	buffer_load_dword v101, off, s[0:3], 0 offset:140
	v_mov_b32_e32 v102, 0
	buffer_store_dword v102, off, s[0:3], 0 offset:136
	buffer_store_dword v102, off, s[0:3], 0 offset:140
	s_waitcnt vmcnt(2)
	ds_write_b64 v1, v[100:101]
.LBB112_267:
	s_or_b64 exec, exec, s[4:5]
	s_waitcnt lgkmcnt(0)
	; wave barrier
	s_waitcnt lgkmcnt(0)
	buffer_load_dword v100, off, s[0:3], 0 offset:136
	buffer_load_dword v101, off, s[0:3], 0 offset:140
	;; [unrolled: 1-line block ×16, first 2 shown]
	v_mov_b32_e32 v104, 0
	ds_read_b128 v[106:109], v104 offset:544
	ds_read_b128 v[110:113], v104 offset:560
	;; [unrolled: 1-line block ×4, first 2 shown]
	v_cmp_lt_u32_e32 vcc, 16, v0
	s_waitcnt vmcnt(12) lgkmcnt(3)
	v_fma_f64 v[102:103], v[102:103], v[106:107], 0
	buffer_load_dword v107, off, s[0:3], 0 offset:204
	buffer_load_dword v106, off, s[0:3], 0 offset:200
	s_waitcnt vmcnt(12)
	v_fmac_f64_e32 v[102:103], v[122:123], v[108:109]
	s_waitcnt vmcnt(10) lgkmcnt(2)
	v_fmac_f64_e32 v[102:103], v[124:125], v[110:111]
	buffer_load_dword v111, off, s[0:3], 0 offset:212
	buffer_load_dword v110, off, s[0:3], 0 offset:208
	s_waitcnt vmcnt(10)
	v_fmac_f64_e32 v[102:103], v[126:127], v[112:113]
	s_waitcnt vmcnt(8) lgkmcnt(1)
	v_fmac_f64_e32 v[102:103], v[128:129], v[114:115]
	s_waitcnt vmcnt(6)
	v_fmac_f64_e32 v[102:103], v[130:131], v[116:117]
	s_waitcnt vmcnt(4) lgkmcnt(0)
	v_fmac_f64_e32 v[102:103], v[132:133], v[118:119]
	s_waitcnt vmcnt(2)
	v_fmac_f64_e32 v[102:103], v[106:107], v[120:121]
	ds_read_b128 v[106:109], v104 offset:608
	s_waitcnt vmcnt(0) lgkmcnt(0)
	v_fmac_f64_e32 v[102:103], v[110:111], v[106:107]
	buffer_load_dword v107, off, s[0:3], 0 offset:220
	buffer_load_dword v106, off, s[0:3], 0 offset:216
	buffer_load_dword v111, off, s[0:3], 0 offset:228
	buffer_load_dword v110, off, s[0:3], 0 offset:224
	s_waitcnt vmcnt(2)
	v_fmac_f64_e32 v[102:103], v[106:107], v[108:109]
	ds_read_b128 v[106:109], v104 offset:624
	s_waitcnt vmcnt(0) lgkmcnt(0)
	v_fmac_f64_e32 v[102:103], v[110:111], v[106:107]
	buffer_load_dword v107, off, s[0:3], 0 offset:236
	buffer_load_dword v106, off, s[0:3], 0 offset:232
	buffer_load_dword v111, off, s[0:3], 0 offset:244
	buffer_load_dword v110, off, s[0:3], 0 offset:240
	;; [unrolled: 9-line block ×10, first 2 shown]
	s_waitcnt vmcnt(2)
	v_fmac_f64_e32 v[102:103], v[106:107], v[108:109]
	ds_read_b128 v[106:109], v104 offset:768
	s_waitcnt vmcnt(0) lgkmcnt(0)
	v_fmac_f64_e32 v[102:103], v[110:111], v[106:107]
	buffer_load_dword v107, off, s[0:3], 0 offset:380
	buffer_load_dword v106, off, s[0:3], 0 offset:376
	s_waitcnt vmcnt(0)
	v_fmac_f64_e32 v[102:103], v[106:107], v[108:109]
	buffer_load_dword v107, off, s[0:3], 0 offset:388
	buffer_load_dword v106, off, s[0:3], 0 offset:384
	ds_read_b64 v[108:109], v104 offset:784
	s_waitcnt vmcnt(0) lgkmcnt(0)
	v_fmac_f64_e32 v[102:103], v[106:107], v[108:109]
	v_add_f64 v[100:101], v[100:101], -v[102:103]
	buffer_store_dword v101, off, s[0:3], 0 offset:140
	buffer_store_dword v100, off, s[0:3], 0 offset:136
	s_and_saveexec_b64 s[4:5], vcc
	s_cbranch_execz .LBB112_269
; %bb.268:
	buffer_load_dword v100, off, s[0:3], 0 offset:128
	buffer_load_dword v101, off, s[0:3], 0 offset:132
	s_waitcnt vmcnt(0)
	ds_write_b64 v1, v[100:101]
	buffer_store_dword v104, off, s[0:3], 0 offset:128
	buffer_store_dword v104, off, s[0:3], 0 offset:132
.LBB112_269:
	s_or_b64 exec, exec, s[4:5]
	s_waitcnt lgkmcnt(0)
	; wave barrier
	s_waitcnt lgkmcnt(0)
	buffer_load_dword v100, off, s[0:3], 0 offset:128
	buffer_load_dword v101, off, s[0:3], 0 offset:132
	;; [unrolled: 1-line block ×16, first 2 shown]
	ds_read2_b64 v[106:109], v104 offset0:67 offset1:68
	v_cmp_lt_u32_e32 vcc, 15, v0
	s_waitcnt vmcnt(12) lgkmcnt(0)
	v_fma_f64 v[102:103], v[102:103], v[106:107], 0
	s_waitcnt vmcnt(10)
	v_fmac_f64_e32 v[102:103], v[110:111], v[108:109]
	ds_read2_b64 v[106:109], v104 offset0:69 offset1:70
	s_waitcnt vmcnt(8) lgkmcnt(0)
	v_fmac_f64_e32 v[102:103], v[112:113], v[106:107]
	s_waitcnt vmcnt(6)
	v_fmac_f64_e32 v[102:103], v[114:115], v[108:109]
	ds_read2_b64 v[106:109], v104 offset0:71 offset1:72
	s_waitcnt vmcnt(4) lgkmcnt(0)
	v_fmac_f64_e32 v[102:103], v[116:117], v[106:107]
	;; [unrolled: 5-line block ×3, first 2 shown]
	buffer_load_dword v107, off, s[0:3], 0 offset:196
	buffer_load_dword v106, off, s[0:3], 0 offset:192
	buffer_load_dword v111, off, s[0:3], 0 offset:204
	buffer_load_dword v110, off, s[0:3], 0 offset:200
	s_waitcnt vmcnt(2)
	v_fmac_f64_e32 v[102:103], v[106:107], v[108:109]
	ds_read2_b64 v[106:109], v104 offset0:75 offset1:76
	s_waitcnt vmcnt(0) lgkmcnt(0)
	v_fmac_f64_e32 v[102:103], v[110:111], v[106:107]
	buffer_load_dword v107, off, s[0:3], 0 offset:212
	buffer_load_dword v106, off, s[0:3], 0 offset:208
	buffer_load_dword v111, off, s[0:3], 0 offset:220
	buffer_load_dword v110, off, s[0:3], 0 offset:216
	s_waitcnt vmcnt(2)
	v_fmac_f64_e32 v[102:103], v[106:107], v[108:109]
	ds_read2_b64 v[106:109], v104 offset0:77 offset1:78
	s_waitcnt vmcnt(0) lgkmcnt(0)
	v_fmac_f64_e32 v[102:103], v[110:111], v[106:107]
	;; [unrolled: 9-line block ×11, first 2 shown]
	buffer_load_dword v107, off, s[0:3], 0 offset:372
	buffer_load_dword v106, off, s[0:3], 0 offset:368
	s_waitcnt vmcnt(0)
	v_fmac_f64_e32 v[102:103], v[106:107], v[108:109]
	buffer_load_dword v109, off, s[0:3], 0 offset:380
	buffer_load_dword v108, off, s[0:3], 0 offset:376
	ds_read2_b64 v[104:107], v104 offset0:97 offset1:98
	s_waitcnt vmcnt(0) lgkmcnt(0)
	v_fmac_f64_e32 v[102:103], v[108:109], v[104:105]
	buffer_load_dword v105, off, s[0:3], 0 offset:388
	buffer_load_dword v104, off, s[0:3], 0 offset:384
	s_waitcnt vmcnt(0)
	v_fmac_f64_e32 v[102:103], v[104:105], v[106:107]
	v_add_f64 v[100:101], v[100:101], -v[102:103]
	buffer_store_dword v101, off, s[0:3], 0 offset:132
	buffer_store_dword v100, off, s[0:3], 0 offset:128
	s_and_saveexec_b64 s[4:5], vcc
	s_cbranch_execz .LBB112_271
; %bb.270:
	buffer_load_dword v100, off, s[0:3], 0 offset:120
	buffer_load_dword v101, off, s[0:3], 0 offset:124
	v_mov_b32_e32 v102, 0
	buffer_store_dword v102, off, s[0:3], 0 offset:120
	buffer_store_dword v102, off, s[0:3], 0 offset:124
	s_waitcnt vmcnt(2)
	ds_write_b64 v1, v[100:101]
.LBB112_271:
	s_or_b64 exec, exec, s[4:5]
	s_waitcnt lgkmcnt(0)
	; wave barrier
	s_waitcnt lgkmcnt(0)
	buffer_load_dword v100, off, s[0:3], 0 offset:120
	buffer_load_dword v101, off, s[0:3], 0 offset:124
	;; [unrolled: 1-line block ×16, first 2 shown]
	v_mov_b32_e32 v104, 0
	ds_read_b128 v[106:109], v104 offset:528
	ds_read_b128 v[110:113], v104 offset:544
	;; [unrolled: 1-line block ×4, first 2 shown]
	v_cmp_lt_u32_e32 vcc, 14, v0
	s_waitcnt vmcnt(12) lgkmcnt(3)
	v_fma_f64 v[102:103], v[102:103], v[106:107], 0
	buffer_load_dword v107, off, s[0:3], 0 offset:188
	buffer_load_dword v106, off, s[0:3], 0 offset:184
	s_waitcnt vmcnt(12)
	v_fmac_f64_e32 v[102:103], v[122:123], v[108:109]
	s_waitcnt vmcnt(10) lgkmcnt(2)
	v_fmac_f64_e32 v[102:103], v[124:125], v[110:111]
	buffer_load_dword v111, off, s[0:3], 0 offset:196
	buffer_load_dword v110, off, s[0:3], 0 offset:192
	s_waitcnt vmcnt(10)
	v_fmac_f64_e32 v[102:103], v[126:127], v[112:113]
	s_waitcnt vmcnt(8) lgkmcnt(1)
	v_fmac_f64_e32 v[102:103], v[128:129], v[114:115]
	s_waitcnt vmcnt(6)
	v_fmac_f64_e32 v[102:103], v[130:131], v[116:117]
	s_waitcnt vmcnt(4) lgkmcnt(0)
	v_fmac_f64_e32 v[102:103], v[132:133], v[118:119]
	s_waitcnt vmcnt(2)
	v_fmac_f64_e32 v[102:103], v[106:107], v[120:121]
	ds_read_b128 v[106:109], v104 offset:592
	s_waitcnt vmcnt(0) lgkmcnt(0)
	v_fmac_f64_e32 v[102:103], v[110:111], v[106:107]
	buffer_load_dword v107, off, s[0:3], 0 offset:204
	buffer_load_dword v106, off, s[0:3], 0 offset:200
	buffer_load_dword v111, off, s[0:3], 0 offset:212
	buffer_load_dword v110, off, s[0:3], 0 offset:208
	s_waitcnt vmcnt(2)
	v_fmac_f64_e32 v[102:103], v[106:107], v[108:109]
	ds_read_b128 v[106:109], v104 offset:608
	s_waitcnt vmcnt(0) lgkmcnt(0)
	v_fmac_f64_e32 v[102:103], v[110:111], v[106:107]
	buffer_load_dword v107, off, s[0:3], 0 offset:220
	buffer_load_dword v106, off, s[0:3], 0 offset:216
	buffer_load_dword v111, off, s[0:3], 0 offset:228
	buffer_load_dword v110, off, s[0:3], 0 offset:224
	s_waitcnt vmcnt(2)
	v_fmac_f64_e32 v[102:103], v[106:107], v[108:109]
	ds_read_b128 v[106:109], v104 offset:624
	s_waitcnt vmcnt(0) lgkmcnt(0)
	v_fmac_f64_e32 v[102:103], v[110:111], v[106:107]
	buffer_load_dword v107, off, s[0:3], 0 offset:236
	buffer_load_dword v106, off, s[0:3], 0 offset:232
	buffer_load_dword v111, off, s[0:3], 0 offset:244
	buffer_load_dword v110, off, s[0:3], 0 offset:240
	s_waitcnt vmcnt(2)
	v_fmac_f64_e32 v[102:103], v[106:107], v[108:109]
	ds_read_b128 v[106:109], v104 offset:640
	s_waitcnt vmcnt(0) lgkmcnt(0)
	v_fmac_f64_e32 v[102:103], v[110:111], v[106:107]
	buffer_load_dword v107, off, s[0:3], 0 offset:252
	buffer_load_dword v106, off, s[0:3], 0 offset:248
	buffer_load_dword v111, off, s[0:3], 0 offset:260
	buffer_load_dword v110, off, s[0:3], 0 offset:256
	s_waitcnt vmcnt(2)
	v_fmac_f64_e32 v[102:103], v[106:107], v[108:109]
	ds_read_b128 v[106:109], v104 offset:656
	s_waitcnt vmcnt(0) lgkmcnt(0)
	v_fmac_f64_e32 v[102:103], v[110:111], v[106:107]
	buffer_load_dword v107, off, s[0:3], 0 offset:268
	buffer_load_dword v106, off, s[0:3], 0 offset:264
	buffer_load_dword v111, off, s[0:3], 0 offset:276
	buffer_load_dword v110, off, s[0:3], 0 offset:272
	s_waitcnt vmcnt(2)
	v_fmac_f64_e32 v[102:103], v[106:107], v[108:109]
	ds_read_b128 v[106:109], v104 offset:672
	s_waitcnt vmcnt(0) lgkmcnt(0)
	v_fmac_f64_e32 v[102:103], v[110:111], v[106:107]
	buffer_load_dword v107, off, s[0:3], 0 offset:284
	buffer_load_dword v106, off, s[0:3], 0 offset:280
	buffer_load_dword v111, off, s[0:3], 0 offset:292
	buffer_load_dword v110, off, s[0:3], 0 offset:288
	s_waitcnt vmcnt(2)
	v_fmac_f64_e32 v[102:103], v[106:107], v[108:109]
	ds_read_b128 v[106:109], v104 offset:688
	s_waitcnt vmcnt(0) lgkmcnt(0)
	v_fmac_f64_e32 v[102:103], v[110:111], v[106:107]
	buffer_load_dword v107, off, s[0:3], 0 offset:300
	buffer_load_dword v106, off, s[0:3], 0 offset:296
	buffer_load_dword v111, off, s[0:3], 0 offset:308
	buffer_load_dword v110, off, s[0:3], 0 offset:304
	s_waitcnt vmcnt(2)
	v_fmac_f64_e32 v[102:103], v[106:107], v[108:109]
	ds_read_b128 v[106:109], v104 offset:704
	s_waitcnt vmcnt(0) lgkmcnt(0)
	v_fmac_f64_e32 v[102:103], v[110:111], v[106:107]
	buffer_load_dword v107, off, s[0:3], 0 offset:316
	buffer_load_dword v106, off, s[0:3], 0 offset:312
	buffer_load_dword v111, off, s[0:3], 0 offset:324
	buffer_load_dword v110, off, s[0:3], 0 offset:320
	s_waitcnt vmcnt(2)
	v_fmac_f64_e32 v[102:103], v[106:107], v[108:109]
	ds_read_b128 v[106:109], v104 offset:720
	s_waitcnt vmcnt(0) lgkmcnt(0)
	v_fmac_f64_e32 v[102:103], v[110:111], v[106:107]
	buffer_load_dword v107, off, s[0:3], 0 offset:332
	buffer_load_dword v106, off, s[0:3], 0 offset:328
	buffer_load_dword v111, off, s[0:3], 0 offset:340
	buffer_load_dword v110, off, s[0:3], 0 offset:336
	s_waitcnt vmcnt(2)
	v_fmac_f64_e32 v[102:103], v[106:107], v[108:109]
	ds_read_b128 v[106:109], v104 offset:736
	s_waitcnt vmcnt(0) lgkmcnt(0)
	v_fmac_f64_e32 v[102:103], v[110:111], v[106:107]
	buffer_load_dword v107, off, s[0:3], 0 offset:348
	buffer_load_dword v106, off, s[0:3], 0 offset:344
	buffer_load_dword v111, off, s[0:3], 0 offset:356
	buffer_load_dword v110, off, s[0:3], 0 offset:352
	s_waitcnt vmcnt(2)
	v_fmac_f64_e32 v[102:103], v[106:107], v[108:109]
	ds_read_b128 v[106:109], v104 offset:752
	s_waitcnt vmcnt(0) lgkmcnt(0)
	v_fmac_f64_e32 v[102:103], v[110:111], v[106:107]
	buffer_load_dword v107, off, s[0:3], 0 offset:364
	buffer_load_dword v106, off, s[0:3], 0 offset:360
	buffer_load_dword v111, off, s[0:3], 0 offset:372
	buffer_load_dword v110, off, s[0:3], 0 offset:368
	s_waitcnt vmcnt(2)
	v_fmac_f64_e32 v[102:103], v[106:107], v[108:109]
	ds_read_b128 v[106:109], v104 offset:768
	s_waitcnt vmcnt(0) lgkmcnt(0)
	v_fmac_f64_e32 v[102:103], v[110:111], v[106:107]
	buffer_load_dword v107, off, s[0:3], 0 offset:380
	buffer_load_dword v106, off, s[0:3], 0 offset:376
	s_waitcnt vmcnt(0)
	v_fmac_f64_e32 v[102:103], v[106:107], v[108:109]
	buffer_load_dword v107, off, s[0:3], 0 offset:388
	buffer_load_dword v106, off, s[0:3], 0 offset:384
	ds_read_b64 v[108:109], v104 offset:784
	s_waitcnt vmcnt(0) lgkmcnt(0)
	v_fmac_f64_e32 v[102:103], v[106:107], v[108:109]
	v_add_f64 v[100:101], v[100:101], -v[102:103]
	buffer_store_dword v101, off, s[0:3], 0 offset:124
	buffer_store_dword v100, off, s[0:3], 0 offset:120
	s_and_saveexec_b64 s[4:5], vcc
	s_cbranch_execz .LBB112_273
; %bb.272:
	buffer_load_dword v100, off, s[0:3], 0 offset:112
	buffer_load_dword v101, off, s[0:3], 0 offset:116
	s_waitcnt vmcnt(0)
	ds_write_b64 v1, v[100:101]
	buffer_store_dword v104, off, s[0:3], 0 offset:112
	buffer_store_dword v104, off, s[0:3], 0 offset:116
.LBB112_273:
	s_or_b64 exec, exec, s[4:5]
	s_waitcnt lgkmcnt(0)
	; wave barrier
	s_waitcnt lgkmcnt(0)
	buffer_load_dword v100, off, s[0:3], 0 offset:112
	buffer_load_dword v101, off, s[0:3], 0 offset:116
	;; [unrolled: 1-line block ×16, first 2 shown]
	ds_read2_b64 v[106:109], v104 offset0:65 offset1:66
	v_cmp_lt_u32_e32 vcc, 13, v0
	s_waitcnt vmcnt(12) lgkmcnt(0)
	v_fma_f64 v[102:103], v[102:103], v[106:107], 0
	s_waitcnt vmcnt(10)
	v_fmac_f64_e32 v[102:103], v[110:111], v[108:109]
	ds_read2_b64 v[106:109], v104 offset0:67 offset1:68
	s_waitcnt vmcnt(8) lgkmcnt(0)
	v_fmac_f64_e32 v[102:103], v[112:113], v[106:107]
	s_waitcnt vmcnt(6)
	v_fmac_f64_e32 v[102:103], v[114:115], v[108:109]
	ds_read2_b64 v[106:109], v104 offset0:69 offset1:70
	s_waitcnt vmcnt(4) lgkmcnt(0)
	v_fmac_f64_e32 v[102:103], v[116:117], v[106:107]
	;; [unrolled: 5-line block ×3, first 2 shown]
	buffer_load_dword v107, off, s[0:3], 0 offset:180
	buffer_load_dword v106, off, s[0:3], 0 offset:176
	buffer_load_dword v111, off, s[0:3], 0 offset:188
	buffer_load_dword v110, off, s[0:3], 0 offset:184
	s_waitcnt vmcnt(2)
	v_fmac_f64_e32 v[102:103], v[106:107], v[108:109]
	ds_read2_b64 v[106:109], v104 offset0:73 offset1:74
	s_waitcnt vmcnt(0) lgkmcnt(0)
	v_fmac_f64_e32 v[102:103], v[110:111], v[106:107]
	buffer_load_dword v107, off, s[0:3], 0 offset:196
	buffer_load_dword v106, off, s[0:3], 0 offset:192
	buffer_load_dword v111, off, s[0:3], 0 offset:204
	buffer_load_dword v110, off, s[0:3], 0 offset:200
	s_waitcnt vmcnt(2)
	v_fmac_f64_e32 v[102:103], v[106:107], v[108:109]
	ds_read2_b64 v[106:109], v104 offset0:75 offset1:76
	s_waitcnt vmcnt(0) lgkmcnt(0)
	v_fmac_f64_e32 v[102:103], v[110:111], v[106:107]
	;; [unrolled: 9-line block ×12, first 2 shown]
	buffer_load_dword v107, off, s[0:3], 0 offset:372
	buffer_load_dword v106, off, s[0:3], 0 offset:368
	s_waitcnt vmcnt(0)
	v_fmac_f64_e32 v[102:103], v[106:107], v[108:109]
	buffer_load_dword v109, off, s[0:3], 0 offset:380
	buffer_load_dword v108, off, s[0:3], 0 offset:376
	ds_read2_b64 v[104:107], v104 offset0:97 offset1:98
	s_waitcnt vmcnt(0) lgkmcnt(0)
	v_fmac_f64_e32 v[102:103], v[108:109], v[104:105]
	buffer_load_dword v105, off, s[0:3], 0 offset:388
	buffer_load_dword v104, off, s[0:3], 0 offset:384
	s_waitcnt vmcnt(0)
	v_fmac_f64_e32 v[102:103], v[104:105], v[106:107]
	v_add_f64 v[100:101], v[100:101], -v[102:103]
	buffer_store_dword v101, off, s[0:3], 0 offset:116
	buffer_store_dword v100, off, s[0:3], 0 offset:112
	s_and_saveexec_b64 s[4:5], vcc
	s_cbranch_execz .LBB112_275
; %bb.274:
	buffer_load_dword v100, off, s[0:3], 0 offset:104
	buffer_load_dword v101, off, s[0:3], 0 offset:108
	v_mov_b32_e32 v102, 0
	buffer_store_dword v102, off, s[0:3], 0 offset:104
	buffer_store_dword v102, off, s[0:3], 0 offset:108
	s_waitcnt vmcnt(2)
	ds_write_b64 v1, v[100:101]
.LBB112_275:
	s_or_b64 exec, exec, s[4:5]
	s_waitcnt lgkmcnt(0)
	; wave barrier
	s_waitcnt lgkmcnt(0)
	buffer_load_dword v100, off, s[0:3], 0 offset:104
	buffer_load_dword v101, off, s[0:3], 0 offset:108
	;; [unrolled: 1-line block ×16, first 2 shown]
	v_mov_b32_e32 v104, 0
	ds_read_b128 v[106:109], v104 offset:512
	ds_read_b128 v[110:113], v104 offset:528
	;; [unrolled: 1-line block ×4, first 2 shown]
	v_cmp_lt_u32_e32 vcc, 12, v0
	s_waitcnt vmcnt(12) lgkmcnt(3)
	v_fma_f64 v[102:103], v[102:103], v[106:107], 0
	buffer_load_dword v107, off, s[0:3], 0 offset:172
	buffer_load_dword v106, off, s[0:3], 0 offset:168
	s_waitcnt vmcnt(12)
	v_fmac_f64_e32 v[102:103], v[122:123], v[108:109]
	s_waitcnt vmcnt(10) lgkmcnt(2)
	v_fmac_f64_e32 v[102:103], v[124:125], v[110:111]
	buffer_load_dword v111, off, s[0:3], 0 offset:180
	buffer_load_dword v110, off, s[0:3], 0 offset:176
	s_waitcnt vmcnt(10)
	v_fmac_f64_e32 v[102:103], v[126:127], v[112:113]
	s_waitcnt vmcnt(8) lgkmcnt(1)
	v_fmac_f64_e32 v[102:103], v[128:129], v[114:115]
	s_waitcnt vmcnt(6)
	v_fmac_f64_e32 v[102:103], v[130:131], v[116:117]
	s_waitcnt vmcnt(4) lgkmcnt(0)
	v_fmac_f64_e32 v[102:103], v[132:133], v[118:119]
	s_waitcnt vmcnt(2)
	v_fmac_f64_e32 v[102:103], v[106:107], v[120:121]
	ds_read_b128 v[106:109], v104 offset:576
	s_waitcnt vmcnt(0) lgkmcnt(0)
	v_fmac_f64_e32 v[102:103], v[110:111], v[106:107]
	buffer_load_dword v107, off, s[0:3], 0 offset:188
	buffer_load_dword v106, off, s[0:3], 0 offset:184
	buffer_load_dword v111, off, s[0:3], 0 offset:196
	buffer_load_dword v110, off, s[0:3], 0 offset:192
	s_waitcnt vmcnt(2)
	v_fmac_f64_e32 v[102:103], v[106:107], v[108:109]
	ds_read_b128 v[106:109], v104 offset:592
	s_waitcnt vmcnt(0) lgkmcnt(0)
	v_fmac_f64_e32 v[102:103], v[110:111], v[106:107]
	buffer_load_dword v107, off, s[0:3], 0 offset:204
	buffer_load_dword v106, off, s[0:3], 0 offset:200
	buffer_load_dword v111, off, s[0:3], 0 offset:212
	buffer_load_dword v110, off, s[0:3], 0 offset:208
	;; [unrolled: 9-line block ×12, first 2 shown]
	s_waitcnt vmcnt(2)
	v_fmac_f64_e32 v[102:103], v[106:107], v[108:109]
	ds_read_b128 v[106:109], v104 offset:768
	s_waitcnt vmcnt(0) lgkmcnt(0)
	v_fmac_f64_e32 v[102:103], v[110:111], v[106:107]
	buffer_load_dword v107, off, s[0:3], 0 offset:380
	buffer_load_dword v106, off, s[0:3], 0 offset:376
	s_waitcnt vmcnt(0)
	v_fmac_f64_e32 v[102:103], v[106:107], v[108:109]
	buffer_load_dword v107, off, s[0:3], 0 offset:388
	buffer_load_dword v106, off, s[0:3], 0 offset:384
	ds_read_b64 v[108:109], v104 offset:784
	s_waitcnt vmcnt(0) lgkmcnt(0)
	v_fmac_f64_e32 v[102:103], v[106:107], v[108:109]
	v_add_f64 v[100:101], v[100:101], -v[102:103]
	buffer_store_dword v101, off, s[0:3], 0 offset:108
	buffer_store_dword v100, off, s[0:3], 0 offset:104
	s_and_saveexec_b64 s[4:5], vcc
	s_cbranch_execz .LBB112_277
; %bb.276:
	buffer_load_dword v100, off, s[0:3], 0 offset:96
	buffer_load_dword v101, off, s[0:3], 0 offset:100
	s_waitcnt vmcnt(0)
	ds_write_b64 v1, v[100:101]
	buffer_store_dword v104, off, s[0:3], 0 offset:96
	buffer_store_dword v104, off, s[0:3], 0 offset:100
.LBB112_277:
	s_or_b64 exec, exec, s[4:5]
	s_waitcnt lgkmcnt(0)
	; wave barrier
	s_waitcnt lgkmcnt(0)
	buffer_load_dword v100, off, s[0:3], 0 offset:96
	buffer_load_dword v101, off, s[0:3], 0 offset:100
	;; [unrolled: 1-line block ×16, first 2 shown]
	ds_read2_b64 v[106:109], v104 offset0:63 offset1:64
	v_cmp_lt_u32_e32 vcc, 11, v0
	s_waitcnt vmcnt(12) lgkmcnt(0)
	v_fma_f64 v[102:103], v[102:103], v[106:107], 0
	s_waitcnt vmcnt(10)
	v_fmac_f64_e32 v[102:103], v[110:111], v[108:109]
	ds_read2_b64 v[106:109], v104 offset0:65 offset1:66
	s_waitcnt vmcnt(8) lgkmcnt(0)
	v_fmac_f64_e32 v[102:103], v[112:113], v[106:107]
	s_waitcnt vmcnt(6)
	v_fmac_f64_e32 v[102:103], v[114:115], v[108:109]
	ds_read2_b64 v[106:109], v104 offset0:67 offset1:68
	s_waitcnt vmcnt(4) lgkmcnt(0)
	v_fmac_f64_e32 v[102:103], v[116:117], v[106:107]
	;; [unrolled: 5-line block ×3, first 2 shown]
	buffer_load_dword v107, off, s[0:3], 0 offset:164
	buffer_load_dword v106, off, s[0:3], 0 offset:160
	buffer_load_dword v111, off, s[0:3], 0 offset:172
	buffer_load_dword v110, off, s[0:3], 0 offset:168
	s_waitcnt vmcnt(2)
	v_fmac_f64_e32 v[102:103], v[106:107], v[108:109]
	ds_read2_b64 v[106:109], v104 offset0:71 offset1:72
	s_waitcnt vmcnt(0) lgkmcnt(0)
	v_fmac_f64_e32 v[102:103], v[110:111], v[106:107]
	buffer_load_dword v107, off, s[0:3], 0 offset:180
	buffer_load_dword v106, off, s[0:3], 0 offset:176
	buffer_load_dword v111, off, s[0:3], 0 offset:188
	buffer_load_dword v110, off, s[0:3], 0 offset:184
	s_waitcnt vmcnt(2)
	v_fmac_f64_e32 v[102:103], v[106:107], v[108:109]
	ds_read2_b64 v[106:109], v104 offset0:73 offset1:74
	s_waitcnt vmcnt(0) lgkmcnt(0)
	v_fmac_f64_e32 v[102:103], v[110:111], v[106:107]
	;; [unrolled: 9-line block ×13, first 2 shown]
	buffer_load_dword v107, off, s[0:3], 0 offset:372
	buffer_load_dword v106, off, s[0:3], 0 offset:368
	s_waitcnt vmcnt(0)
	v_fmac_f64_e32 v[102:103], v[106:107], v[108:109]
	buffer_load_dword v109, off, s[0:3], 0 offset:380
	buffer_load_dword v108, off, s[0:3], 0 offset:376
	ds_read2_b64 v[104:107], v104 offset0:97 offset1:98
	s_waitcnt vmcnt(0) lgkmcnt(0)
	v_fmac_f64_e32 v[102:103], v[108:109], v[104:105]
	buffer_load_dword v105, off, s[0:3], 0 offset:388
	buffer_load_dword v104, off, s[0:3], 0 offset:384
	s_waitcnt vmcnt(0)
	v_fmac_f64_e32 v[102:103], v[104:105], v[106:107]
	v_add_f64 v[100:101], v[100:101], -v[102:103]
	buffer_store_dword v101, off, s[0:3], 0 offset:100
	buffer_store_dword v100, off, s[0:3], 0 offset:96
	s_and_saveexec_b64 s[4:5], vcc
	s_cbranch_execz .LBB112_279
; %bb.278:
	buffer_load_dword v100, off, s[0:3], 0 offset:88
	buffer_load_dword v101, off, s[0:3], 0 offset:92
	v_mov_b32_e32 v102, 0
	buffer_store_dword v102, off, s[0:3], 0 offset:88
	buffer_store_dword v102, off, s[0:3], 0 offset:92
	s_waitcnt vmcnt(2)
	ds_write_b64 v1, v[100:101]
.LBB112_279:
	s_or_b64 exec, exec, s[4:5]
	s_waitcnt lgkmcnt(0)
	; wave barrier
	s_waitcnt lgkmcnt(0)
	buffer_load_dword v100, off, s[0:3], 0 offset:88
	buffer_load_dword v101, off, s[0:3], 0 offset:92
	;; [unrolled: 1-line block ×16, first 2 shown]
	v_mov_b32_e32 v104, 0
	ds_read_b128 v[106:109], v104 offset:496
	ds_read_b128 v[110:113], v104 offset:512
	;; [unrolled: 1-line block ×4, first 2 shown]
	v_cmp_lt_u32_e32 vcc, 10, v0
	s_waitcnt vmcnt(12) lgkmcnt(3)
	v_fma_f64 v[102:103], v[102:103], v[106:107], 0
	buffer_load_dword v107, off, s[0:3], 0 offset:156
	buffer_load_dword v106, off, s[0:3], 0 offset:152
	s_waitcnt vmcnt(12)
	v_fmac_f64_e32 v[102:103], v[122:123], v[108:109]
	s_waitcnt vmcnt(10) lgkmcnt(2)
	v_fmac_f64_e32 v[102:103], v[124:125], v[110:111]
	buffer_load_dword v111, off, s[0:3], 0 offset:164
	buffer_load_dword v110, off, s[0:3], 0 offset:160
	s_waitcnt vmcnt(10)
	v_fmac_f64_e32 v[102:103], v[126:127], v[112:113]
	s_waitcnt vmcnt(8) lgkmcnt(1)
	v_fmac_f64_e32 v[102:103], v[128:129], v[114:115]
	s_waitcnt vmcnt(6)
	v_fmac_f64_e32 v[102:103], v[130:131], v[116:117]
	s_waitcnt vmcnt(4) lgkmcnt(0)
	v_fmac_f64_e32 v[102:103], v[132:133], v[118:119]
	s_waitcnt vmcnt(2)
	v_fmac_f64_e32 v[102:103], v[106:107], v[120:121]
	ds_read_b128 v[106:109], v104 offset:560
	s_waitcnt vmcnt(0) lgkmcnt(0)
	v_fmac_f64_e32 v[102:103], v[110:111], v[106:107]
	buffer_load_dword v107, off, s[0:3], 0 offset:172
	buffer_load_dword v106, off, s[0:3], 0 offset:168
	buffer_load_dword v111, off, s[0:3], 0 offset:180
	buffer_load_dword v110, off, s[0:3], 0 offset:176
	s_waitcnt vmcnt(2)
	v_fmac_f64_e32 v[102:103], v[106:107], v[108:109]
	ds_read_b128 v[106:109], v104 offset:576
	s_waitcnt vmcnt(0) lgkmcnt(0)
	v_fmac_f64_e32 v[102:103], v[110:111], v[106:107]
	buffer_load_dword v107, off, s[0:3], 0 offset:188
	buffer_load_dword v106, off, s[0:3], 0 offset:184
	buffer_load_dword v111, off, s[0:3], 0 offset:196
	buffer_load_dword v110, off, s[0:3], 0 offset:192
	;; [unrolled: 9-line block ×13, first 2 shown]
	s_waitcnt vmcnt(2)
	v_fmac_f64_e32 v[102:103], v[106:107], v[108:109]
	ds_read_b128 v[106:109], v104 offset:768
	s_waitcnt vmcnt(0) lgkmcnt(0)
	v_fmac_f64_e32 v[102:103], v[110:111], v[106:107]
	buffer_load_dword v107, off, s[0:3], 0 offset:380
	buffer_load_dword v106, off, s[0:3], 0 offset:376
	s_waitcnt vmcnt(0)
	v_fmac_f64_e32 v[102:103], v[106:107], v[108:109]
	buffer_load_dword v107, off, s[0:3], 0 offset:388
	buffer_load_dword v106, off, s[0:3], 0 offset:384
	ds_read_b64 v[108:109], v104 offset:784
	s_waitcnt vmcnt(0) lgkmcnt(0)
	v_fmac_f64_e32 v[102:103], v[106:107], v[108:109]
	v_add_f64 v[100:101], v[100:101], -v[102:103]
	buffer_store_dword v101, off, s[0:3], 0 offset:92
	buffer_store_dword v100, off, s[0:3], 0 offset:88
	s_and_saveexec_b64 s[4:5], vcc
	s_cbranch_execz .LBB112_281
; %bb.280:
	buffer_load_dword v100, off, s[0:3], 0 offset:80
	buffer_load_dword v101, off, s[0:3], 0 offset:84
	s_waitcnt vmcnt(0)
	ds_write_b64 v1, v[100:101]
	buffer_store_dword v104, off, s[0:3], 0 offset:80
	buffer_store_dword v104, off, s[0:3], 0 offset:84
.LBB112_281:
	s_or_b64 exec, exec, s[4:5]
	s_waitcnt lgkmcnt(0)
	; wave barrier
	s_waitcnt lgkmcnt(0)
	buffer_load_dword v100, off, s[0:3], 0 offset:80
	buffer_load_dword v101, off, s[0:3], 0 offset:84
	;; [unrolled: 1-line block ×16, first 2 shown]
	ds_read2_b64 v[106:109], v104 offset0:61 offset1:62
	v_cmp_lt_u32_e32 vcc, 9, v0
	s_waitcnt vmcnt(12) lgkmcnt(0)
	v_fma_f64 v[102:103], v[102:103], v[106:107], 0
	s_waitcnt vmcnt(10)
	v_fmac_f64_e32 v[102:103], v[110:111], v[108:109]
	ds_read2_b64 v[106:109], v104 offset0:63 offset1:64
	s_waitcnt vmcnt(8) lgkmcnt(0)
	v_fmac_f64_e32 v[102:103], v[112:113], v[106:107]
	s_waitcnt vmcnt(6)
	v_fmac_f64_e32 v[102:103], v[114:115], v[108:109]
	ds_read2_b64 v[106:109], v104 offset0:65 offset1:66
	s_waitcnt vmcnt(4) lgkmcnt(0)
	v_fmac_f64_e32 v[102:103], v[116:117], v[106:107]
	;; [unrolled: 5-line block ×3, first 2 shown]
	buffer_load_dword v107, off, s[0:3], 0 offset:148
	buffer_load_dword v106, off, s[0:3], 0 offset:144
	buffer_load_dword v111, off, s[0:3], 0 offset:156
	buffer_load_dword v110, off, s[0:3], 0 offset:152
	s_waitcnt vmcnt(2)
	v_fmac_f64_e32 v[102:103], v[106:107], v[108:109]
	ds_read2_b64 v[106:109], v104 offset0:69 offset1:70
	s_waitcnt vmcnt(0) lgkmcnt(0)
	v_fmac_f64_e32 v[102:103], v[110:111], v[106:107]
	buffer_load_dword v107, off, s[0:3], 0 offset:164
	buffer_load_dword v106, off, s[0:3], 0 offset:160
	buffer_load_dword v111, off, s[0:3], 0 offset:172
	buffer_load_dword v110, off, s[0:3], 0 offset:168
	s_waitcnt vmcnt(2)
	v_fmac_f64_e32 v[102:103], v[106:107], v[108:109]
	ds_read2_b64 v[106:109], v104 offset0:71 offset1:72
	s_waitcnt vmcnt(0) lgkmcnt(0)
	v_fmac_f64_e32 v[102:103], v[110:111], v[106:107]
	;; [unrolled: 9-line block ×14, first 2 shown]
	buffer_load_dword v107, off, s[0:3], 0 offset:372
	buffer_load_dword v106, off, s[0:3], 0 offset:368
	s_waitcnt vmcnt(0)
	v_fmac_f64_e32 v[102:103], v[106:107], v[108:109]
	buffer_load_dword v109, off, s[0:3], 0 offset:380
	buffer_load_dword v108, off, s[0:3], 0 offset:376
	ds_read2_b64 v[104:107], v104 offset0:97 offset1:98
	s_waitcnt vmcnt(0) lgkmcnt(0)
	v_fmac_f64_e32 v[102:103], v[108:109], v[104:105]
	buffer_load_dword v105, off, s[0:3], 0 offset:388
	buffer_load_dword v104, off, s[0:3], 0 offset:384
	s_waitcnt vmcnt(0)
	v_fmac_f64_e32 v[102:103], v[104:105], v[106:107]
	v_add_f64 v[100:101], v[100:101], -v[102:103]
	buffer_store_dword v101, off, s[0:3], 0 offset:84
	buffer_store_dword v100, off, s[0:3], 0 offset:80
	s_and_saveexec_b64 s[4:5], vcc
	s_cbranch_execz .LBB112_283
; %bb.282:
	buffer_load_dword v100, off, s[0:3], 0 offset:72
	buffer_load_dword v101, off, s[0:3], 0 offset:76
	v_mov_b32_e32 v102, 0
	buffer_store_dword v102, off, s[0:3], 0 offset:72
	buffer_store_dword v102, off, s[0:3], 0 offset:76
	s_waitcnt vmcnt(2)
	ds_write_b64 v1, v[100:101]
.LBB112_283:
	s_or_b64 exec, exec, s[4:5]
	s_waitcnt lgkmcnt(0)
	; wave barrier
	s_waitcnt lgkmcnt(0)
	buffer_load_dword v100, off, s[0:3], 0 offset:72
	buffer_load_dword v101, off, s[0:3], 0 offset:76
	;; [unrolled: 1-line block ×16, first 2 shown]
	v_mov_b32_e32 v104, 0
	ds_read_b128 v[106:109], v104 offset:480
	ds_read_b128 v[110:113], v104 offset:496
	;; [unrolled: 1-line block ×4, first 2 shown]
	v_cmp_lt_u32_e32 vcc, 8, v0
	s_waitcnt vmcnt(12) lgkmcnt(3)
	v_fma_f64 v[102:103], v[102:103], v[106:107], 0
	buffer_load_dword v107, off, s[0:3], 0 offset:140
	buffer_load_dword v106, off, s[0:3], 0 offset:136
	s_waitcnt vmcnt(12)
	v_fmac_f64_e32 v[102:103], v[122:123], v[108:109]
	s_waitcnt vmcnt(10) lgkmcnt(2)
	v_fmac_f64_e32 v[102:103], v[124:125], v[110:111]
	buffer_load_dword v111, off, s[0:3], 0 offset:148
	buffer_load_dword v110, off, s[0:3], 0 offset:144
	s_waitcnt vmcnt(10)
	v_fmac_f64_e32 v[102:103], v[126:127], v[112:113]
	s_waitcnt vmcnt(8) lgkmcnt(1)
	v_fmac_f64_e32 v[102:103], v[128:129], v[114:115]
	s_waitcnt vmcnt(6)
	v_fmac_f64_e32 v[102:103], v[130:131], v[116:117]
	s_waitcnt vmcnt(4) lgkmcnt(0)
	v_fmac_f64_e32 v[102:103], v[132:133], v[118:119]
	s_waitcnt vmcnt(2)
	v_fmac_f64_e32 v[102:103], v[106:107], v[120:121]
	ds_read_b128 v[106:109], v104 offset:544
	s_waitcnt vmcnt(0) lgkmcnt(0)
	v_fmac_f64_e32 v[102:103], v[110:111], v[106:107]
	buffer_load_dword v107, off, s[0:3], 0 offset:156
	buffer_load_dword v106, off, s[0:3], 0 offset:152
	buffer_load_dword v111, off, s[0:3], 0 offset:164
	buffer_load_dword v110, off, s[0:3], 0 offset:160
	s_waitcnt vmcnt(2)
	v_fmac_f64_e32 v[102:103], v[106:107], v[108:109]
	ds_read_b128 v[106:109], v104 offset:560
	s_waitcnt vmcnt(0) lgkmcnt(0)
	v_fmac_f64_e32 v[102:103], v[110:111], v[106:107]
	buffer_load_dword v107, off, s[0:3], 0 offset:172
	buffer_load_dword v106, off, s[0:3], 0 offset:168
	buffer_load_dword v111, off, s[0:3], 0 offset:180
	buffer_load_dword v110, off, s[0:3], 0 offset:176
	;; [unrolled: 9-line block ×14, first 2 shown]
	s_waitcnt vmcnt(2)
	v_fmac_f64_e32 v[102:103], v[106:107], v[108:109]
	ds_read_b128 v[106:109], v104 offset:768
	s_waitcnt vmcnt(0) lgkmcnt(0)
	v_fmac_f64_e32 v[102:103], v[110:111], v[106:107]
	buffer_load_dword v107, off, s[0:3], 0 offset:380
	buffer_load_dword v106, off, s[0:3], 0 offset:376
	s_waitcnt vmcnt(0)
	v_fmac_f64_e32 v[102:103], v[106:107], v[108:109]
	buffer_load_dword v107, off, s[0:3], 0 offset:388
	buffer_load_dword v106, off, s[0:3], 0 offset:384
	ds_read_b64 v[108:109], v104 offset:784
	s_waitcnt vmcnt(0) lgkmcnt(0)
	v_fmac_f64_e32 v[102:103], v[106:107], v[108:109]
	v_add_f64 v[100:101], v[100:101], -v[102:103]
	buffer_store_dword v101, off, s[0:3], 0 offset:76
	buffer_store_dword v100, off, s[0:3], 0 offset:72
	s_and_saveexec_b64 s[4:5], vcc
	s_cbranch_execz .LBB112_285
; %bb.284:
	buffer_load_dword v100, off, s[0:3], 0 offset:64
	buffer_load_dword v101, off, s[0:3], 0 offset:68
	s_waitcnt vmcnt(0)
	ds_write_b64 v1, v[100:101]
	buffer_store_dword v104, off, s[0:3], 0 offset:64
	buffer_store_dword v104, off, s[0:3], 0 offset:68
.LBB112_285:
	s_or_b64 exec, exec, s[4:5]
	s_waitcnt lgkmcnt(0)
	; wave barrier
	s_waitcnt lgkmcnt(0)
	buffer_load_dword v100, off, s[0:3], 0 offset:64
	buffer_load_dword v101, off, s[0:3], 0 offset:68
	;; [unrolled: 1-line block ×16, first 2 shown]
	ds_read2_b64 v[106:109], v104 offset0:59 offset1:60
	v_cmp_lt_u32_e32 vcc, 7, v0
	s_waitcnt vmcnt(12) lgkmcnt(0)
	v_fma_f64 v[102:103], v[102:103], v[106:107], 0
	s_waitcnt vmcnt(10)
	v_fmac_f64_e32 v[102:103], v[110:111], v[108:109]
	ds_read2_b64 v[106:109], v104 offset0:61 offset1:62
	s_waitcnt vmcnt(8) lgkmcnt(0)
	v_fmac_f64_e32 v[102:103], v[112:113], v[106:107]
	s_waitcnt vmcnt(6)
	v_fmac_f64_e32 v[102:103], v[114:115], v[108:109]
	ds_read2_b64 v[106:109], v104 offset0:63 offset1:64
	s_waitcnt vmcnt(4) lgkmcnt(0)
	v_fmac_f64_e32 v[102:103], v[116:117], v[106:107]
	;; [unrolled: 5-line block ×3, first 2 shown]
	buffer_load_dword v107, off, s[0:3], 0 offset:132
	buffer_load_dword v106, off, s[0:3], 0 offset:128
	buffer_load_dword v111, off, s[0:3], 0 offset:140
	buffer_load_dword v110, off, s[0:3], 0 offset:136
	s_waitcnt vmcnt(2)
	v_fmac_f64_e32 v[102:103], v[106:107], v[108:109]
	ds_read2_b64 v[106:109], v104 offset0:67 offset1:68
	s_waitcnt vmcnt(0) lgkmcnt(0)
	v_fmac_f64_e32 v[102:103], v[110:111], v[106:107]
	buffer_load_dword v107, off, s[0:3], 0 offset:148
	buffer_load_dword v106, off, s[0:3], 0 offset:144
	buffer_load_dword v111, off, s[0:3], 0 offset:156
	buffer_load_dword v110, off, s[0:3], 0 offset:152
	s_waitcnt vmcnt(2)
	v_fmac_f64_e32 v[102:103], v[106:107], v[108:109]
	ds_read2_b64 v[106:109], v104 offset0:69 offset1:70
	s_waitcnt vmcnt(0) lgkmcnt(0)
	v_fmac_f64_e32 v[102:103], v[110:111], v[106:107]
	;; [unrolled: 9-line block ×15, first 2 shown]
	buffer_load_dword v107, off, s[0:3], 0 offset:372
	buffer_load_dword v106, off, s[0:3], 0 offset:368
	s_waitcnt vmcnt(0)
	v_fmac_f64_e32 v[102:103], v[106:107], v[108:109]
	buffer_load_dword v109, off, s[0:3], 0 offset:380
	buffer_load_dword v108, off, s[0:3], 0 offset:376
	ds_read2_b64 v[104:107], v104 offset0:97 offset1:98
	s_waitcnt vmcnt(0) lgkmcnt(0)
	v_fmac_f64_e32 v[102:103], v[108:109], v[104:105]
	buffer_load_dword v105, off, s[0:3], 0 offset:388
	buffer_load_dword v104, off, s[0:3], 0 offset:384
	s_waitcnt vmcnt(0)
	v_fmac_f64_e32 v[102:103], v[104:105], v[106:107]
	v_add_f64 v[100:101], v[100:101], -v[102:103]
	buffer_store_dword v101, off, s[0:3], 0 offset:68
	buffer_store_dword v100, off, s[0:3], 0 offset:64
	s_and_saveexec_b64 s[4:5], vcc
	s_cbranch_execz .LBB112_287
; %bb.286:
	buffer_load_dword v100, off, s[0:3], 0 offset:56
	buffer_load_dword v101, off, s[0:3], 0 offset:60
	v_mov_b32_e32 v102, 0
	buffer_store_dword v102, off, s[0:3], 0 offset:56
	buffer_store_dword v102, off, s[0:3], 0 offset:60
	s_waitcnt vmcnt(2)
	ds_write_b64 v1, v[100:101]
.LBB112_287:
	s_or_b64 exec, exec, s[4:5]
	s_waitcnt lgkmcnt(0)
	; wave barrier
	s_waitcnt lgkmcnt(0)
	buffer_load_dword v100, off, s[0:3], 0 offset:56
	buffer_load_dword v101, off, s[0:3], 0 offset:60
	buffer_load_dword v102, off, s[0:3], 0 offset:64
	buffer_load_dword v103, off, s[0:3], 0 offset:68
	buffer_load_dword v122, off, s[0:3], 0 offset:72
	buffer_load_dword v123, off, s[0:3], 0 offset:76
	buffer_load_dword v124, off, s[0:3], 0 offset:80
	buffer_load_dword v125, off, s[0:3], 0 offset:84
	buffer_load_dword v126, off, s[0:3], 0 offset:88
	buffer_load_dword v127, off, s[0:3], 0 offset:92
	buffer_load_dword v128, off, s[0:3], 0 offset:96
	buffer_load_dword v129, off, s[0:3], 0 offset:100
	buffer_load_dword v130, off, s[0:3], 0 offset:104
	buffer_load_dword v131, off, s[0:3], 0 offset:108
	buffer_load_dword v132, off, s[0:3], 0 offset:112
	buffer_load_dword v133, off, s[0:3], 0 offset:116
	v_mov_b32_e32 v104, 0
	ds_read_b128 v[106:109], v104 offset:464
	ds_read_b128 v[110:113], v104 offset:480
	ds_read_b128 v[114:117], v104 offset:496
	ds_read_b128 v[118:121], v104 offset:512
	v_cmp_lt_u32_e32 vcc, 6, v0
	s_waitcnt vmcnt(12) lgkmcnt(3)
	v_fma_f64 v[102:103], v[102:103], v[106:107], 0
	buffer_load_dword v107, off, s[0:3], 0 offset:124
	buffer_load_dword v106, off, s[0:3], 0 offset:120
	s_waitcnt vmcnt(12)
	v_fmac_f64_e32 v[102:103], v[122:123], v[108:109]
	s_waitcnt vmcnt(10) lgkmcnt(2)
	v_fmac_f64_e32 v[102:103], v[124:125], v[110:111]
	buffer_load_dword v111, off, s[0:3], 0 offset:132
	buffer_load_dword v110, off, s[0:3], 0 offset:128
	s_waitcnt vmcnt(10)
	v_fmac_f64_e32 v[102:103], v[126:127], v[112:113]
	s_waitcnt vmcnt(8) lgkmcnt(1)
	v_fmac_f64_e32 v[102:103], v[128:129], v[114:115]
	s_waitcnt vmcnt(6)
	v_fmac_f64_e32 v[102:103], v[130:131], v[116:117]
	s_waitcnt vmcnt(4) lgkmcnt(0)
	v_fmac_f64_e32 v[102:103], v[132:133], v[118:119]
	s_waitcnt vmcnt(2)
	v_fmac_f64_e32 v[102:103], v[106:107], v[120:121]
	ds_read_b128 v[106:109], v104 offset:528
	s_waitcnt vmcnt(0) lgkmcnt(0)
	v_fmac_f64_e32 v[102:103], v[110:111], v[106:107]
	buffer_load_dword v107, off, s[0:3], 0 offset:140
	buffer_load_dword v106, off, s[0:3], 0 offset:136
	buffer_load_dword v111, off, s[0:3], 0 offset:148
	buffer_load_dword v110, off, s[0:3], 0 offset:144
	s_waitcnt vmcnt(2)
	v_fmac_f64_e32 v[102:103], v[106:107], v[108:109]
	ds_read_b128 v[106:109], v104 offset:544
	s_waitcnt vmcnt(0) lgkmcnt(0)
	v_fmac_f64_e32 v[102:103], v[110:111], v[106:107]
	buffer_load_dword v107, off, s[0:3], 0 offset:156
	buffer_load_dword v106, off, s[0:3], 0 offset:152
	buffer_load_dword v111, off, s[0:3], 0 offset:164
	buffer_load_dword v110, off, s[0:3], 0 offset:160
	;; [unrolled: 9-line block ×15, first 2 shown]
	s_waitcnt vmcnt(2)
	v_fmac_f64_e32 v[102:103], v[106:107], v[108:109]
	ds_read_b128 v[106:109], v104 offset:768
	s_waitcnt vmcnt(0) lgkmcnt(0)
	v_fmac_f64_e32 v[102:103], v[110:111], v[106:107]
	buffer_load_dword v107, off, s[0:3], 0 offset:380
	buffer_load_dword v106, off, s[0:3], 0 offset:376
	s_waitcnt vmcnt(0)
	v_fmac_f64_e32 v[102:103], v[106:107], v[108:109]
	buffer_load_dword v107, off, s[0:3], 0 offset:388
	buffer_load_dword v106, off, s[0:3], 0 offset:384
	ds_read_b64 v[108:109], v104 offset:784
	s_waitcnt vmcnt(0) lgkmcnt(0)
	v_fmac_f64_e32 v[102:103], v[106:107], v[108:109]
	v_add_f64 v[100:101], v[100:101], -v[102:103]
	buffer_store_dword v101, off, s[0:3], 0 offset:60
	buffer_store_dword v100, off, s[0:3], 0 offset:56
	s_and_saveexec_b64 s[4:5], vcc
	s_cbranch_execz .LBB112_289
; %bb.288:
	buffer_load_dword v100, off, s[0:3], 0 offset:48
	buffer_load_dword v101, off, s[0:3], 0 offset:52
	s_waitcnt vmcnt(0)
	ds_write_b64 v1, v[100:101]
	buffer_store_dword v104, off, s[0:3], 0 offset:48
	buffer_store_dword v104, off, s[0:3], 0 offset:52
.LBB112_289:
	s_or_b64 exec, exec, s[4:5]
	s_waitcnt lgkmcnt(0)
	; wave barrier
	s_waitcnt lgkmcnt(0)
	buffer_load_dword v100, off, s[0:3], 0 offset:48
	buffer_load_dword v101, off, s[0:3], 0 offset:52
	;; [unrolled: 1-line block ×16, first 2 shown]
	ds_read2_b64 v[106:109], v104 offset0:57 offset1:58
	v_cmp_lt_u32_e32 vcc, 5, v0
	s_waitcnt vmcnt(12) lgkmcnt(0)
	v_fma_f64 v[102:103], v[102:103], v[106:107], 0
	s_waitcnt vmcnt(10)
	v_fmac_f64_e32 v[102:103], v[110:111], v[108:109]
	ds_read2_b64 v[106:109], v104 offset0:59 offset1:60
	s_waitcnt vmcnt(8) lgkmcnt(0)
	v_fmac_f64_e32 v[102:103], v[112:113], v[106:107]
	s_waitcnt vmcnt(6)
	v_fmac_f64_e32 v[102:103], v[114:115], v[108:109]
	ds_read2_b64 v[106:109], v104 offset0:61 offset1:62
	s_waitcnt vmcnt(4) lgkmcnt(0)
	v_fmac_f64_e32 v[102:103], v[116:117], v[106:107]
	;; [unrolled: 5-line block ×3, first 2 shown]
	buffer_load_dword v107, off, s[0:3], 0 offset:116
	buffer_load_dword v106, off, s[0:3], 0 offset:112
	buffer_load_dword v111, off, s[0:3], 0 offset:124
	buffer_load_dword v110, off, s[0:3], 0 offset:120
	s_waitcnt vmcnt(2)
	v_fmac_f64_e32 v[102:103], v[106:107], v[108:109]
	ds_read2_b64 v[106:109], v104 offset0:65 offset1:66
	s_waitcnt vmcnt(0) lgkmcnt(0)
	v_fmac_f64_e32 v[102:103], v[110:111], v[106:107]
	buffer_load_dword v107, off, s[0:3], 0 offset:132
	buffer_load_dword v106, off, s[0:3], 0 offset:128
	buffer_load_dword v111, off, s[0:3], 0 offset:140
	buffer_load_dword v110, off, s[0:3], 0 offset:136
	s_waitcnt vmcnt(2)
	v_fmac_f64_e32 v[102:103], v[106:107], v[108:109]
	ds_read2_b64 v[106:109], v104 offset0:67 offset1:68
	s_waitcnt vmcnt(0) lgkmcnt(0)
	v_fmac_f64_e32 v[102:103], v[110:111], v[106:107]
	;; [unrolled: 9-line block ×16, first 2 shown]
	buffer_load_dword v107, off, s[0:3], 0 offset:372
	buffer_load_dword v106, off, s[0:3], 0 offset:368
	s_waitcnt vmcnt(0)
	v_fmac_f64_e32 v[102:103], v[106:107], v[108:109]
	buffer_load_dword v109, off, s[0:3], 0 offset:380
	buffer_load_dword v108, off, s[0:3], 0 offset:376
	ds_read2_b64 v[104:107], v104 offset0:97 offset1:98
	s_waitcnt vmcnt(0) lgkmcnt(0)
	v_fmac_f64_e32 v[102:103], v[108:109], v[104:105]
	buffer_load_dword v105, off, s[0:3], 0 offset:388
	buffer_load_dword v104, off, s[0:3], 0 offset:384
	s_waitcnt vmcnt(0)
	v_fmac_f64_e32 v[102:103], v[104:105], v[106:107]
	v_add_f64 v[100:101], v[100:101], -v[102:103]
	buffer_store_dword v101, off, s[0:3], 0 offset:52
	buffer_store_dword v100, off, s[0:3], 0 offset:48
	s_and_saveexec_b64 s[4:5], vcc
	s_cbranch_execz .LBB112_291
; %bb.290:
	buffer_load_dword v100, off, s[0:3], 0 offset:40
	buffer_load_dword v101, off, s[0:3], 0 offset:44
	v_mov_b32_e32 v102, 0
	buffer_store_dword v102, off, s[0:3], 0 offset:40
	buffer_store_dword v102, off, s[0:3], 0 offset:44
	s_waitcnt vmcnt(2)
	ds_write_b64 v1, v[100:101]
.LBB112_291:
	s_or_b64 exec, exec, s[4:5]
	s_waitcnt lgkmcnt(0)
	; wave barrier
	s_waitcnt lgkmcnt(0)
	buffer_load_dword v100, off, s[0:3], 0 offset:40
	buffer_load_dword v101, off, s[0:3], 0 offset:44
	buffer_load_dword v102, off, s[0:3], 0 offset:48
	buffer_load_dword v103, off, s[0:3], 0 offset:52
	buffer_load_dword v122, off, s[0:3], 0 offset:56
	buffer_load_dword v123, off, s[0:3], 0 offset:60
	buffer_load_dword v124, off, s[0:3], 0 offset:64
	buffer_load_dword v125, off, s[0:3], 0 offset:68
	buffer_load_dword v126, off, s[0:3], 0 offset:72
	buffer_load_dword v127, off, s[0:3], 0 offset:76
	buffer_load_dword v128, off, s[0:3], 0 offset:80
	buffer_load_dword v129, off, s[0:3], 0 offset:84
	buffer_load_dword v130, off, s[0:3], 0 offset:88
	buffer_load_dword v131, off, s[0:3], 0 offset:92
	buffer_load_dword v132, off, s[0:3], 0 offset:96
	buffer_load_dword v133, off, s[0:3], 0 offset:100
	v_mov_b32_e32 v104, 0
	ds_read_b128 v[106:109], v104 offset:448
	ds_read_b128 v[110:113], v104 offset:464
	;; [unrolled: 1-line block ×4, first 2 shown]
	v_cmp_lt_u32_e32 vcc, 4, v0
	s_waitcnt vmcnt(12) lgkmcnt(3)
	v_fma_f64 v[102:103], v[102:103], v[106:107], 0
	buffer_load_dword v107, off, s[0:3], 0 offset:108
	buffer_load_dword v106, off, s[0:3], 0 offset:104
	s_waitcnt vmcnt(12)
	v_fmac_f64_e32 v[102:103], v[122:123], v[108:109]
	s_waitcnt vmcnt(10) lgkmcnt(2)
	v_fmac_f64_e32 v[102:103], v[124:125], v[110:111]
	buffer_load_dword v111, off, s[0:3], 0 offset:116
	buffer_load_dword v110, off, s[0:3], 0 offset:112
	s_waitcnt vmcnt(10)
	v_fmac_f64_e32 v[102:103], v[126:127], v[112:113]
	s_waitcnt vmcnt(8) lgkmcnt(1)
	v_fmac_f64_e32 v[102:103], v[128:129], v[114:115]
	s_waitcnt vmcnt(6)
	v_fmac_f64_e32 v[102:103], v[130:131], v[116:117]
	s_waitcnt vmcnt(4) lgkmcnt(0)
	v_fmac_f64_e32 v[102:103], v[132:133], v[118:119]
	s_waitcnt vmcnt(2)
	v_fmac_f64_e32 v[102:103], v[106:107], v[120:121]
	ds_read_b128 v[106:109], v104 offset:512
	s_waitcnt vmcnt(0) lgkmcnt(0)
	v_fmac_f64_e32 v[102:103], v[110:111], v[106:107]
	buffer_load_dword v107, off, s[0:3], 0 offset:124
	buffer_load_dword v106, off, s[0:3], 0 offset:120
	buffer_load_dword v111, off, s[0:3], 0 offset:132
	buffer_load_dword v110, off, s[0:3], 0 offset:128
	s_waitcnt vmcnt(2)
	v_fmac_f64_e32 v[102:103], v[106:107], v[108:109]
	ds_read_b128 v[106:109], v104 offset:528
	s_waitcnt vmcnt(0) lgkmcnt(0)
	v_fmac_f64_e32 v[102:103], v[110:111], v[106:107]
	buffer_load_dword v107, off, s[0:3], 0 offset:140
	buffer_load_dword v106, off, s[0:3], 0 offset:136
	buffer_load_dword v111, off, s[0:3], 0 offset:148
	buffer_load_dword v110, off, s[0:3], 0 offset:144
	;; [unrolled: 9-line block ×16, first 2 shown]
	s_waitcnt vmcnt(2)
	v_fmac_f64_e32 v[102:103], v[106:107], v[108:109]
	ds_read_b128 v[106:109], v104 offset:768
	s_waitcnt vmcnt(0) lgkmcnt(0)
	v_fmac_f64_e32 v[102:103], v[110:111], v[106:107]
	buffer_load_dword v107, off, s[0:3], 0 offset:380
	buffer_load_dword v106, off, s[0:3], 0 offset:376
	s_waitcnt vmcnt(0)
	v_fmac_f64_e32 v[102:103], v[106:107], v[108:109]
	buffer_load_dword v107, off, s[0:3], 0 offset:388
	buffer_load_dword v106, off, s[0:3], 0 offset:384
	ds_read_b64 v[108:109], v104 offset:784
	s_waitcnt vmcnt(0) lgkmcnt(0)
	v_fmac_f64_e32 v[102:103], v[106:107], v[108:109]
	v_add_f64 v[100:101], v[100:101], -v[102:103]
	buffer_store_dword v101, off, s[0:3], 0 offset:44
	buffer_store_dword v100, off, s[0:3], 0 offset:40
	s_and_saveexec_b64 s[4:5], vcc
	s_cbranch_execz .LBB112_293
; %bb.292:
	buffer_load_dword v100, off, s[0:3], 0 offset:32
	buffer_load_dword v101, off, s[0:3], 0 offset:36
	s_waitcnt vmcnt(0)
	ds_write_b64 v1, v[100:101]
	buffer_store_dword v104, off, s[0:3], 0 offset:32
	buffer_store_dword v104, off, s[0:3], 0 offset:36
.LBB112_293:
	s_or_b64 exec, exec, s[4:5]
	s_waitcnt lgkmcnt(0)
	; wave barrier
	s_waitcnt lgkmcnt(0)
	buffer_load_dword v100, off, s[0:3], 0 offset:32
	buffer_load_dword v101, off, s[0:3], 0 offset:36
	;; [unrolled: 1-line block ×16, first 2 shown]
	ds_read2_b64 v[106:109], v104 offset0:55 offset1:56
	v_cmp_lt_u32_e32 vcc, 3, v0
	s_waitcnt vmcnt(12) lgkmcnt(0)
	v_fma_f64 v[102:103], v[102:103], v[106:107], 0
	s_waitcnt vmcnt(10)
	v_fmac_f64_e32 v[102:103], v[110:111], v[108:109]
	ds_read2_b64 v[106:109], v104 offset0:57 offset1:58
	s_waitcnt vmcnt(8) lgkmcnt(0)
	v_fmac_f64_e32 v[102:103], v[112:113], v[106:107]
	s_waitcnt vmcnt(6)
	v_fmac_f64_e32 v[102:103], v[114:115], v[108:109]
	ds_read2_b64 v[106:109], v104 offset0:59 offset1:60
	s_waitcnt vmcnt(4) lgkmcnt(0)
	v_fmac_f64_e32 v[102:103], v[116:117], v[106:107]
	;; [unrolled: 5-line block ×3, first 2 shown]
	buffer_load_dword v107, off, s[0:3], 0 offset:100
	buffer_load_dword v106, off, s[0:3], 0 offset:96
	buffer_load_dword v111, off, s[0:3], 0 offset:108
	buffer_load_dword v110, off, s[0:3], 0 offset:104
	s_waitcnt vmcnt(2)
	v_fmac_f64_e32 v[102:103], v[106:107], v[108:109]
	ds_read2_b64 v[106:109], v104 offset0:63 offset1:64
	s_waitcnt vmcnt(0) lgkmcnt(0)
	v_fmac_f64_e32 v[102:103], v[110:111], v[106:107]
	buffer_load_dword v107, off, s[0:3], 0 offset:116
	buffer_load_dword v106, off, s[0:3], 0 offset:112
	buffer_load_dword v111, off, s[0:3], 0 offset:124
	buffer_load_dword v110, off, s[0:3], 0 offset:120
	s_waitcnt vmcnt(2)
	v_fmac_f64_e32 v[102:103], v[106:107], v[108:109]
	ds_read2_b64 v[106:109], v104 offset0:65 offset1:66
	s_waitcnt vmcnt(0) lgkmcnt(0)
	v_fmac_f64_e32 v[102:103], v[110:111], v[106:107]
	;; [unrolled: 9-line block ×17, first 2 shown]
	buffer_load_dword v107, off, s[0:3], 0 offset:372
	buffer_load_dword v106, off, s[0:3], 0 offset:368
	s_waitcnt vmcnt(0)
	v_fmac_f64_e32 v[102:103], v[106:107], v[108:109]
	buffer_load_dword v109, off, s[0:3], 0 offset:380
	buffer_load_dword v108, off, s[0:3], 0 offset:376
	ds_read2_b64 v[104:107], v104 offset0:97 offset1:98
	s_waitcnt vmcnt(0) lgkmcnt(0)
	v_fmac_f64_e32 v[102:103], v[108:109], v[104:105]
	buffer_load_dword v105, off, s[0:3], 0 offset:388
	buffer_load_dword v104, off, s[0:3], 0 offset:384
	s_waitcnt vmcnt(0)
	v_fmac_f64_e32 v[102:103], v[104:105], v[106:107]
	v_add_f64 v[100:101], v[100:101], -v[102:103]
	buffer_store_dword v101, off, s[0:3], 0 offset:36
	buffer_store_dword v100, off, s[0:3], 0 offset:32
	s_and_saveexec_b64 s[4:5], vcc
	s_cbranch_execz .LBB112_295
; %bb.294:
	buffer_load_dword v100, off, s[0:3], 0 offset:24
	buffer_load_dword v101, off, s[0:3], 0 offset:28
	v_mov_b32_e32 v102, 0
	buffer_store_dword v102, off, s[0:3], 0 offset:24
	buffer_store_dword v102, off, s[0:3], 0 offset:28
	s_waitcnt vmcnt(2)
	ds_write_b64 v1, v[100:101]
.LBB112_295:
	s_or_b64 exec, exec, s[4:5]
	s_waitcnt lgkmcnt(0)
	; wave barrier
	s_waitcnt lgkmcnt(0)
	buffer_load_dword v100, off, s[0:3], 0 offset:24
	buffer_load_dword v101, off, s[0:3], 0 offset:28
	;; [unrolled: 1-line block ×16, first 2 shown]
	v_mov_b32_e32 v104, 0
	ds_read_b128 v[106:109], v104 offset:432
	ds_read_b128 v[110:113], v104 offset:448
	;; [unrolled: 1-line block ×4, first 2 shown]
	v_cmp_lt_u32_e32 vcc, 2, v0
	s_waitcnt vmcnt(12) lgkmcnt(3)
	v_fma_f64 v[102:103], v[102:103], v[106:107], 0
	buffer_load_dword v107, off, s[0:3], 0 offset:92
	buffer_load_dword v106, off, s[0:3], 0 offset:88
	s_waitcnt vmcnt(12)
	v_fmac_f64_e32 v[102:103], v[122:123], v[108:109]
	s_waitcnt vmcnt(10) lgkmcnt(2)
	v_fmac_f64_e32 v[102:103], v[124:125], v[110:111]
	buffer_load_dword v111, off, s[0:3], 0 offset:100
	buffer_load_dword v110, off, s[0:3], 0 offset:96
	s_waitcnt vmcnt(10)
	v_fmac_f64_e32 v[102:103], v[126:127], v[112:113]
	s_waitcnt vmcnt(8) lgkmcnt(1)
	v_fmac_f64_e32 v[102:103], v[128:129], v[114:115]
	s_waitcnt vmcnt(6)
	v_fmac_f64_e32 v[102:103], v[130:131], v[116:117]
	s_waitcnt vmcnt(4) lgkmcnt(0)
	v_fmac_f64_e32 v[102:103], v[132:133], v[118:119]
	s_waitcnt vmcnt(2)
	v_fmac_f64_e32 v[102:103], v[106:107], v[120:121]
	ds_read_b128 v[106:109], v104 offset:496
	s_waitcnt vmcnt(0) lgkmcnt(0)
	v_fmac_f64_e32 v[102:103], v[110:111], v[106:107]
	buffer_load_dword v107, off, s[0:3], 0 offset:108
	buffer_load_dword v106, off, s[0:3], 0 offset:104
	buffer_load_dword v111, off, s[0:3], 0 offset:116
	buffer_load_dword v110, off, s[0:3], 0 offset:112
	s_waitcnt vmcnt(2)
	v_fmac_f64_e32 v[102:103], v[106:107], v[108:109]
	ds_read_b128 v[106:109], v104 offset:512
	s_waitcnt vmcnt(0) lgkmcnt(0)
	v_fmac_f64_e32 v[102:103], v[110:111], v[106:107]
	buffer_load_dword v107, off, s[0:3], 0 offset:124
	buffer_load_dword v106, off, s[0:3], 0 offset:120
	buffer_load_dword v111, off, s[0:3], 0 offset:132
	buffer_load_dword v110, off, s[0:3], 0 offset:128
	;; [unrolled: 9-line block ×17, first 2 shown]
	s_waitcnt vmcnt(2)
	v_fmac_f64_e32 v[102:103], v[106:107], v[108:109]
	ds_read_b128 v[106:109], v104 offset:768
	s_waitcnt vmcnt(0) lgkmcnt(0)
	v_fmac_f64_e32 v[102:103], v[110:111], v[106:107]
	buffer_load_dword v107, off, s[0:3], 0 offset:380
	buffer_load_dword v106, off, s[0:3], 0 offset:376
	s_waitcnt vmcnt(0)
	v_fmac_f64_e32 v[102:103], v[106:107], v[108:109]
	buffer_load_dword v107, off, s[0:3], 0 offset:388
	buffer_load_dword v106, off, s[0:3], 0 offset:384
	ds_read_b64 v[108:109], v104 offset:784
	s_waitcnt vmcnt(0) lgkmcnt(0)
	v_fmac_f64_e32 v[102:103], v[106:107], v[108:109]
	v_add_f64 v[100:101], v[100:101], -v[102:103]
	buffer_store_dword v101, off, s[0:3], 0 offset:28
	buffer_store_dword v100, off, s[0:3], 0 offset:24
	s_and_saveexec_b64 s[4:5], vcc
	s_cbranch_execz .LBB112_297
; %bb.296:
	buffer_load_dword v100, off, s[0:3], 0 offset:16
	buffer_load_dword v101, off, s[0:3], 0 offset:20
	s_waitcnt vmcnt(0)
	ds_write_b64 v1, v[100:101]
	buffer_store_dword v104, off, s[0:3], 0 offset:16
	buffer_store_dword v104, off, s[0:3], 0 offset:20
.LBB112_297:
	s_or_b64 exec, exec, s[4:5]
	s_waitcnt lgkmcnt(0)
	; wave barrier
	s_waitcnt lgkmcnt(0)
	buffer_load_dword v100, off, s[0:3], 0 offset:16
	buffer_load_dword v101, off, s[0:3], 0 offset:20
	;; [unrolled: 1-line block ×16, first 2 shown]
	ds_read2_b64 v[106:109], v104 offset0:53 offset1:54
	v_cmp_lt_u32_e32 vcc, 1, v0
	s_waitcnt vmcnt(12) lgkmcnt(0)
	v_fma_f64 v[102:103], v[102:103], v[106:107], 0
	s_waitcnt vmcnt(10)
	v_fmac_f64_e32 v[102:103], v[110:111], v[108:109]
	ds_read2_b64 v[106:109], v104 offset0:55 offset1:56
	s_waitcnt vmcnt(8) lgkmcnt(0)
	v_fmac_f64_e32 v[102:103], v[112:113], v[106:107]
	s_waitcnt vmcnt(6)
	v_fmac_f64_e32 v[102:103], v[114:115], v[108:109]
	ds_read2_b64 v[106:109], v104 offset0:57 offset1:58
	s_waitcnt vmcnt(4) lgkmcnt(0)
	v_fmac_f64_e32 v[102:103], v[116:117], v[106:107]
	;; [unrolled: 5-line block ×3, first 2 shown]
	buffer_load_dword v107, off, s[0:3], 0 offset:84
	buffer_load_dword v106, off, s[0:3], 0 offset:80
	buffer_load_dword v111, off, s[0:3], 0 offset:92
	buffer_load_dword v110, off, s[0:3], 0 offset:88
	s_waitcnt vmcnt(2)
	v_fmac_f64_e32 v[102:103], v[106:107], v[108:109]
	ds_read2_b64 v[106:109], v104 offset0:61 offset1:62
	s_waitcnt vmcnt(0) lgkmcnt(0)
	v_fmac_f64_e32 v[102:103], v[110:111], v[106:107]
	buffer_load_dword v107, off, s[0:3], 0 offset:100
	buffer_load_dword v106, off, s[0:3], 0 offset:96
	buffer_load_dword v111, off, s[0:3], 0 offset:108
	buffer_load_dword v110, off, s[0:3], 0 offset:104
	s_waitcnt vmcnt(2)
	v_fmac_f64_e32 v[102:103], v[106:107], v[108:109]
	ds_read2_b64 v[106:109], v104 offset0:63 offset1:64
	s_waitcnt vmcnt(0) lgkmcnt(0)
	v_fmac_f64_e32 v[102:103], v[110:111], v[106:107]
	;; [unrolled: 9-line block ×18, first 2 shown]
	buffer_load_dword v107, off, s[0:3], 0 offset:372
	buffer_load_dword v106, off, s[0:3], 0 offset:368
	s_waitcnt vmcnt(0)
	v_fmac_f64_e32 v[102:103], v[106:107], v[108:109]
	buffer_load_dword v109, off, s[0:3], 0 offset:380
	buffer_load_dword v108, off, s[0:3], 0 offset:376
	ds_read2_b64 v[104:107], v104 offset0:97 offset1:98
	s_waitcnt vmcnt(0) lgkmcnt(0)
	v_fmac_f64_e32 v[102:103], v[108:109], v[104:105]
	buffer_load_dword v105, off, s[0:3], 0 offset:388
	buffer_load_dword v104, off, s[0:3], 0 offset:384
	s_waitcnt vmcnt(0)
	v_fmac_f64_e32 v[102:103], v[104:105], v[106:107]
	v_add_f64 v[100:101], v[100:101], -v[102:103]
	buffer_store_dword v101, off, s[0:3], 0 offset:20
	buffer_store_dword v100, off, s[0:3], 0 offset:16
	s_and_saveexec_b64 s[4:5], vcc
	s_cbranch_execz .LBB112_299
; %bb.298:
	buffer_load_dword v100, off, s[0:3], 0 offset:8
	buffer_load_dword v101, off, s[0:3], 0 offset:12
	v_mov_b32_e32 v102, 0
	buffer_store_dword v102, off, s[0:3], 0 offset:8
	buffer_store_dword v102, off, s[0:3], 0 offset:12
	s_waitcnt vmcnt(2)
	ds_write_b64 v1, v[100:101]
.LBB112_299:
	s_or_b64 exec, exec, s[4:5]
	s_waitcnt lgkmcnt(0)
	; wave barrier
	s_waitcnt lgkmcnt(0)
	buffer_load_dword v100, off, s[0:3], 0 offset:8
	buffer_load_dword v101, off, s[0:3], 0 offset:12
	;; [unrolled: 1-line block ×16, first 2 shown]
	v_mov_b32_e32 v104, 0
	ds_read_b128 v[106:109], v104 offset:416
	ds_read_b128 v[110:113], v104 offset:432
	;; [unrolled: 1-line block ×4, first 2 shown]
	v_cmp_ne_u32_e32 vcc, 0, v0
	s_waitcnt vmcnt(12) lgkmcnt(3)
	v_fma_f64 v[102:103], v[102:103], v[106:107], 0
	buffer_load_dword v107, off, s[0:3], 0 offset:76
	buffer_load_dword v106, off, s[0:3], 0 offset:72
	s_waitcnt vmcnt(12)
	v_fmac_f64_e32 v[102:103], v[122:123], v[108:109]
	s_waitcnt vmcnt(10) lgkmcnt(2)
	v_fmac_f64_e32 v[102:103], v[124:125], v[110:111]
	buffer_load_dword v111, off, s[0:3], 0 offset:84
	buffer_load_dword v110, off, s[0:3], 0 offset:80
	s_waitcnt vmcnt(10)
	v_fmac_f64_e32 v[102:103], v[126:127], v[112:113]
	s_waitcnt vmcnt(8) lgkmcnt(1)
	v_fmac_f64_e32 v[102:103], v[128:129], v[114:115]
	s_waitcnt vmcnt(6)
	v_fmac_f64_e32 v[102:103], v[130:131], v[116:117]
	s_waitcnt vmcnt(4) lgkmcnt(0)
	v_fmac_f64_e32 v[102:103], v[132:133], v[118:119]
	s_waitcnt vmcnt(2)
	v_fmac_f64_e32 v[102:103], v[106:107], v[120:121]
	ds_read_b128 v[106:109], v104 offset:480
	s_waitcnt vmcnt(0) lgkmcnt(0)
	v_fmac_f64_e32 v[102:103], v[110:111], v[106:107]
	buffer_load_dword v107, off, s[0:3], 0 offset:92
	buffer_load_dword v106, off, s[0:3], 0 offset:88
	buffer_load_dword v111, off, s[0:3], 0 offset:100
	buffer_load_dword v110, off, s[0:3], 0 offset:96
	s_waitcnt vmcnt(2)
	v_fmac_f64_e32 v[102:103], v[106:107], v[108:109]
	ds_read_b128 v[106:109], v104 offset:496
	s_waitcnt vmcnt(0) lgkmcnt(0)
	v_fmac_f64_e32 v[102:103], v[110:111], v[106:107]
	buffer_load_dword v107, off, s[0:3], 0 offset:108
	buffer_load_dword v106, off, s[0:3], 0 offset:104
	buffer_load_dword v111, off, s[0:3], 0 offset:116
	buffer_load_dword v110, off, s[0:3], 0 offset:112
	;; [unrolled: 9-line block ×18, first 2 shown]
	s_waitcnt vmcnt(2)
	v_fmac_f64_e32 v[102:103], v[106:107], v[108:109]
	ds_read_b128 v[106:109], v104 offset:768
	s_waitcnt vmcnt(0) lgkmcnt(0)
	v_fmac_f64_e32 v[102:103], v[110:111], v[106:107]
	buffer_load_dword v107, off, s[0:3], 0 offset:380
	buffer_load_dword v106, off, s[0:3], 0 offset:376
	s_waitcnt vmcnt(0)
	v_fmac_f64_e32 v[102:103], v[106:107], v[108:109]
	buffer_load_dword v107, off, s[0:3], 0 offset:388
	buffer_load_dword v106, off, s[0:3], 0 offset:384
	ds_read_b64 v[108:109], v104 offset:784
	s_waitcnt vmcnt(0) lgkmcnt(0)
	v_fmac_f64_e32 v[102:103], v[106:107], v[108:109]
	v_add_f64 v[100:101], v[100:101], -v[102:103]
	buffer_store_dword v101, off, s[0:3], 0 offset:12
	buffer_store_dword v100, off, s[0:3], 0 offset:8
	s_and_saveexec_b64 s[4:5], vcc
	s_cbranch_execz .LBB112_301
; %bb.300:
	buffer_load_dword v100, off, s[0:3], 0
	buffer_load_dword v101, off, s[0:3], 0 offset:4
	s_waitcnt vmcnt(0)
	ds_write_b64 v1, v[100:101]
	buffer_store_dword v104, off, s[0:3], 0
	buffer_store_dword v104, off, s[0:3], 0 offset:4
.LBB112_301:
	s_or_b64 exec, exec, s[4:5]
	s_waitcnt lgkmcnt(0)
	; wave barrier
	s_waitcnt lgkmcnt(0)
	buffer_load_dword v0, off, s[0:3], 0
	buffer_load_dword v1, off, s[0:3], 0 offset:4
	buffer_load_dword v106, off, s[0:3], 0 offset:8
	;; [unrolled: 1-line block ×15, first 2 shown]
	ds_read2_b64 v[100:103], v104 offset0:51 offset1:52
	s_and_b64 vcc, exec, s[16:17]
	s_waitcnt vmcnt(12) lgkmcnt(0)
	v_fma_f64 v[100:101], v[106:107], v[100:101], 0
	s_waitcnt vmcnt(10)
	v_fmac_f64_e32 v[100:101], v[108:109], v[102:103]
	ds_read2_b64 v[106:109], v104 offset0:53 offset1:54
	s_waitcnt vmcnt(8) lgkmcnt(0)
	v_fmac_f64_e32 v[100:101], v[110:111], v[106:107]
	s_waitcnt vmcnt(6)
	v_fmac_f64_e32 v[100:101], v[112:113], v[108:109]
	ds_read2_b64 v[106:109], v104 offset0:55 offset1:56
	s_waitcnt vmcnt(4) lgkmcnt(0)
	v_fmac_f64_e32 v[100:101], v[114:115], v[106:107]
	s_waitcnt vmcnt(2)
	v_fmac_f64_e32 v[100:101], v[116:117], v[108:109]
	ds_read2_b64 v[106:109], v104 offset0:57 offset1:58
	buffer_load_dword v103, off, s[0:3], 0 offset:68
	buffer_load_dword v102, off, s[0:3], 0 offset:64
	s_waitcnt vmcnt(2) lgkmcnt(0)
	v_fmac_f64_e32 v[100:101], v[118:119], v[106:107]
	s_waitcnt vmcnt(0)
	v_fmac_f64_e32 v[100:101], v[102:103], v[108:109]
	buffer_load_dword v103, off, s[0:3], 0 offset:76
	buffer_load_dword v102, off, s[0:3], 0 offset:72
	ds_read2_b64 v[106:109], v104 offset0:59 offset1:60
	s_waitcnt vmcnt(0) lgkmcnt(0)
	v_fmac_f64_e32 v[100:101], v[102:103], v[106:107]
	buffer_load_dword v103, off, s[0:3], 0 offset:84
	buffer_load_dword v102, off, s[0:3], 0 offset:80
	s_waitcnt vmcnt(0)
	v_fmac_f64_e32 v[100:101], v[102:103], v[108:109]
	buffer_load_dword v103, off, s[0:3], 0 offset:92
	buffer_load_dword v102, off, s[0:3], 0 offset:88
	ds_read2_b64 v[106:109], v104 offset0:61 offset1:62
	s_waitcnt vmcnt(0) lgkmcnt(0)
	v_fmac_f64_e32 v[100:101], v[102:103], v[106:107]
	buffer_load_dword v103, off, s[0:3], 0 offset:100
	buffer_load_dword v102, off, s[0:3], 0 offset:96
	;; [unrolled: 9-line block ×20, first 2 shown]
	s_waitcnt vmcnt(0)
	v_fmac_f64_e32 v[100:101], v[104:105], v[106:107]
	v_add_f64 v[0:1], v[0:1], -v[100:101]
	buffer_store_dword v1, off, s[0:3], 0 offset:4
	buffer_store_dword v0, off, s[0:3], 0
	s_cbranch_vccz .LBB112_399
; %bb.302:
	v_pk_mov_b32 v[0:1], s[10:11], s[10:11] op_sel:[0,1]
	flat_load_dword v0, v[0:1] offset:188
	s_waitcnt vmcnt(0) lgkmcnt(0)
	v_add_u32_e32 v0, -1, v0
	v_cmp_ne_u32_e32 vcc, 47, v0
	s_and_saveexec_b64 s[4:5], vcc
	s_cbranch_execz .LBB112_304
; %bb.303:
	v_mov_b32_e32 v1, 0
	v_lshl_add_u32 v0, v0, 3, v1
	buffer_load_dword v1, v0, s[0:3], 0 offen
	buffer_load_dword v100, v0, s[0:3], 0 offen offset:4
	s_waitcnt vmcnt(1)
	buffer_store_dword v1, off, s[0:3], 0 offset:376
	s_waitcnt vmcnt(1)
	buffer_store_dword v100, off, s[0:3], 0 offset:380
	buffer_store_dword v102, v0, s[0:3], 0 offen
	buffer_store_dword v103, v0, s[0:3], 0 offen offset:4
.LBB112_304:
	s_or_b64 exec, exec, s[4:5]
	v_pk_mov_b32 v[0:1], s[10:11], s[10:11] op_sel:[0,1]
	flat_load_dword v0, v[0:1] offset:184
	s_waitcnt vmcnt(0) lgkmcnt(0)
	v_add_u32_e32 v0, -1, v0
	v_cmp_ne_u32_e32 vcc, 46, v0
	s_and_saveexec_b64 s[4:5], vcc
	s_cbranch_execz .LBB112_306
; %bb.305:
	v_mov_b32_e32 v1, 0
	v_lshl_add_u32 v0, v0, 3, v1
	buffer_load_dword v1, v0, s[0:3], 0 offen
	buffer_load_dword v100, v0, s[0:3], 0 offen offset:4
	buffer_load_dword v101, off, s[0:3], 0 offset:372
	buffer_load_dword v102, off, s[0:3], 0 offset:368
	s_waitcnt vmcnt(3)
	buffer_store_dword v1, off, s[0:3], 0 offset:368
	s_waitcnt vmcnt(3)
	buffer_store_dword v100, off, s[0:3], 0 offset:372
	s_waitcnt vmcnt(3)
	buffer_store_dword v101, v0, s[0:3], 0 offen offset:4
	s_waitcnt vmcnt(3)
	buffer_store_dword v102, v0, s[0:3], 0 offen
.LBB112_306:
	s_or_b64 exec, exec, s[4:5]
	v_pk_mov_b32 v[0:1], s[10:11], s[10:11] op_sel:[0,1]
	flat_load_dword v0, v[0:1] offset:180
	s_waitcnt vmcnt(0) lgkmcnt(0)
	v_add_u32_e32 v0, -1, v0
	v_cmp_ne_u32_e32 vcc, 45, v0
	s_and_saveexec_b64 s[4:5], vcc
	s_cbranch_execz .LBB112_308
; %bb.307:
	v_mov_b32_e32 v1, 0
	v_lshl_add_u32 v0, v0, 3, v1
	buffer_load_dword v1, v0, s[0:3], 0 offen
	buffer_load_dword v100, v0, s[0:3], 0 offen offset:4
	buffer_load_dword v101, off, s[0:3], 0 offset:360
	buffer_load_dword v102, off, s[0:3], 0 offset:364
	s_waitcnt vmcnt(3)
	buffer_store_dword v1, off, s[0:3], 0 offset:360
	s_waitcnt vmcnt(3)
	buffer_store_dword v100, off, s[0:3], 0 offset:364
	s_waitcnt vmcnt(3)
	buffer_store_dword v101, v0, s[0:3], 0 offen
	s_waitcnt vmcnt(3)
	buffer_store_dword v102, v0, s[0:3], 0 offen offset:4
.LBB112_308:
	s_or_b64 exec, exec, s[4:5]
	v_pk_mov_b32 v[0:1], s[10:11], s[10:11] op_sel:[0,1]
	flat_load_dword v0, v[0:1] offset:176
	s_waitcnt vmcnt(0) lgkmcnt(0)
	v_add_u32_e32 v0, -1, v0
	v_cmp_ne_u32_e32 vcc, 44, v0
	s_and_saveexec_b64 s[4:5], vcc
	s_cbranch_execz .LBB112_310
; %bb.309:
	v_mov_b32_e32 v1, 0
	v_lshl_add_u32 v0, v0, 3, v1
	buffer_load_dword v1, v0, s[0:3], 0 offen
	buffer_load_dword v100, v0, s[0:3], 0 offen offset:4
	buffer_load_dword v101, off, s[0:3], 0 offset:356
	buffer_load_dword v102, off, s[0:3], 0 offset:352
	s_waitcnt vmcnt(3)
	buffer_store_dword v1, off, s[0:3], 0 offset:352
	s_waitcnt vmcnt(3)
	buffer_store_dword v100, off, s[0:3], 0 offset:356
	s_waitcnt vmcnt(3)
	buffer_store_dword v101, v0, s[0:3], 0 offen offset:4
	s_waitcnt vmcnt(3)
	buffer_store_dword v102, v0, s[0:3], 0 offen
.LBB112_310:
	s_or_b64 exec, exec, s[4:5]
	v_pk_mov_b32 v[0:1], s[10:11], s[10:11] op_sel:[0,1]
	flat_load_dword v0, v[0:1] offset:172
	s_waitcnt vmcnt(0) lgkmcnt(0)
	v_add_u32_e32 v0, -1, v0
	v_cmp_ne_u32_e32 vcc, 43, v0
	s_and_saveexec_b64 s[4:5], vcc
	s_cbranch_execz .LBB112_312
; %bb.311:
	v_mov_b32_e32 v1, 0
	v_lshl_add_u32 v0, v0, 3, v1
	buffer_load_dword v1, v0, s[0:3], 0 offen
	buffer_load_dword v100, v0, s[0:3], 0 offen offset:4
	buffer_load_dword v101, off, s[0:3], 0 offset:344
	buffer_load_dword v102, off, s[0:3], 0 offset:348
	s_waitcnt vmcnt(3)
	buffer_store_dword v1, off, s[0:3], 0 offset:344
	s_waitcnt vmcnt(3)
	buffer_store_dword v100, off, s[0:3], 0 offset:348
	s_waitcnt vmcnt(3)
	buffer_store_dword v101, v0, s[0:3], 0 offen
	s_waitcnt vmcnt(3)
	buffer_store_dword v102, v0, s[0:3], 0 offen offset:4
.LBB112_312:
	;; [unrolled: 48-line block ×23, first 2 shown]
	s_or_b64 exec, exec, s[4:5]
	v_pk_mov_b32 v[0:1], s[10:11], s[10:11] op_sel:[0,1]
	flat_load_dword v100, v[0:1]
	s_nop 0
	buffer_load_dword v0, off, s[0:3], 0
	buffer_load_dword v1, off, s[0:3], 0 offset:4
	s_waitcnt vmcnt(0) lgkmcnt(0)
	v_add_u32_e32 v100, -1, v100
	v_cmp_ne_u32_e32 vcc, 0, v100
	s_and_saveexec_b64 s[4:5], vcc
	s_cbranch_execz .LBB112_398
; %bb.397:
	v_mov_b32_e32 v101, 0
	v_lshl_add_u32 v100, v100, 3, v101
	buffer_load_dword v101, v100, s[0:3], 0 offen offset:4
	buffer_load_dword v102, v100, s[0:3], 0 offen
	s_waitcnt vmcnt(1)
	buffer_store_dword v101, off, s[0:3], 0 offset:4
	s_waitcnt vmcnt(1)
	buffer_store_dword v102, off, s[0:3], 0
	buffer_store_dword v1, v100, s[0:3], 0 offen offset:4
	buffer_store_dword v0, v100, s[0:3], 0 offen
	buffer_load_dword v0, off, s[0:3], 0
	s_nop 0
	buffer_load_dword v1, off, s[0:3], 0 offset:4
.LBB112_398:
	s_or_b64 exec, exec, s[4:5]
.LBB112_399:
	s_waitcnt vmcnt(0)
	global_store_dwordx2 v[98:99], v[0:1], off
	buffer_load_dword v0, off, s[0:3], 0 offset:8
	s_nop 0
	buffer_load_dword v1, off, s[0:3], 0 offset:12
	buffer_load_dword v98, off, s[0:3], 0 offset:16
	buffer_load_dword v99, off, s[0:3], 0 offset:20
	buffer_load_dword v100, off, s[0:3], 0 offset:24
	buffer_load_dword v101, off, s[0:3], 0 offset:28
	buffer_load_dword v102, off, s[0:3], 0 offset:32
	buffer_load_dword v103, off, s[0:3], 0 offset:36
	buffer_load_dword v104, off, s[0:3], 0 offset:40
	buffer_load_dword v105, off, s[0:3], 0 offset:44
	buffer_load_dword v106, off, s[0:3], 0 offset:48
	buffer_load_dword v107, off, s[0:3], 0 offset:52
	buffer_load_dword v108, off, s[0:3], 0 offset:56
	buffer_load_dword v109, off, s[0:3], 0 offset:60
	buffer_load_dword v110, off, s[0:3], 0 offset:64
	buffer_load_dword v111, off, s[0:3], 0 offset:68
	s_waitcnt vmcnt(14)
	global_store_dwordx2 v[96:97], v[0:1], off
	s_waitcnt vmcnt(13)
	global_store_dwordx2 v[2:3], v[98:99], off
	;; [unrolled: 2-line block ×8, first 2 shown]
	buffer_load_dword v0, off, s[0:3], 0 offset:72
	buffer_load_dword v1, off, s[0:3], 0 offset:76
	s_waitcnt vmcnt(0)
	global_store_dwordx2 v[14:15], v[0:1], off
	buffer_load_dword v0, off, s[0:3], 0 offset:80
	s_nop 0
	buffer_load_dword v1, off, s[0:3], 0 offset:84
	s_waitcnt vmcnt(0)
	global_store_dwordx2 v[16:17], v[0:1], off
	buffer_load_dword v0, off, s[0:3], 0 offset:88
	s_nop 0
	buffer_load_dword v1, off, s[0:3], 0 offset:92
	s_waitcnt vmcnt(0)
	global_store_dwordx2 v[20:21], v[0:1], off
	buffer_load_dword v0, off, s[0:3], 0 offset:96
	s_nop 0
	buffer_load_dword v1, off, s[0:3], 0 offset:100
	s_waitcnt vmcnt(0)
	global_store_dwordx2 v[22:23], v[0:1], off
	buffer_load_dword v0, off, s[0:3], 0 offset:104
	s_nop 0
	buffer_load_dword v1, off, s[0:3], 0 offset:108
	s_waitcnt vmcnt(0)
	global_store_dwordx2 v[24:25], v[0:1], off
	buffer_load_dword v0, off, s[0:3], 0 offset:112
	s_nop 0
	buffer_load_dword v1, off, s[0:3], 0 offset:116
	s_waitcnt vmcnt(0)
	global_store_dwordx2 v[26:27], v[0:1], off
	buffer_load_dword v0, off, s[0:3], 0 offset:120
	s_nop 0
	buffer_load_dword v1, off, s[0:3], 0 offset:124
	s_waitcnt vmcnt(0)
	global_store_dwordx2 v[28:29], v[0:1], off
	buffer_load_dword v0, off, s[0:3], 0 offset:128
	s_nop 0
	buffer_load_dword v1, off, s[0:3], 0 offset:132
	s_waitcnt vmcnt(0)
	global_store_dwordx2 v[30:31], v[0:1], off
	buffer_load_dword v0, off, s[0:3], 0 offset:136
	s_nop 0
	buffer_load_dword v1, off, s[0:3], 0 offset:140
	s_waitcnt vmcnt(0)
	global_store_dwordx2 v[32:33], v[0:1], off
	buffer_load_dword v0, off, s[0:3], 0 offset:144
	s_nop 0
	buffer_load_dword v1, off, s[0:3], 0 offset:148
	s_waitcnt vmcnt(0)
	global_store_dwordx2 v[34:35], v[0:1], off
	buffer_load_dword v0, off, s[0:3], 0 offset:152
	s_nop 0
	buffer_load_dword v1, off, s[0:3], 0 offset:156
	s_waitcnt vmcnt(0)
	global_store_dwordx2 v[36:37], v[0:1], off
	buffer_load_dword v0, off, s[0:3], 0 offset:160
	s_nop 0
	buffer_load_dword v1, off, s[0:3], 0 offset:164
	s_waitcnt vmcnt(0)
	global_store_dwordx2 v[38:39], v[0:1], off
	buffer_load_dword v0, off, s[0:3], 0 offset:168
	s_nop 0
	buffer_load_dword v1, off, s[0:3], 0 offset:172
	s_waitcnt vmcnt(0)
	global_store_dwordx2 v[40:41], v[0:1], off
	buffer_load_dword v0, off, s[0:3], 0 offset:176
	s_nop 0
	buffer_load_dword v1, off, s[0:3], 0 offset:180
	s_waitcnt vmcnt(0)
	global_store_dwordx2 v[42:43], v[0:1], off
	buffer_load_dword v0, off, s[0:3], 0 offset:184
	s_nop 0
	buffer_load_dword v1, off, s[0:3], 0 offset:188
	s_waitcnt vmcnt(0)
	global_store_dwordx2 v[44:45], v[0:1], off
	buffer_load_dword v0, off, s[0:3], 0 offset:192
	s_nop 0
	buffer_load_dword v1, off, s[0:3], 0 offset:196
	s_waitcnt vmcnt(0)
	global_store_dwordx2 v[46:47], v[0:1], off
	buffer_load_dword v0, off, s[0:3], 0 offset:200
	s_nop 0
	buffer_load_dword v1, off, s[0:3], 0 offset:204
	s_waitcnt vmcnt(0)
	global_store_dwordx2 v[48:49], v[0:1], off
	buffer_load_dword v0, off, s[0:3], 0 offset:208
	s_nop 0
	buffer_load_dword v1, off, s[0:3], 0 offset:212
	s_waitcnt vmcnt(0)
	global_store_dwordx2 v[50:51], v[0:1], off
	buffer_load_dword v0, off, s[0:3], 0 offset:216
	s_nop 0
	buffer_load_dword v1, off, s[0:3], 0 offset:220
	s_waitcnt vmcnt(0)
	global_store_dwordx2 v[52:53], v[0:1], off
	buffer_load_dword v0, off, s[0:3], 0 offset:224
	s_nop 0
	buffer_load_dword v1, off, s[0:3], 0 offset:228
	s_waitcnt vmcnt(0)
	global_store_dwordx2 v[54:55], v[0:1], off
	buffer_load_dword v0, off, s[0:3], 0 offset:232
	s_nop 0
	buffer_load_dword v1, off, s[0:3], 0 offset:236
	s_waitcnt vmcnt(0)
	global_store_dwordx2 v[56:57], v[0:1], off
	buffer_load_dword v0, off, s[0:3], 0 offset:240
	s_nop 0
	buffer_load_dword v1, off, s[0:3], 0 offset:244
	s_waitcnt vmcnt(0)
	global_store_dwordx2 v[58:59], v[0:1], off
	buffer_load_dword v0, off, s[0:3], 0 offset:248
	s_nop 0
	buffer_load_dword v1, off, s[0:3], 0 offset:252
	s_waitcnt vmcnt(0)
	global_store_dwordx2 v[60:61], v[0:1], off
	buffer_load_dword v0, off, s[0:3], 0 offset:256
	s_nop 0
	buffer_load_dword v1, off, s[0:3], 0 offset:260
	s_waitcnt vmcnt(0)
	global_store_dwordx2 v[62:63], v[0:1], off
	buffer_load_dword v0, off, s[0:3], 0 offset:264
	s_nop 0
	buffer_load_dword v1, off, s[0:3], 0 offset:268
	s_waitcnt vmcnt(0)
	global_store_dwordx2 v[64:65], v[0:1], off
	buffer_load_dword v0, off, s[0:3], 0 offset:272
	s_nop 0
	buffer_load_dword v1, off, s[0:3], 0 offset:276
	s_waitcnt vmcnt(0)
	global_store_dwordx2 v[66:67], v[0:1], off
	buffer_load_dword v0, off, s[0:3], 0 offset:280
	s_nop 0
	buffer_load_dword v1, off, s[0:3], 0 offset:284
	s_waitcnt vmcnt(0)
	global_store_dwordx2 v[68:69], v[0:1], off
	buffer_load_dword v0, off, s[0:3], 0 offset:288
	s_nop 0
	buffer_load_dword v1, off, s[0:3], 0 offset:292
	s_waitcnt vmcnt(0)
	global_store_dwordx2 v[70:71], v[0:1], off
	buffer_load_dword v0, off, s[0:3], 0 offset:296
	s_nop 0
	buffer_load_dword v1, off, s[0:3], 0 offset:300
	s_waitcnt vmcnt(0)
	global_store_dwordx2 v[72:73], v[0:1], off
	buffer_load_dword v0, off, s[0:3], 0 offset:304
	s_nop 0
	buffer_load_dword v1, off, s[0:3], 0 offset:308
	s_waitcnt vmcnt(0)
	global_store_dwordx2 v[74:75], v[0:1], off
	buffer_load_dword v0, off, s[0:3], 0 offset:312
	s_nop 0
	buffer_load_dword v1, off, s[0:3], 0 offset:316
	s_waitcnt vmcnt(0)
	global_store_dwordx2 v[76:77], v[0:1], off
	buffer_load_dword v0, off, s[0:3], 0 offset:320
	s_nop 0
	buffer_load_dword v1, off, s[0:3], 0 offset:324
	s_waitcnt vmcnt(0)
	global_store_dwordx2 v[78:79], v[0:1], off
	buffer_load_dword v0, off, s[0:3], 0 offset:328
	s_nop 0
	buffer_load_dword v1, off, s[0:3], 0 offset:332
	s_waitcnt vmcnt(0)
	global_store_dwordx2 v[82:83], v[0:1], off
	buffer_load_dword v0, off, s[0:3], 0 offset:336
	s_nop 0
	buffer_load_dword v1, off, s[0:3], 0 offset:340
	s_waitcnt vmcnt(0)
	global_store_dwordx2 v[84:85], v[0:1], off
	buffer_load_dword v0, off, s[0:3], 0 offset:344
	s_nop 0
	buffer_load_dword v1, off, s[0:3], 0 offset:348
	s_waitcnt vmcnt(0)
	global_store_dwordx2 v[86:87], v[0:1], off
	buffer_load_dword v0, off, s[0:3], 0 offset:352
	s_nop 0
	buffer_load_dword v1, off, s[0:3], 0 offset:356
	s_waitcnt vmcnt(0)
	global_store_dwordx2 v[88:89], v[0:1], off
	buffer_load_dword v0, off, s[0:3], 0 offset:360
	s_nop 0
	buffer_load_dword v1, off, s[0:3], 0 offset:364
	s_waitcnt vmcnt(0)
	global_store_dwordx2 v[90:91], v[0:1], off
	buffer_load_dword v0, off, s[0:3], 0 offset:368
	s_nop 0
	buffer_load_dword v1, off, s[0:3], 0 offset:372
	s_waitcnt vmcnt(0)
	global_store_dwordx2 v[92:93], v[0:1], off
	buffer_load_dword v0, off, s[0:3], 0 offset:376
	s_nop 0
	buffer_load_dword v1, off, s[0:3], 0 offset:380
	s_waitcnt vmcnt(0)
	global_store_dwordx2 v[94:95], v[0:1], off
	buffer_load_dword v0, off, s[0:3], 0 offset:384
	s_nop 0
	buffer_load_dword v1, off, s[0:3], 0 offset:388
	s_waitcnt vmcnt(0)
	global_store_dwordx2 v[80:81], v[0:1], off
	s_endpgm
	.section	.rodata,"a",@progbits
	.p2align	6, 0x0
	.amdhsa_kernel _ZN9rocsolver6v33100L18getri_kernel_smallILi49EdPKPdEEvT1_iilPiilS6_bb
		.amdhsa_group_segment_fixed_size 792
		.amdhsa_private_segment_fixed_size 400
		.amdhsa_kernarg_size 60
		.amdhsa_user_sgpr_count 8
		.amdhsa_user_sgpr_private_segment_buffer 1
		.amdhsa_user_sgpr_dispatch_ptr 0
		.amdhsa_user_sgpr_queue_ptr 0
		.amdhsa_user_sgpr_kernarg_segment_ptr 1
		.amdhsa_user_sgpr_dispatch_id 0
		.amdhsa_user_sgpr_flat_scratch_init 1
		.amdhsa_user_sgpr_kernarg_preload_length 0
		.amdhsa_user_sgpr_kernarg_preload_offset 0
		.amdhsa_user_sgpr_private_segment_size 0
		.amdhsa_uses_dynamic_stack 0
		.amdhsa_system_sgpr_private_segment_wavefront_offset 1
		.amdhsa_system_sgpr_workgroup_id_x 1
		.amdhsa_system_sgpr_workgroup_id_y 0
		.amdhsa_system_sgpr_workgroup_id_z 0
		.amdhsa_system_sgpr_workgroup_info 0
		.amdhsa_system_vgpr_workitem_id 0
		.amdhsa_next_free_vgpr 168
		.amdhsa_next_free_sgpr 22
		.amdhsa_accum_offset 168
		.amdhsa_reserve_vcc 1
		.amdhsa_reserve_flat_scratch 1
		.amdhsa_float_round_mode_32 0
		.amdhsa_float_round_mode_16_64 0
		.amdhsa_float_denorm_mode_32 3
		.amdhsa_float_denorm_mode_16_64 3
		.amdhsa_dx10_clamp 1
		.amdhsa_ieee_mode 1
		.amdhsa_fp16_overflow 0
		.amdhsa_tg_split 0
		.amdhsa_exception_fp_ieee_invalid_op 0
		.amdhsa_exception_fp_denorm_src 0
		.amdhsa_exception_fp_ieee_div_zero 0
		.amdhsa_exception_fp_ieee_overflow 0
		.amdhsa_exception_fp_ieee_underflow 0
		.amdhsa_exception_fp_ieee_inexact 0
		.amdhsa_exception_int_div_zero 0
	.end_amdhsa_kernel
	.section	.text._ZN9rocsolver6v33100L18getri_kernel_smallILi49EdPKPdEEvT1_iilPiilS6_bb,"axG",@progbits,_ZN9rocsolver6v33100L18getri_kernel_smallILi49EdPKPdEEvT1_iilPiilS6_bb,comdat
.Lfunc_end112:
	.size	_ZN9rocsolver6v33100L18getri_kernel_smallILi49EdPKPdEEvT1_iilPiilS6_bb, .Lfunc_end112-_ZN9rocsolver6v33100L18getri_kernel_smallILi49EdPKPdEEvT1_iilPiilS6_bb
                                        ; -- End function
	.section	.AMDGPU.csdata,"",@progbits
; Kernel info:
; codeLenInByte = 58628
; NumSgprs: 28
; NumVgprs: 168
; NumAgprs: 0
; TotalNumVgprs: 168
; ScratchSize: 400
; MemoryBound: 1
; FloatMode: 240
; IeeeMode: 1
; LDSByteSize: 792 bytes/workgroup (compile time only)
; SGPRBlocks: 3
; VGPRBlocks: 20
; NumSGPRsForWavesPerEU: 28
; NumVGPRsForWavesPerEU: 168
; AccumOffset: 168
; Occupancy: 3
; WaveLimiterHint : 1
; COMPUTE_PGM_RSRC2:SCRATCH_EN: 1
; COMPUTE_PGM_RSRC2:USER_SGPR: 8
; COMPUTE_PGM_RSRC2:TRAP_HANDLER: 0
; COMPUTE_PGM_RSRC2:TGID_X_EN: 1
; COMPUTE_PGM_RSRC2:TGID_Y_EN: 0
; COMPUTE_PGM_RSRC2:TGID_Z_EN: 0
; COMPUTE_PGM_RSRC2:TIDIG_COMP_CNT: 0
; COMPUTE_PGM_RSRC3_GFX90A:ACCUM_OFFSET: 41
; COMPUTE_PGM_RSRC3_GFX90A:TG_SPLIT: 0
	.section	.text._ZN9rocsolver6v33100L18getri_kernel_smallILi50EdPKPdEEvT1_iilPiilS6_bb,"axG",@progbits,_ZN9rocsolver6v33100L18getri_kernel_smallILi50EdPKPdEEvT1_iilPiilS6_bb,comdat
	.globl	_ZN9rocsolver6v33100L18getri_kernel_smallILi50EdPKPdEEvT1_iilPiilS6_bb ; -- Begin function _ZN9rocsolver6v33100L18getri_kernel_smallILi50EdPKPdEEvT1_iilPiilS6_bb
	.p2align	8
	.type	_ZN9rocsolver6v33100L18getri_kernel_smallILi50EdPKPdEEvT1_iilPiilS6_bb,@function
_ZN9rocsolver6v33100L18getri_kernel_smallILi50EdPKPdEEvT1_iilPiilS6_bb: ; @_ZN9rocsolver6v33100L18getri_kernel_smallILi50EdPKPdEEvT1_iilPiilS6_bb
; %bb.0:
	s_add_u32 flat_scratch_lo, s6, s9
	s_addc_u32 flat_scratch_hi, s7, 0
	s_add_u32 s0, s0, s9
	s_addc_u32 s1, s1, 0
	v_cmp_gt_u32_e32 vcc, 50, v0
	s_and_saveexec_b64 s[6:7], vcc
	s_cbranch_execz .LBB113_208
; %bb.1:
	s_load_dword s18, s[4:5], 0x38
	s_load_dwordx2 s[6:7], s[4:5], 0x0
	s_load_dwordx4 s[12:15], s[4:5], 0x28
	s_waitcnt lgkmcnt(0)
	s_bitcmp1_b32 s18, 8
	s_cselect_b64 s[16:17], -1, 0
	s_ashr_i32 s9, s8, 31
	s_lshl_b64 s[10:11], s[8:9], 3
	s_add_u32 s6, s6, s10
	s_addc_u32 s7, s7, s11
	s_load_dwordx2 s[6:7], s[6:7], 0x0
	s_bfe_u32 s10, s18, 0x10008
	s_cmp_eq_u32 s10, 0
                                        ; implicit-def: $sgpr10_sgpr11
	s_cbranch_scc1 .LBB113_3
; %bb.2:
	s_load_dword s10, s[4:5], 0x20
	s_load_dwordx2 s[20:21], s[4:5], 0x18
	s_mul_i32 s11, s8, s13
	s_mul_hi_u32 s13, s8, s12
	s_add_i32 s13, s13, s11
	s_mul_i32 s19, s9, s12
	s_add_i32 s13, s13, s19
	s_mul_i32 s12, s8, s12
	s_waitcnt lgkmcnt(0)
	s_ashr_i32 s11, s10, 31
	s_lshl_b64 s[12:13], s[12:13], 2
	s_add_u32 s12, s20, s12
	s_addc_u32 s13, s21, s13
	s_lshl_b64 s[10:11], s[10:11], 2
	s_add_u32 s10, s12, s10
	s_addc_u32 s11, s13, s11
.LBB113_3:
	s_load_dwordx2 s[4:5], s[4:5], 0x8
	s_waitcnt lgkmcnt(0)
	s_ashr_i32 s13, s4, 31
	s_mov_b32 s12, s4
	s_lshl_b64 s[12:13], s[12:13], 3
	s_add_u32 s6, s6, s12
	s_addc_u32 s7, s7, s13
	s_add_i32 s4, s5, s5
	v_add_u32_e32 v4, s4, v0
	v_ashrrev_i32_e32 v5, 31, v4
	v_lshlrev_b64 v[2:3], 3, v[4:5]
	v_add_u32_e32 v6, s5, v4
	v_mov_b32_e32 v1, s7
	v_add_co_u32_e32 v2, vcc, s6, v2
	v_ashrrev_i32_e32 v7, 31, v6
	v_addc_co_u32_e32 v3, vcc, v1, v3, vcc
	v_lshlrev_b64 v[4:5], 3, v[6:7]
	v_add_u32_e32 v8, s5, v6
	v_add_co_u32_e32 v4, vcc, s6, v4
	v_ashrrev_i32_e32 v9, 31, v8
	v_addc_co_u32_e32 v5, vcc, v1, v5, vcc
	v_lshlrev_b64 v[6:7], 3, v[8:9]
	v_add_u32_e32 v10, s5, v8
	;; [unrolled: 5-line block ×5, first 2 shown]
	v_add_co_u32_e32 v12, vcc, s6, v12
	v_ashrrev_i32_e32 v15, 31, v14
	v_addc_co_u32_e32 v13, vcc, v1, v13, vcc
	v_lshlrev_b64 v[16:17], 3, v[14:15]
	v_add_co_u32_e32 v18, vcc, s6, v16
	v_add_u32_e32 v16, s5, v14
	v_addc_co_u32_e32 v19, vcc, v1, v17, vcc
	v_ashrrev_i32_e32 v17, 31, v16
	v_lshlrev_b64 v[14:15], 3, v[16:17]
	v_add_u32_e32 v20, s5, v16
	v_add_co_u32_e32 v14, vcc, s6, v14
	v_ashrrev_i32_e32 v21, 31, v20
	v_addc_co_u32_e32 v15, vcc, v1, v15, vcc
	v_lshlrev_b64 v[16:17], 3, v[20:21]
	v_add_u32_e32 v22, s5, v20
	v_add_co_u32_e32 v16, vcc, s6, v16
	v_ashrrev_i32_e32 v23, 31, v22
	v_addc_co_u32_e32 v17, vcc, v1, v17, vcc
	;; [unrolled: 5-line block ×32, first 2 shown]
	v_lshlrev_b64 v[80:81], 3, v[82:83]
	v_add_co_u32_e32 v80, vcc, s6, v80
	v_add_u32_e32 v82, s5, v82
	v_addc_co_u32_e32 v81, vcc, v1, v81, vcc
	v_ashrrev_i32_e32 v83, 31, v82
	v_lshlrev_b32_e32 v1, 3, v0
	v_lshlrev_b64 v[84:85], 3, v[82:83]
	v_mov_b32_e32 v83, s7
	v_add_co_u32_e32 v100, vcc, s6, v1
	s_ashr_i32 s13, s5, 31
	s_mov_b32 s12, s5
	v_addc_co_u32_e32 v101, vcc, 0, v83, vcc
	s_lshl_b64 s[12:13], s[12:13], 3
	v_mov_b32_e32 v83, s13
	v_add_co_u32_e32 v98, vcc, s12, v100
	v_addc_co_u32_e32 v99, vcc, v101, v83, vcc
	global_load_dwordx2 v[102:103], v1, s[6:7]
	global_load_dwordx2 v[104:105], v[98:99], off
	global_load_dwordx2 v[106:107], v[2:3], off
	;; [unrolled: 1-line block ×18, first 2 shown]
	v_add_u32_e32 v82, s5, v82
	v_mov_b32_e32 v86, s7
	v_add_co_u32_e32 v84, vcc, s6, v84
	v_ashrrev_i32_e32 v83, 31, v82
	v_addc_co_u32_e32 v85, vcc, v86, v85, vcc
	v_lshlrev_b64 v[86:87], 3, v[82:83]
	v_add_u32_e32 v82, s5, v82
	v_mov_b32_e32 v88, s7
	v_add_co_u32_e32 v86, vcc, s6, v86
	v_ashrrev_i32_e32 v83, 31, v82
	v_addc_co_u32_e32 v87, vcc, v88, v87, vcc
	v_lshlrev_b64 v[88:89], 3, v[82:83]
	;; [unrolled: 6-line block ×7, first 2 shown]
	v_add_co_u32_e32 v82, vcc, s6, v82
	v_addc_co_u32_e32 v83, vcc, v140, v83, vcc
	global_load_dwordx2 v[140:141], v[82:83], off
	s_waitcnt vmcnt(19)
	buffer_store_dword v103, off, s[0:3], 0 offset:4
	buffer_store_dword v102, off, s[0:3], 0
	s_waitcnt vmcnt(20)
	buffer_store_dword v105, off, s[0:3], 0 offset:12
	buffer_store_dword v104, off, s[0:3], 0 offset:8
	s_waitcnt vmcnt(21)
	buffer_store_dword v107, off, s[0:3], 0 offset:20
	buffer_store_dword v106, off, s[0:3], 0 offset:16
	;; [unrolled: 3-line block ×3, first 2 shown]
	s_waitcnt vmcnt(23)
	buffer_store_dword v111, off, s[0:3], 0 offset:36
	global_load_dwordx2 v[102:103], v[36:37], off
	global_load_dwordx2 v[104:105], v[38:39], off
	;; [unrolled: 1-line block ×15, first 2 shown]
	s_bitcmp0_b32 s18, 0
	buffer_store_dword v110, off, s[0:3], 0 offset:32
	global_load_dwordx2 v[110:111], v[44:45], off
	s_mov_b64 s[6:7], -1
	s_waitcnt vmcnt(40)
	buffer_store_dword v113, off, s[0:3], 0 offset:44
	buffer_store_dword v112, off, s[0:3], 0 offset:40
	global_load_dwordx2 v[112:113], v[46:47], off
	s_waitcnt vmcnt(42)
	buffer_store_dword v115, off, s[0:3], 0 offset:52
	buffer_store_dword v114, off, s[0:3], 0 offset:48
	global_load_dwordx2 v[114:115], v[48:49], off
	;; [unrolled: 4-line block ×13, first 2 shown]
	s_nop 0
	buffer_store_dword v138, off, s[0:3], 0 offset:144
	buffer_store_dword v139, off, s[0:3], 0 offset:148
	global_load_dwordx2 v[138:139], v[96:97], off
	s_waitcnt vmcnt(58)
	buffer_store_dword v103, off, s[0:3], 0 offset:156
	buffer_store_dword v102, off, s[0:3], 0 offset:152
	s_waitcnt vmcnt(59)
	buffer_store_dword v105, off, s[0:3], 0 offset:164
	buffer_store_dword v104, off, s[0:3], 0 offset:160
	;; [unrolled: 3-line block ×8, first 2 shown]
	buffer_store_dword v142, off, s[0:3], 0 offset:216
	buffer_store_dword v143, off, s[0:3], 0 offset:220
	s_waitcnt vmcnt(48)
	buffer_store_dword v118, off, s[0:3], 0 offset:224
	buffer_store_dword v119, off, s[0:3], 0 offset:228
	buffer_store_dword v144, off, s[0:3], 0 offset:232
	buffer_store_dword v145, off, s[0:3], 0 offset:236
	s_waitcnt vmcnt(49)
	buffer_store_dword v120, off, s[0:3], 0 offset:240
	buffer_store_dword v121, off, s[0:3], 0 offset:244
	;; [unrolled: 5-line block ×11, first 2 shown]
	buffer_store_dword v141, off, s[0:3], 0 offset:396
	buffer_store_dword v140, off, s[0:3], 0 offset:392
	s_cbranch_scc1 .LBB113_206
; %bb.4:
	v_cmp_eq_u32_e64 s[4:5], 0, v0
	s_and_saveexec_b64 s[6:7], s[4:5]
	s_cbranch_execz .LBB113_6
; %bb.5:
	v_mov_b32_e32 v102, 0
	ds_write_b32 v102, v102 offset:800
.LBB113_6:
	s_or_b64 exec, exec, s[6:7]
	v_mov_b32_e32 v102, 0
	v_lshl_add_u32 v102, v0, 3, v102
	s_waitcnt lgkmcnt(0)
	; wave barrier
	s_waitcnt lgkmcnt(0)
	buffer_load_dword v104, v102, s[0:3], 0 offen
	buffer_load_dword v105, v102, s[0:3], 0 offen offset:4
	s_waitcnt vmcnt(0)
	v_cmp_eq_f64_e32 vcc, 0, v[104:105]
	s_and_saveexec_b64 s[12:13], vcc
	s_cbranch_execz .LBB113_10
; %bb.7:
	v_mov_b32_e32 v103, 0
	ds_read_b32 v105, v103 offset:800
	v_add_u32_e32 v104, 1, v0
	s_waitcnt lgkmcnt(0)
	v_readfirstlane_b32 s6, v105
	s_cmp_eq_u32 s6, 0
	s_cselect_b64 s[18:19], -1, 0
	v_cmp_gt_i32_e32 vcc, s6, v104
	s_or_b64 s[18:19], s[18:19], vcc
	s_and_b64 exec, exec, s[18:19]
	s_cbranch_execz .LBB113_10
; %bb.8:
	s_mov_b64 s[18:19], 0
	v_mov_b32_e32 v105, s6
.LBB113_9:                              ; =>This Inner Loop Header: Depth=1
	ds_cmpst_rtn_b32 v105, v103, v105, v104 offset:800
	s_waitcnt lgkmcnt(0)
	v_cmp_ne_u32_e32 vcc, 0, v105
	v_cmp_le_i32_e64 s[6:7], v105, v104
	s_and_b64 s[6:7], vcc, s[6:7]
	s_and_b64 s[6:7], exec, s[6:7]
	s_or_b64 s[18:19], s[6:7], s[18:19]
	s_andn2_b64 exec, exec, s[18:19]
	s_cbranch_execnz .LBB113_9
.LBB113_10:
	s_or_b64 exec, exec, s[12:13]
	v_mov_b32_e32 v104, 0
	s_waitcnt lgkmcnt(0)
	; wave barrier
	ds_read_b32 v103, v104 offset:800
	s_and_saveexec_b64 s[6:7], s[4:5]
	s_cbranch_execz .LBB113_12
; %bb.11:
	s_lshl_b64 s[12:13], s[8:9], 2
	s_add_u32 s12, s14, s12
	s_addc_u32 s13, s15, s13
	s_waitcnt lgkmcnt(0)
	global_store_dword v104, v103, s[12:13]
.LBB113_12:
	s_or_b64 exec, exec, s[6:7]
	s_waitcnt lgkmcnt(0)
	v_cmp_ne_u32_e32 vcc, 0, v103
	s_mov_b64 s[6:7], 0
	s_cbranch_vccnz .LBB113_206
; %bb.13:
	buffer_load_dword v104, v102, s[0:3], 0 offen
	buffer_load_dword v105, v102, s[0:3], 0 offen offset:4
	s_waitcnt vmcnt(0)
	v_div_scale_f64 v[106:107], s[6:7], v[104:105], v[104:105], 1.0
	v_rcp_f64_e32 v[108:109], v[106:107]
	v_div_scale_f64 v[110:111], vcc, 1.0, v[104:105], 1.0
	v_fma_f64 v[112:113], -v[106:107], v[108:109], 1.0
	v_fmac_f64_e32 v[108:109], v[108:109], v[112:113]
	v_fma_f64 v[112:113], -v[106:107], v[108:109], 1.0
	v_fmac_f64_e32 v[108:109], v[108:109], v[112:113]
	v_mul_f64 v[112:113], v[110:111], v[108:109]
	v_fma_f64 v[106:107], -v[106:107], v[112:113], v[110:111]
	v_div_fmas_f64 v[106:107], v[106:107], v[108:109], v[112:113]
	v_div_fixup_f64 v[106:107], v[106:107], v[104:105], 1.0
	buffer_store_dword v107, v102, s[0:3], 0 offen offset:4
	buffer_store_dword v106, v102, s[0:3], 0 offen
	buffer_load_dword v109, off, s[0:3], 0 offset:12
	buffer_load_dword v108, off, s[0:3], 0 offset:8
	v_add_u32_e32 v104, 0x190, v1
	v_xor_b32_e32 v107, 0x80000000, v107
	s_waitcnt vmcnt(0)
	ds_write2_b64 v1, v[106:107], v[108:109] offset1:50
	s_waitcnt lgkmcnt(0)
	; wave barrier
	s_waitcnt lgkmcnt(0)
	s_and_saveexec_b64 s[6:7], s[4:5]
	s_cbranch_execz .LBB113_15
; %bb.14:
	buffer_load_dword v106, v102, s[0:3], 0 offen
	buffer_load_dword v107, v102, s[0:3], 0 offen offset:4
	v_mov_b32_e32 v103, 0
	ds_read_b64 v[108:109], v104
	ds_read_b64 v[110:111], v103 offset:8
	s_waitcnt vmcnt(0) lgkmcnt(1)
	v_fma_f64 v[106:107], v[106:107], v[108:109], 0
	s_waitcnt lgkmcnt(0)
	v_mul_f64 v[106:107], v[106:107], v[110:111]
	buffer_store_dword v106, off, s[0:3], 0 offset:8
	buffer_store_dword v107, off, s[0:3], 0 offset:12
.LBB113_15:
	s_or_b64 exec, exec, s[6:7]
	s_waitcnt lgkmcnt(0)
	; wave barrier
	buffer_load_dword v106, off, s[0:3], 0 offset:16
	buffer_load_dword v107, off, s[0:3], 0 offset:20
	v_cmp_gt_u32_e32 vcc, 2, v0
	s_waitcnt vmcnt(0)
	ds_write_b64 v104, v[106:107]
	s_waitcnt lgkmcnt(0)
	; wave barrier
	s_waitcnt lgkmcnt(0)
	s_and_saveexec_b64 s[6:7], vcc
	s_cbranch_execz .LBB113_17
; %bb.16:
	buffer_load_dword v103, v102, s[0:3], 0 offen offset:4
	buffer_load_dword v110, off, s[0:3], 0 offset:8
	s_nop 0
	buffer_load_dword v102, v102, s[0:3], 0 offen
	s_nop 0
	buffer_load_dword v111, off, s[0:3], 0 offset:12
	ds_read_b64 v[112:113], v104
	v_mov_b32_e32 v105, 0
	ds_read2_b64 v[106:109], v105 offset0:2 offset1:51
	s_waitcnt vmcnt(1) lgkmcnt(1)
	v_fma_f64 v[102:103], v[102:103], v[112:113], 0
	s_waitcnt vmcnt(0) lgkmcnt(0)
	v_fma_f64 v[108:109], v[110:111], v[108:109], v[102:103]
	v_cndmask_b32_e64 v103, v103, v109, s[4:5]
	v_cndmask_b32_e64 v102, v102, v108, s[4:5]
	v_mul_f64 v[102:103], v[102:103], v[106:107]
	buffer_store_dword v103, off, s[0:3], 0 offset:20
	buffer_store_dword v102, off, s[0:3], 0 offset:16
.LBB113_17:
	s_or_b64 exec, exec, s[6:7]
	s_waitcnt lgkmcnt(0)
	; wave barrier
	buffer_load_dword v102, off, s[0:3], 0 offset:24
	buffer_load_dword v103, off, s[0:3], 0 offset:28
	v_cmp_gt_u32_e32 vcc, 3, v0
	v_add_u32_e32 v105, -1, v0
	s_waitcnt vmcnt(0)
	ds_write_b64 v104, v[102:103]
	s_waitcnt lgkmcnt(0)
	; wave barrier
	s_waitcnt lgkmcnt(0)
	s_and_saveexec_b64 s[4:5], vcc
	s_cbranch_execz .LBB113_21
; %bb.18:
	v_add_u32_e32 v106, -1, v0
	v_add_u32_e32 v107, 0x190, v1
	v_add_u32_e32 v108, 0, v1
	s_mov_b64 s[6:7], 0
	v_pk_mov_b32 v[102:103], 0, 0
.LBB113_19:                             ; =>This Inner Loop Header: Depth=1
	buffer_load_dword v110, v108, s[0:3], 0 offen
	buffer_load_dword v111, v108, s[0:3], 0 offen offset:4
	ds_read_b64 v[112:113], v107
	v_add_u32_e32 v106, 1, v106
	v_cmp_lt_u32_e32 vcc, 1, v106
	v_add_u32_e32 v107, 8, v107
	v_add_u32_e32 v108, 8, v108
	s_or_b64 s[6:7], vcc, s[6:7]
	s_waitcnt vmcnt(0) lgkmcnt(0)
	v_fmac_f64_e32 v[102:103], v[110:111], v[112:113]
	s_andn2_b64 exec, exec, s[6:7]
	s_cbranch_execnz .LBB113_19
; %bb.20:
	s_or_b64 exec, exec, s[6:7]
	v_mov_b32_e32 v106, 0
	ds_read_b64 v[106:107], v106 offset:24
	s_waitcnt lgkmcnt(0)
	v_mul_f64 v[102:103], v[102:103], v[106:107]
	buffer_store_dword v103, off, s[0:3], 0 offset:28
	buffer_store_dword v102, off, s[0:3], 0 offset:24
.LBB113_21:
	s_or_b64 exec, exec, s[4:5]
	s_waitcnt lgkmcnt(0)
	; wave barrier
	buffer_load_dword v102, off, s[0:3], 0 offset:32
	buffer_load_dword v103, off, s[0:3], 0 offset:36
	v_cmp_gt_u32_e32 vcc, 4, v0
	s_waitcnt vmcnt(0)
	ds_write_b64 v104, v[102:103]
	s_waitcnt lgkmcnt(0)
	; wave barrier
	s_waitcnt lgkmcnt(0)
	s_and_saveexec_b64 s[4:5], vcc
	s_cbranch_execz .LBB113_25
; %bb.22:
	v_add_u32_e32 v106, -1, v0
	v_add_u32_e32 v107, 0x190, v1
	v_add_u32_e32 v108, 0, v1
	s_mov_b64 s[6:7], 0
	v_pk_mov_b32 v[102:103], 0, 0
.LBB113_23:                             ; =>This Inner Loop Header: Depth=1
	buffer_load_dword v110, v108, s[0:3], 0 offen
	buffer_load_dword v111, v108, s[0:3], 0 offen offset:4
	ds_read_b64 v[112:113], v107
	v_add_u32_e32 v106, 1, v106
	v_cmp_lt_u32_e32 vcc, 2, v106
	v_add_u32_e32 v107, 8, v107
	v_add_u32_e32 v108, 8, v108
	s_or_b64 s[6:7], vcc, s[6:7]
	s_waitcnt vmcnt(0) lgkmcnt(0)
	v_fmac_f64_e32 v[102:103], v[110:111], v[112:113]
	s_andn2_b64 exec, exec, s[6:7]
	s_cbranch_execnz .LBB113_23
; %bb.24:
	s_or_b64 exec, exec, s[6:7]
	v_mov_b32_e32 v106, 0
	ds_read_b64 v[106:107], v106 offset:32
	s_waitcnt lgkmcnt(0)
	v_mul_f64 v[102:103], v[102:103], v[106:107]
	buffer_store_dword v103, off, s[0:3], 0 offset:36
	buffer_store_dword v102, off, s[0:3], 0 offset:32
.LBB113_25:
	s_or_b64 exec, exec, s[4:5]
	s_waitcnt lgkmcnt(0)
	; wave barrier
	buffer_load_dword v102, off, s[0:3], 0 offset:40
	buffer_load_dword v103, off, s[0:3], 0 offset:44
	v_cmp_gt_u32_e32 vcc, 5, v0
	;; [unrolled: 41-line block ×21, first 2 shown]
	s_waitcnt vmcnt(0)
	ds_write_b64 v104, v[102:103]
	s_waitcnt lgkmcnt(0)
	; wave barrier
	s_waitcnt lgkmcnt(0)
	s_and_saveexec_b64 s[4:5], vcc
	s_cbranch_execz .LBB113_105
; %bb.102:
	v_add_u32_e32 v106, -1, v0
	v_add_u32_e32 v107, 0x190, v1
	v_add_u32_e32 v108, 0, v1
	s_mov_b64 s[6:7], 0
	v_pk_mov_b32 v[102:103], 0, 0
.LBB113_103:                            ; =>This Inner Loop Header: Depth=1
	buffer_load_dword v110, v108, s[0:3], 0 offen
	buffer_load_dword v111, v108, s[0:3], 0 offen offset:4
	ds_read_b64 v[112:113], v107
	v_add_u32_e32 v106, 1, v106
	v_cmp_lt_u32_e32 vcc, 22, v106
	v_add_u32_e32 v107, 8, v107
	v_add_u32_e32 v108, 8, v108
	s_or_b64 s[6:7], vcc, s[6:7]
	s_waitcnt vmcnt(0) lgkmcnt(0)
	v_fmac_f64_e32 v[102:103], v[110:111], v[112:113]
	s_andn2_b64 exec, exec, s[6:7]
	s_cbranch_execnz .LBB113_103
; %bb.104:
	s_or_b64 exec, exec, s[6:7]
	v_mov_b32_e32 v106, 0
	ds_read_b64 v[106:107], v106 offset:192
	s_waitcnt lgkmcnt(0)
	v_mul_f64 v[102:103], v[102:103], v[106:107]
	buffer_store_dword v103, off, s[0:3], 0 offset:196
	buffer_store_dword v102, off, s[0:3], 0 offset:192
.LBB113_105:
	s_or_b64 exec, exec, s[4:5]
	s_waitcnt lgkmcnt(0)
	; wave barrier
	buffer_load_dword v102, off, s[0:3], 0 offset:200
	buffer_load_dword v103, off, s[0:3], 0 offset:204
	v_cmp_gt_u32_e32 vcc, 25, v0
	s_waitcnt vmcnt(0)
	ds_write_b64 v104, v[102:103]
	s_waitcnt lgkmcnt(0)
	; wave barrier
	s_waitcnt lgkmcnt(0)
	s_and_saveexec_b64 s[4:5], vcc
	s_cbranch_execz .LBB113_109
; %bb.106:
	v_add_u32_e32 v106, -1, v0
	v_add_u32_e32 v107, 0x190, v1
	v_add_u32_e32 v108, 0, v1
	s_mov_b64 s[6:7], 0
	v_pk_mov_b32 v[102:103], 0, 0
.LBB113_107:                            ; =>This Inner Loop Header: Depth=1
	buffer_load_dword v110, v108, s[0:3], 0 offen
	buffer_load_dword v111, v108, s[0:3], 0 offen offset:4
	ds_read_b64 v[112:113], v107
	v_add_u32_e32 v106, 1, v106
	v_cmp_lt_u32_e32 vcc, 23, v106
	v_add_u32_e32 v107, 8, v107
	v_add_u32_e32 v108, 8, v108
	s_or_b64 s[6:7], vcc, s[6:7]
	s_waitcnt vmcnt(0) lgkmcnt(0)
	v_fmac_f64_e32 v[102:103], v[110:111], v[112:113]
	s_andn2_b64 exec, exec, s[6:7]
	s_cbranch_execnz .LBB113_107
; %bb.108:
	s_or_b64 exec, exec, s[6:7]
	v_mov_b32_e32 v106, 0
	ds_read_b64 v[106:107], v106 offset:200
	s_waitcnt lgkmcnt(0)
	v_mul_f64 v[102:103], v[102:103], v[106:107]
	buffer_store_dword v103, off, s[0:3], 0 offset:204
	buffer_store_dword v102, off, s[0:3], 0 offset:200
.LBB113_109:
	s_or_b64 exec, exec, s[4:5]
	s_waitcnt lgkmcnt(0)
	; wave barrier
	buffer_load_dword v102, off, s[0:3], 0 offset:208
	buffer_load_dword v103, off, s[0:3], 0 offset:212
	v_cmp_gt_u32_e32 vcc, 26, v0
	;; [unrolled: 41-line block ×24, first 2 shown]
	s_waitcnt vmcnt(0)
	ds_write_b64 v104, v[102:103]
	s_waitcnt lgkmcnt(0)
	; wave barrier
	s_waitcnt lgkmcnt(0)
	s_and_saveexec_b64 s[4:5], vcc
	s_cbranch_execz .LBB113_201
; %bb.198:
	v_add_u32_e32 v106, -1, v0
	v_add_u32_e32 v107, 0x190, v1
	v_add_u32_e32 v108, 0, v1
	s_mov_b64 s[6:7], 0
	v_pk_mov_b32 v[102:103], 0, 0
.LBB113_199:                            ; =>This Inner Loop Header: Depth=1
	buffer_load_dword v110, v108, s[0:3], 0 offen
	buffer_load_dword v111, v108, s[0:3], 0 offen offset:4
	ds_read_b64 v[112:113], v107
	v_add_u32_e32 v106, 1, v106
	v_cmp_lt_u32_e32 vcc, 46, v106
	v_add_u32_e32 v107, 8, v107
	v_add_u32_e32 v108, 8, v108
	s_or_b64 s[6:7], vcc, s[6:7]
	s_waitcnt vmcnt(0) lgkmcnt(0)
	v_fmac_f64_e32 v[102:103], v[110:111], v[112:113]
	s_andn2_b64 exec, exec, s[6:7]
	s_cbranch_execnz .LBB113_199
; %bb.200:
	s_or_b64 exec, exec, s[6:7]
	v_mov_b32_e32 v106, 0
	ds_read_b64 v[106:107], v106 offset:384
	s_waitcnt lgkmcnt(0)
	v_mul_f64 v[102:103], v[102:103], v[106:107]
	buffer_store_dword v103, off, s[0:3], 0 offset:388
	buffer_store_dword v102, off, s[0:3], 0 offset:384
.LBB113_201:
	s_or_b64 exec, exec, s[4:5]
	s_waitcnt lgkmcnt(0)
	; wave barrier
	buffer_load_dword v102, off, s[0:3], 0 offset:392
	buffer_load_dword v103, off, s[0:3], 0 offset:396
	v_cmp_ne_u32_e32 vcc, 49, v0
	s_waitcnt vmcnt(0)
	ds_write_b64 v104, v[102:103]
	s_waitcnt lgkmcnt(0)
	; wave barrier
	s_waitcnt lgkmcnt(0)
	s_and_saveexec_b64 s[4:5], vcc
	s_cbranch_execz .LBB113_205
; %bb.202:
	v_add_u32_e32 v104, 0x190, v1
	v_add_u32_e32 v1, 0, v1
	s_mov_b64 s[6:7], 0
	v_pk_mov_b32 v[102:103], 0, 0
.LBB113_203:                            ; =>This Inner Loop Header: Depth=1
	buffer_load_dword v106, v1, s[0:3], 0 offen
	buffer_load_dword v107, v1, s[0:3], 0 offen offset:4
	ds_read_b64 v[108:109], v104
	v_add_u32_e32 v105, 1, v105
	v_cmp_lt_u32_e32 vcc, 47, v105
	v_add_u32_e32 v104, 8, v104
	v_add_u32_e32 v1, 8, v1
	s_or_b64 s[6:7], vcc, s[6:7]
	s_waitcnt vmcnt(0) lgkmcnt(0)
	v_fmac_f64_e32 v[102:103], v[106:107], v[108:109]
	s_andn2_b64 exec, exec, s[6:7]
	s_cbranch_execnz .LBB113_203
; %bb.204:
	s_or_b64 exec, exec, s[6:7]
	v_mov_b32_e32 v1, 0
	ds_read_b64 v[104:105], v1 offset:392
	s_waitcnt lgkmcnt(0)
	v_mul_f64 v[102:103], v[102:103], v[104:105]
	buffer_store_dword v103, off, s[0:3], 0 offset:396
	buffer_store_dword v102, off, s[0:3], 0 offset:392
.LBB113_205:
	s_or_b64 exec, exec, s[4:5]
	s_mov_b64 s[6:7], -1
	s_waitcnt lgkmcnt(0)
	; wave barrier
.LBB113_206:
	s_and_b64 vcc, exec, s[6:7]
	s_cbranch_vccz .LBB113_208
; %bb.207:
	s_lshl_b64 s[4:5], s[8:9], 2
	s_add_u32 s4, s14, s4
	s_addc_u32 s5, s15, s5
	v_mov_b32_e32 v1, 0
	global_load_dword v1, v1, s[4:5]
	s_waitcnt vmcnt(0)
	v_cmp_ne_u32_e32 vcc, 0, v1
	s_cbranch_vccz .LBB113_209
.LBB113_208:
	s_endpgm
.LBB113_209:
	v_mov_b32_e32 v1, 0x190
	v_lshl_add_u32 v1, v0, 3, v1
	v_cmp_eq_u32_e32 vcc, 49, v0
	s_and_saveexec_b64 s[4:5], vcc
	s_cbranch_execz .LBB113_211
; %bb.210:
	buffer_load_dword v102, off, s[0:3], 0 offset:384
	buffer_load_dword v103, off, s[0:3], 0 offset:388
	v_mov_b32_e32 v104, 0
	buffer_store_dword v104, off, s[0:3], 0 offset:384
	buffer_store_dword v104, off, s[0:3], 0 offset:388
	s_waitcnt vmcnt(2)
	ds_write_b64 v1, v[102:103]
.LBB113_211:
	s_or_b64 exec, exec, s[4:5]
	s_waitcnt lgkmcnt(0)
	; wave barrier
	s_waitcnt lgkmcnt(0)
	buffer_load_dword v104, off, s[0:3], 0 offset:392
	buffer_load_dword v105, off, s[0:3], 0 offset:396
	;; [unrolled: 1-line block ×4, first 2 shown]
	v_mov_b32_e32 v102, 0
	ds_read_b64 v[108:109], v102 offset:792
	v_cmp_lt_u32_e32 vcc, 47, v0
	s_waitcnt vmcnt(2) lgkmcnt(0)
	v_fma_f64 v[104:105], v[104:105], v[108:109], 0
	s_waitcnt vmcnt(0)
	v_add_f64 v[104:105], v[106:107], -v[104:105]
	buffer_store_dword v104, off, s[0:3], 0 offset:384
	buffer_store_dword v105, off, s[0:3], 0 offset:388
	s_and_saveexec_b64 s[4:5], vcc
	s_cbranch_execz .LBB113_213
; %bb.212:
	buffer_load_dword v104, off, s[0:3], 0 offset:376
	buffer_load_dword v105, off, s[0:3], 0 offset:380
	s_waitcnt vmcnt(0)
	ds_write_b64 v1, v[104:105]
	buffer_store_dword v102, off, s[0:3], 0 offset:376
	buffer_store_dword v102, off, s[0:3], 0 offset:380
.LBB113_213:
	s_or_b64 exec, exec, s[4:5]
	s_waitcnt lgkmcnt(0)
	; wave barrier
	s_waitcnt lgkmcnt(0)
	buffer_load_dword v106, off, s[0:3], 0 offset:384
	buffer_load_dword v107, off, s[0:3], 0 offset:388
	;; [unrolled: 1-line block ×6, first 2 shown]
	ds_read_b128 v[102:105], v102 offset:784
	v_cmp_lt_u32_e32 vcc, 46, v0
	s_waitcnt vmcnt(4) lgkmcnt(0)
	v_fma_f64 v[102:103], v[106:107], v[102:103], 0
	s_waitcnt vmcnt(2)
	v_fmac_f64_e32 v[102:103], v[108:109], v[104:105]
	s_waitcnt vmcnt(0)
	v_add_f64 v[102:103], v[110:111], -v[102:103]
	buffer_store_dword v102, off, s[0:3], 0 offset:376
	buffer_store_dword v103, off, s[0:3], 0 offset:380
	s_and_saveexec_b64 s[4:5], vcc
	s_cbranch_execz .LBB113_215
; %bb.214:
	buffer_load_dword v102, off, s[0:3], 0 offset:368
	buffer_load_dword v103, off, s[0:3], 0 offset:372
	v_mov_b32_e32 v104, 0
	buffer_store_dword v104, off, s[0:3], 0 offset:368
	buffer_store_dword v104, off, s[0:3], 0 offset:372
	s_waitcnt vmcnt(2)
	ds_write_b64 v1, v[102:103]
.LBB113_215:
	s_or_b64 exec, exec, s[4:5]
	s_waitcnt lgkmcnt(0)
	; wave barrier
	s_waitcnt lgkmcnt(0)
	buffer_load_dword v108, off, s[0:3], 0 offset:376
	buffer_load_dword v109, off, s[0:3], 0 offset:380
	;; [unrolled: 1-line block ×8, first 2 shown]
	v_mov_b32_e32 v102, 0
	ds_read2_b64 v[104:107], v102 offset0:97 offset1:98
	ds_read_b64 v[116:117], v102 offset:792
	v_cmp_lt_u32_e32 vcc, 45, v0
	s_waitcnt vmcnt(6) lgkmcnt(1)
	v_fma_f64 v[104:105], v[108:109], v[104:105], 0
	s_waitcnt vmcnt(4)
	v_fmac_f64_e32 v[104:105], v[110:111], v[106:107]
	s_waitcnt vmcnt(2) lgkmcnt(0)
	v_fmac_f64_e32 v[104:105], v[112:113], v[116:117]
	s_waitcnt vmcnt(0)
	v_add_f64 v[104:105], v[114:115], -v[104:105]
	buffer_store_dword v104, off, s[0:3], 0 offset:368
	buffer_store_dword v105, off, s[0:3], 0 offset:372
	s_and_saveexec_b64 s[4:5], vcc
	s_cbranch_execz .LBB113_217
; %bb.216:
	buffer_load_dword v104, off, s[0:3], 0 offset:360
	buffer_load_dword v105, off, s[0:3], 0 offset:364
	s_waitcnt vmcnt(0)
	ds_write_b64 v1, v[104:105]
	buffer_store_dword v102, off, s[0:3], 0 offset:360
	buffer_store_dword v102, off, s[0:3], 0 offset:364
.LBB113_217:
	s_or_b64 exec, exec, s[4:5]
	s_waitcnt lgkmcnt(0)
	; wave barrier
	s_waitcnt lgkmcnt(0)
	buffer_load_dword v112, off, s[0:3], 0 offset:368
	buffer_load_dword v113, off, s[0:3], 0 offset:372
	;; [unrolled: 1-line block ×10, first 2 shown]
	ds_read_b128 v[104:107], v102 offset:768
	ds_read_b128 v[108:111], v102 offset:784
	v_cmp_lt_u32_e32 vcc, 44, v0
	s_waitcnt vmcnt(8) lgkmcnt(1)
	v_fma_f64 v[102:103], v[112:113], v[104:105], 0
	s_waitcnt vmcnt(6)
	v_fmac_f64_e32 v[102:103], v[114:115], v[106:107]
	s_waitcnt vmcnt(4) lgkmcnt(0)
	v_fmac_f64_e32 v[102:103], v[116:117], v[108:109]
	s_waitcnt vmcnt(2)
	v_fmac_f64_e32 v[102:103], v[118:119], v[110:111]
	s_waitcnt vmcnt(0)
	v_add_f64 v[102:103], v[120:121], -v[102:103]
	buffer_store_dword v102, off, s[0:3], 0 offset:360
	buffer_store_dword v103, off, s[0:3], 0 offset:364
	s_and_saveexec_b64 s[4:5], vcc
	s_cbranch_execz .LBB113_219
; %bb.218:
	buffer_load_dword v102, off, s[0:3], 0 offset:352
	buffer_load_dword v103, off, s[0:3], 0 offset:356
	v_mov_b32_e32 v104, 0
	buffer_store_dword v104, off, s[0:3], 0 offset:352
	buffer_store_dword v104, off, s[0:3], 0 offset:356
	s_waitcnt vmcnt(2)
	ds_write_b64 v1, v[102:103]
.LBB113_219:
	s_or_b64 exec, exec, s[4:5]
	s_waitcnt lgkmcnt(0)
	; wave barrier
	s_waitcnt lgkmcnt(0)
	buffer_load_dword v112, off, s[0:3], 0 offset:360
	buffer_load_dword v113, off, s[0:3], 0 offset:364
	;; [unrolled: 1-line block ×12, first 2 shown]
	v_mov_b32_e32 v102, 0
	ds_read2_b64 v[104:107], v102 offset0:95 offset1:96
	ds_read2_b64 v[108:111], v102 offset0:97 offset1:98
	ds_read_b64 v[124:125], v102 offset:792
	v_cmp_lt_u32_e32 vcc, 43, v0
	s_waitcnt vmcnt(10) lgkmcnt(2)
	v_fma_f64 v[104:105], v[112:113], v[104:105], 0
	s_waitcnt vmcnt(8)
	v_fmac_f64_e32 v[104:105], v[114:115], v[106:107]
	s_waitcnt vmcnt(6) lgkmcnt(1)
	v_fmac_f64_e32 v[104:105], v[116:117], v[108:109]
	s_waitcnt vmcnt(4)
	v_fmac_f64_e32 v[104:105], v[118:119], v[110:111]
	s_waitcnt vmcnt(2) lgkmcnt(0)
	v_fmac_f64_e32 v[104:105], v[120:121], v[124:125]
	s_waitcnt vmcnt(0)
	v_add_f64 v[104:105], v[122:123], -v[104:105]
	buffer_store_dword v104, off, s[0:3], 0 offset:352
	buffer_store_dword v105, off, s[0:3], 0 offset:356
	s_and_saveexec_b64 s[4:5], vcc
	s_cbranch_execz .LBB113_221
; %bb.220:
	buffer_load_dword v104, off, s[0:3], 0 offset:344
	buffer_load_dword v105, off, s[0:3], 0 offset:348
	s_waitcnt vmcnt(0)
	ds_write_b64 v1, v[104:105]
	buffer_store_dword v102, off, s[0:3], 0 offset:344
	buffer_store_dword v102, off, s[0:3], 0 offset:348
.LBB113_221:
	s_or_b64 exec, exec, s[4:5]
	s_waitcnt lgkmcnt(0)
	; wave barrier
	s_waitcnt lgkmcnt(0)
	buffer_load_dword v116, off, s[0:3], 0 offset:352
	buffer_load_dword v117, off, s[0:3], 0 offset:356
	;; [unrolled: 1-line block ×14, first 2 shown]
	ds_read_b128 v[104:107], v102 offset:752
	ds_read_b128 v[108:111], v102 offset:768
	;; [unrolled: 1-line block ×3, first 2 shown]
	v_cmp_lt_u32_e32 vcc, 42, v0
	s_waitcnt vmcnt(12) lgkmcnt(2)
	v_fma_f64 v[102:103], v[116:117], v[104:105], 0
	s_waitcnt vmcnt(10)
	v_fmac_f64_e32 v[102:103], v[118:119], v[106:107]
	s_waitcnt vmcnt(8) lgkmcnt(1)
	v_fmac_f64_e32 v[102:103], v[120:121], v[108:109]
	s_waitcnt vmcnt(6)
	v_fmac_f64_e32 v[102:103], v[122:123], v[110:111]
	s_waitcnt vmcnt(4) lgkmcnt(0)
	v_fmac_f64_e32 v[102:103], v[124:125], v[112:113]
	s_waitcnt vmcnt(2)
	v_fmac_f64_e32 v[102:103], v[126:127], v[114:115]
	s_waitcnt vmcnt(0)
	v_add_f64 v[102:103], v[128:129], -v[102:103]
	buffer_store_dword v102, off, s[0:3], 0 offset:344
	buffer_store_dword v103, off, s[0:3], 0 offset:348
	s_and_saveexec_b64 s[4:5], vcc
	s_cbranch_execz .LBB113_223
; %bb.222:
	buffer_load_dword v102, off, s[0:3], 0 offset:336
	buffer_load_dword v103, off, s[0:3], 0 offset:340
	v_mov_b32_e32 v104, 0
	buffer_store_dword v104, off, s[0:3], 0 offset:336
	buffer_store_dword v104, off, s[0:3], 0 offset:340
	s_waitcnt vmcnt(2)
	ds_write_b64 v1, v[102:103]
.LBB113_223:
	s_or_b64 exec, exec, s[4:5]
	s_waitcnt lgkmcnt(0)
	; wave barrier
	s_waitcnt lgkmcnt(0)
	buffer_load_dword v116, off, s[0:3], 0 offset:344
	buffer_load_dword v117, off, s[0:3], 0 offset:348
	;; [unrolled: 1-line block ×16, first 2 shown]
	v_mov_b32_e32 v102, 0
	ds_read2_b64 v[104:107], v102 offset0:93 offset1:94
	ds_read2_b64 v[108:111], v102 offset0:95 offset1:96
	;; [unrolled: 1-line block ×3, first 2 shown]
	ds_read_b64 v[132:133], v102 offset:792
	v_cmp_lt_u32_e32 vcc, 41, v0
	s_waitcnt vmcnt(14) lgkmcnt(3)
	v_fma_f64 v[104:105], v[116:117], v[104:105], 0
	s_waitcnt vmcnt(12)
	v_fmac_f64_e32 v[104:105], v[118:119], v[106:107]
	s_waitcnt vmcnt(10) lgkmcnt(2)
	v_fmac_f64_e32 v[104:105], v[120:121], v[108:109]
	s_waitcnt vmcnt(8)
	v_fmac_f64_e32 v[104:105], v[122:123], v[110:111]
	s_waitcnt vmcnt(6) lgkmcnt(1)
	v_fmac_f64_e32 v[104:105], v[124:125], v[112:113]
	;; [unrolled: 4-line block ×3, first 2 shown]
	s_waitcnt vmcnt(0)
	v_add_f64 v[104:105], v[130:131], -v[104:105]
	buffer_store_dword v104, off, s[0:3], 0 offset:336
	buffer_store_dword v105, off, s[0:3], 0 offset:340
	s_and_saveexec_b64 s[4:5], vcc
	s_cbranch_execz .LBB113_225
; %bb.224:
	buffer_load_dword v104, off, s[0:3], 0 offset:328
	buffer_load_dword v105, off, s[0:3], 0 offset:332
	s_waitcnt vmcnt(0)
	ds_write_b64 v1, v[104:105]
	buffer_store_dword v102, off, s[0:3], 0 offset:328
	buffer_store_dword v102, off, s[0:3], 0 offset:332
.LBB113_225:
	s_or_b64 exec, exec, s[4:5]
	s_waitcnt lgkmcnt(0)
	; wave barrier
	s_waitcnt lgkmcnt(0)
	buffer_load_dword v120, off, s[0:3], 0 offset:336
	buffer_load_dword v121, off, s[0:3], 0 offset:340
	;; [unrolled: 1-line block ×18, first 2 shown]
	ds_read_b128 v[104:107], v102 offset:736
	ds_read_b128 v[108:111], v102 offset:752
	;; [unrolled: 1-line block ×4, first 2 shown]
	v_cmp_lt_u32_e32 vcc, 40, v0
	s_waitcnt vmcnt(16) lgkmcnt(3)
	v_fma_f64 v[102:103], v[120:121], v[104:105], 0
	s_waitcnt vmcnt(14)
	v_fmac_f64_e32 v[102:103], v[122:123], v[106:107]
	s_waitcnt vmcnt(12) lgkmcnt(2)
	v_fmac_f64_e32 v[102:103], v[124:125], v[108:109]
	s_waitcnt vmcnt(10)
	v_fmac_f64_e32 v[102:103], v[126:127], v[110:111]
	s_waitcnt vmcnt(8) lgkmcnt(1)
	v_fmac_f64_e32 v[102:103], v[128:129], v[112:113]
	s_waitcnt vmcnt(6)
	v_fmac_f64_e32 v[102:103], v[130:131], v[114:115]
	s_waitcnt vmcnt(4) lgkmcnt(0)
	v_fmac_f64_e32 v[102:103], v[132:133], v[116:117]
	s_waitcnt vmcnt(2)
	v_fmac_f64_e32 v[102:103], v[134:135], v[118:119]
	s_waitcnt vmcnt(0)
	v_add_f64 v[102:103], v[136:137], -v[102:103]
	buffer_store_dword v102, off, s[0:3], 0 offset:328
	buffer_store_dword v103, off, s[0:3], 0 offset:332
	s_and_saveexec_b64 s[4:5], vcc
	s_cbranch_execz .LBB113_227
; %bb.226:
	buffer_load_dword v102, off, s[0:3], 0 offset:320
	buffer_load_dword v103, off, s[0:3], 0 offset:324
	v_mov_b32_e32 v104, 0
	buffer_store_dword v104, off, s[0:3], 0 offset:320
	buffer_store_dword v104, off, s[0:3], 0 offset:324
	s_waitcnt vmcnt(2)
	ds_write_b64 v1, v[102:103]
.LBB113_227:
	s_or_b64 exec, exec, s[4:5]
	s_waitcnt lgkmcnt(0)
	; wave barrier
	s_waitcnt lgkmcnt(0)
	buffer_load_dword v120, off, s[0:3], 0 offset:328
	buffer_load_dword v121, off, s[0:3], 0 offset:332
	;; [unrolled: 1-line block ×20, first 2 shown]
	v_mov_b32_e32 v102, 0
	ds_read2_b64 v[104:107], v102 offset0:91 offset1:92
	ds_read2_b64 v[108:111], v102 offset0:93 offset1:94
	;; [unrolled: 1-line block ×4, first 2 shown]
	ds_read_b64 v[140:141], v102 offset:792
	v_cmp_lt_u32_e32 vcc, 39, v0
	s_waitcnt vmcnt(18) lgkmcnt(4)
	v_fma_f64 v[104:105], v[120:121], v[104:105], 0
	s_waitcnt vmcnt(16)
	v_fmac_f64_e32 v[104:105], v[122:123], v[106:107]
	s_waitcnt vmcnt(14) lgkmcnt(3)
	v_fmac_f64_e32 v[104:105], v[124:125], v[108:109]
	s_waitcnt vmcnt(12)
	v_fmac_f64_e32 v[104:105], v[126:127], v[110:111]
	s_waitcnt vmcnt(10) lgkmcnt(2)
	v_fmac_f64_e32 v[104:105], v[128:129], v[112:113]
	;; [unrolled: 4-line block ×3, first 2 shown]
	s_waitcnt vmcnt(2)
	v_fmac_f64_e32 v[104:105], v[136:137], v[118:119]
	s_waitcnt lgkmcnt(0)
	v_fmac_f64_e32 v[104:105], v[134:135], v[140:141]
	s_waitcnt vmcnt(0)
	v_add_f64 v[104:105], v[138:139], -v[104:105]
	buffer_store_dword v104, off, s[0:3], 0 offset:320
	buffer_store_dword v105, off, s[0:3], 0 offset:324
	s_and_saveexec_b64 s[4:5], vcc
	s_cbranch_execz .LBB113_229
; %bb.228:
	buffer_load_dword v104, off, s[0:3], 0 offset:312
	buffer_load_dword v105, off, s[0:3], 0 offset:316
	s_waitcnt vmcnt(0)
	ds_write_b64 v1, v[104:105]
	buffer_store_dword v102, off, s[0:3], 0 offset:312
	buffer_store_dword v102, off, s[0:3], 0 offset:316
.LBB113_229:
	s_or_b64 exec, exec, s[4:5]
	s_waitcnt lgkmcnt(0)
	; wave barrier
	s_waitcnt lgkmcnt(0)
	buffer_load_dword v124, off, s[0:3], 0 offset:320
	buffer_load_dword v125, off, s[0:3], 0 offset:324
	;; [unrolled: 1-line block ×22, first 2 shown]
	ds_read_b128 v[104:107], v102 offset:720
	ds_read_b128 v[108:111], v102 offset:736
	;; [unrolled: 1-line block ×5, first 2 shown]
	v_cmp_lt_u32_e32 vcc, 38, v0
	s_waitcnt vmcnt(20) lgkmcnt(4)
	v_fma_f64 v[102:103], v[124:125], v[104:105], 0
	s_waitcnt vmcnt(18)
	v_fmac_f64_e32 v[102:103], v[126:127], v[106:107]
	s_waitcnt vmcnt(16) lgkmcnt(3)
	v_fmac_f64_e32 v[102:103], v[128:129], v[108:109]
	s_waitcnt vmcnt(14)
	v_fmac_f64_e32 v[102:103], v[130:131], v[110:111]
	s_waitcnt vmcnt(12) lgkmcnt(2)
	v_fmac_f64_e32 v[102:103], v[132:133], v[112:113]
	;; [unrolled: 4-line block ×3, first 2 shown]
	s_waitcnt vmcnt(3)
	v_fmac_f64_e32 v[102:103], v[142:143], v[118:119]
	s_waitcnt lgkmcnt(0)
	v_fmac_f64_e32 v[102:103], v[140:141], v[120:121]
	s_waitcnt vmcnt(2)
	v_fmac_f64_e32 v[102:103], v[138:139], v[122:123]
	s_waitcnt vmcnt(0)
	v_add_f64 v[102:103], v[144:145], -v[102:103]
	buffer_store_dword v102, off, s[0:3], 0 offset:312
	buffer_store_dword v103, off, s[0:3], 0 offset:316
	s_and_saveexec_b64 s[4:5], vcc
	s_cbranch_execz .LBB113_231
; %bb.230:
	buffer_load_dword v102, off, s[0:3], 0 offset:304
	buffer_load_dword v103, off, s[0:3], 0 offset:308
	v_mov_b32_e32 v104, 0
	buffer_store_dword v104, off, s[0:3], 0 offset:304
	buffer_store_dword v104, off, s[0:3], 0 offset:308
	s_waitcnt vmcnt(2)
	ds_write_b64 v1, v[102:103]
.LBB113_231:
	s_or_b64 exec, exec, s[4:5]
	s_waitcnt lgkmcnt(0)
	; wave barrier
	s_waitcnt lgkmcnt(0)
	buffer_load_dword v124, off, s[0:3], 0 offset:312
	buffer_load_dword v125, off, s[0:3], 0 offset:316
	;; [unrolled: 1-line block ×24, first 2 shown]
	v_mov_b32_e32 v102, 0
	ds_read2_b64 v[104:107], v102 offset0:89 offset1:90
	ds_read2_b64 v[108:111], v102 offset0:91 offset1:92
	;; [unrolled: 1-line block ×5, first 2 shown]
	ds_read_b64 v[148:149], v102 offset:792
	v_cmp_lt_u32_e32 vcc, 37, v0
	s_waitcnt vmcnt(22) lgkmcnt(5)
	v_fma_f64 v[104:105], v[124:125], v[104:105], 0
	s_waitcnt vmcnt(20)
	v_fmac_f64_e32 v[104:105], v[126:127], v[106:107]
	s_waitcnt vmcnt(18) lgkmcnt(4)
	v_fmac_f64_e32 v[104:105], v[128:129], v[108:109]
	s_waitcnt vmcnt(16)
	v_fmac_f64_e32 v[104:105], v[130:131], v[110:111]
	s_waitcnt vmcnt(14) lgkmcnt(3)
	v_fmac_f64_e32 v[104:105], v[132:133], v[112:113]
	;; [unrolled: 4-line block ×3, first 2 shown]
	s_waitcnt vmcnt(4)
	v_fmac_f64_e32 v[104:105], v[144:145], v[118:119]
	s_waitcnt lgkmcnt(1)
	v_fmac_f64_e32 v[104:105], v[142:143], v[120:121]
	s_waitcnt vmcnt(3)
	v_fmac_f64_e32 v[104:105], v[140:141], v[122:123]
	s_waitcnt vmcnt(2) lgkmcnt(0)
	v_fmac_f64_e32 v[104:105], v[138:139], v[148:149]
	s_waitcnt vmcnt(0)
	v_add_f64 v[104:105], v[146:147], -v[104:105]
	buffer_store_dword v105, off, s[0:3], 0 offset:308
	buffer_store_dword v104, off, s[0:3], 0 offset:304
	s_and_saveexec_b64 s[4:5], vcc
	s_cbranch_execz .LBB113_233
; %bb.232:
	buffer_load_dword v104, off, s[0:3], 0 offset:296
	buffer_load_dword v105, off, s[0:3], 0 offset:300
	s_waitcnt vmcnt(0)
	ds_write_b64 v1, v[104:105]
	buffer_store_dword v102, off, s[0:3], 0 offset:296
	buffer_store_dword v102, off, s[0:3], 0 offset:300
.LBB113_233:
	s_or_b64 exec, exec, s[4:5]
	s_waitcnt lgkmcnt(0)
	; wave barrier
	s_waitcnt lgkmcnt(0)
	buffer_load_dword v128, off, s[0:3], 0 offset:304
	buffer_load_dword v129, off, s[0:3], 0 offset:308
	;; [unrolled: 1-line block ×26, first 2 shown]
	ds_read_b128 v[104:107], v102 offset:704
	ds_read_b128 v[108:111], v102 offset:720
	;; [unrolled: 1-line block ×6, first 2 shown]
	v_cmp_lt_u32_e32 vcc, 36, v0
	s_waitcnt vmcnt(24) lgkmcnt(5)
	v_fma_f64 v[102:103], v[128:129], v[104:105], 0
	s_waitcnt vmcnt(22)
	v_fmac_f64_e32 v[102:103], v[130:131], v[106:107]
	s_waitcnt vmcnt(20) lgkmcnt(4)
	v_fmac_f64_e32 v[102:103], v[132:133], v[108:109]
	s_waitcnt vmcnt(18)
	v_fmac_f64_e32 v[102:103], v[134:135], v[110:111]
	s_waitcnt vmcnt(16) lgkmcnt(3)
	v_fmac_f64_e32 v[102:103], v[136:137], v[112:113]
	s_waitcnt vmcnt(14)
	v_fmac_f64_e32 v[102:103], v[138:139], v[114:115]
	s_waitcnt vmcnt(12) lgkmcnt(2)
	v_fmac_f64_e32 v[102:103], v[140:141], v[116:117]
	s_waitcnt vmcnt(5)
	v_fmac_f64_e32 v[102:103], v[148:149], v[118:119]
	s_waitcnt lgkmcnt(1)
	v_fmac_f64_e32 v[102:103], v[146:147], v[120:121]
	v_fmac_f64_e32 v[102:103], v[144:145], v[122:123]
	s_waitcnt vmcnt(4) lgkmcnt(0)
	v_fmac_f64_e32 v[102:103], v[142:143], v[124:125]
	s_waitcnt vmcnt(2)
	v_fmac_f64_e32 v[102:103], v[150:151], v[126:127]
	s_waitcnt vmcnt(0)
	v_add_f64 v[102:103], v[152:153], -v[102:103]
	buffer_store_dword v103, off, s[0:3], 0 offset:300
	buffer_store_dword v102, off, s[0:3], 0 offset:296
	s_and_saveexec_b64 s[4:5], vcc
	s_cbranch_execz .LBB113_235
; %bb.234:
	buffer_load_dword v102, off, s[0:3], 0 offset:288
	buffer_load_dword v103, off, s[0:3], 0 offset:292
	v_mov_b32_e32 v104, 0
	buffer_store_dword v104, off, s[0:3], 0 offset:288
	buffer_store_dword v104, off, s[0:3], 0 offset:292
	s_waitcnt vmcnt(2)
	ds_write_b64 v1, v[102:103]
.LBB113_235:
	s_or_b64 exec, exec, s[4:5]
	s_waitcnt lgkmcnt(0)
	; wave barrier
	s_waitcnt lgkmcnt(0)
	buffer_load_dword v128, off, s[0:3], 0 offset:296
	buffer_load_dword v129, off, s[0:3], 0 offset:300
	;; [unrolled: 1-line block ×28, first 2 shown]
	v_mov_b32_e32 v102, 0
	ds_read2_b64 v[104:107], v102 offset0:87 offset1:88
	ds_read2_b64 v[108:111], v102 offset0:89 offset1:90
	;; [unrolled: 1-line block ×6, first 2 shown]
	ds_read_b64 v[156:157], v102 offset:792
	v_cmp_lt_u32_e32 vcc, 35, v0
	s_waitcnt vmcnt(26) lgkmcnt(6)
	v_fma_f64 v[104:105], v[128:129], v[104:105], 0
	s_waitcnt vmcnt(24)
	v_fmac_f64_e32 v[104:105], v[130:131], v[106:107]
	s_waitcnt vmcnt(22) lgkmcnt(5)
	v_fmac_f64_e32 v[104:105], v[132:133], v[108:109]
	s_waitcnt vmcnt(20)
	v_fmac_f64_e32 v[104:105], v[134:135], v[110:111]
	s_waitcnt vmcnt(18) lgkmcnt(4)
	v_fmac_f64_e32 v[104:105], v[136:137], v[112:113]
	;; [unrolled: 4-line block ×3, first 2 shown]
	s_waitcnt vmcnt(6)
	v_fmac_f64_e32 v[104:105], v[148:149], v[118:119]
	s_waitcnt lgkmcnt(2)
	v_fmac_f64_e32 v[104:105], v[146:147], v[120:121]
	v_fmac_f64_e32 v[104:105], v[144:145], v[122:123]
	s_waitcnt lgkmcnt(1)
	v_fmac_f64_e32 v[104:105], v[142:143], v[124:125]
	s_waitcnt vmcnt(2)
	v_fmac_f64_e32 v[104:105], v[152:153], v[126:127]
	s_waitcnt lgkmcnt(0)
	v_fmac_f64_e32 v[104:105], v[150:151], v[156:157]
	s_waitcnt vmcnt(0)
	v_add_f64 v[104:105], v[154:155], -v[104:105]
	buffer_store_dword v105, off, s[0:3], 0 offset:292
	buffer_store_dword v104, off, s[0:3], 0 offset:288
	s_and_saveexec_b64 s[4:5], vcc
	s_cbranch_execz .LBB113_237
; %bb.236:
	buffer_load_dword v104, off, s[0:3], 0 offset:280
	buffer_load_dword v105, off, s[0:3], 0 offset:284
	s_waitcnt vmcnt(0)
	ds_write_b64 v1, v[104:105]
	buffer_store_dword v102, off, s[0:3], 0 offset:280
	buffer_store_dword v102, off, s[0:3], 0 offset:284
.LBB113_237:
	s_or_b64 exec, exec, s[4:5]
	s_waitcnt lgkmcnt(0)
	; wave barrier
	s_waitcnt lgkmcnt(0)
	buffer_load_dword v132, off, s[0:3], 0 offset:288
	buffer_load_dword v133, off, s[0:3], 0 offset:292
	;; [unrolled: 1-line block ×30, first 2 shown]
	ds_read_b128 v[104:107], v102 offset:688
	ds_read_b128 v[108:111], v102 offset:704
	;; [unrolled: 1-line block ×7, first 2 shown]
	v_cmp_lt_u32_e32 vcc, 34, v0
	s_waitcnt vmcnt(28) lgkmcnt(6)
	v_fma_f64 v[102:103], v[132:133], v[104:105], 0
	s_waitcnt vmcnt(26)
	v_fmac_f64_e32 v[102:103], v[134:135], v[106:107]
	s_waitcnt vmcnt(24) lgkmcnt(5)
	v_fmac_f64_e32 v[102:103], v[136:137], v[108:109]
	s_waitcnt vmcnt(22)
	v_fmac_f64_e32 v[102:103], v[138:139], v[110:111]
	s_waitcnt vmcnt(20) lgkmcnt(4)
	v_fmac_f64_e32 v[102:103], v[140:141], v[112:113]
	;; [unrolled: 4-line block ×3, first 2 shown]
	s_waitcnt vmcnt(8)
	v_fmac_f64_e32 v[102:103], v[152:153], v[118:119]
	s_waitcnt lgkmcnt(2)
	v_fmac_f64_e32 v[102:103], v[150:151], v[120:121]
	v_fmac_f64_e32 v[102:103], v[148:149], v[122:123]
	s_waitcnt lgkmcnt(1)
	v_fmac_f64_e32 v[102:103], v[146:147], v[124:125]
	s_waitcnt vmcnt(3)
	v_fmac_f64_e32 v[102:103], v[158:159], v[126:127]
	s_waitcnt lgkmcnt(0)
	v_fmac_f64_e32 v[102:103], v[156:157], v[128:129]
	s_waitcnt vmcnt(2)
	v_fmac_f64_e32 v[102:103], v[154:155], v[130:131]
	s_waitcnt vmcnt(0)
	v_add_f64 v[102:103], v[160:161], -v[102:103]
	buffer_store_dword v103, off, s[0:3], 0 offset:284
	buffer_store_dword v102, off, s[0:3], 0 offset:280
	s_and_saveexec_b64 s[4:5], vcc
	s_cbranch_execz .LBB113_239
; %bb.238:
	buffer_load_dword v102, off, s[0:3], 0 offset:272
	buffer_load_dword v103, off, s[0:3], 0 offset:276
	v_mov_b32_e32 v104, 0
	buffer_store_dword v104, off, s[0:3], 0 offset:272
	buffer_store_dword v104, off, s[0:3], 0 offset:276
	s_waitcnt vmcnt(2)
	ds_write_b64 v1, v[102:103]
.LBB113_239:
	s_or_b64 exec, exec, s[4:5]
	s_waitcnt lgkmcnt(0)
	; wave barrier
	s_waitcnt lgkmcnt(0)
	buffer_load_dword v132, off, s[0:3], 0 offset:280
	buffer_load_dword v133, off, s[0:3], 0 offset:284
	;; [unrolled: 1-line block ×32, first 2 shown]
	v_mov_b32_e32 v102, 0
	ds_read2_b64 v[104:107], v102 offset0:85 offset1:86
	ds_read2_b64 v[108:111], v102 offset0:87 offset1:88
	;; [unrolled: 1-line block ×7, first 2 shown]
	ds_read_b64 v[164:165], v102 offset:792
	v_cmp_lt_u32_e32 vcc, 33, v0
	s_waitcnt vmcnt(30) lgkmcnt(7)
	v_fma_f64 v[104:105], v[132:133], v[104:105], 0
	s_waitcnt vmcnt(28)
	v_fmac_f64_e32 v[104:105], v[134:135], v[106:107]
	s_waitcnt vmcnt(26) lgkmcnt(6)
	v_fmac_f64_e32 v[104:105], v[136:137], v[108:109]
	s_waitcnt vmcnt(24)
	v_fmac_f64_e32 v[104:105], v[138:139], v[110:111]
	s_waitcnt vmcnt(22) lgkmcnt(5)
	v_fmac_f64_e32 v[104:105], v[140:141], v[112:113]
	;; [unrolled: 4-line block ×3, first 2 shown]
	s_waitcnt vmcnt(10)
	v_fmac_f64_e32 v[104:105], v[152:153], v[118:119]
	s_waitcnt lgkmcnt(3)
	v_fmac_f64_e32 v[104:105], v[150:151], v[120:121]
	v_fmac_f64_e32 v[104:105], v[148:149], v[122:123]
	s_waitcnt lgkmcnt(2)
	v_fmac_f64_e32 v[104:105], v[146:147], v[124:125]
	s_waitcnt vmcnt(4)
	v_fmac_f64_e32 v[104:105], v[160:161], v[126:127]
	s_waitcnt lgkmcnt(1)
	v_fmac_f64_e32 v[104:105], v[158:159], v[128:129]
	s_waitcnt vmcnt(3)
	v_fmac_f64_e32 v[104:105], v[156:157], v[130:131]
	s_waitcnt vmcnt(2) lgkmcnt(0)
	v_fmac_f64_e32 v[104:105], v[154:155], v[164:165]
	s_waitcnt vmcnt(0)
	v_add_f64 v[104:105], v[162:163], -v[104:105]
	buffer_store_dword v105, off, s[0:3], 0 offset:276
	buffer_store_dword v104, off, s[0:3], 0 offset:272
	s_and_saveexec_b64 s[4:5], vcc
	s_cbranch_execz .LBB113_241
; %bb.240:
	buffer_load_dword v104, off, s[0:3], 0 offset:264
	buffer_load_dword v105, off, s[0:3], 0 offset:268
	s_waitcnt vmcnt(0)
	ds_write_b64 v1, v[104:105]
	buffer_store_dword v102, off, s[0:3], 0 offset:264
	buffer_store_dword v102, off, s[0:3], 0 offset:268
.LBB113_241:
	s_or_b64 exec, exec, s[4:5]
	s_waitcnt lgkmcnt(0)
	; wave barrier
	s_waitcnt lgkmcnt(0)
	buffer_load_dword v120, off, s[0:3], 0 offset:264
	buffer_load_dword v121, off, s[0:3], 0 offset:268
	buffer_load_dword v122, off, s[0:3], 0 offset:272
	buffer_load_dword v123, off, s[0:3], 0 offset:276
	buffer_load_dword v124, off, s[0:3], 0 offset:280
	buffer_load_dword v125, off, s[0:3], 0 offset:284
	buffer_load_dword v126, off, s[0:3], 0 offset:288
	buffer_load_dword v127, off, s[0:3], 0 offset:292
	buffer_load_dword v128, off, s[0:3], 0 offset:296
	buffer_load_dword v129, off, s[0:3], 0 offset:300
	buffer_load_dword v130, off, s[0:3], 0 offset:304
	buffer_load_dword v131, off, s[0:3], 0 offset:308
	buffer_load_dword v132, off, s[0:3], 0 offset:312
	buffer_load_dword v133, off, s[0:3], 0 offset:316
	buffer_load_dword v134, off, s[0:3], 0 offset:320
	buffer_load_dword v135, off, s[0:3], 0 offset:324
	ds_read_b128 v[104:107], v102 offset:672
	ds_read_b128 v[108:111], v102 offset:688
	;; [unrolled: 1-line block ×4, first 2 shown]
	v_cmp_lt_u32_e32 vcc, 32, v0
	s_waitcnt vmcnt(12) lgkmcnt(3)
	v_fma_f64 v[122:123], v[122:123], v[104:105], 0
	buffer_load_dword v105, off, s[0:3], 0 offset:332
	buffer_load_dword v104, off, s[0:3], 0 offset:328
	s_waitcnt vmcnt(12)
	v_fmac_f64_e32 v[122:123], v[124:125], v[106:107]
	s_waitcnt vmcnt(10) lgkmcnt(2)
	v_fmac_f64_e32 v[122:123], v[126:127], v[108:109]
	buffer_load_dword v109, off, s[0:3], 0 offset:340
	buffer_load_dword v108, off, s[0:3], 0 offset:336
	s_waitcnt vmcnt(10)
	v_fmac_f64_e32 v[122:123], v[128:129], v[110:111]
	s_waitcnt vmcnt(8) lgkmcnt(1)
	v_fmac_f64_e32 v[122:123], v[130:131], v[112:113]
	s_waitcnt vmcnt(6)
	v_fmac_f64_e32 v[122:123], v[132:133], v[114:115]
	s_waitcnt vmcnt(4) lgkmcnt(0)
	v_fmac_f64_e32 v[122:123], v[134:135], v[116:117]
	s_waitcnt vmcnt(2)
	v_fmac_f64_e32 v[122:123], v[104:105], v[118:119]
	ds_read_b128 v[104:107], v102 offset:736
	s_waitcnt vmcnt(0) lgkmcnt(0)
	v_fmac_f64_e32 v[122:123], v[108:109], v[104:105]
	buffer_load_dword v105, off, s[0:3], 0 offset:348
	buffer_load_dword v104, off, s[0:3], 0 offset:344
	;; [unrolled: 1-line block ×4, first 2 shown]
	s_waitcnt vmcnt(2)
	v_fmac_f64_e32 v[122:123], v[104:105], v[106:107]
	ds_read_b128 v[104:107], v102 offset:752
	s_waitcnt vmcnt(0) lgkmcnt(0)
	v_fmac_f64_e32 v[122:123], v[108:109], v[104:105]
	buffer_load_dword v105, off, s[0:3], 0 offset:364
	buffer_load_dword v104, off, s[0:3], 0 offset:360
	;; [unrolled: 1-line block ×4, first 2 shown]
	s_waitcnt vmcnt(2)
	v_fmac_f64_e32 v[122:123], v[104:105], v[106:107]
	ds_read_b128 v[104:107], v102 offset:768
	s_waitcnt vmcnt(0) lgkmcnt(0)
	v_fmac_f64_e32 v[122:123], v[108:109], v[104:105]
	buffer_load_dword v105, off, s[0:3], 0 offset:380
	buffer_load_dword v104, off, s[0:3], 0 offset:376
	s_waitcnt vmcnt(0)
	v_fmac_f64_e32 v[122:123], v[104:105], v[106:107]
	buffer_load_dword v107, off, s[0:3], 0 offset:388
	buffer_load_dword v106, off, s[0:3], 0 offset:384
	ds_read_b128 v[102:105], v102 offset:784
	s_waitcnt vmcnt(0) lgkmcnt(0)
	v_fmac_f64_e32 v[122:123], v[106:107], v[102:103]
	buffer_load_dword v103, off, s[0:3], 0 offset:396
	buffer_load_dword v102, off, s[0:3], 0 offset:392
	s_waitcnt vmcnt(0)
	v_fmac_f64_e32 v[122:123], v[102:103], v[104:105]
	v_add_f64 v[102:103], v[120:121], -v[122:123]
	buffer_store_dword v103, off, s[0:3], 0 offset:268
	buffer_store_dword v102, off, s[0:3], 0 offset:264
	s_and_saveexec_b64 s[4:5], vcc
	s_cbranch_execz .LBB113_243
; %bb.242:
	buffer_load_dword v102, off, s[0:3], 0 offset:256
	buffer_load_dword v103, off, s[0:3], 0 offset:260
	v_mov_b32_e32 v104, 0
	buffer_store_dword v104, off, s[0:3], 0 offset:256
	buffer_store_dword v104, off, s[0:3], 0 offset:260
	s_waitcnt vmcnt(2)
	ds_write_b64 v1, v[102:103]
.LBB113_243:
	s_or_b64 exec, exec, s[4:5]
	s_waitcnt lgkmcnt(0)
	; wave barrier
	s_waitcnt lgkmcnt(0)
	buffer_load_dword v102, off, s[0:3], 0 offset:256
	buffer_load_dword v103, off, s[0:3], 0 offset:260
	;; [unrolled: 1-line block ×16, first 2 shown]
	v_mov_b32_e32 v106, 0
	ds_read2_b64 v[108:111], v106 offset0:83 offset1:84
	v_cmp_lt_u32_e32 vcc, 31, v0
	s_waitcnt vmcnt(12) lgkmcnt(0)
	v_fma_f64 v[104:105], v[104:105], v[108:109], 0
	s_waitcnt vmcnt(10)
	v_fmac_f64_e32 v[104:105], v[112:113], v[110:111]
	ds_read2_b64 v[108:111], v106 offset0:85 offset1:86
	s_waitcnt vmcnt(8) lgkmcnt(0)
	v_fmac_f64_e32 v[104:105], v[114:115], v[108:109]
	s_waitcnt vmcnt(6)
	v_fmac_f64_e32 v[104:105], v[116:117], v[110:111]
	ds_read2_b64 v[108:111], v106 offset0:87 offset1:88
	s_waitcnt vmcnt(4) lgkmcnt(0)
	v_fmac_f64_e32 v[104:105], v[118:119], v[108:109]
	s_waitcnt vmcnt(2)
	v_fmac_f64_e32 v[104:105], v[120:121], v[110:111]
	ds_read2_b64 v[108:111], v106 offset0:89 offset1:90
	s_waitcnt vmcnt(0) lgkmcnt(0)
	v_fmac_f64_e32 v[104:105], v[122:123], v[108:109]
	buffer_load_dword v109, off, s[0:3], 0 offset:324
	buffer_load_dword v108, off, s[0:3], 0 offset:320
	buffer_load_dword v113, off, s[0:3], 0 offset:332
	buffer_load_dword v112, off, s[0:3], 0 offset:328
	s_waitcnt vmcnt(2)
	v_fmac_f64_e32 v[104:105], v[108:109], v[110:111]
	ds_read2_b64 v[108:111], v106 offset0:91 offset1:92
	s_waitcnt vmcnt(0) lgkmcnt(0)
	v_fmac_f64_e32 v[104:105], v[112:113], v[108:109]
	buffer_load_dword v109, off, s[0:3], 0 offset:340
	buffer_load_dword v108, off, s[0:3], 0 offset:336
	buffer_load_dword v113, off, s[0:3], 0 offset:348
	buffer_load_dword v112, off, s[0:3], 0 offset:344
	s_waitcnt vmcnt(2)
	v_fmac_f64_e32 v[104:105], v[108:109], v[110:111]
	ds_read2_b64 v[108:111], v106 offset0:93 offset1:94
	s_waitcnt vmcnt(0) lgkmcnt(0)
	v_fmac_f64_e32 v[104:105], v[112:113], v[108:109]
	;; [unrolled: 9-line block ×4, first 2 shown]
	buffer_load_dword v109, off, s[0:3], 0 offset:388
	buffer_load_dword v108, off, s[0:3], 0 offset:384
	s_waitcnt vmcnt(0)
	v_fmac_f64_e32 v[104:105], v[108:109], v[110:111]
	buffer_load_dword v109, off, s[0:3], 0 offset:396
	buffer_load_dword v108, off, s[0:3], 0 offset:392
	ds_read_b64 v[110:111], v106 offset:792
	s_waitcnt vmcnt(0) lgkmcnt(0)
	v_fmac_f64_e32 v[104:105], v[108:109], v[110:111]
	v_add_f64 v[102:103], v[102:103], -v[104:105]
	buffer_store_dword v103, off, s[0:3], 0 offset:260
	buffer_store_dword v102, off, s[0:3], 0 offset:256
	s_and_saveexec_b64 s[4:5], vcc
	s_cbranch_execz .LBB113_245
; %bb.244:
	buffer_load_dword v102, off, s[0:3], 0 offset:248
	buffer_load_dword v103, off, s[0:3], 0 offset:252
	s_waitcnt vmcnt(0)
	ds_write_b64 v1, v[102:103]
	buffer_store_dword v106, off, s[0:3], 0 offset:248
	buffer_store_dword v106, off, s[0:3], 0 offset:252
.LBB113_245:
	s_or_b64 exec, exec, s[4:5]
	s_waitcnt lgkmcnt(0)
	; wave barrier
	s_waitcnt lgkmcnt(0)
	buffer_load_dword v102, off, s[0:3], 0 offset:248
	buffer_load_dword v103, off, s[0:3], 0 offset:252
	buffer_load_dword v104, off, s[0:3], 0 offset:256
	buffer_load_dword v105, off, s[0:3], 0 offset:260
	buffer_load_dword v124, off, s[0:3], 0 offset:264
	buffer_load_dword v125, off, s[0:3], 0 offset:268
	buffer_load_dword v126, off, s[0:3], 0 offset:272
	buffer_load_dword v127, off, s[0:3], 0 offset:276
	buffer_load_dword v128, off, s[0:3], 0 offset:280
	buffer_load_dword v129, off, s[0:3], 0 offset:284
	buffer_load_dword v130, off, s[0:3], 0 offset:288
	buffer_load_dword v131, off, s[0:3], 0 offset:292
	buffer_load_dword v132, off, s[0:3], 0 offset:296
	buffer_load_dword v133, off, s[0:3], 0 offset:300
	buffer_load_dword v134, off, s[0:3], 0 offset:304
	buffer_load_dword v135, off, s[0:3], 0 offset:308
	ds_read_b128 v[108:111], v106 offset:656
	ds_read_b128 v[112:115], v106 offset:672
	;; [unrolled: 1-line block ×4, first 2 shown]
	v_cmp_lt_u32_e32 vcc, 30, v0
	s_waitcnt vmcnt(12) lgkmcnt(3)
	v_fma_f64 v[104:105], v[104:105], v[108:109], 0
	buffer_load_dword v109, off, s[0:3], 0 offset:316
	buffer_load_dword v108, off, s[0:3], 0 offset:312
	s_waitcnt vmcnt(12)
	v_fmac_f64_e32 v[104:105], v[124:125], v[110:111]
	s_waitcnt vmcnt(10) lgkmcnt(2)
	v_fmac_f64_e32 v[104:105], v[126:127], v[112:113]
	buffer_load_dword v113, off, s[0:3], 0 offset:324
	buffer_load_dword v112, off, s[0:3], 0 offset:320
	s_waitcnt vmcnt(10)
	v_fmac_f64_e32 v[104:105], v[128:129], v[114:115]
	s_waitcnt vmcnt(8) lgkmcnt(1)
	v_fmac_f64_e32 v[104:105], v[130:131], v[116:117]
	s_waitcnt vmcnt(6)
	v_fmac_f64_e32 v[104:105], v[132:133], v[118:119]
	s_waitcnt vmcnt(4) lgkmcnt(0)
	v_fmac_f64_e32 v[104:105], v[134:135], v[120:121]
	s_waitcnt vmcnt(2)
	v_fmac_f64_e32 v[104:105], v[108:109], v[122:123]
	ds_read_b128 v[108:111], v106 offset:720
	s_waitcnt vmcnt(0) lgkmcnt(0)
	v_fmac_f64_e32 v[104:105], v[112:113], v[108:109]
	buffer_load_dword v109, off, s[0:3], 0 offset:332
	buffer_load_dword v108, off, s[0:3], 0 offset:328
	buffer_load_dword v113, off, s[0:3], 0 offset:340
	buffer_load_dword v112, off, s[0:3], 0 offset:336
	s_waitcnt vmcnt(2)
	v_fmac_f64_e32 v[104:105], v[108:109], v[110:111]
	ds_read_b128 v[108:111], v106 offset:736
	s_waitcnt vmcnt(0) lgkmcnt(0)
	v_fmac_f64_e32 v[104:105], v[112:113], v[108:109]
	buffer_load_dword v109, off, s[0:3], 0 offset:348
	buffer_load_dword v108, off, s[0:3], 0 offset:344
	buffer_load_dword v113, off, s[0:3], 0 offset:356
	buffer_load_dword v112, off, s[0:3], 0 offset:352
	;; [unrolled: 9-line block ×3, first 2 shown]
	s_waitcnt vmcnt(2)
	v_fmac_f64_e32 v[104:105], v[108:109], v[110:111]
	ds_read_b128 v[108:111], v106 offset:768
	s_waitcnt vmcnt(0) lgkmcnt(0)
	v_fmac_f64_e32 v[104:105], v[112:113], v[108:109]
	buffer_load_dword v109, off, s[0:3], 0 offset:380
	buffer_load_dword v108, off, s[0:3], 0 offset:376
	s_waitcnt vmcnt(0)
	v_fmac_f64_e32 v[104:105], v[108:109], v[110:111]
	buffer_load_dword v111, off, s[0:3], 0 offset:388
	buffer_load_dword v110, off, s[0:3], 0 offset:384
	ds_read_b128 v[106:109], v106 offset:784
	s_waitcnt vmcnt(0) lgkmcnt(0)
	v_fmac_f64_e32 v[104:105], v[110:111], v[106:107]
	buffer_load_dword v107, off, s[0:3], 0 offset:396
	buffer_load_dword v106, off, s[0:3], 0 offset:392
	s_waitcnt vmcnt(0)
	v_fmac_f64_e32 v[104:105], v[106:107], v[108:109]
	v_add_f64 v[102:103], v[102:103], -v[104:105]
	buffer_store_dword v103, off, s[0:3], 0 offset:252
	buffer_store_dword v102, off, s[0:3], 0 offset:248
	s_and_saveexec_b64 s[4:5], vcc
	s_cbranch_execz .LBB113_247
; %bb.246:
	buffer_load_dword v102, off, s[0:3], 0 offset:240
	buffer_load_dword v103, off, s[0:3], 0 offset:244
	v_mov_b32_e32 v104, 0
	buffer_store_dword v104, off, s[0:3], 0 offset:240
	buffer_store_dword v104, off, s[0:3], 0 offset:244
	s_waitcnt vmcnt(2)
	ds_write_b64 v1, v[102:103]
.LBB113_247:
	s_or_b64 exec, exec, s[4:5]
	s_waitcnt lgkmcnt(0)
	; wave barrier
	s_waitcnt lgkmcnt(0)
	buffer_load_dword v102, off, s[0:3], 0 offset:240
	buffer_load_dword v103, off, s[0:3], 0 offset:244
	;; [unrolled: 1-line block ×16, first 2 shown]
	v_mov_b32_e32 v106, 0
	ds_read2_b64 v[108:111], v106 offset0:81 offset1:82
	v_cmp_lt_u32_e32 vcc, 29, v0
	s_waitcnt vmcnt(12) lgkmcnt(0)
	v_fma_f64 v[104:105], v[104:105], v[108:109], 0
	s_waitcnt vmcnt(10)
	v_fmac_f64_e32 v[104:105], v[112:113], v[110:111]
	ds_read2_b64 v[108:111], v106 offset0:83 offset1:84
	s_waitcnt vmcnt(8) lgkmcnt(0)
	v_fmac_f64_e32 v[104:105], v[114:115], v[108:109]
	s_waitcnt vmcnt(6)
	v_fmac_f64_e32 v[104:105], v[116:117], v[110:111]
	ds_read2_b64 v[108:111], v106 offset0:85 offset1:86
	s_waitcnt vmcnt(4) lgkmcnt(0)
	v_fmac_f64_e32 v[104:105], v[118:119], v[108:109]
	;; [unrolled: 5-line block ×3, first 2 shown]
	buffer_load_dword v109, off, s[0:3], 0 offset:308
	buffer_load_dword v108, off, s[0:3], 0 offset:304
	buffer_load_dword v113, off, s[0:3], 0 offset:316
	buffer_load_dword v112, off, s[0:3], 0 offset:312
	s_waitcnt vmcnt(2)
	v_fmac_f64_e32 v[104:105], v[108:109], v[110:111]
	ds_read2_b64 v[108:111], v106 offset0:89 offset1:90
	s_waitcnt vmcnt(0) lgkmcnt(0)
	v_fmac_f64_e32 v[104:105], v[112:113], v[108:109]
	buffer_load_dword v109, off, s[0:3], 0 offset:324
	buffer_load_dword v108, off, s[0:3], 0 offset:320
	buffer_load_dword v113, off, s[0:3], 0 offset:332
	buffer_load_dword v112, off, s[0:3], 0 offset:328
	s_waitcnt vmcnt(2)
	v_fmac_f64_e32 v[104:105], v[108:109], v[110:111]
	ds_read2_b64 v[108:111], v106 offset0:91 offset1:92
	s_waitcnt vmcnt(0) lgkmcnt(0)
	v_fmac_f64_e32 v[104:105], v[112:113], v[108:109]
	buffer_load_dword v109, off, s[0:3], 0 offset:340
	buffer_load_dword v108, off, s[0:3], 0 offset:336
	buffer_load_dword v113, off, s[0:3], 0 offset:348
	buffer_load_dword v112, off, s[0:3], 0 offset:344
	s_waitcnt vmcnt(2)
	v_fmac_f64_e32 v[104:105], v[108:109], v[110:111]
	ds_read2_b64 v[108:111], v106 offset0:93 offset1:94
	s_waitcnt vmcnt(0) lgkmcnt(0)
	v_fmac_f64_e32 v[104:105], v[112:113], v[108:109]
	buffer_load_dword v109, off, s[0:3], 0 offset:356
	buffer_load_dword v108, off, s[0:3], 0 offset:352
	buffer_load_dword v113, off, s[0:3], 0 offset:364
	buffer_load_dword v112, off, s[0:3], 0 offset:360
	s_waitcnt vmcnt(2)
	v_fmac_f64_e32 v[104:105], v[108:109], v[110:111]
	ds_read2_b64 v[108:111], v106 offset0:95 offset1:96
	s_waitcnt vmcnt(0) lgkmcnt(0)
	v_fmac_f64_e32 v[104:105], v[112:113], v[108:109]
	buffer_load_dword v109, off, s[0:3], 0 offset:372
	buffer_load_dword v108, off, s[0:3], 0 offset:368
	buffer_load_dword v113, off, s[0:3], 0 offset:380
	buffer_load_dword v112, off, s[0:3], 0 offset:376
	s_waitcnt vmcnt(2)
	v_fmac_f64_e32 v[104:105], v[108:109], v[110:111]
	ds_read2_b64 v[108:111], v106 offset0:97 offset1:98
	s_waitcnt vmcnt(0) lgkmcnt(0)
	v_fmac_f64_e32 v[104:105], v[112:113], v[108:109]
	buffer_load_dword v109, off, s[0:3], 0 offset:388
	buffer_load_dword v108, off, s[0:3], 0 offset:384
	s_waitcnt vmcnt(0)
	v_fmac_f64_e32 v[104:105], v[108:109], v[110:111]
	buffer_load_dword v109, off, s[0:3], 0 offset:396
	buffer_load_dword v108, off, s[0:3], 0 offset:392
	ds_read_b64 v[110:111], v106 offset:792
	s_waitcnt vmcnt(0) lgkmcnt(0)
	v_fmac_f64_e32 v[104:105], v[108:109], v[110:111]
	v_add_f64 v[102:103], v[102:103], -v[104:105]
	buffer_store_dword v103, off, s[0:3], 0 offset:244
	buffer_store_dword v102, off, s[0:3], 0 offset:240
	s_and_saveexec_b64 s[4:5], vcc
	s_cbranch_execz .LBB113_249
; %bb.248:
	buffer_load_dword v102, off, s[0:3], 0 offset:232
	buffer_load_dword v103, off, s[0:3], 0 offset:236
	s_waitcnt vmcnt(0)
	ds_write_b64 v1, v[102:103]
	buffer_store_dword v106, off, s[0:3], 0 offset:232
	buffer_store_dword v106, off, s[0:3], 0 offset:236
.LBB113_249:
	s_or_b64 exec, exec, s[4:5]
	s_waitcnt lgkmcnt(0)
	; wave barrier
	s_waitcnt lgkmcnt(0)
	buffer_load_dword v102, off, s[0:3], 0 offset:232
	buffer_load_dword v103, off, s[0:3], 0 offset:236
	;; [unrolled: 1-line block ×16, first 2 shown]
	ds_read_b128 v[108:111], v106 offset:640
	ds_read_b128 v[112:115], v106 offset:656
	;; [unrolled: 1-line block ×4, first 2 shown]
	v_cmp_lt_u32_e32 vcc, 28, v0
	s_waitcnt vmcnt(12) lgkmcnt(3)
	v_fma_f64 v[104:105], v[104:105], v[108:109], 0
	buffer_load_dword v109, off, s[0:3], 0 offset:300
	buffer_load_dword v108, off, s[0:3], 0 offset:296
	s_waitcnt vmcnt(12)
	v_fmac_f64_e32 v[104:105], v[124:125], v[110:111]
	s_waitcnt vmcnt(10) lgkmcnt(2)
	v_fmac_f64_e32 v[104:105], v[126:127], v[112:113]
	buffer_load_dword v113, off, s[0:3], 0 offset:308
	buffer_load_dword v112, off, s[0:3], 0 offset:304
	s_waitcnt vmcnt(10)
	v_fmac_f64_e32 v[104:105], v[128:129], v[114:115]
	s_waitcnt vmcnt(8) lgkmcnt(1)
	v_fmac_f64_e32 v[104:105], v[130:131], v[116:117]
	s_waitcnt vmcnt(6)
	v_fmac_f64_e32 v[104:105], v[132:133], v[118:119]
	s_waitcnt vmcnt(4) lgkmcnt(0)
	v_fmac_f64_e32 v[104:105], v[134:135], v[120:121]
	s_waitcnt vmcnt(2)
	v_fmac_f64_e32 v[104:105], v[108:109], v[122:123]
	ds_read_b128 v[108:111], v106 offset:704
	s_waitcnt vmcnt(0) lgkmcnt(0)
	v_fmac_f64_e32 v[104:105], v[112:113], v[108:109]
	buffer_load_dword v109, off, s[0:3], 0 offset:316
	buffer_load_dword v108, off, s[0:3], 0 offset:312
	buffer_load_dword v113, off, s[0:3], 0 offset:324
	buffer_load_dword v112, off, s[0:3], 0 offset:320
	s_waitcnt vmcnt(2)
	v_fmac_f64_e32 v[104:105], v[108:109], v[110:111]
	ds_read_b128 v[108:111], v106 offset:720
	s_waitcnt vmcnt(0) lgkmcnt(0)
	v_fmac_f64_e32 v[104:105], v[112:113], v[108:109]
	buffer_load_dword v109, off, s[0:3], 0 offset:332
	buffer_load_dword v108, off, s[0:3], 0 offset:328
	buffer_load_dword v113, off, s[0:3], 0 offset:340
	buffer_load_dword v112, off, s[0:3], 0 offset:336
	;; [unrolled: 9-line block ×4, first 2 shown]
	s_waitcnt vmcnt(2)
	v_fmac_f64_e32 v[104:105], v[108:109], v[110:111]
	ds_read_b128 v[108:111], v106 offset:768
	s_waitcnt vmcnt(0) lgkmcnt(0)
	v_fmac_f64_e32 v[104:105], v[112:113], v[108:109]
	buffer_load_dword v109, off, s[0:3], 0 offset:380
	buffer_load_dword v108, off, s[0:3], 0 offset:376
	s_waitcnt vmcnt(0)
	v_fmac_f64_e32 v[104:105], v[108:109], v[110:111]
	buffer_load_dword v111, off, s[0:3], 0 offset:388
	buffer_load_dword v110, off, s[0:3], 0 offset:384
	ds_read_b128 v[106:109], v106 offset:784
	s_waitcnt vmcnt(0) lgkmcnt(0)
	v_fmac_f64_e32 v[104:105], v[110:111], v[106:107]
	buffer_load_dword v107, off, s[0:3], 0 offset:396
	buffer_load_dword v106, off, s[0:3], 0 offset:392
	s_waitcnt vmcnt(0)
	v_fmac_f64_e32 v[104:105], v[106:107], v[108:109]
	v_add_f64 v[102:103], v[102:103], -v[104:105]
	buffer_store_dword v103, off, s[0:3], 0 offset:236
	buffer_store_dword v102, off, s[0:3], 0 offset:232
	s_and_saveexec_b64 s[4:5], vcc
	s_cbranch_execz .LBB113_251
; %bb.250:
	buffer_load_dword v102, off, s[0:3], 0 offset:224
	buffer_load_dword v103, off, s[0:3], 0 offset:228
	v_mov_b32_e32 v104, 0
	buffer_store_dword v104, off, s[0:3], 0 offset:224
	buffer_store_dword v104, off, s[0:3], 0 offset:228
	s_waitcnt vmcnt(2)
	ds_write_b64 v1, v[102:103]
.LBB113_251:
	s_or_b64 exec, exec, s[4:5]
	s_waitcnt lgkmcnt(0)
	; wave barrier
	s_waitcnt lgkmcnt(0)
	buffer_load_dword v102, off, s[0:3], 0 offset:224
	buffer_load_dword v103, off, s[0:3], 0 offset:228
	;; [unrolled: 1-line block ×16, first 2 shown]
	v_mov_b32_e32 v106, 0
	ds_read2_b64 v[108:111], v106 offset0:79 offset1:80
	v_cmp_lt_u32_e32 vcc, 27, v0
	s_waitcnt vmcnt(12) lgkmcnt(0)
	v_fma_f64 v[104:105], v[104:105], v[108:109], 0
	s_waitcnt vmcnt(10)
	v_fmac_f64_e32 v[104:105], v[112:113], v[110:111]
	ds_read2_b64 v[108:111], v106 offset0:81 offset1:82
	s_waitcnt vmcnt(8) lgkmcnt(0)
	v_fmac_f64_e32 v[104:105], v[114:115], v[108:109]
	s_waitcnt vmcnt(6)
	v_fmac_f64_e32 v[104:105], v[116:117], v[110:111]
	ds_read2_b64 v[108:111], v106 offset0:83 offset1:84
	s_waitcnt vmcnt(4) lgkmcnt(0)
	v_fmac_f64_e32 v[104:105], v[118:119], v[108:109]
	;; [unrolled: 5-line block ×3, first 2 shown]
	buffer_load_dword v109, off, s[0:3], 0 offset:292
	buffer_load_dword v108, off, s[0:3], 0 offset:288
	buffer_load_dword v113, off, s[0:3], 0 offset:300
	buffer_load_dword v112, off, s[0:3], 0 offset:296
	s_waitcnt vmcnt(2)
	v_fmac_f64_e32 v[104:105], v[108:109], v[110:111]
	ds_read2_b64 v[108:111], v106 offset0:87 offset1:88
	s_waitcnt vmcnt(0) lgkmcnt(0)
	v_fmac_f64_e32 v[104:105], v[112:113], v[108:109]
	buffer_load_dword v109, off, s[0:3], 0 offset:308
	buffer_load_dword v108, off, s[0:3], 0 offset:304
	buffer_load_dword v113, off, s[0:3], 0 offset:316
	buffer_load_dword v112, off, s[0:3], 0 offset:312
	s_waitcnt vmcnt(2)
	v_fmac_f64_e32 v[104:105], v[108:109], v[110:111]
	ds_read2_b64 v[108:111], v106 offset0:89 offset1:90
	s_waitcnt vmcnt(0) lgkmcnt(0)
	v_fmac_f64_e32 v[104:105], v[112:113], v[108:109]
	;; [unrolled: 9-line block ×6, first 2 shown]
	buffer_load_dword v109, off, s[0:3], 0 offset:388
	buffer_load_dword v108, off, s[0:3], 0 offset:384
	s_waitcnt vmcnt(0)
	v_fmac_f64_e32 v[104:105], v[108:109], v[110:111]
	buffer_load_dword v109, off, s[0:3], 0 offset:396
	buffer_load_dword v108, off, s[0:3], 0 offset:392
	ds_read_b64 v[110:111], v106 offset:792
	s_waitcnt vmcnt(0) lgkmcnt(0)
	v_fmac_f64_e32 v[104:105], v[108:109], v[110:111]
	v_add_f64 v[102:103], v[102:103], -v[104:105]
	buffer_store_dword v103, off, s[0:3], 0 offset:228
	buffer_store_dword v102, off, s[0:3], 0 offset:224
	s_and_saveexec_b64 s[4:5], vcc
	s_cbranch_execz .LBB113_253
; %bb.252:
	buffer_load_dword v102, off, s[0:3], 0 offset:216
	buffer_load_dword v103, off, s[0:3], 0 offset:220
	s_waitcnt vmcnt(0)
	ds_write_b64 v1, v[102:103]
	buffer_store_dword v106, off, s[0:3], 0 offset:216
	buffer_store_dword v106, off, s[0:3], 0 offset:220
.LBB113_253:
	s_or_b64 exec, exec, s[4:5]
	s_waitcnt lgkmcnt(0)
	; wave barrier
	s_waitcnt lgkmcnt(0)
	buffer_load_dword v102, off, s[0:3], 0 offset:216
	buffer_load_dword v103, off, s[0:3], 0 offset:220
	;; [unrolled: 1-line block ×16, first 2 shown]
	ds_read_b128 v[108:111], v106 offset:624
	ds_read_b128 v[112:115], v106 offset:640
	;; [unrolled: 1-line block ×4, first 2 shown]
	v_cmp_lt_u32_e32 vcc, 26, v0
	s_waitcnt vmcnt(12) lgkmcnt(3)
	v_fma_f64 v[104:105], v[104:105], v[108:109], 0
	buffer_load_dword v109, off, s[0:3], 0 offset:284
	buffer_load_dword v108, off, s[0:3], 0 offset:280
	s_waitcnt vmcnt(12)
	v_fmac_f64_e32 v[104:105], v[124:125], v[110:111]
	s_waitcnt vmcnt(10) lgkmcnt(2)
	v_fmac_f64_e32 v[104:105], v[126:127], v[112:113]
	buffer_load_dword v113, off, s[0:3], 0 offset:292
	buffer_load_dword v112, off, s[0:3], 0 offset:288
	s_waitcnt vmcnt(10)
	v_fmac_f64_e32 v[104:105], v[128:129], v[114:115]
	s_waitcnt vmcnt(8) lgkmcnt(1)
	v_fmac_f64_e32 v[104:105], v[130:131], v[116:117]
	s_waitcnt vmcnt(6)
	v_fmac_f64_e32 v[104:105], v[132:133], v[118:119]
	s_waitcnt vmcnt(4) lgkmcnt(0)
	v_fmac_f64_e32 v[104:105], v[134:135], v[120:121]
	s_waitcnt vmcnt(2)
	v_fmac_f64_e32 v[104:105], v[108:109], v[122:123]
	ds_read_b128 v[108:111], v106 offset:688
	s_waitcnt vmcnt(0) lgkmcnt(0)
	v_fmac_f64_e32 v[104:105], v[112:113], v[108:109]
	buffer_load_dword v109, off, s[0:3], 0 offset:300
	buffer_load_dword v108, off, s[0:3], 0 offset:296
	buffer_load_dword v113, off, s[0:3], 0 offset:308
	buffer_load_dword v112, off, s[0:3], 0 offset:304
	s_waitcnt vmcnt(2)
	v_fmac_f64_e32 v[104:105], v[108:109], v[110:111]
	ds_read_b128 v[108:111], v106 offset:704
	s_waitcnt vmcnt(0) lgkmcnt(0)
	v_fmac_f64_e32 v[104:105], v[112:113], v[108:109]
	buffer_load_dword v109, off, s[0:3], 0 offset:316
	buffer_load_dword v108, off, s[0:3], 0 offset:312
	buffer_load_dword v113, off, s[0:3], 0 offset:324
	buffer_load_dword v112, off, s[0:3], 0 offset:320
	;; [unrolled: 9-line block ×5, first 2 shown]
	s_waitcnt vmcnt(2)
	v_fmac_f64_e32 v[104:105], v[108:109], v[110:111]
	ds_read_b128 v[108:111], v106 offset:768
	s_waitcnt vmcnt(0) lgkmcnt(0)
	v_fmac_f64_e32 v[104:105], v[112:113], v[108:109]
	buffer_load_dword v109, off, s[0:3], 0 offset:380
	buffer_load_dword v108, off, s[0:3], 0 offset:376
	s_waitcnt vmcnt(0)
	v_fmac_f64_e32 v[104:105], v[108:109], v[110:111]
	buffer_load_dword v111, off, s[0:3], 0 offset:388
	buffer_load_dword v110, off, s[0:3], 0 offset:384
	ds_read_b128 v[106:109], v106 offset:784
	s_waitcnt vmcnt(0) lgkmcnt(0)
	v_fmac_f64_e32 v[104:105], v[110:111], v[106:107]
	buffer_load_dword v107, off, s[0:3], 0 offset:396
	buffer_load_dword v106, off, s[0:3], 0 offset:392
	s_waitcnt vmcnt(0)
	v_fmac_f64_e32 v[104:105], v[106:107], v[108:109]
	v_add_f64 v[102:103], v[102:103], -v[104:105]
	buffer_store_dword v103, off, s[0:3], 0 offset:220
	buffer_store_dword v102, off, s[0:3], 0 offset:216
	s_and_saveexec_b64 s[4:5], vcc
	s_cbranch_execz .LBB113_255
; %bb.254:
	buffer_load_dword v102, off, s[0:3], 0 offset:208
	buffer_load_dword v103, off, s[0:3], 0 offset:212
	v_mov_b32_e32 v104, 0
	buffer_store_dword v104, off, s[0:3], 0 offset:208
	buffer_store_dword v104, off, s[0:3], 0 offset:212
	s_waitcnt vmcnt(2)
	ds_write_b64 v1, v[102:103]
.LBB113_255:
	s_or_b64 exec, exec, s[4:5]
	s_waitcnt lgkmcnt(0)
	; wave barrier
	s_waitcnt lgkmcnt(0)
	buffer_load_dword v102, off, s[0:3], 0 offset:208
	buffer_load_dword v103, off, s[0:3], 0 offset:212
	;; [unrolled: 1-line block ×16, first 2 shown]
	v_mov_b32_e32 v106, 0
	ds_read2_b64 v[108:111], v106 offset0:77 offset1:78
	v_cmp_lt_u32_e32 vcc, 25, v0
	s_waitcnt vmcnt(12) lgkmcnt(0)
	v_fma_f64 v[104:105], v[104:105], v[108:109], 0
	s_waitcnt vmcnt(10)
	v_fmac_f64_e32 v[104:105], v[112:113], v[110:111]
	ds_read2_b64 v[108:111], v106 offset0:79 offset1:80
	s_waitcnt vmcnt(8) lgkmcnt(0)
	v_fmac_f64_e32 v[104:105], v[114:115], v[108:109]
	s_waitcnt vmcnt(6)
	v_fmac_f64_e32 v[104:105], v[116:117], v[110:111]
	ds_read2_b64 v[108:111], v106 offset0:81 offset1:82
	s_waitcnt vmcnt(4) lgkmcnt(0)
	v_fmac_f64_e32 v[104:105], v[118:119], v[108:109]
	;; [unrolled: 5-line block ×3, first 2 shown]
	buffer_load_dword v109, off, s[0:3], 0 offset:276
	buffer_load_dword v108, off, s[0:3], 0 offset:272
	buffer_load_dword v113, off, s[0:3], 0 offset:284
	buffer_load_dword v112, off, s[0:3], 0 offset:280
	s_waitcnt vmcnt(2)
	v_fmac_f64_e32 v[104:105], v[108:109], v[110:111]
	ds_read2_b64 v[108:111], v106 offset0:85 offset1:86
	s_waitcnt vmcnt(0) lgkmcnt(0)
	v_fmac_f64_e32 v[104:105], v[112:113], v[108:109]
	buffer_load_dword v109, off, s[0:3], 0 offset:292
	buffer_load_dword v108, off, s[0:3], 0 offset:288
	buffer_load_dword v113, off, s[0:3], 0 offset:300
	buffer_load_dword v112, off, s[0:3], 0 offset:296
	s_waitcnt vmcnt(2)
	v_fmac_f64_e32 v[104:105], v[108:109], v[110:111]
	ds_read2_b64 v[108:111], v106 offset0:87 offset1:88
	s_waitcnt vmcnt(0) lgkmcnt(0)
	v_fmac_f64_e32 v[104:105], v[112:113], v[108:109]
	;; [unrolled: 9-line block ×7, first 2 shown]
	buffer_load_dword v109, off, s[0:3], 0 offset:388
	buffer_load_dword v108, off, s[0:3], 0 offset:384
	s_waitcnt vmcnt(0)
	v_fmac_f64_e32 v[104:105], v[108:109], v[110:111]
	buffer_load_dword v109, off, s[0:3], 0 offset:396
	buffer_load_dword v108, off, s[0:3], 0 offset:392
	ds_read_b64 v[110:111], v106 offset:792
	s_waitcnt vmcnt(0) lgkmcnt(0)
	v_fmac_f64_e32 v[104:105], v[108:109], v[110:111]
	v_add_f64 v[102:103], v[102:103], -v[104:105]
	buffer_store_dword v103, off, s[0:3], 0 offset:212
	buffer_store_dword v102, off, s[0:3], 0 offset:208
	s_and_saveexec_b64 s[4:5], vcc
	s_cbranch_execz .LBB113_257
; %bb.256:
	buffer_load_dword v102, off, s[0:3], 0 offset:200
	buffer_load_dword v103, off, s[0:3], 0 offset:204
	s_waitcnt vmcnt(0)
	ds_write_b64 v1, v[102:103]
	buffer_store_dword v106, off, s[0:3], 0 offset:200
	buffer_store_dword v106, off, s[0:3], 0 offset:204
.LBB113_257:
	s_or_b64 exec, exec, s[4:5]
	s_waitcnt lgkmcnt(0)
	; wave barrier
	s_waitcnt lgkmcnt(0)
	buffer_load_dword v102, off, s[0:3], 0 offset:200
	buffer_load_dword v103, off, s[0:3], 0 offset:204
	;; [unrolled: 1-line block ×16, first 2 shown]
	ds_read_b128 v[108:111], v106 offset:608
	ds_read_b128 v[112:115], v106 offset:624
	;; [unrolled: 1-line block ×4, first 2 shown]
	v_cmp_lt_u32_e32 vcc, 24, v0
	s_waitcnt vmcnt(12) lgkmcnt(3)
	v_fma_f64 v[104:105], v[104:105], v[108:109], 0
	buffer_load_dword v109, off, s[0:3], 0 offset:268
	buffer_load_dword v108, off, s[0:3], 0 offset:264
	s_waitcnt vmcnt(12)
	v_fmac_f64_e32 v[104:105], v[124:125], v[110:111]
	s_waitcnt vmcnt(10) lgkmcnt(2)
	v_fmac_f64_e32 v[104:105], v[126:127], v[112:113]
	buffer_load_dword v113, off, s[0:3], 0 offset:276
	buffer_load_dword v112, off, s[0:3], 0 offset:272
	s_waitcnt vmcnt(10)
	v_fmac_f64_e32 v[104:105], v[128:129], v[114:115]
	s_waitcnt vmcnt(8) lgkmcnt(1)
	v_fmac_f64_e32 v[104:105], v[130:131], v[116:117]
	s_waitcnt vmcnt(6)
	v_fmac_f64_e32 v[104:105], v[132:133], v[118:119]
	s_waitcnt vmcnt(4) lgkmcnt(0)
	v_fmac_f64_e32 v[104:105], v[134:135], v[120:121]
	s_waitcnt vmcnt(2)
	v_fmac_f64_e32 v[104:105], v[108:109], v[122:123]
	ds_read_b128 v[108:111], v106 offset:672
	s_waitcnt vmcnt(0) lgkmcnt(0)
	v_fmac_f64_e32 v[104:105], v[112:113], v[108:109]
	buffer_load_dword v109, off, s[0:3], 0 offset:284
	buffer_load_dword v108, off, s[0:3], 0 offset:280
	buffer_load_dword v113, off, s[0:3], 0 offset:292
	buffer_load_dword v112, off, s[0:3], 0 offset:288
	s_waitcnt vmcnt(2)
	v_fmac_f64_e32 v[104:105], v[108:109], v[110:111]
	ds_read_b128 v[108:111], v106 offset:688
	s_waitcnt vmcnt(0) lgkmcnt(0)
	v_fmac_f64_e32 v[104:105], v[112:113], v[108:109]
	buffer_load_dword v109, off, s[0:3], 0 offset:300
	buffer_load_dword v108, off, s[0:3], 0 offset:296
	buffer_load_dword v113, off, s[0:3], 0 offset:308
	buffer_load_dword v112, off, s[0:3], 0 offset:304
	;; [unrolled: 9-line block ×6, first 2 shown]
	s_waitcnt vmcnt(2)
	v_fmac_f64_e32 v[104:105], v[108:109], v[110:111]
	ds_read_b128 v[108:111], v106 offset:768
	s_waitcnt vmcnt(0) lgkmcnt(0)
	v_fmac_f64_e32 v[104:105], v[112:113], v[108:109]
	buffer_load_dword v109, off, s[0:3], 0 offset:380
	buffer_load_dword v108, off, s[0:3], 0 offset:376
	s_waitcnt vmcnt(0)
	v_fmac_f64_e32 v[104:105], v[108:109], v[110:111]
	buffer_load_dword v111, off, s[0:3], 0 offset:388
	buffer_load_dword v110, off, s[0:3], 0 offset:384
	ds_read_b128 v[106:109], v106 offset:784
	s_waitcnt vmcnt(0) lgkmcnt(0)
	v_fmac_f64_e32 v[104:105], v[110:111], v[106:107]
	buffer_load_dword v107, off, s[0:3], 0 offset:396
	buffer_load_dword v106, off, s[0:3], 0 offset:392
	s_waitcnt vmcnt(0)
	v_fmac_f64_e32 v[104:105], v[106:107], v[108:109]
	v_add_f64 v[102:103], v[102:103], -v[104:105]
	buffer_store_dword v103, off, s[0:3], 0 offset:204
	buffer_store_dword v102, off, s[0:3], 0 offset:200
	s_and_saveexec_b64 s[4:5], vcc
	s_cbranch_execz .LBB113_259
; %bb.258:
	buffer_load_dword v102, off, s[0:3], 0 offset:192
	buffer_load_dword v103, off, s[0:3], 0 offset:196
	v_mov_b32_e32 v104, 0
	buffer_store_dword v104, off, s[0:3], 0 offset:192
	buffer_store_dword v104, off, s[0:3], 0 offset:196
	s_waitcnt vmcnt(2)
	ds_write_b64 v1, v[102:103]
.LBB113_259:
	s_or_b64 exec, exec, s[4:5]
	s_waitcnt lgkmcnt(0)
	; wave barrier
	s_waitcnt lgkmcnt(0)
	buffer_load_dword v102, off, s[0:3], 0 offset:192
	buffer_load_dword v103, off, s[0:3], 0 offset:196
	;; [unrolled: 1-line block ×16, first 2 shown]
	v_mov_b32_e32 v106, 0
	ds_read2_b64 v[108:111], v106 offset0:75 offset1:76
	v_cmp_lt_u32_e32 vcc, 23, v0
	s_waitcnt vmcnt(12) lgkmcnt(0)
	v_fma_f64 v[104:105], v[104:105], v[108:109], 0
	s_waitcnt vmcnt(10)
	v_fmac_f64_e32 v[104:105], v[112:113], v[110:111]
	ds_read2_b64 v[108:111], v106 offset0:77 offset1:78
	s_waitcnt vmcnt(8) lgkmcnt(0)
	v_fmac_f64_e32 v[104:105], v[114:115], v[108:109]
	s_waitcnt vmcnt(6)
	v_fmac_f64_e32 v[104:105], v[116:117], v[110:111]
	ds_read2_b64 v[108:111], v106 offset0:79 offset1:80
	s_waitcnt vmcnt(4) lgkmcnt(0)
	v_fmac_f64_e32 v[104:105], v[118:119], v[108:109]
	;; [unrolled: 5-line block ×3, first 2 shown]
	buffer_load_dword v109, off, s[0:3], 0 offset:260
	buffer_load_dword v108, off, s[0:3], 0 offset:256
	buffer_load_dword v113, off, s[0:3], 0 offset:268
	buffer_load_dword v112, off, s[0:3], 0 offset:264
	s_waitcnt vmcnt(2)
	v_fmac_f64_e32 v[104:105], v[108:109], v[110:111]
	ds_read2_b64 v[108:111], v106 offset0:83 offset1:84
	s_waitcnt vmcnt(0) lgkmcnt(0)
	v_fmac_f64_e32 v[104:105], v[112:113], v[108:109]
	buffer_load_dword v109, off, s[0:3], 0 offset:276
	buffer_load_dword v108, off, s[0:3], 0 offset:272
	buffer_load_dword v113, off, s[0:3], 0 offset:284
	buffer_load_dword v112, off, s[0:3], 0 offset:280
	s_waitcnt vmcnt(2)
	v_fmac_f64_e32 v[104:105], v[108:109], v[110:111]
	ds_read2_b64 v[108:111], v106 offset0:85 offset1:86
	s_waitcnt vmcnt(0) lgkmcnt(0)
	v_fmac_f64_e32 v[104:105], v[112:113], v[108:109]
	;; [unrolled: 9-line block ×8, first 2 shown]
	buffer_load_dword v109, off, s[0:3], 0 offset:388
	buffer_load_dword v108, off, s[0:3], 0 offset:384
	s_waitcnt vmcnt(0)
	v_fmac_f64_e32 v[104:105], v[108:109], v[110:111]
	buffer_load_dword v109, off, s[0:3], 0 offset:396
	buffer_load_dword v108, off, s[0:3], 0 offset:392
	ds_read_b64 v[110:111], v106 offset:792
	s_waitcnt vmcnt(0) lgkmcnt(0)
	v_fmac_f64_e32 v[104:105], v[108:109], v[110:111]
	v_add_f64 v[102:103], v[102:103], -v[104:105]
	buffer_store_dword v103, off, s[0:3], 0 offset:196
	buffer_store_dword v102, off, s[0:3], 0 offset:192
	s_and_saveexec_b64 s[4:5], vcc
	s_cbranch_execz .LBB113_261
; %bb.260:
	buffer_load_dword v102, off, s[0:3], 0 offset:184
	buffer_load_dword v103, off, s[0:3], 0 offset:188
	s_waitcnt vmcnt(0)
	ds_write_b64 v1, v[102:103]
	buffer_store_dword v106, off, s[0:3], 0 offset:184
	buffer_store_dword v106, off, s[0:3], 0 offset:188
.LBB113_261:
	s_or_b64 exec, exec, s[4:5]
	s_waitcnt lgkmcnt(0)
	; wave barrier
	s_waitcnt lgkmcnt(0)
	buffer_load_dword v102, off, s[0:3], 0 offset:184
	buffer_load_dword v103, off, s[0:3], 0 offset:188
	;; [unrolled: 1-line block ×16, first 2 shown]
	ds_read_b128 v[108:111], v106 offset:592
	ds_read_b128 v[112:115], v106 offset:608
	;; [unrolled: 1-line block ×4, first 2 shown]
	v_cmp_lt_u32_e32 vcc, 22, v0
	s_waitcnt vmcnt(12) lgkmcnt(3)
	v_fma_f64 v[104:105], v[104:105], v[108:109], 0
	buffer_load_dword v109, off, s[0:3], 0 offset:252
	buffer_load_dword v108, off, s[0:3], 0 offset:248
	s_waitcnt vmcnt(12)
	v_fmac_f64_e32 v[104:105], v[124:125], v[110:111]
	s_waitcnt vmcnt(10) lgkmcnt(2)
	v_fmac_f64_e32 v[104:105], v[126:127], v[112:113]
	buffer_load_dword v113, off, s[0:3], 0 offset:260
	buffer_load_dword v112, off, s[0:3], 0 offset:256
	s_waitcnt vmcnt(10)
	v_fmac_f64_e32 v[104:105], v[128:129], v[114:115]
	s_waitcnt vmcnt(8) lgkmcnt(1)
	v_fmac_f64_e32 v[104:105], v[130:131], v[116:117]
	s_waitcnt vmcnt(6)
	v_fmac_f64_e32 v[104:105], v[132:133], v[118:119]
	s_waitcnt vmcnt(4) lgkmcnt(0)
	v_fmac_f64_e32 v[104:105], v[134:135], v[120:121]
	s_waitcnt vmcnt(2)
	v_fmac_f64_e32 v[104:105], v[108:109], v[122:123]
	ds_read_b128 v[108:111], v106 offset:656
	s_waitcnt vmcnt(0) lgkmcnt(0)
	v_fmac_f64_e32 v[104:105], v[112:113], v[108:109]
	buffer_load_dword v109, off, s[0:3], 0 offset:268
	buffer_load_dword v108, off, s[0:3], 0 offset:264
	buffer_load_dword v113, off, s[0:3], 0 offset:276
	buffer_load_dword v112, off, s[0:3], 0 offset:272
	s_waitcnt vmcnt(2)
	v_fmac_f64_e32 v[104:105], v[108:109], v[110:111]
	ds_read_b128 v[108:111], v106 offset:672
	s_waitcnt vmcnt(0) lgkmcnt(0)
	v_fmac_f64_e32 v[104:105], v[112:113], v[108:109]
	buffer_load_dword v109, off, s[0:3], 0 offset:284
	buffer_load_dword v108, off, s[0:3], 0 offset:280
	buffer_load_dword v113, off, s[0:3], 0 offset:292
	buffer_load_dword v112, off, s[0:3], 0 offset:288
	;; [unrolled: 9-line block ×7, first 2 shown]
	s_waitcnt vmcnt(2)
	v_fmac_f64_e32 v[104:105], v[108:109], v[110:111]
	ds_read_b128 v[108:111], v106 offset:768
	s_waitcnt vmcnt(0) lgkmcnt(0)
	v_fmac_f64_e32 v[104:105], v[112:113], v[108:109]
	buffer_load_dword v109, off, s[0:3], 0 offset:380
	buffer_load_dword v108, off, s[0:3], 0 offset:376
	s_waitcnt vmcnt(0)
	v_fmac_f64_e32 v[104:105], v[108:109], v[110:111]
	buffer_load_dword v111, off, s[0:3], 0 offset:388
	buffer_load_dword v110, off, s[0:3], 0 offset:384
	ds_read_b128 v[106:109], v106 offset:784
	s_waitcnt vmcnt(0) lgkmcnt(0)
	v_fmac_f64_e32 v[104:105], v[110:111], v[106:107]
	buffer_load_dword v107, off, s[0:3], 0 offset:396
	buffer_load_dword v106, off, s[0:3], 0 offset:392
	s_waitcnt vmcnt(0)
	v_fmac_f64_e32 v[104:105], v[106:107], v[108:109]
	v_add_f64 v[102:103], v[102:103], -v[104:105]
	buffer_store_dword v103, off, s[0:3], 0 offset:188
	buffer_store_dword v102, off, s[0:3], 0 offset:184
	s_and_saveexec_b64 s[4:5], vcc
	s_cbranch_execz .LBB113_263
; %bb.262:
	buffer_load_dword v102, off, s[0:3], 0 offset:176
	buffer_load_dword v103, off, s[0:3], 0 offset:180
	v_mov_b32_e32 v104, 0
	buffer_store_dword v104, off, s[0:3], 0 offset:176
	buffer_store_dword v104, off, s[0:3], 0 offset:180
	s_waitcnt vmcnt(2)
	ds_write_b64 v1, v[102:103]
.LBB113_263:
	s_or_b64 exec, exec, s[4:5]
	s_waitcnt lgkmcnt(0)
	; wave barrier
	s_waitcnt lgkmcnt(0)
	buffer_load_dword v102, off, s[0:3], 0 offset:176
	buffer_load_dword v103, off, s[0:3], 0 offset:180
	;; [unrolled: 1-line block ×16, first 2 shown]
	v_mov_b32_e32 v106, 0
	ds_read2_b64 v[108:111], v106 offset0:73 offset1:74
	v_cmp_lt_u32_e32 vcc, 21, v0
	s_waitcnt vmcnt(12) lgkmcnt(0)
	v_fma_f64 v[104:105], v[104:105], v[108:109], 0
	s_waitcnt vmcnt(10)
	v_fmac_f64_e32 v[104:105], v[112:113], v[110:111]
	ds_read2_b64 v[108:111], v106 offset0:75 offset1:76
	s_waitcnt vmcnt(8) lgkmcnt(0)
	v_fmac_f64_e32 v[104:105], v[114:115], v[108:109]
	s_waitcnt vmcnt(6)
	v_fmac_f64_e32 v[104:105], v[116:117], v[110:111]
	ds_read2_b64 v[108:111], v106 offset0:77 offset1:78
	s_waitcnt vmcnt(4) lgkmcnt(0)
	v_fmac_f64_e32 v[104:105], v[118:119], v[108:109]
	s_waitcnt vmcnt(2)
	v_fmac_f64_e32 v[104:105], v[120:121], v[110:111]
	ds_read2_b64 v[108:111], v106 offset0:79 offset1:80
	s_waitcnt vmcnt(0) lgkmcnt(0)
	v_fmac_f64_e32 v[104:105], v[122:123], v[108:109]
	buffer_load_dword v109, off, s[0:3], 0 offset:244
	buffer_load_dword v108, off, s[0:3], 0 offset:240
	buffer_load_dword v113, off, s[0:3], 0 offset:252
	buffer_load_dword v112, off, s[0:3], 0 offset:248
	s_waitcnt vmcnt(2)
	v_fmac_f64_e32 v[104:105], v[108:109], v[110:111]
	ds_read2_b64 v[108:111], v106 offset0:81 offset1:82
	s_waitcnt vmcnt(0) lgkmcnt(0)
	v_fmac_f64_e32 v[104:105], v[112:113], v[108:109]
	buffer_load_dword v109, off, s[0:3], 0 offset:260
	buffer_load_dword v108, off, s[0:3], 0 offset:256
	buffer_load_dword v113, off, s[0:3], 0 offset:268
	buffer_load_dword v112, off, s[0:3], 0 offset:264
	s_waitcnt vmcnt(2)
	v_fmac_f64_e32 v[104:105], v[108:109], v[110:111]
	ds_read2_b64 v[108:111], v106 offset0:83 offset1:84
	s_waitcnt vmcnt(0) lgkmcnt(0)
	v_fmac_f64_e32 v[104:105], v[112:113], v[108:109]
	buffer_load_dword v109, off, s[0:3], 0 offset:276
	buffer_load_dword v108, off, s[0:3], 0 offset:272
	buffer_load_dword v113, off, s[0:3], 0 offset:284
	buffer_load_dword v112, off, s[0:3], 0 offset:280
	s_waitcnt vmcnt(2)
	v_fmac_f64_e32 v[104:105], v[108:109], v[110:111]
	ds_read2_b64 v[108:111], v106 offset0:85 offset1:86
	s_waitcnt vmcnt(0) lgkmcnt(0)
	v_fmac_f64_e32 v[104:105], v[112:113], v[108:109]
	buffer_load_dword v109, off, s[0:3], 0 offset:292
	buffer_load_dword v108, off, s[0:3], 0 offset:288
	buffer_load_dword v113, off, s[0:3], 0 offset:300
	buffer_load_dword v112, off, s[0:3], 0 offset:296
	s_waitcnt vmcnt(2)
	v_fmac_f64_e32 v[104:105], v[108:109], v[110:111]
	ds_read2_b64 v[108:111], v106 offset0:87 offset1:88
	s_waitcnt vmcnt(0) lgkmcnt(0)
	v_fmac_f64_e32 v[104:105], v[112:113], v[108:109]
	buffer_load_dword v109, off, s[0:3], 0 offset:308
	buffer_load_dword v108, off, s[0:3], 0 offset:304
	buffer_load_dword v113, off, s[0:3], 0 offset:316
	buffer_load_dword v112, off, s[0:3], 0 offset:312
	s_waitcnt vmcnt(2)
	v_fmac_f64_e32 v[104:105], v[108:109], v[110:111]
	ds_read2_b64 v[108:111], v106 offset0:89 offset1:90
	s_waitcnt vmcnt(0) lgkmcnt(0)
	v_fmac_f64_e32 v[104:105], v[112:113], v[108:109]
	buffer_load_dword v109, off, s[0:3], 0 offset:324
	buffer_load_dword v108, off, s[0:3], 0 offset:320
	buffer_load_dword v113, off, s[0:3], 0 offset:332
	buffer_load_dword v112, off, s[0:3], 0 offset:328
	s_waitcnt vmcnt(2)
	v_fmac_f64_e32 v[104:105], v[108:109], v[110:111]
	ds_read2_b64 v[108:111], v106 offset0:91 offset1:92
	s_waitcnt vmcnt(0) lgkmcnt(0)
	v_fmac_f64_e32 v[104:105], v[112:113], v[108:109]
	buffer_load_dword v109, off, s[0:3], 0 offset:340
	buffer_load_dword v108, off, s[0:3], 0 offset:336
	buffer_load_dword v113, off, s[0:3], 0 offset:348
	buffer_load_dword v112, off, s[0:3], 0 offset:344
	s_waitcnt vmcnt(2)
	v_fmac_f64_e32 v[104:105], v[108:109], v[110:111]
	ds_read2_b64 v[108:111], v106 offset0:93 offset1:94
	s_waitcnt vmcnt(0) lgkmcnt(0)
	v_fmac_f64_e32 v[104:105], v[112:113], v[108:109]
	buffer_load_dword v109, off, s[0:3], 0 offset:356
	buffer_load_dword v108, off, s[0:3], 0 offset:352
	buffer_load_dword v113, off, s[0:3], 0 offset:364
	buffer_load_dword v112, off, s[0:3], 0 offset:360
	s_waitcnt vmcnt(2)
	v_fmac_f64_e32 v[104:105], v[108:109], v[110:111]
	ds_read2_b64 v[108:111], v106 offset0:95 offset1:96
	s_waitcnt vmcnt(0) lgkmcnt(0)
	v_fmac_f64_e32 v[104:105], v[112:113], v[108:109]
	buffer_load_dword v109, off, s[0:3], 0 offset:372
	buffer_load_dword v108, off, s[0:3], 0 offset:368
	buffer_load_dword v113, off, s[0:3], 0 offset:380
	buffer_load_dword v112, off, s[0:3], 0 offset:376
	s_waitcnt vmcnt(2)
	v_fmac_f64_e32 v[104:105], v[108:109], v[110:111]
	ds_read2_b64 v[108:111], v106 offset0:97 offset1:98
	s_waitcnt vmcnt(0) lgkmcnt(0)
	v_fmac_f64_e32 v[104:105], v[112:113], v[108:109]
	buffer_load_dword v109, off, s[0:3], 0 offset:388
	buffer_load_dword v108, off, s[0:3], 0 offset:384
	s_waitcnt vmcnt(0)
	v_fmac_f64_e32 v[104:105], v[108:109], v[110:111]
	buffer_load_dword v109, off, s[0:3], 0 offset:396
	buffer_load_dword v108, off, s[0:3], 0 offset:392
	ds_read_b64 v[110:111], v106 offset:792
	s_waitcnt vmcnt(0) lgkmcnt(0)
	v_fmac_f64_e32 v[104:105], v[108:109], v[110:111]
	v_add_f64 v[102:103], v[102:103], -v[104:105]
	buffer_store_dword v103, off, s[0:3], 0 offset:180
	buffer_store_dword v102, off, s[0:3], 0 offset:176
	s_and_saveexec_b64 s[4:5], vcc
	s_cbranch_execz .LBB113_265
; %bb.264:
	buffer_load_dword v102, off, s[0:3], 0 offset:168
	buffer_load_dword v103, off, s[0:3], 0 offset:172
	s_waitcnt vmcnt(0)
	ds_write_b64 v1, v[102:103]
	buffer_store_dword v106, off, s[0:3], 0 offset:168
	buffer_store_dword v106, off, s[0:3], 0 offset:172
.LBB113_265:
	s_or_b64 exec, exec, s[4:5]
	s_waitcnt lgkmcnt(0)
	; wave barrier
	s_waitcnt lgkmcnt(0)
	buffer_load_dword v102, off, s[0:3], 0 offset:168
	buffer_load_dword v103, off, s[0:3], 0 offset:172
	;; [unrolled: 1-line block ×16, first 2 shown]
	ds_read_b128 v[108:111], v106 offset:576
	ds_read_b128 v[112:115], v106 offset:592
	;; [unrolled: 1-line block ×4, first 2 shown]
	v_cmp_lt_u32_e32 vcc, 20, v0
	s_waitcnt vmcnt(12) lgkmcnt(3)
	v_fma_f64 v[104:105], v[104:105], v[108:109], 0
	buffer_load_dword v109, off, s[0:3], 0 offset:236
	buffer_load_dword v108, off, s[0:3], 0 offset:232
	s_waitcnt vmcnt(12)
	v_fmac_f64_e32 v[104:105], v[124:125], v[110:111]
	s_waitcnt vmcnt(10) lgkmcnt(2)
	v_fmac_f64_e32 v[104:105], v[126:127], v[112:113]
	buffer_load_dword v113, off, s[0:3], 0 offset:244
	buffer_load_dword v112, off, s[0:3], 0 offset:240
	s_waitcnt vmcnt(10)
	v_fmac_f64_e32 v[104:105], v[128:129], v[114:115]
	s_waitcnt vmcnt(8) lgkmcnt(1)
	v_fmac_f64_e32 v[104:105], v[130:131], v[116:117]
	s_waitcnt vmcnt(6)
	v_fmac_f64_e32 v[104:105], v[132:133], v[118:119]
	s_waitcnt vmcnt(4) lgkmcnt(0)
	v_fmac_f64_e32 v[104:105], v[134:135], v[120:121]
	s_waitcnt vmcnt(2)
	v_fmac_f64_e32 v[104:105], v[108:109], v[122:123]
	ds_read_b128 v[108:111], v106 offset:640
	s_waitcnt vmcnt(0) lgkmcnt(0)
	v_fmac_f64_e32 v[104:105], v[112:113], v[108:109]
	buffer_load_dword v109, off, s[0:3], 0 offset:252
	buffer_load_dword v108, off, s[0:3], 0 offset:248
	buffer_load_dword v113, off, s[0:3], 0 offset:260
	buffer_load_dword v112, off, s[0:3], 0 offset:256
	s_waitcnt vmcnt(2)
	v_fmac_f64_e32 v[104:105], v[108:109], v[110:111]
	ds_read_b128 v[108:111], v106 offset:656
	s_waitcnt vmcnt(0) lgkmcnt(0)
	v_fmac_f64_e32 v[104:105], v[112:113], v[108:109]
	buffer_load_dword v109, off, s[0:3], 0 offset:268
	buffer_load_dword v108, off, s[0:3], 0 offset:264
	buffer_load_dword v113, off, s[0:3], 0 offset:276
	buffer_load_dword v112, off, s[0:3], 0 offset:272
	;; [unrolled: 9-line block ×8, first 2 shown]
	s_waitcnt vmcnt(2)
	v_fmac_f64_e32 v[104:105], v[108:109], v[110:111]
	ds_read_b128 v[108:111], v106 offset:768
	s_waitcnt vmcnt(0) lgkmcnt(0)
	v_fmac_f64_e32 v[104:105], v[112:113], v[108:109]
	buffer_load_dword v109, off, s[0:3], 0 offset:380
	buffer_load_dword v108, off, s[0:3], 0 offset:376
	s_waitcnt vmcnt(0)
	v_fmac_f64_e32 v[104:105], v[108:109], v[110:111]
	buffer_load_dword v111, off, s[0:3], 0 offset:388
	buffer_load_dword v110, off, s[0:3], 0 offset:384
	ds_read_b128 v[106:109], v106 offset:784
	s_waitcnt vmcnt(0) lgkmcnt(0)
	v_fmac_f64_e32 v[104:105], v[110:111], v[106:107]
	buffer_load_dword v107, off, s[0:3], 0 offset:396
	buffer_load_dword v106, off, s[0:3], 0 offset:392
	s_waitcnt vmcnt(0)
	v_fmac_f64_e32 v[104:105], v[106:107], v[108:109]
	v_add_f64 v[102:103], v[102:103], -v[104:105]
	buffer_store_dword v103, off, s[0:3], 0 offset:172
	buffer_store_dword v102, off, s[0:3], 0 offset:168
	s_and_saveexec_b64 s[4:5], vcc
	s_cbranch_execz .LBB113_267
; %bb.266:
	buffer_load_dword v102, off, s[0:3], 0 offset:160
	buffer_load_dword v103, off, s[0:3], 0 offset:164
	v_mov_b32_e32 v104, 0
	buffer_store_dword v104, off, s[0:3], 0 offset:160
	buffer_store_dword v104, off, s[0:3], 0 offset:164
	s_waitcnt vmcnt(2)
	ds_write_b64 v1, v[102:103]
.LBB113_267:
	s_or_b64 exec, exec, s[4:5]
	s_waitcnt lgkmcnt(0)
	; wave barrier
	s_waitcnt lgkmcnt(0)
	buffer_load_dword v102, off, s[0:3], 0 offset:160
	buffer_load_dword v103, off, s[0:3], 0 offset:164
	;; [unrolled: 1-line block ×16, first 2 shown]
	v_mov_b32_e32 v106, 0
	ds_read2_b64 v[108:111], v106 offset0:71 offset1:72
	v_cmp_lt_u32_e32 vcc, 19, v0
	s_waitcnt vmcnt(12) lgkmcnt(0)
	v_fma_f64 v[104:105], v[104:105], v[108:109], 0
	s_waitcnt vmcnt(10)
	v_fmac_f64_e32 v[104:105], v[112:113], v[110:111]
	ds_read2_b64 v[108:111], v106 offset0:73 offset1:74
	s_waitcnt vmcnt(8) lgkmcnt(0)
	v_fmac_f64_e32 v[104:105], v[114:115], v[108:109]
	s_waitcnt vmcnt(6)
	v_fmac_f64_e32 v[104:105], v[116:117], v[110:111]
	ds_read2_b64 v[108:111], v106 offset0:75 offset1:76
	s_waitcnt vmcnt(4) lgkmcnt(0)
	v_fmac_f64_e32 v[104:105], v[118:119], v[108:109]
	;; [unrolled: 5-line block ×3, first 2 shown]
	buffer_load_dword v109, off, s[0:3], 0 offset:228
	buffer_load_dword v108, off, s[0:3], 0 offset:224
	buffer_load_dword v113, off, s[0:3], 0 offset:236
	buffer_load_dword v112, off, s[0:3], 0 offset:232
	s_waitcnt vmcnt(2)
	v_fmac_f64_e32 v[104:105], v[108:109], v[110:111]
	ds_read2_b64 v[108:111], v106 offset0:79 offset1:80
	s_waitcnt vmcnt(0) lgkmcnt(0)
	v_fmac_f64_e32 v[104:105], v[112:113], v[108:109]
	buffer_load_dword v109, off, s[0:3], 0 offset:244
	buffer_load_dword v108, off, s[0:3], 0 offset:240
	buffer_load_dword v113, off, s[0:3], 0 offset:252
	buffer_load_dword v112, off, s[0:3], 0 offset:248
	s_waitcnt vmcnt(2)
	v_fmac_f64_e32 v[104:105], v[108:109], v[110:111]
	ds_read2_b64 v[108:111], v106 offset0:81 offset1:82
	s_waitcnt vmcnt(0) lgkmcnt(0)
	v_fmac_f64_e32 v[104:105], v[112:113], v[108:109]
	;; [unrolled: 9-line block ×10, first 2 shown]
	buffer_load_dword v109, off, s[0:3], 0 offset:388
	buffer_load_dword v108, off, s[0:3], 0 offset:384
	s_waitcnt vmcnt(0)
	v_fmac_f64_e32 v[104:105], v[108:109], v[110:111]
	buffer_load_dword v109, off, s[0:3], 0 offset:396
	buffer_load_dword v108, off, s[0:3], 0 offset:392
	ds_read_b64 v[110:111], v106 offset:792
	s_waitcnt vmcnt(0) lgkmcnt(0)
	v_fmac_f64_e32 v[104:105], v[108:109], v[110:111]
	v_add_f64 v[102:103], v[102:103], -v[104:105]
	buffer_store_dword v103, off, s[0:3], 0 offset:164
	buffer_store_dword v102, off, s[0:3], 0 offset:160
	s_and_saveexec_b64 s[4:5], vcc
	s_cbranch_execz .LBB113_269
; %bb.268:
	buffer_load_dword v102, off, s[0:3], 0 offset:152
	buffer_load_dword v103, off, s[0:3], 0 offset:156
	s_waitcnt vmcnt(0)
	ds_write_b64 v1, v[102:103]
	buffer_store_dword v106, off, s[0:3], 0 offset:152
	buffer_store_dword v106, off, s[0:3], 0 offset:156
.LBB113_269:
	s_or_b64 exec, exec, s[4:5]
	s_waitcnt lgkmcnt(0)
	; wave barrier
	s_waitcnt lgkmcnt(0)
	buffer_load_dword v102, off, s[0:3], 0 offset:152
	buffer_load_dword v103, off, s[0:3], 0 offset:156
	;; [unrolled: 1-line block ×16, first 2 shown]
	ds_read_b128 v[108:111], v106 offset:560
	ds_read_b128 v[112:115], v106 offset:576
	;; [unrolled: 1-line block ×4, first 2 shown]
	v_cmp_lt_u32_e32 vcc, 18, v0
	s_waitcnt vmcnt(12) lgkmcnt(3)
	v_fma_f64 v[104:105], v[104:105], v[108:109], 0
	buffer_load_dword v109, off, s[0:3], 0 offset:220
	buffer_load_dword v108, off, s[0:3], 0 offset:216
	s_waitcnt vmcnt(12)
	v_fmac_f64_e32 v[104:105], v[124:125], v[110:111]
	s_waitcnt vmcnt(10) lgkmcnt(2)
	v_fmac_f64_e32 v[104:105], v[126:127], v[112:113]
	buffer_load_dword v113, off, s[0:3], 0 offset:228
	buffer_load_dword v112, off, s[0:3], 0 offset:224
	s_waitcnt vmcnt(10)
	v_fmac_f64_e32 v[104:105], v[128:129], v[114:115]
	s_waitcnt vmcnt(8) lgkmcnt(1)
	v_fmac_f64_e32 v[104:105], v[130:131], v[116:117]
	s_waitcnt vmcnt(6)
	v_fmac_f64_e32 v[104:105], v[132:133], v[118:119]
	s_waitcnt vmcnt(4) lgkmcnt(0)
	v_fmac_f64_e32 v[104:105], v[134:135], v[120:121]
	s_waitcnt vmcnt(2)
	v_fmac_f64_e32 v[104:105], v[108:109], v[122:123]
	ds_read_b128 v[108:111], v106 offset:624
	s_waitcnt vmcnt(0) lgkmcnt(0)
	v_fmac_f64_e32 v[104:105], v[112:113], v[108:109]
	buffer_load_dword v109, off, s[0:3], 0 offset:236
	buffer_load_dword v108, off, s[0:3], 0 offset:232
	buffer_load_dword v113, off, s[0:3], 0 offset:244
	buffer_load_dword v112, off, s[0:3], 0 offset:240
	s_waitcnt vmcnt(2)
	v_fmac_f64_e32 v[104:105], v[108:109], v[110:111]
	ds_read_b128 v[108:111], v106 offset:640
	s_waitcnt vmcnt(0) lgkmcnt(0)
	v_fmac_f64_e32 v[104:105], v[112:113], v[108:109]
	buffer_load_dword v109, off, s[0:3], 0 offset:252
	buffer_load_dword v108, off, s[0:3], 0 offset:248
	buffer_load_dword v113, off, s[0:3], 0 offset:260
	buffer_load_dword v112, off, s[0:3], 0 offset:256
	;; [unrolled: 9-line block ×9, first 2 shown]
	s_waitcnt vmcnt(2)
	v_fmac_f64_e32 v[104:105], v[108:109], v[110:111]
	ds_read_b128 v[108:111], v106 offset:768
	s_waitcnt vmcnt(0) lgkmcnt(0)
	v_fmac_f64_e32 v[104:105], v[112:113], v[108:109]
	buffer_load_dword v109, off, s[0:3], 0 offset:380
	buffer_load_dword v108, off, s[0:3], 0 offset:376
	s_waitcnt vmcnt(0)
	v_fmac_f64_e32 v[104:105], v[108:109], v[110:111]
	buffer_load_dword v111, off, s[0:3], 0 offset:388
	buffer_load_dword v110, off, s[0:3], 0 offset:384
	ds_read_b128 v[106:109], v106 offset:784
	s_waitcnt vmcnt(0) lgkmcnt(0)
	v_fmac_f64_e32 v[104:105], v[110:111], v[106:107]
	buffer_load_dword v107, off, s[0:3], 0 offset:396
	buffer_load_dword v106, off, s[0:3], 0 offset:392
	s_waitcnt vmcnt(0)
	v_fmac_f64_e32 v[104:105], v[106:107], v[108:109]
	v_add_f64 v[102:103], v[102:103], -v[104:105]
	buffer_store_dword v103, off, s[0:3], 0 offset:156
	buffer_store_dword v102, off, s[0:3], 0 offset:152
	s_and_saveexec_b64 s[4:5], vcc
	s_cbranch_execz .LBB113_271
; %bb.270:
	buffer_load_dword v102, off, s[0:3], 0 offset:144
	buffer_load_dword v103, off, s[0:3], 0 offset:148
	v_mov_b32_e32 v104, 0
	buffer_store_dword v104, off, s[0:3], 0 offset:144
	buffer_store_dword v104, off, s[0:3], 0 offset:148
	s_waitcnt vmcnt(2)
	ds_write_b64 v1, v[102:103]
.LBB113_271:
	s_or_b64 exec, exec, s[4:5]
	s_waitcnt lgkmcnt(0)
	; wave barrier
	s_waitcnt lgkmcnt(0)
	buffer_load_dword v102, off, s[0:3], 0 offset:144
	buffer_load_dword v103, off, s[0:3], 0 offset:148
	;; [unrolled: 1-line block ×16, first 2 shown]
	v_mov_b32_e32 v106, 0
	ds_read2_b64 v[108:111], v106 offset0:69 offset1:70
	v_cmp_lt_u32_e32 vcc, 17, v0
	s_waitcnt vmcnt(12) lgkmcnt(0)
	v_fma_f64 v[104:105], v[104:105], v[108:109], 0
	s_waitcnt vmcnt(10)
	v_fmac_f64_e32 v[104:105], v[112:113], v[110:111]
	ds_read2_b64 v[108:111], v106 offset0:71 offset1:72
	s_waitcnt vmcnt(8) lgkmcnt(0)
	v_fmac_f64_e32 v[104:105], v[114:115], v[108:109]
	s_waitcnt vmcnt(6)
	v_fmac_f64_e32 v[104:105], v[116:117], v[110:111]
	ds_read2_b64 v[108:111], v106 offset0:73 offset1:74
	s_waitcnt vmcnt(4) lgkmcnt(0)
	v_fmac_f64_e32 v[104:105], v[118:119], v[108:109]
	;; [unrolled: 5-line block ×3, first 2 shown]
	buffer_load_dword v109, off, s[0:3], 0 offset:212
	buffer_load_dword v108, off, s[0:3], 0 offset:208
	buffer_load_dword v113, off, s[0:3], 0 offset:220
	buffer_load_dword v112, off, s[0:3], 0 offset:216
	s_waitcnt vmcnt(2)
	v_fmac_f64_e32 v[104:105], v[108:109], v[110:111]
	ds_read2_b64 v[108:111], v106 offset0:77 offset1:78
	s_waitcnt vmcnt(0) lgkmcnt(0)
	v_fmac_f64_e32 v[104:105], v[112:113], v[108:109]
	buffer_load_dword v109, off, s[0:3], 0 offset:228
	buffer_load_dword v108, off, s[0:3], 0 offset:224
	buffer_load_dword v113, off, s[0:3], 0 offset:236
	buffer_load_dword v112, off, s[0:3], 0 offset:232
	s_waitcnt vmcnt(2)
	v_fmac_f64_e32 v[104:105], v[108:109], v[110:111]
	ds_read2_b64 v[108:111], v106 offset0:79 offset1:80
	s_waitcnt vmcnt(0) lgkmcnt(0)
	v_fmac_f64_e32 v[104:105], v[112:113], v[108:109]
	;; [unrolled: 9-line block ×11, first 2 shown]
	buffer_load_dword v109, off, s[0:3], 0 offset:388
	buffer_load_dword v108, off, s[0:3], 0 offset:384
	s_waitcnt vmcnt(0)
	v_fmac_f64_e32 v[104:105], v[108:109], v[110:111]
	buffer_load_dword v109, off, s[0:3], 0 offset:396
	buffer_load_dword v108, off, s[0:3], 0 offset:392
	ds_read_b64 v[110:111], v106 offset:792
	s_waitcnt vmcnt(0) lgkmcnt(0)
	v_fmac_f64_e32 v[104:105], v[108:109], v[110:111]
	v_add_f64 v[102:103], v[102:103], -v[104:105]
	buffer_store_dword v103, off, s[0:3], 0 offset:148
	buffer_store_dword v102, off, s[0:3], 0 offset:144
	s_and_saveexec_b64 s[4:5], vcc
	s_cbranch_execz .LBB113_273
; %bb.272:
	buffer_load_dword v102, off, s[0:3], 0 offset:136
	buffer_load_dword v103, off, s[0:3], 0 offset:140
	s_waitcnt vmcnt(0)
	ds_write_b64 v1, v[102:103]
	buffer_store_dword v106, off, s[0:3], 0 offset:136
	buffer_store_dword v106, off, s[0:3], 0 offset:140
.LBB113_273:
	s_or_b64 exec, exec, s[4:5]
	s_waitcnt lgkmcnt(0)
	; wave barrier
	s_waitcnt lgkmcnt(0)
	buffer_load_dword v102, off, s[0:3], 0 offset:136
	buffer_load_dword v103, off, s[0:3], 0 offset:140
	;; [unrolled: 1-line block ×16, first 2 shown]
	ds_read_b128 v[108:111], v106 offset:544
	ds_read_b128 v[112:115], v106 offset:560
	;; [unrolled: 1-line block ×4, first 2 shown]
	v_cmp_lt_u32_e32 vcc, 16, v0
	s_waitcnt vmcnt(12) lgkmcnt(3)
	v_fma_f64 v[104:105], v[104:105], v[108:109], 0
	buffer_load_dword v109, off, s[0:3], 0 offset:204
	buffer_load_dword v108, off, s[0:3], 0 offset:200
	s_waitcnt vmcnt(12)
	v_fmac_f64_e32 v[104:105], v[124:125], v[110:111]
	s_waitcnt vmcnt(10) lgkmcnt(2)
	v_fmac_f64_e32 v[104:105], v[126:127], v[112:113]
	buffer_load_dword v113, off, s[0:3], 0 offset:212
	buffer_load_dword v112, off, s[0:3], 0 offset:208
	s_waitcnt vmcnt(10)
	v_fmac_f64_e32 v[104:105], v[128:129], v[114:115]
	s_waitcnt vmcnt(8) lgkmcnt(1)
	v_fmac_f64_e32 v[104:105], v[130:131], v[116:117]
	s_waitcnt vmcnt(6)
	v_fmac_f64_e32 v[104:105], v[132:133], v[118:119]
	s_waitcnt vmcnt(4) lgkmcnt(0)
	v_fmac_f64_e32 v[104:105], v[134:135], v[120:121]
	s_waitcnt vmcnt(2)
	v_fmac_f64_e32 v[104:105], v[108:109], v[122:123]
	ds_read_b128 v[108:111], v106 offset:608
	s_waitcnt vmcnt(0) lgkmcnt(0)
	v_fmac_f64_e32 v[104:105], v[112:113], v[108:109]
	buffer_load_dword v109, off, s[0:3], 0 offset:220
	buffer_load_dword v108, off, s[0:3], 0 offset:216
	buffer_load_dword v113, off, s[0:3], 0 offset:228
	buffer_load_dword v112, off, s[0:3], 0 offset:224
	s_waitcnt vmcnt(2)
	v_fmac_f64_e32 v[104:105], v[108:109], v[110:111]
	ds_read_b128 v[108:111], v106 offset:624
	s_waitcnt vmcnt(0) lgkmcnt(0)
	v_fmac_f64_e32 v[104:105], v[112:113], v[108:109]
	buffer_load_dword v109, off, s[0:3], 0 offset:236
	buffer_load_dword v108, off, s[0:3], 0 offset:232
	buffer_load_dword v113, off, s[0:3], 0 offset:244
	buffer_load_dword v112, off, s[0:3], 0 offset:240
	;; [unrolled: 9-line block ×10, first 2 shown]
	s_waitcnt vmcnt(2)
	v_fmac_f64_e32 v[104:105], v[108:109], v[110:111]
	ds_read_b128 v[108:111], v106 offset:768
	s_waitcnt vmcnt(0) lgkmcnt(0)
	v_fmac_f64_e32 v[104:105], v[112:113], v[108:109]
	buffer_load_dword v109, off, s[0:3], 0 offset:380
	buffer_load_dword v108, off, s[0:3], 0 offset:376
	s_waitcnt vmcnt(0)
	v_fmac_f64_e32 v[104:105], v[108:109], v[110:111]
	buffer_load_dword v111, off, s[0:3], 0 offset:388
	buffer_load_dword v110, off, s[0:3], 0 offset:384
	ds_read_b128 v[106:109], v106 offset:784
	s_waitcnt vmcnt(0) lgkmcnt(0)
	v_fmac_f64_e32 v[104:105], v[110:111], v[106:107]
	buffer_load_dword v107, off, s[0:3], 0 offset:396
	buffer_load_dword v106, off, s[0:3], 0 offset:392
	s_waitcnt vmcnt(0)
	v_fmac_f64_e32 v[104:105], v[106:107], v[108:109]
	v_add_f64 v[102:103], v[102:103], -v[104:105]
	buffer_store_dword v103, off, s[0:3], 0 offset:140
	buffer_store_dword v102, off, s[0:3], 0 offset:136
	s_and_saveexec_b64 s[4:5], vcc
	s_cbranch_execz .LBB113_275
; %bb.274:
	buffer_load_dword v102, off, s[0:3], 0 offset:128
	buffer_load_dword v103, off, s[0:3], 0 offset:132
	v_mov_b32_e32 v104, 0
	buffer_store_dword v104, off, s[0:3], 0 offset:128
	buffer_store_dword v104, off, s[0:3], 0 offset:132
	s_waitcnt vmcnt(2)
	ds_write_b64 v1, v[102:103]
.LBB113_275:
	s_or_b64 exec, exec, s[4:5]
	s_waitcnt lgkmcnt(0)
	; wave barrier
	s_waitcnt lgkmcnt(0)
	buffer_load_dword v102, off, s[0:3], 0 offset:128
	buffer_load_dword v103, off, s[0:3], 0 offset:132
	buffer_load_dword v104, off, s[0:3], 0 offset:136
	buffer_load_dword v105, off, s[0:3], 0 offset:140
	buffer_load_dword v112, off, s[0:3], 0 offset:144
	buffer_load_dword v113, off, s[0:3], 0 offset:148
	buffer_load_dword v114, off, s[0:3], 0 offset:152
	buffer_load_dword v115, off, s[0:3], 0 offset:156
	buffer_load_dword v116, off, s[0:3], 0 offset:160
	buffer_load_dword v117, off, s[0:3], 0 offset:164
	buffer_load_dword v118, off, s[0:3], 0 offset:168
	buffer_load_dword v119, off, s[0:3], 0 offset:172
	buffer_load_dword v120, off, s[0:3], 0 offset:176
	buffer_load_dword v121, off, s[0:3], 0 offset:180
	buffer_load_dword v122, off, s[0:3], 0 offset:184
	buffer_load_dword v123, off, s[0:3], 0 offset:188
	v_mov_b32_e32 v106, 0
	ds_read2_b64 v[108:111], v106 offset0:67 offset1:68
	v_cmp_lt_u32_e32 vcc, 15, v0
	s_waitcnt vmcnt(12) lgkmcnt(0)
	v_fma_f64 v[104:105], v[104:105], v[108:109], 0
	s_waitcnt vmcnt(10)
	v_fmac_f64_e32 v[104:105], v[112:113], v[110:111]
	ds_read2_b64 v[108:111], v106 offset0:69 offset1:70
	s_waitcnt vmcnt(8) lgkmcnt(0)
	v_fmac_f64_e32 v[104:105], v[114:115], v[108:109]
	s_waitcnt vmcnt(6)
	v_fmac_f64_e32 v[104:105], v[116:117], v[110:111]
	ds_read2_b64 v[108:111], v106 offset0:71 offset1:72
	s_waitcnt vmcnt(4) lgkmcnt(0)
	v_fmac_f64_e32 v[104:105], v[118:119], v[108:109]
	;; [unrolled: 5-line block ×3, first 2 shown]
	buffer_load_dword v109, off, s[0:3], 0 offset:196
	buffer_load_dword v108, off, s[0:3], 0 offset:192
	buffer_load_dword v113, off, s[0:3], 0 offset:204
	buffer_load_dword v112, off, s[0:3], 0 offset:200
	s_waitcnt vmcnt(2)
	v_fmac_f64_e32 v[104:105], v[108:109], v[110:111]
	ds_read2_b64 v[108:111], v106 offset0:75 offset1:76
	s_waitcnt vmcnt(0) lgkmcnt(0)
	v_fmac_f64_e32 v[104:105], v[112:113], v[108:109]
	buffer_load_dword v109, off, s[0:3], 0 offset:212
	buffer_load_dword v108, off, s[0:3], 0 offset:208
	buffer_load_dword v113, off, s[0:3], 0 offset:220
	buffer_load_dword v112, off, s[0:3], 0 offset:216
	s_waitcnt vmcnt(2)
	v_fmac_f64_e32 v[104:105], v[108:109], v[110:111]
	ds_read2_b64 v[108:111], v106 offset0:77 offset1:78
	s_waitcnt vmcnt(0) lgkmcnt(0)
	v_fmac_f64_e32 v[104:105], v[112:113], v[108:109]
	;; [unrolled: 9-line block ×12, first 2 shown]
	buffer_load_dword v109, off, s[0:3], 0 offset:388
	buffer_load_dword v108, off, s[0:3], 0 offset:384
	s_waitcnt vmcnt(0)
	v_fmac_f64_e32 v[104:105], v[108:109], v[110:111]
	buffer_load_dword v109, off, s[0:3], 0 offset:396
	buffer_load_dword v108, off, s[0:3], 0 offset:392
	ds_read_b64 v[110:111], v106 offset:792
	s_waitcnt vmcnt(0) lgkmcnt(0)
	v_fmac_f64_e32 v[104:105], v[108:109], v[110:111]
	v_add_f64 v[102:103], v[102:103], -v[104:105]
	buffer_store_dword v103, off, s[0:3], 0 offset:132
	buffer_store_dword v102, off, s[0:3], 0 offset:128
	s_and_saveexec_b64 s[4:5], vcc
	s_cbranch_execz .LBB113_277
; %bb.276:
	buffer_load_dword v102, off, s[0:3], 0 offset:120
	buffer_load_dword v103, off, s[0:3], 0 offset:124
	s_waitcnt vmcnt(0)
	ds_write_b64 v1, v[102:103]
	buffer_store_dword v106, off, s[0:3], 0 offset:120
	buffer_store_dword v106, off, s[0:3], 0 offset:124
.LBB113_277:
	s_or_b64 exec, exec, s[4:5]
	s_waitcnt lgkmcnt(0)
	; wave barrier
	s_waitcnt lgkmcnt(0)
	buffer_load_dword v102, off, s[0:3], 0 offset:120
	buffer_load_dword v103, off, s[0:3], 0 offset:124
	;; [unrolled: 1-line block ×16, first 2 shown]
	ds_read_b128 v[108:111], v106 offset:528
	ds_read_b128 v[112:115], v106 offset:544
	;; [unrolled: 1-line block ×4, first 2 shown]
	v_cmp_lt_u32_e32 vcc, 14, v0
	s_waitcnt vmcnt(12) lgkmcnt(3)
	v_fma_f64 v[104:105], v[104:105], v[108:109], 0
	buffer_load_dword v109, off, s[0:3], 0 offset:188
	buffer_load_dword v108, off, s[0:3], 0 offset:184
	s_waitcnt vmcnt(12)
	v_fmac_f64_e32 v[104:105], v[124:125], v[110:111]
	s_waitcnt vmcnt(10) lgkmcnt(2)
	v_fmac_f64_e32 v[104:105], v[126:127], v[112:113]
	buffer_load_dword v113, off, s[0:3], 0 offset:196
	buffer_load_dword v112, off, s[0:3], 0 offset:192
	s_waitcnt vmcnt(10)
	v_fmac_f64_e32 v[104:105], v[128:129], v[114:115]
	s_waitcnt vmcnt(8) lgkmcnt(1)
	v_fmac_f64_e32 v[104:105], v[130:131], v[116:117]
	s_waitcnt vmcnt(6)
	v_fmac_f64_e32 v[104:105], v[132:133], v[118:119]
	s_waitcnt vmcnt(4) lgkmcnt(0)
	v_fmac_f64_e32 v[104:105], v[134:135], v[120:121]
	s_waitcnt vmcnt(2)
	v_fmac_f64_e32 v[104:105], v[108:109], v[122:123]
	ds_read_b128 v[108:111], v106 offset:592
	s_waitcnt vmcnt(0) lgkmcnt(0)
	v_fmac_f64_e32 v[104:105], v[112:113], v[108:109]
	buffer_load_dword v109, off, s[0:3], 0 offset:204
	buffer_load_dword v108, off, s[0:3], 0 offset:200
	buffer_load_dword v113, off, s[0:3], 0 offset:212
	buffer_load_dword v112, off, s[0:3], 0 offset:208
	s_waitcnt vmcnt(2)
	v_fmac_f64_e32 v[104:105], v[108:109], v[110:111]
	ds_read_b128 v[108:111], v106 offset:608
	s_waitcnt vmcnt(0) lgkmcnt(0)
	v_fmac_f64_e32 v[104:105], v[112:113], v[108:109]
	buffer_load_dword v109, off, s[0:3], 0 offset:220
	buffer_load_dword v108, off, s[0:3], 0 offset:216
	buffer_load_dword v113, off, s[0:3], 0 offset:228
	buffer_load_dword v112, off, s[0:3], 0 offset:224
	;; [unrolled: 9-line block ×11, first 2 shown]
	s_waitcnt vmcnt(2)
	v_fmac_f64_e32 v[104:105], v[108:109], v[110:111]
	ds_read_b128 v[108:111], v106 offset:768
	s_waitcnt vmcnt(0) lgkmcnt(0)
	v_fmac_f64_e32 v[104:105], v[112:113], v[108:109]
	buffer_load_dword v109, off, s[0:3], 0 offset:380
	buffer_load_dword v108, off, s[0:3], 0 offset:376
	s_waitcnt vmcnt(0)
	v_fmac_f64_e32 v[104:105], v[108:109], v[110:111]
	buffer_load_dword v111, off, s[0:3], 0 offset:388
	buffer_load_dword v110, off, s[0:3], 0 offset:384
	ds_read_b128 v[106:109], v106 offset:784
	s_waitcnt vmcnt(0) lgkmcnt(0)
	v_fmac_f64_e32 v[104:105], v[110:111], v[106:107]
	buffer_load_dword v107, off, s[0:3], 0 offset:396
	buffer_load_dword v106, off, s[0:3], 0 offset:392
	s_waitcnt vmcnt(0)
	v_fmac_f64_e32 v[104:105], v[106:107], v[108:109]
	v_add_f64 v[102:103], v[102:103], -v[104:105]
	buffer_store_dword v103, off, s[0:3], 0 offset:124
	buffer_store_dword v102, off, s[0:3], 0 offset:120
	s_and_saveexec_b64 s[4:5], vcc
	s_cbranch_execz .LBB113_279
; %bb.278:
	buffer_load_dword v102, off, s[0:3], 0 offset:112
	buffer_load_dword v103, off, s[0:3], 0 offset:116
	v_mov_b32_e32 v104, 0
	buffer_store_dword v104, off, s[0:3], 0 offset:112
	buffer_store_dword v104, off, s[0:3], 0 offset:116
	s_waitcnt vmcnt(2)
	ds_write_b64 v1, v[102:103]
.LBB113_279:
	s_or_b64 exec, exec, s[4:5]
	s_waitcnt lgkmcnt(0)
	; wave barrier
	s_waitcnt lgkmcnt(0)
	buffer_load_dword v102, off, s[0:3], 0 offset:112
	buffer_load_dword v103, off, s[0:3], 0 offset:116
	;; [unrolled: 1-line block ×16, first 2 shown]
	v_mov_b32_e32 v106, 0
	ds_read2_b64 v[108:111], v106 offset0:65 offset1:66
	v_cmp_lt_u32_e32 vcc, 13, v0
	s_waitcnt vmcnt(12) lgkmcnt(0)
	v_fma_f64 v[104:105], v[104:105], v[108:109], 0
	s_waitcnt vmcnt(10)
	v_fmac_f64_e32 v[104:105], v[112:113], v[110:111]
	ds_read2_b64 v[108:111], v106 offset0:67 offset1:68
	s_waitcnt vmcnt(8) lgkmcnt(0)
	v_fmac_f64_e32 v[104:105], v[114:115], v[108:109]
	s_waitcnt vmcnt(6)
	v_fmac_f64_e32 v[104:105], v[116:117], v[110:111]
	ds_read2_b64 v[108:111], v106 offset0:69 offset1:70
	s_waitcnt vmcnt(4) lgkmcnt(0)
	v_fmac_f64_e32 v[104:105], v[118:119], v[108:109]
	;; [unrolled: 5-line block ×3, first 2 shown]
	buffer_load_dword v109, off, s[0:3], 0 offset:180
	buffer_load_dword v108, off, s[0:3], 0 offset:176
	buffer_load_dword v113, off, s[0:3], 0 offset:188
	buffer_load_dword v112, off, s[0:3], 0 offset:184
	s_waitcnt vmcnt(2)
	v_fmac_f64_e32 v[104:105], v[108:109], v[110:111]
	ds_read2_b64 v[108:111], v106 offset0:73 offset1:74
	s_waitcnt vmcnt(0) lgkmcnt(0)
	v_fmac_f64_e32 v[104:105], v[112:113], v[108:109]
	buffer_load_dword v109, off, s[0:3], 0 offset:196
	buffer_load_dword v108, off, s[0:3], 0 offset:192
	buffer_load_dword v113, off, s[0:3], 0 offset:204
	buffer_load_dword v112, off, s[0:3], 0 offset:200
	s_waitcnt vmcnt(2)
	v_fmac_f64_e32 v[104:105], v[108:109], v[110:111]
	ds_read2_b64 v[108:111], v106 offset0:75 offset1:76
	s_waitcnt vmcnt(0) lgkmcnt(0)
	v_fmac_f64_e32 v[104:105], v[112:113], v[108:109]
	;; [unrolled: 9-line block ×13, first 2 shown]
	buffer_load_dword v109, off, s[0:3], 0 offset:388
	buffer_load_dword v108, off, s[0:3], 0 offset:384
	s_waitcnt vmcnt(0)
	v_fmac_f64_e32 v[104:105], v[108:109], v[110:111]
	buffer_load_dword v109, off, s[0:3], 0 offset:396
	buffer_load_dword v108, off, s[0:3], 0 offset:392
	ds_read_b64 v[110:111], v106 offset:792
	s_waitcnt vmcnt(0) lgkmcnt(0)
	v_fmac_f64_e32 v[104:105], v[108:109], v[110:111]
	v_add_f64 v[102:103], v[102:103], -v[104:105]
	buffer_store_dword v103, off, s[0:3], 0 offset:116
	buffer_store_dword v102, off, s[0:3], 0 offset:112
	s_and_saveexec_b64 s[4:5], vcc
	s_cbranch_execz .LBB113_281
; %bb.280:
	buffer_load_dword v102, off, s[0:3], 0 offset:104
	buffer_load_dword v103, off, s[0:3], 0 offset:108
	s_waitcnt vmcnt(0)
	ds_write_b64 v1, v[102:103]
	buffer_store_dword v106, off, s[0:3], 0 offset:104
	buffer_store_dword v106, off, s[0:3], 0 offset:108
.LBB113_281:
	s_or_b64 exec, exec, s[4:5]
	s_waitcnt lgkmcnt(0)
	; wave barrier
	s_waitcnt lgkmcnt(0)
	buffer_load_dword v102, off, s[0:3], 0 offset:104
	buffer_load_dword v103, off, s[0:3], 0 offset:108
	;; [unrolled: 1-line block ×16, first 2 shown]
	ds_read_b128 v[108:111], v106 offset:512
	ds_read_b128 v[112:115], v106 offset:528
	;; [unrolled: 1-line block ×4, first 2 shown]
	v_cmp_lt_u32_e32 vcc, 12, v0
	s_waitcnt vmcnt(12) lgkmcnt(3)
	v_fma_f64 v[104:105], v[104:105], v[108:109], 0
	buffer_load_dword v109, off, s[0:3], 0 offset:172
	buffer_load_dword v108, off, s[0:3], 0 offset:168
	s_waitcnt vmcnt(12)
	v_fmac_f64_e32 v[104:105], v[124:125], v[110:111]
	s_waitcnt vmcnt(10) lgkmcnt(2)
	v_fmac_f64_e32 v[104:105], v[126:127], v[112:113]
	buffer_load_dword v113, off, s[0:3], 0 offset:180
	buffer_load_dword v112, off, s[0:3], 0 offset:176
	s_waitcnt vmcnt(10)
	v_fmac_f64_e32 v[104:105], v[128:129], v[114:115]
	s_waitcnt vmcnt(8) lgkmcnt(1)
	v_fmac_f64_e32 v[104:105], v[130:131], v[116:117]
	s_waitcnt vmcnt(6)
	v_fmac_f64_e32 v[104:105], v[132:133], v[118:119]
	s_waitcnt vmcnt(4) lgkmcnt(0)
	v_fmac_f64_e32 v[104:105], v[134:135], v[120:121]
	s_waitcnt vmcnt(2)
	v_fmac_f64_e32 v[104:105], v[108:109], v[122:123]
	ds_read_b128 v[108:111], v106 offset:576
	s_waitcnt vmcnt(0) lgkmcnt(0)
	v_fmac_f64_e32 v[104:105], v[112:113], v[108:109]
	buffer_load_dword v109, off, s[0:3], 0 offset:188
	buffer_load_dword v108, off, s[0:3], 0 offset:184
	buffer_load_dword v113, off, s[0:3], 0 offset:196
	buffer_load_dword v112, off, s[0:3], 0 offset:192
	s_waitcnt vmcnt(2)
	v_fmac_f64_e32 v[104:105], v[108:109], v[110:111]
	ds_read_b128 v[108:111], v106 offset:592
	s_waitcnt vmcnt(0) lgkmcnt(0)
	v_fmac_f64_e32 v[104:105], v[112:113], v[108:109]
	buffer_load_dword v109, off, s[0:3], 0 offset:204
	buffer_load_dword v108, off, s[0:3], 0 offset:200
	buffer_load_dword v113, off, s[0:3], 0 offset:212
	buffer_load_dword v112, off, s[0:3], 0 offset:208
	;; [unrolled: 9-line block ×12, first 2 shown]
	s_waitcnt vmcnt(2)
	v_fmac_f64_e32 v[104:105], v[108:109], v[110:111]
	ds_read_b128 v[108:111], v106 offset:768
	s_waitcnt vmcnt(0) lgkmcnt(0)
	v_fmac_f64_e32 v[104:105], v[112:113], v[108:109]
	buffer_load_dword v109, off, s[0:3], 0 offset:380
	buffer_load_dword v108, off, s[0:3], 0 offset:376
	s_waitcnt vmcnt(0)
	v_fmac_f64_e32 v[104:105], v[108:109], v[110:111]
	buffer_load_dword v111, off, s[0:3], 0 offset:388
	buffer_load_dword v110, off, s[0:3], 0 offset:384
	ds_read_b128 v[106:109], v106 offset:784
	s_waitcnt vmcnt(0) lgkmcnt(0)
	v_fmac_f64_e32 v[104:105], v[110:111], v[106:107]
	buffer_load_dword v107, off, s[0:3], 0 offset:396
	buffer_load_dword v106, off, s[0:3], 0 offset:392
	s_waitcnt vmcnt(0)
	v_fmac_f64_e32 v[104:105], v[106:107], v[108:109]
	v_add_f64 v[102:103], v[102:103], -v[104:105]
	buffer_store_dword v103, off, s[0:3], 0 offset:108
	buffer_store_dword v102, off, s[0:3], 0 offset:104
	s_and_saveexec_b64 s[4:5], vcc
	s_cbranch_execz .LBB113_283
; %bb.282:
	buffer_load_dword v102, off, s[0:3], 0 offset:96
	buffer_load_dword v103, off, s[0:3], 0 offset:100
	v_mov_b32_e32 v104, 0
	buffer_store_dword v104, off, s[0:3], 0 offset:96
	buffer_store_dword v104, off, s[0:3], 0 offset:100
	s_waitcnt vmcnt(2)
	ds_write_b64 v1, v[102:103]
.LBB113_283:
	s_or_b64 exec, exec, s[4:5]
	s_waitcnt lgkmcnt(0)
	; wave barrier
	s_waitcnt lgkmcnt(0)
	buffer_load_dword v102, off, s[0:3], 0 offset:96
	buffer_load_dword v103, off, s[0:3], 0 offset:100
	;; [unrolled: 1-line block ×16, first 2 shown]
	v_mov_b32_e32 v106, 0
	ds_read2_b64 v[108:111], v106 offset0:63 offset1:64
	v_cmp_lt_u32_e32 vcc, 11, v0
	s_waitcnt vmcnt(12) lgkmcnt(0)
	v_fma_f64 v[104:105], v[104:105], v[108:109], 0
	s_waitcnt vmcnt(10)
	v_fmac_f64_e32 v[104:105], v[112:113], v[110:111]
	ds_read2_b64 v[108:111], v106 offset0:65 offset1:66
	s_waitcnt vmcnt(8) lgkmcnt(0)
	v_fmac_f64_e32 v[104:105], v[114:115], v[108:109]
	s_waitcnt vmcnt(6)
	v_fmac_f64_e32 v[104:105], v[116:117], v[110:111]
	ds_read2_b64 v[108:111], v106 offset0:67 offset1:68
	s_waitcnt vmcnt(4) lgkmcnt(0)
	v_fmac_f64_e32 v[104:105], v[118:119], v[108:109]
	;; [unrolled: 5-line block ×3, first 2 shown]
	buffer_load_dword v109, off, s[0:3], 0 offset:164
	buffer_load_dword v108, off, s[0:3], 0 offset:160
	buffer_load_dword v113, off, s[0:3], 0 offset:172
	buffer_load_dword v112, off, s[0:3], 0 offset:168
	s_waitcnt vmcnt(2)
	v_fmac_f64_e32 v[104:105], v[108:109], v[110:111]
	ds_read2_b64 v[108:111], v106 offset0:71 offset1:72
	s_waitcnt vmcnt(0) lgkmcnt(0)
	v_fmac_f64_e32 v[104:105], v[112:113], v[108:109]
	buffer_load_dword v109, off, s[0:3], 0 offset:180
	buffer_load_dword v108, off, s[0:3], 0 offset:176
	buffer_load_dword v113, off, s[0:3], 0 offset:188
	buffer_load_dword v112, off, s[0:3], 0 offset:184
	s_waitcnt vmcnt(2)
	v_fmac_f64_e32 v[104:105], v[108:109], v[110:111]
	ds_read2_b64 v[108:111], v106 offset0:73 offset1:74
	s_waitcnt vmcnt(0) lgkmcnt(0)
	v_fmac_f64_e32 v[104:105], v[112:113], v[108:109]
	;; [unrolled: 9-line block ×14, first 2 shown]
	buffer_load_dword v109, off, s[0:3], 0 offset:388
	buffer_load_dword v108, off, s[0:3], 0 offset:384
	s_waitcnt vmcnt(0)
	v_fmac_f64_e32 v[104:105], v[108:109], v[110:111]
	buffer_load_dword v109, off, s[0:3], 0 offset:396
	buffer_load_dword v108, off, s[0:3], 0 offset:392
	ds_read_b64 v[110:111], v106 offset:792
	s_waitcnt vmcnt(0) lgkmcnt(0)
	v_fmac_f64_e32 v[104:105], v[108:109], v[110:111]
	v_add_f64 v[102:103], v[102:103], -v[104:105]
	buffer_store_dword v103, off, s[0:3], 0 offset:100
	buffer_store_dword v102, off, s[0:3], 0 offset:96
	s_and_saveexec_b64 s[4:5], vcc
	s_cbranch_execz .LBB113_285
; %bb.284:
	buffer_load_dword v102, off, s[0:3], 0 offset:88
	buffer_load_dword v103, off, s[0:3], 0 offset:92
	s_waitcnt vmcnt(0)
	ds_write_b64 v1, v[102:103]
	buffer_store_dword v106, off, s[0:3], 0 offset:88
	buffer_store_dword v106, off, s[0:3], 0 offset:92
.LBB113_285:
	s_or_b64 exec, exec, s[4:5]
	s_waitcnt lgkmcnt(0)
	; wave barrier
	s_waitcnt lgkmcnt(0)
	buffer_load_dword v102, off, s[0:3], 0 offset:88
	buffer_load_dword v103, off, s[0:3], 0 offset:92
	;; [unrolled: 1-line block ×16, first 2 shown]
	ds_read_b128 v[108:111], v106 offset:496
	ds_read_b128 v[112:115], v106 offset:512
	;; [unrolled: 1-line block ×4, first 2 shown]
	v_cmp_lt_u32_e32 vcc, 10, v0
	s_waitcnt vmcnt(12) lgkmcnt(3)
	v_fma_f64 v[104:105], v[104:105], v[108:109], 0
	buffer_load_dword v109, off, s[0:3], 0 offset:156
	buffer_load_dword v108, off, s[0:3], 0 offset:152
	s_waitcnt vmcnt(12)
	v_fmac_f64_e32 v[104:105], v[124:125], v[110:111]
	s_waitcnt vmcnt(10) lgkmcnt(2)
	v_fmac_f64_e32 v[104:105], v[126:127], v[112:113]
	buffer_load_dword v113, off, s[0:3], 0 offset:164
	buffer_load_dword v112, off, s[0:3], 0 offset:160
	s_waitcnt vmcnt(10)
	v_fmac_f64_e32 v[104:105], v[128:129], v[114:115]
	s_waitcnt vmcnt(8) lgkmcnt(1)
	v_fmac_f64_e32 v[104:105], v[130:131], v[116:117]
	s_waitcnt vmcnt(6)
	v_fmac_f64_e32 v[104:105], v[132:133], v[118:119]
	s_waitcnt vmcnt(4) lgkmcnt(0)
	v_fmac_f64_e32 v[104:105], v[134:135], v[120:121]
	s_waitcnt vmcnt(2)
	v_fmac_f64_e32 v[104:105], v[108:109], v[122:123]
	ds_read_b128 v[108:111], v106 offset:560
	s_waitcnt vmcnt(0) lgkmcnt(0)
	v_fmac_f64_e32 v[104:105], v[112:113], v[108:109]
	buffer_load_dword v109, off, s[0:3], 0 offset:172
	buffer_load_dword v108, off, s[0:3], 0 offset:168
	buffer_load_dword v113, off, s[0:3], 0 offset:180
	buffer_load_dword v112, off, s[0:3], 0 offset:176
	s_waitcnt vmcnt(2)
	v_fmac_f64_e32 v[104:105], v[108:109], v[110:111]
	ds_read_b128 v[108:111], v106 offset:576
	s_waitcnt vmcnt(0) lgkmcnt(0)
	v_fmac_f64_e32 v[104:105], v[112:113], v[108:109]
	buffer_load_dword v109, off, s[0:3], 0 offset:188
	buffer_load_dword v108, off, s[0:3], 0 offset:184
	buffer_load_dword v113, off, s[0:3], 0 offset:196
	buffer_load_dword v112, off, s[0:3], 0 offset:192
	;; [unrolled: 9-line block ×13, first 2 shown]
	s_waitcnt vmcnt(2)
	v_fmac_f64_e32 v[104:105], v[108:109], v[110:111]
	ds_read_b128 v[108:111], v106 offset:768
	s_waitcnt vmcnt(0) lgkmcnt(0)
	v_fmac_f64_e32 v[104:105], v[112:113], v[108:109]
	buffer_load_dword v109, off, s[0:3], 0 offset:380
	buffer_load_dword v108, off, s[0:3], 0 offset:376
	s_waitcnt vmcnt(0)
	v_fmac_f64_e32 v[104:105], v[108:109], v[110:111]
	buffer_load_dword v111, off, s[0:3], 0 offset:388
	buffer_load_dword v110, off, s[0:3], 0 offset:384
	ds_read_b128 v[106:109], v106 offset:784
	s_waitcnt vmcnt(0) lgkmcnt(0)
	v_fmac_f64_e32 v[104:105], v[110:111], v[106:107]
	buffer_load_dword v107, off, s[0:3], 0 offset:396
	buffer_load_dword v106, off, s[0:3], 0 offset:392
	s_waitcnt vmcnt(0)
	v_fmac_f64_e32 v[104:105], v[106:107], v[108:109]
	v_add_f64 v[102:103], v[102:103], -v[104:105]
	buffer_store_dword v103, off, s[0:3], 0 offset:92
	buffer_store_dword v102, off, s[0:3], 0 offset:88
	s_and_saveexec_b64 s[4:5], vcc
	s_cbranch_execz .LBB113_287
; %bb.286:
	buffer_load_dword v102, off, s[0:3], 0 offset:80
	buffer_load_dword v103, off, s[0:3], 0 offset:84
	v_mov_b32_e32 v104, 0
	buffer_store_dword v104, off, s[0:3], 0 offset:80
	buffer_store_dword v104, off, s[0:3], 0 offset:84
	s_waitcnt vmcnt(2)
	ds_write_b64 v1, v[102:103]
.LBB113_287:
	s_or_b64 exec, exec, s[4:5]
	s_waitcnt lgkmcnt(0)
	; wave barrier
	s_waitcnt lgkmcnt(0)
	buffer_load_dword v102, off, s[0:3], 0 offset:80
	buffer_load_dword v103, off, s[0:3], 0 offset:84
	;; [unrolled: 1-line block ×16, first 2 shown]
	v_mov_b32_e32 v106, 0
	ds_read2_b64 v[108:111], v106 offset0:61 offset1:62
	v_cmp_lt_u32_e32 vcc, 9, v0
	s_waitcnt vmcnt(12) lgkmcnt(0)
	v_fma_f64 v[104:105], v[104:105], v[108:109], 0
	s_waitcnt vmcnt(10)
	v_fmac_f64_e32 v[104:105], v[112:113], v[110:111]
	ds_read2_b64 v[108:111], v106 offset0:63 offset1:64
	s_waitcnt vmcnt(8) lgkmcnt(0)
	v_fmac_f64_e32 v[104:105], v[114:115], v[108:109]
	s_waitcnt vmcnt(6)
	v_fmac_f64_e32 v[104:105], v[116:117], v[110:111]
	ds_read2_b64 v[108:111], v106 offset0:65 offset1:66
	s_waitcnt vmcnt(4) lgkmcnt(0)
	v_fmac_f64_e32 v[104:105], v[118:119], v[108:109]
	;; [unrolled: 5-line block ×3, first 2 shown]
	buffer_load_dword v109, off, s[0:3], 0 offset:148
	buffer_load_dword v108, off, s[0:3], 0 offset:144
	buffer_load_dword v113, off, s[0:3], 0 offset:156
	buffer_load_dword v112, off, s[0:3], 0 offset:152
	s_waitcnt vmcnt(2)
	v_fmac_f64_e32 v[104:105], v[108:109], v[110:111]
	ds_read2_b64 v[108:111], v106 offset0:69 offset1:70
	s_waitcnt vmcnt(0) lgkmcnt(0)
	v_fmac_f64_e32 v[104:105], v[112:113], v[108:109]
	buffer_load_dword v109, off, s[0:3], 0 offset:164
	buffer_load_dword v108, off, s[0:3], 0 offset:160
	buffer_load_dword v113, off, s[0:3], 0 offset:172
	buffer_load_dword v112, off, s[0:3], 0 offset:168
	s_waitcnt vmcnt(2)
	v_fmac_f64_e32 v[104:105], v[108:109], v[110:111]
	ds_read2_b64 v[108:111], v106 offset0:71 offset1:72
	s_waitcnt vmcnt(0) lgkmcnt(0)
	v_fmac_f64_e32 v[104:105], v[112:113], v[108:109]
	buffer_load_dword v109, off, s[0:3], 0 offset:180
	buffer_load_dword v108, off, s[0:3], 0 offset:176
	buffer_load_dword v113, off, s[0:3], 0 offset:188
	buffer_load_dword v112, off, s[0:3], 0 offset:184
	s_waitcnt vmcnt(2)
	v_fmac_f64_e32 v[104:105], v[108:109], v[110:111]
	ds_read2_b64 v[108:111], v106 offset0:73 offset1:74
	s_waitcnt vmcnt(0) lgkmcnt(0)
	v_fmac_f64_e32 v[104:105], v[112:113], v[108:109]
	buffer_load_dword v109, off, s[0:3], 0 offset:196
	buffer_load_dword v108, off, s[0:3], 0 offset:192
	buffer_load_dword v113, off, s[0:3], 0 offset:204
	buffer_load_dword v112, off, s[0:3], 0 offset:200
	s_waitcnt vmcnt(2)
	v_fmac_f64_e32 v[104:105], v[108:109], v[110:111]
	ds_read2_b64 v[108:111], v106 offset0:75 offset1:76
	s_waitcnt vmcnt(0) lgkmcnt(0)
	v_fmac_f64_e32 v[104:105], v[112:113], v[108:109]
	buffer_load_dword v109, off, s[0:3], 0 offset:212
	buffer_load_dword v108, off, s[0:3], 0 offset:208
	buffer_load_dword v113, off, s[0:3], 0 offset:220
	buffer_load_dword v112, off, s[0:3], 0 offset:216
	s_waitcnt vmcnt(2)
	v_fmac_f64_e32 v[104:105], v[108:109], v[110:111]
	ds_read2_b64 v[108:111], v106 offset0:77 offset1:78
	s_waitcnt vmcnt(0) lgkmcnt(0)
	v_fmac_f64_e32 v[104:105], v[112:113], v[108:109]
	buffer_load_dword v109, off, s[0:3], 0 offset:228
	buffer_load_dword v108, off, s[0:3], 0 offset:224
	buffer_load_dword v113, off, s[0:3], 0 offset:236
	buffer_load_dword v112, off, s[0:3], 0 offset:232
	s_waitcnt vmcnt(2)
	v_fmac_f64_e32 v[104:105], v[108:109], v[110:111]
	ds_read2_b64 v[108:111], v106 offset0:79 offset1:80
	s_waitcnt vmcnt(0) lgkmcnt(0)
	v_fmac_f64_e32 v[104:105], v[112:113], v[108:109]
	buffer_load_dword v109, off, s[0:3], 0 offset:244
	buffer_load_dword v108, off, s[0:3], 0 offset:240
	buffer_load_dword v113, off, s[0:3], 0 offset:252
	buffer_load_dword v112, off, s[0:3], 0 offset:248
	s_waitcnt vmcnt(2)
	v_fmac_f64_e32 v[104:105], v[108:109], v[110:111]
	ds_read2_b64 v[108:111], v106 offset0:81 offset1:82
	s_waitcnt vmcnt(0) lgkmcnt(0)
	v_fmac_f64_e32 v[104:105], v[112:113], v[108:109]
	buffer_load_dword v109, off, s[0:3], 0 offset:260
	buffer_load_dword v108, off, s[0:3], 0 offset:256
	buffer_load_dword v113, off, s[0:3], 0 offset:268
	buffer_load_dword v112, off, s[0:3], 0 offset:264
	s_waitcnt vmcnt(2)
	v_fmac_f64_e32 v[104:105], v[108:109], v[110:111]
	ds_read2_b64 v[108:111], v106 offset0:83 offset1:84
	s_waitcnt vmcnt(0) lgkmcnt(0)
	v_fmac_f64_e32 v[104:105], v[112:113], v[108:109]
	buffer_load_dword v109, off, s[0:3], 0 offset:276
	buffer_load_dword v108, off, s[0:3], 0 offset:272
	buffer_load_dword v113, off, s[0:3], 0 offset:284
	buffer_load_dword v112, off, s[0:3], 0 offset:280
	s_waitcnt vmcnt(2)
	v_fmac_f64_e32 v[104:105], v[108:109], v[110:111]
	ds_read2_b64 v[108:111], v106 offset0:85 offset1:86
	s_waitcnt vmcnt(0) lgkmcnt(0)
	v_fmac_f64_e32 v[104:105], v[112:113], v[108:109]
	buffer_load_dword v109, off, s[0:3], 0 offset:292
	buffer_load_dword v108, off, s[0:3], 0 offset:288
	buffer_load_dword v113, off, s[0:3], 0 offset:300
	buffer_load_dword v112, off, s[0:3], 0 offset:296
	s_waitcnt vmcnt(2)
	v_fmac_f64_e32 v[104:105], v[108:109], v[110:111]
	ds_read2_b64 v[108:111], v106 offset0:87 offset1:88
	s_waitcnt vmcnt(0) lgkmcnt(0)
	v_fmac_f64_e32 v[104:105], v[112:113], v[108:109]
	buffer_load_dword v109, off, s[0:3], 0 offset:308
	buffer_load_dword v108, off, s[0:3], 0 offset:304
	buffer_load_dword v113, off, s[0:3], 0 offset:316
	buffer_load_dword v112, off, s[0:3], 0 offset:312
	s_waitcnt vmcnt(2)
	v_fmac_f64_e32 v[104:105], v[108:109], v[110:111]
	ds_read2_b64 v[108:111], v106 offset0:89 offset1:90
	s_waitcnt vmcnt(0) lgkmcnt(0)
	v_fmac_f64_e32 v[104:105], v[112:113], v[108:109]
	buffer_load_dword v109, off, s[0:3], 0 offset:324
	buffer_load_dword v108, off, s[0:3], 0 offset:320
	buffer_load_dword v113, off, s[0:3], 0 offset:332
	buffer_load_dword v112, off, s[0:3], 0 offset:328
	s_waitcnt vmcnt(2)
	v_fmac_f64_e32 v[104:105], v[108:109], v[110:111]
	ds_read2_b64 v[108:111], v106 offset0:91 offset1:92
	s_waitcnt vmcnt(0) lgkmcnt(0)
	v_fmac_f64_e32 v[104:105], v[112:113], v[108:109]
	buffer_load_dword v109, off, s[0:3], 0 offset:340
	buffer_load_dword v108, off, s[0:3], 0 offset:336
	buffer_load_dword v113, off, s[0:3], 0 offset:348
	buffer_load_dword v112, off, s[0:3], 0 offset:344
	s_waitcnt vmcnt(2)
	v_fmac_f64_e32 v[104:105], v[108:109], v[110:111]
	ds_read2_b64 v[108:111], v106 offset0:93 offset1:94
	s_waitcnt vmcnt(0) lgkmcnt(0)
	v_fmac_f64_e32 v[104:105], v[112:113], v[108:109]
	buffer_load_dword v109, off, s[0:3], 0 offset:356
	buffer_load_dword v108, off, s[0:3], 0 offset:352
	buffer_load_dword v113, off, s[0:3], 0 offset:364
	buffer_load_dword v112, off, s[0:3], 0 offset:360
	s_waitcnt vmcnt(2)
	v_fmac_f64_e32 v[104:105], v[108:109], v[110:111]
	ds_read2_b64 v[108:111], v106 offset0:95 offset1:96
	s_waitcnt vmcnt(0) lgkmcnt(0)
	v_fmac_f64_e32 v[104:105], v[112:113], v[108:109]
	buffer_load_dword v109, off, s[0:3], 0 offset:372
	buffer_load_dword v108, off, s[0:3], 0 offset:368
	buffer_load_dword v113, off, s[0:3], 0 offset:380
	buffer_load_dword v112, off, s[0:3], 0 offset:376
	s_waitcnt vmcnt(2)
	v_fmac_f64_e32 v[104:105], v[108:109], v[110:111]
	ds_read2_b64 v[108:111], v106 offset0:97 offset1:98
	s_waitcnt vmcnt(0) lgkmcnt(0)
	v_fmac_f64_e32 v[104:105], v[112:113], v[108:109]
	buffer_load_dword v109, off, s[0:3], 0 offset:388
	buffer_load_dword v108, off, s[0:3], 0 offset:384
	s_waitcnt vmcnt(0)
	v_fmac_f64_e32 v[104:105], v[108:109], v[110:111]
	buffer_load_dword v109, off, s[0:3], 0 offset:396
	buffer_load_dword v108, off, s[0:3], 0 offset:392
	ds_read_b64 v[110:111], v106 offset:792
	s_waitcnt vmcnt(0) lgkmcnt(0)
	v_fmac_f64_e32 v[104:105], v[108:109], v[110:111]
	v_add_f64 v[102:103], v[102:103], -v[104:105]
	buffer_store_dword v103, off, s[0:3], 0 offset:84
	buffer_store_dword v102, off, s[0:3], 0 offset:80
	s_and_saveexec_b64 s[4:5], vcc
	s_cbranch_execz .LBB113_289
; %bb.288:
	buffer_load_dword v102, off, s[0:3], 0 offset:72
	buffer_load_dword v103, off, s[0:3], 0 offset:76
	s_waitcnt vmcnt(0)
	ds_write_b64 v1, v[102:103]
	buffer_store_dword v106, off, s[0:3], 0 offset:72
	buffer_store_dword v106, off, s[0:3], 0 offset:76
.LBB113_289:
	s_or_b64 exec, exec, s[4:5]
	s_waitcnt lgkmcnt(0)
	; wave barrier
	s_waitcnt lgkmcnt(0)
	buffer_load_dword v102, off, s[0:3], 0 offset:72
	buffer_load_dword v103, off, s[0:3], 0 offset:76
	buffer_load_dword v104, off, s[0:3], 0 offset:80
	buffer_load_dword v105, off, s[0:3], 0 offset:84
	buffer_load_dword v124, off, s[0:3], 0 offset:88
	buffer_load_dword v125, off, s[0:3], 0 offset:92
	buffer_load_dword v126, off, s[0:3], 0 offset:96
	buffer_load_dword v127, off, s[0:3], 0 offset:100
	buffer_load_dword v128, off, s[0:3], 0 offset:104
	buffer_load_dword v129, off, s[0:3], 0 offset:108
	buffer_load_dword v130, off, s[0:3], 0 offset:112
	buffer_load_dword v131, off, s[0:3], 0 offset:116
	buffer_load_dword v132, off, s[0:3], 0 offset:120
	buffer_load_dword v133, off, s[0:3], 0 offset:124
	buffer_load_dword v134, off, s[0:3], 0 offset:128
	buffer_load_dword v135, off, s[0:3], 0 offset:132
	ds_read_b128 v[108:111], v106 offset:480
	ds_read_b128 v[112:115], v106 offset:496
	;; [unrolled: 1-line block ×4, first 2 shown]
	v_cmp_lt_u32_e32 vcc, 8, v0
	s_waitcnt vmcnt(12) lgkmcnt(3)
	v_fma_f64 v[104:105], v[104:105], v[108:109], 0
	buffer_load_dword v109, off, s[0:3], 0 offset:140
	buffer_load_dword v108, off, s[0:3], 0 offset:136
	s_waitcnt vmcnt(12)
	v_fmac_f64_e32 v[104:105], v[124:125], v[110:111]
	s_waitcnt vmcnt(10) lgkmcnt(2)
	v_fmac_f64_e32 v[104:105], v[126:127], v[112:113]
	buffer_load_dword v113, off, s[0:3], 0 offset:148
	buffer_load_dword v112, off, s[0:3], 0 offset:144
	s_waitcnt vmcnt(10)
	v_fmac_f64_e32 v[104:105], v[128:129], v[114:115]
	s_waitcnt vmcnt(8) lgkmcnt(1)
	v_fmac_f64_e32 v[104:105], v[130:131], v[116:117]
	s_waitcnt vmcnt(6)
	v_fmac_f64_e32 v[104:105], v[132:133], v[118:119]
	s_waitcnt vmcnt(4) lgkmcnt(0)
	v_fmac_f64_e32 v[104:105], v[134:135], v[120:121]
	s_waitcnt vmcnt(2)
	v_fmac_f64_e32 v[104:105], v[108:109], v[122:123]
	ds_read_b128 v[108:111], v106 offset:544
	s_waitcnt vmcnt(0) lgkmcnt(0)
	v_fmac_f64_e32 v[104:105], v[112:113], v[108:109]
	buffer_load_dword v109, off, s[0:3], 0 offset:156
	buffer_load_dword v108, off, s[0:3], 0 offset:152
	buffer_load_dword v113, off, s[0:3], 0 offset:164
	buffer_load_dword v112, off, s[0:3], 0 offset:160
	s_waitcnt vmcnt(2)
	v_fmac_f64_e32 v[104:105], v[108:109], v[110:111]
	ds_read_b128 v[108:111], v106 offset:560
	s_waitcnt vmcnt(0) lgkmcnt(0)
	v_fmac_f64_e32 v[104:105], v[112:113], v[108:109]
	buffer_load_dword v109, off, s[0:3], 0 offset:172
	buffer_load_dword v108, off, s[0:3], 0 offset:168
	buffer_load_dword v113, off, s[0:3], 0 offset:180
	buffer_load_dword v112, off, s[0:3], 0 offset:176
	;; [unrolled: 9-line block ×14, first 2 shown]
	s_waitcnt vmcnt(2)
	v_fmac_f64_e32 v[104:105], v[108:109], v[110:111]
	ds_read_b128 v[108:111], v106 offset:768
	s_waitcnt vmcnt(0) lgkmcnt(0)
	v_fmac_f64_e32 v[104:105], v[112:113], v[108:109]
	buffer_load_dword v109, off, s[0:3], 0 offset:380
	buffer_load_dword v108, off, s[0:3], 0 offset:376
	s_waitcnt vmcnt(0)
	v_fmac_f64_e32 v[104:105], v[108:109], v[110:111]
	buffer_load_dword v111, off, s[0:3], 0 offset:388
	buffer_load_dword v110, off, s[0:3], 0 offset:384
	ds_read_b128 v[106:109], v106 offset:784
	s_waitcnt vmcnt(0) lgkmcnt(0)
	v_fmac_f64_e32 v[104:105], v[110:111], v[106:107]
	buffer_load_dword v107, off, s[0:3], 0 offset:396
	buffer_load_dword v106, off, s[0:3], 0 offset:392
	s_waitcnt vmcnt(0)
	v_fmac_f64_e32 v[104:105], v[106:107], v[108:109]
	v_add_f64 v[102:103], v[102:103], -v[104:105]
	buffer_store_dword v103, off, s[0:3], 0 offset:76
	buffer_store_dword v102, off, s[0:3], 0 offset:72
	s_and_saveexec_b64 s[4:5], vcc
	s_cbranch_execz .LBB113_291
; %bb.290:
	buffer_load_dword v102, off, s[0:3], 0 offset:64
	buffer_load_dword v103, off, s[0:3], 0 offset:68
	v_mov_b32_e32 v104, 0
	buffer_store_dword v104, off, s[0:3], 0 offset:64
	buffer_store_dword v104, off, s[0:3], 0 offset:68
	s_waitcnt vmcnt(2)
	ds_write_b64 v1, v[102:103]
.LBB113_291:
	s_or_b64 exec, exec, s[4:5]
	s_waitcnt lgkmcnt(0)
	; wave barrier
	s_waitcnt lgkmcnt(0)
	buffer_load_dword v102, off, s[0:3], 0 offset:64
	buffer_load_dword v103, off, s[0:3], 0 offset:68
	;; [unrolled: 1-line block ×16, first 2 shown]
	v_mov_b32_e32 v106, 0
	ds_read2_b64 v[108:111], v106 offset0:59 offset1:60
	v_cmp_lt_u32_e32 vcc, 7, v0
	s_waitcnt vmcnt(12) lgkmcnt(0)
	v_fma_f64 v[104:105], v[104:105], v[108:109], 0
	s_waitcnt vmcnt(10)
	v_fmac_f64_e32 v[104:105], v[112:113], v[110:111]
	ds_read2_b64 v[108:111], v106 offset0:61 offset1:62
	s_waitcnt vmcnt(8) lgkmcnt(0)
	v_fmac_f64_e32 v[104:105], v[114:115], v[108:109]
	s_waitcnt vmcnt(6)
	v_fmac_f64_e32 v[104:105], v[116:117], v[110:111]
	ds_read2_b64 v[108:111], v106 offset0:63 offset1:64
	s_waitcnt vmcnt(4) lgkmcnt(0)
	v_fmac_f64_e32 v[104:105], v[118:119], v[108:109]
	;; [unrolled: 5-line block ×3, first 2 shown]
	buffer_load_dword v109, off, s[0:3], 0 offset:132
	buffer_load_dword v108, off, s[0:3], 0 offset:128
	buffer_load_dword v113, off, s[0:3], 0 offset:140
	buffer_load_dword v112, off, s[0:3], 0 offset:136
	s_waitcnt vmcnt(2)
	v_fmac_f64_e32 v[104:105], v[108:109], v[110:111]
	ds_read2_b64 v[108:111], v106 offset0:67 offset1:68
	s_waitcnt vmcnt(0) lgkmcnt(0)
	v_fmac_f64_e32 v[104:105], v[112:113], v[108:109]
	buffer_load_dword v109, off, s[0:3], 0 offset:148
	buffer_load_dword v108, off, s[0:3], 0 offset:144
	buffer_load_dword v113, off, s[0:3], 0 offset:156
	buffer_load_dword v112, off, s[0:3], 0 offset:152
	s_waitcnt vmcnt(2)
	v_fmac_f64_e32 v[104:105], v[108:109], v[110:111]
	ds_read2_b64 v[108:111], v106 offset0:69 offset1:70
	s_waitcnt vmcnt(0) lgkmcnt(0)
	v_fmac_f64_e32 v[104:105], v[112:113], v[108:109]
	;; [unrolled: 9-line block ×16, first 2 shown]
	buffer_load_dword v109, off, s[0:3], 0 offset:388
	buffer_load_dword v108, off, s[0:3], 0 offset:384
	s_waitcnt vmcnt(0)
	v_fmac_f64_e32 v[104:105], v[108:109], v[110:111]
	buffer_load_dword v109, off, s[0:3], 0 offset:396
	buffer_load_dword v108, off, s[0:3], 0 offset:392
	ds_read_b64 v[110:111], v106 offset:792
	s_waitcnt vmcnt(0) lgkmcnt(0)
	v_fmac_f64_e32 v[104:105], v[108:109], v[110:111]
	v_add_f64 v[102:103], v[102:103], -v[104:105]
	buffer_store_dword v103, off, s[0:3], 0 offset:68
	buffer_store_dword v102, off, s[0:3], 0 offset:64
	s_and_saveexec_b64 s[4:5], vcc
	s_cbranch_execz .LBB113_293
; %bb.292:
	buffer_load_dword v102, off, s[0:3], 0 offset:56
	buffer_load_dword v103, off, s[0:3], 0 offset:60
	s_waitcnt vmcnt(0)
	ds_write_b64 v1, v[102:103]
	buffer_store_dword v106, off, s[0:3], 0 offset:56
	buffer_store_dword v106, off, s[0:3], 0 offset:60
.LBB113_293:
	s_or_b64 exec, exec, s[4:5]
	s_waitcnt lgkmcnt(0)
	; wave barrier
	s_waitcnt lgkmcnt(0)
	buffer_load_dword v102, off, s[0:3], 0 offset:56
	buffer_load_dword v103, off, s[0:3], 0 offset:60
	;; [unrolled: 1-line block ×16, first 2 shown]
	ds_read_b128 v[108:111], v106 offset:464
	ds_read_b128 v[112:115], v106 offset:480
	;; [unrolled: 1-line block ×4, first 2 shown]
	v_cmp_lt_u32_e32 vcc, 6, v0
	s_waitcnt vmcnt(12) lgkmcnt(3)
	v_fma_f64 v[104:105], v[104:105], v[108:109], 0
	buffer_load_dword v109, off, s[0:3], 0 offset:124
	buffer_load_dword v108, off, s[0:3], 0 offset:120
	s_waitcnt vmcnt(12)
	v_fmac_f64_e32 v[104:105], v[124:125], v[110:111]
	s_waitcnt vmcnt(10) lgkmcnt(2)
	v_fmac_f64_e32 v[104:105], v[126:127], v[112:113]
	buffer_load_dword v113, off, s[0:3], 0 offset:132
	buffer_load_dword v112, off, s[0:3], 0 offset:128
	s_waitcnt vmcnt(10)
	v_fmac_f64_e32 v[104:105], v[128:129], v[114:115]
	s_waitcnt vmcnt(8) lgkmcnt(1)
	v_fmac_f64_e32 v[104:105], v[130:131], v[116:117]
	s_waitcnt vmcnt(6)
	v_fmac_f64_e32 v[104:105], v[132:133], v[118:119]
	s_waitcnt vmcnt(4) lgkmcnt(0)
	v_fmac_f64_e32 v[104:105], v[134:135], v[120:121]
	s_waitcnt vmcnt(2)
	v_fmac_f64_e32 v[104:105], v[108:109], v[122:123]
	ds_read_b128 v[108:111], v106 offset:528
	s_waitcnt vmcnt(0) lgkmcnt(0)
	v_fmac_f64_e32 v[104:105], v[112:113], v[108:109]
	buffer_load_dword v109, off, s[0:3], 0 offset:140
	buffer_load_dword v108, off, s[0:3], 0 offset:136
	buffer_load_dword v113, off, s[0:3], 0 offset:148
	buffer_load_dword v112, off, s[0:3], 0 offset:144
	s_waitcnt vmcnt(2)
	v_fmac_f64_e32 v[104:105], v[108:109], v[110:111]
	ds_read_b128 v[108:111], v106 offset:544
	s_waitcnt vmcnt(0) lgkmcnt(0)
	v_fmac_f64_e32 v[104:105], v[112:113], v[108:109]
	buffer_load_dword v109, off, s[0:3], 0 offset:156
	buffer_load_dword v108, off, s[0:3], 0 offset:152
	buffer_load_dword v113, off, s[0:3], 0 offset:164
	buffer_load_dword v112, off, s[0:3], 0 offset:160
	;; [unrolled: 9-line block ×15, first 2 shown]
	s_waitcnt vmcnt(2)
	v_fmac_f64_e32 v[104:105], v[108:109], v[110:111]
	ds_read_b128 v[108:111], v106 offset:768
	s_waitcnt vmcnt(0) lgkmcnt(0)
	v_fmac_f64_e32 v[104:105], v[112:113], v[108:109]
	buffer_load_dword v109, off, s[0:3], 0 offset:380
	buffer_load_dword v108, off, s[0:3], 0 offset:376
	s_waitcnt vmcnt(0)
	v_fmac_f64_e32 v[104:105], v[108:109], v[110:111]
	buffer_load_dword v111, off, s[0:3], 0 offset:388
	buffer_load_dword v110, off, s[0:3], 0 offset:384
	ds_read_b128 v[106:109], v106 offset:784
	s_waitcnt vmcnt(0) lgkmcnt(0)
	v_fmac_f64_e32 v[104:105], v[110:111], v[106:107]
	buffer_load_dword v107, off, s[0:3], 0 offset:396
	buffer_load_dword v106, off, s[0:3], 0 offset:392
	s_waitcnt vmcnt(0)
	v_fmac_f64_e32 v[104:105], v[106:107], v[108:109]
	v_add_f64 v[102:103], v[102:103], -v[104:105]
	buffer_store_dword v103, off, s[0:3], 0 offset:60
	buffer_store_dword v102, off, s[0:3], 0 offset:56
	s_and_saveexec_b64 s[4:5], vcc
	s_cbranch_execz .LBB113_295
; %bb.294:
	buffer_load_dword v102, off, s[0:3], 0 offset:48
	buffer_load_dword v103, off, s[0:3], 0 offset:52
	v_mov_b32_e32 v104, 0
	buffer_store_dword v104, off, s[0:3], 0 offset:48
	buffer_store_dword v104, off, s[0:3], 0 offset:52
	s_waitcnt vmcnt(2)
	ds_write_b64 v1, v[102:103]
.LBB113_295:
	s_or_b64 exec, exec, s[4:5]
	s_waitcnt lgkmcnt(0)
	; wave barrier
	s_waitcnt lgkmcnt(0)
	buffer_load_dword v102, off, s[0:3], 0 offset:48
	buffer_load_dword v103, off, s[0:3], 0 offset:52
	;; [unrolled: 1-line block ×16, first 2 shown]
	v_mov_b32_e32 v106, 0
	ds_read2_b64 v[108:111], v106 offset0:57 offset1:58
	v_cmp_lt_u32_e32 vcc, 5, v0
	s_waitcnt vmcnt(12) lgkmcnt(0)
	v_fma_f64 v[104:105], v[104:105], v[108:109], 0
	s_waitcnt vmcnt(10)
	v_fmac_f64_e32 v[104:105], v[112:113], v[110:111]
	ds_read2_b64 v[108:111], v106 offset0:59 offset1:60
	s_waitcnt vmcnt(8) lgkmcnt(0)
	v_fmac_f64_e32 v[104:105], v[114:115], v[108:109]
	s_waitcnt vmcnt(6)
	v_fmac_f64_e32 v[104:105], v[116:117], v[110:111]
	ds_read2_b64 v[108:111], v106 offset0:61 offset1:62
	s_waitcnt vmcnt(4) lgkmcnt(0)
	v_fmac_f64_e32 v[104:105], v[118:119], v[108:109]
	;; [unrolled: 5-line block ×3, first 2 shown]
	buffer_load_dword v109, off, s[0:3], 0 offset:116
	buffer_load_dword v108, off, s[0:3], 0 offset:112
	buffer_load_dword v113, off, s[0:3], 0 offset:124
	buffer_load_dword v112, off, s[0:3], 0 offset:120
	s_waitcnt vmcnt(2)
	v_fmac_f64_e32 v[104:105], v[108:109], v[110:111]
	ds_read2_b64 v[108:111], v106 offset0:65 offset1:66
	s_waitcnt vmcnt(0) lgkmcnt(0)
	v_fmac_f64_e32 v[104:105], v[112:113], v[108:109]
	buffer_load_dword v109, off, s[0:3], 0 offset:132
	buffer_load_dword v108, off, s[0:3], 0 offset:128
	buffer_load_dword v113, off, s[0:3], 0 offset:140
	buffer_load_dword v112, off, s[0:3], 0 offset:136
	s_waitcnt vmcnt(2)
	v_fmac_f64_e32 v[104:105], v[108:109], v[110:111]
	ds_read2_b64 v[108:111], v106 offset0:67 offset1:68
	s_waitcnt vmcnt(0) lgkmcnt(0)
	v_fmac_f64_e32 v[104:105], v[112:113], v[108:109]
	;; [unrolled: 9-line block ×17, first 2 shown]
	buffer_load_dword v109, off, s[0:3], 0 offset:388
	buffer_load_dword v108, off, s[0:3], 0 offset:384
	s_waitcnt vmcnt(0)
	v_fmac_f64_e32 v[104:105], v[108:109], v[110:111]
	buffer_load_dword v109, off, s[0:3], 0 offset:396
	buffer_load_dword v108, off, s[0:3], 0 offset:392
	ds_read_b64 v[110:111], v106 offset:792
	s_waitcnt vmcnt(0) lgkmcnt(0)
	v_fmac_f64_e32 v[104:105], v[108:109], v[110:111]
	v_add_f64 v[102:103], v[102:103], -v[104:105]
	buffer_store_dword v103, off, s[0:3], 0 offset:52
	buffer_store_dword v102, off, s[0:3], 0 offset:48
	s_and_saveexec_b64 s[4:5], vcc
	s_cbranch_execz .LBB113_297
; %bb.296:
	buffer_load_dword v102, off, s[0:3], 0 offset:40
	buffer_load_dword v103, off, s[0:3], 0 offset:44
	s_waitcnt vmcnt(0)
	ds_write_b64 v1, v[102:103]
	buffer_store_dword v106, off, s[0:3], 0 offset:40
	buffer_store_dword v106, off, s[0:3], 0 offset:44
.LBB113_297:
	s_or_b64 exec, exec, s[4:5]
	s_waitcnt lgkmcnt(0)
	; wave barrier
	s_waitcnt lgkmcnt(0)
	buffer_load_dword v102, off, s[0:3], 0 offset:40
	buffer_load_dword v103, off, s[0:3], 0 offset:44
	;; [unrolled: 1-line block ×16, first 2 shown]
	ds_read_b128 v[108:111], v106 offset:448
	ds_read_b128 v[112:115], v106 offset:464
	;; [unrolled: 1-line block ×4, first 2 shown]
	v_cmp_lt_u32_e32 vcc, 4, v0
	s_waitcnt vmcnt(12) lgkmcnt(3)
	v_fma_f64 v[104:105], v[104:105], v[108:109], 0
	buffer_load_dword v109, off, s[0:3], 0 offset:108
	buffer_load_dword v108, off, s[0:3], 0 offset:104
	s_waitcnt vmcnt(12)
	v_fmac_f64_e32 v[104:105], v[124:125], v[110:111]
	s_waitcnt vmcnt(10) lgkmcnt(2)
	v_fmac_f64_e32 v[104:105], v[126:127], v[112:113]
	buffer_load_dword v113, off, s[0:3], 0 offset:116
	buffer_load_dword v112, off, s[0:3], 0 offset:112
	s_waitcnt vmcnt(10)
	v_fmac_f64_e32 v[104:105], v[128:129], v[114:115]
	s_waitcnt vmcnt(8) lgkmcnt(1)
	v_fmac_f64_e32 v[104:105], v[130:131], v[116:117]
	s_waitcnt vmcnt(6)
	v_fmac_f64_e32 v[104:105], v[132:133], v[118:119]
	s_waitcnt vmcnt(4) lgkmcnt(0)
	v_fmac_f64_e32 v[104:105], v[134:135], v[120:121]
	s_waitcnt vmcnt(2)
	v_fmac_f64_e32 v[104:105], v[108:109], v[122:123]
	ds_read_b128 v[108:111], v106 offset:512
	s_waitcnt vmcnt(0) lgkmcnt(0)
	v_fmac_f64_e32 v[104:105], v[112:113], v[108:109]
	buffer_load_dword v109, off, s[0:3], 0 offset:124
	buffer_load_dword v108, off, s[0:3], 0 offset:120
	buffer_load_dword v113, off, s[0:3], 0 offset:132
	buffer_load_dword v112, off, s[0:3], 0 offset:128
	s_waitcnt vmcnt(2)
	v_fmac_f64_e32 v[104:105], v[108:109], v[110:111]
	ds_read_b128 v[108:111], v106 offset:528
	s_waitcnt vmcnt(0) lgkmcnt(0)
	v_fmac_f64_e32 v[104:105], v[112:113], v[108:109]
	buffer_load_dword v109, off, s[0:3], 0 offset:140
	buffer_load_dword v108, off, s[0:3], 0 offset:136
	buffer_load_dword v113, off, s[0:3], 0 offset:148
	buffer_load_dword v112, off, s[0:3], 0 offset:144
	;; [unrolled: 9-line block ×16, first 2 shown]
	s_waitcnt vmcnt(2)
	v_fmac_f64_e32 v[104:105], v[108:109], v[110:111]
	ds_read_b128 v[108:111], v106 offset:768
	s_waitcnt vmcnt(0) lgkmcnt(0)
	v_fmac_f64_e32 v[104:105], v[112:113], v[108:109]
	buffer_load_dword v109, off, s[0:3], 0 offset:380
	buffer_load_dword v108, off, s[0:3], 0 offset:376
	s_waitcnt vmcnt(0)
	v_fmac_f64_e32 v[104:105], v[108:109], v[110:111]
	buffer_load_dword v111, off, s[0:3], 0 offset:388
	buffer_load_dword v110, off, s[0:3], 0 offset:384
	ds_read_b128 v[106:109], v106 offset:784
	s_waitcnt vmcnt(0) lgkmcnt(0)
	v_fmac_f64_e32 v[104:105], v[110:111], v[106:107]
	buffer_load_dword v107, off, s[0:3], 0 offset:396
	buffer_load_dword v106, off, s[0:3], 0 offset:392
	s_waitcnt vmcnt(0)
	v_fmac_f64_e32 v[104:105], v[106:107], v[108:109]
	v_add_f64 v[102:103], v[102:103], -v[104:105]
	buffer_store_dword v103, off, s[0:3], 0 offset:44
	buffer_store_dword v102, off, s[0:3], 0 offset:40
	s_and_saveexec_b64 s[4:5], vcc
	s_cbranch_execz .LBB113_299
; %bb.298:
	buffer_load_dword v102, off, s[0:3], 0 offset:32
	buffer_load_dword v103, off, s[0:3], 0 offset:36
	v_mov_b32_e32 v104, 0
	buffer_store_dword v104, off, s[0:3], 0 offset:32
	buffer_store_dword v104, off, s[0:3], 0 offset:36
	s_waitcnt vmcnt(2)
	ds_write_b64 v1, v[102:103]
.LBB113_299:
	s_or_b64 exec, exec, s[4:5]
	s_waitcnt lgkmcnt(0)
	; wave barrier
	s_waitcnt lgkmcnt(0)
	buffer_load_dword v102, off, s[0:3], 0 offset:32
	buffer_load_dword v103, off, s[0:3], 0 offset:36
	;; [unrolled: 1-line block ×16, first 2 shown]
	v_mov_b32_e32 v106, 0
	ds_read2_b64 v[108:111], v106 offset0:55 offset1:56
	v_cmp_lt_u32_e32 vcc, 3, v0
	s_waitcnt vmcnt(12) lgkmcnt(0)
	v_fma_f64 v[104:105], v[104:105], v[108:109], 0
	s_waitcnt vmcnt(10)
	v_fmac_f64_e32 v[104:105], v[112:113], v[110:111]
	ds_read2_b64 v[108:111], v106 offset0:57 offset1:58
	s_waitcnt vmcnt(8) lgkmcnt(0)
	v_fmac_f64_e32 v[104:105], v[114:115], v[108:109]
	s_waitcnt vmcnt(6)
	v_fmac_f64_e32 v[104:105], v[116:117], v[110:111]
	ds_read2_b64 v[108:111], v106 offset0:59 offset1:60
	s_waitcnt vmcnt(4) lgkmcnt(0)
	v_fmac_f64_e32 v[104:105], v[118:119], v[108:109]
	;; [unrolled: 5-line block ×3, first 2 shown]
	buffer_load_dword v109, off, s[0:3], 0 offset:100
	buffer_load_dword v108, off, s[0:3], 0 offset:96
	buffer_load_dword v113, off, s[0:3], 0 offset:108
	buffer_load_dword v112, off, s[0:3], 0 offset:104
	s_waitcnt vmcnt(2)
	v_fmac_f64_e32 v[104:105], v[108:109], v[110:111]
	ds_read2_b64 v[108:111], v106 offset0:63 offset1:64
	s_waitcnt vmcnt(0) lgkmcnt(0)
	v_fmac_f64_e32 v[104:105], v[112:113], v[108:109]
	buffer_load_dword v109, off, s[0:3], 0 offset:116
	buffer_load_dword v108, off, s[0:3], 0 offset:112
	buffer_load_dword v113, off, s[0:3], 0 offset:124
	buffer_load_dword v112, off, s[0:3], 0 offset:120
	s_waitcnt vmcnt(2)
	v_fmac_f64_e32 v[104:105], v[108:109], v[110:111]
	ds_read2_b64 v[108:111], v106 offset0:65 offset1:66
	s_waitcnt vmcnt(0) lgkmcnt(0)
	v_fmac_f64_e32 v[104:105], v[112:113], v[108:109]
	;; [unrolled: 9-line block ×18, first 2 shown]
	buffer_load_dword v109, off, s[0:3], 0 offset:388
	buffer_load_dword v108, off, s[0:3], 0 offset:384
	s_waitcnt vmcnt(0)
	v_fmac_f64_e32 v[104:105], v[108:109], v[110:111]
	buffer_load_dword v109, off, s[0:3], 0 offset:396
	buffer_load_dword v108, off, s[0:3], 0 offset:392
	ds_read_b64 v[110:111], v106 offset:792
	s_waitcnt vmcnt(0) lgkmcnt(0)
	v_fmac_f64_e32 v[104:105], v[108:109], v[110:111]
	v_add_f64 v[102:103], v[102:103], -v[104:105]
	buffer_store_dword v103, off, s[0:3], 0 offset:36
	buffer_store_dword v102, off, s[0:3], 0 offset:32
	s_and_saveexec_b64 s[4:5], vcc
	s_cbranch_execz .LBB113_301
; %bb.300:
	buffer_load_dword v102, off, s[0:3], 0 offset:24
	buffer_load_dword v103, off, s[0:3], 0 offset:28
	s_waitcnt vmcnt(0)
	ds_write_b64 v1, v[102:103]
	buffer_store_dword v106, off, s[0:3], 0 offset:24
	buffer_store_dword v106, off, s[0:3], 0 offset:28
.LBB113_301:
	s_or_b64 exec, exec, s[4:5]
	s_waitcnt lgkmcnt(0)
	; wave barrier
	s_waitcnt lgkmcnt(0)
	buffer_load_dword v102, off, s[0:3], 0 offset:24
	buffer_load_dword v103, off, s[0:3], 0 offset:28
	;; [unrolled: 1-line block ×16, first 2 shown]
	ds_read_b128 v[108:111], v106 offset:432
	ds_read_b128 v[112:115], v106 offset:448
	;; [unrolled: 1-line block ×4, first 2 shown]
	v_cmp_lt_u32_e32 vcc, 2, v0
	s_waitcnt vmcnt(12) lgkmcnt(3)
	v_fma_f64 v[104:105], v[104:105], v[108:109], 0
	buffer_load_dword v109, off, s[0:3], 0 offset:92
	buffer_load_dword v108, off, s[0:3], 0 offset:88
	s_waitcnt vmcnt(12)
	v_fmac_f64_e32 v[104:105], v[124:125], v[110:111]
	s_waitcnt vmcnt(10) lgkmcnt(2)
	v_fmac_f64_e32 v[104:105], v[126:127], v[112:113]
	buffer_load_dword v113, off, s[0:3], 0 offset:100
	buffer_load_dword v112, off, s[0:3], 0 offset:96
	s_waitcnt vmcnt(10)
	v_fmac_f64_e32 v[104:105], v[128:129], v[114:115]
	s_waitcnt vmcnt(8) lgkmcnt(1)
	v_fmac_f64_e32 v[104:105], v[130:131], v[116:117]
	s_waitcnt vmcnt(6)
	v_fmac_f64_e32 v[104:105], v[132:133], v[118:119]
	s_waitcnt vmcnt(4) lgkmcnt(0)
	v_fmac_f64_e32 v[104:105], v[134:135], v[120:121]
	s_waitcnt vmcnt(2)
	v_fmac_f64_e32 v[104:105], v[108:109], v[122:123]
	ds_read_b128 v[108:111], v106 offset:496
	s_waitcnt vmcnt(0) lgkmcnt(0)
	v_fmac_f64_e32 v[104:105], v[112:113], v[108:109]
	buffer_load_dword v109, off, s[0:3], 0 offset:108
	buffer_load_dword v108, off, s[0:3], 0 offset:104
	buffer_load_dword v113, off, s[0:3], 0 offset:116
	buffer_load_dword v112, off, s[0:3], 0 offset:112
	s_waitcnt vmcnt(2)
	v_fmac_f64_e32 v[104:105], v[108:109], v[110:111]
	ds_read_b128 v[108:111], v106 offset:512
	s_waitcnt vmcnt(0) lgkmcnt(0)
	v_fmac_f64_e32 v[104:105], v[112:113], v[108:109]
	buffer_load_dword v109, off, s[0:3], 0 offset:124
	buffer_load_dword v108, off, s[0:3], 0 offset:120
	buffer_load_dword v113, off, s[0:3], 0 offset:132
	buffer_load_dword v112, off, s[0:3], 0 offset:128
	;; [unrolled: 9-line block ×17, first 2 shown]
	s_waitcnt vmcnt(2)
	v_fmac_f64_e32 v[104:105], v[108:109], v[110:111]
	ds_read_b128 v[108:111], v106 offset:768
	s_waitcnt vmcnt(0) lgkmcnt(0)
	v_fmac_f64_e32 v[104:105], v[112:113], v[108:109]
	buffer_load_dword v109, off, s[0:3], 0 offset:380
	buffer_load_dword v108, off, s[0:3], 0 offset:376
	s_waitcnt vmcnt(0)
	v_fmac_f64_e32 v[104:105], v[108:109], v[110:111]
	buffer_load_dword v111, off, s[0:3], 0 offset:388
	buffer_load_dword v110, off, s[0:3], 0 offset:384
	ds_read_b128 v[106:109], v106 offset:784
	s_waitcnt vmcnt(0) lgkmcnt(0)
	v_fmac_f64_e32 v[104:105], v[110:111], v[106:107]
	buffer_load_dword v107, off, s[0:3], 0 offset:396
	buffer_load_dword v106, off, s[0:3], 0 offset:392
	s_waitcnt vmcnt(0)
	v_fmac_f64_e32 v[104:105], v[106:107], v[108:109]
	v_add_f64 v[102:103], v[102:103], -v[104:105]
	buffer_store_dword v103, off, s[0:3], 0 offset:28
	buffer_store_dword v102, off, s[0:3], 0 offset:24
	s_and_saveexec_b64 s[4:5], vcc
	s_cbranch_execz .LBB113_303
; %bb.302:
	buffer_load_dword v102, off, s[0:3], 0 offset:16
	buffer_load_dword v103, off, s[0:3], 0 offset:20
	v_mov_b32_e32 v104, 0
	buffer_store_dword v104, off, s[0:3], 0 offset:16
	buffer_store_dword v104, off, s[0:3], 0 offset:20
	s_waitcnt vmcnt(2)
	ds_write_b64 v1, v[102:103]
.LBB113_303:
	s_or_b64 exec, exec, s[4:5]
	s_waitcnt lgkmcnt(0)
	; wave barrier
	s_waitcnt lgkmcnt(0)
	buffer_load_dword v102, off, s[0:3], 0 offset:16
	buffer_load_dword v103, off, s[0:3], 0 offset:20
	;; [unrolled: 1-line block ×16, first 2 shown]
	v_mov_b32_e32 v106, 0
	ds_read2_b64 v[108:111], v106 offset0:53 offset1:54
	v_cmp_lt_u32_e32 vcc, 1, v0
	s_waitcnt vmcnt(12) lgkmcnt(0)
	v_fma_f64 v[104:105], v[104:105], v[108:109], 0
	s_waitcnt vmcnt(10)
	v_fmac_f64_e32 v[104:105], v[112:113], v[110:111]
	ds_read2_b64 v[108:111], v106 offset0:55 offset1:56
	s_waitcnt vmcnt(8) lgkmcnt(0)
	v_fmac_f64_e32 v[104:105], v[114:115], v[108:109]
	s_waitcnt vmcnt(6)
	v_fmac_f64_e32 v[104:105], v[116:117], v[110:111]
	ds_read2_b64 v[108:111], v106 offset0:57 offset1:58
	s_waitcnt vmcnt(4) lgkmcnt(0)
	v_fmac_f64_e32 v[104:105], v[118:119], v[108:109]
	;; [unrolled: 5-line block ×3, first 2 shown]
	buffer_load_dword v109, off, s[0:3], 0 offset:84
	buffer_load_dword v108, off, s[0:3], 0 offset:80
	buffer_load_dword v113, off, s[0:3], 0 offset:92
	buffer_load_dword v112, off, s[0:3], 0 offset:88
	s_waitcnt vmcnt(2)
	v_fmac_f64_e32 v[104:105], v[108:109], v[110:111]
	ds_read2_b64 v[108:111], v106 offset0:61 offset1:62
	s_waitcnt vmcnt(0) lgkmcnt(0)
	v_fmac_f64_e32 v[104:105], v[112:113], v[108:109]
	buffer_load_dword v109, off, s[0:3], 0 offset:100
	buffer_load_dword v108, off, s[0:3], 0 offset:96
	buffer_load_dword v113, off, s[0:3], 0 offset:108
	buffer_load_dword v112, off, s[0:3], 0 offset:104
	s_waitcnt vmcnt(2)
	v_fmac_f64_e32 v[104:105], v[108:109], v[110:111]
	ds_read2_b64 v[108:111], v106 offset0:63 offset1:64
	s_waitcnt vmcnt(0) lgkmcnt(0)
	v_fmac_f64_e32 v[104:105], v[112:113], v[108:109]
	;; [unrolled: 9-line block ×19, first 2 shown]
	buffer_load_dword v109, off, s[0:3], 0 offset:388
	buffer_load_dword v108, off, s[0:3], 0 offset:384
	s_waitcnt vmcnt(0)
	v_fmac_f64_e32 v[104:105], v[108:109], v[110:111]
	buffer_load_dword v109, off, s[0:3], 0 offset:396
	buffer_load_dword v108, off, s[0:3], 0 offset:392
	ds_read_b64 v[110:111], v106 offset:792
	s_waitcnt vmcnt(0) lgkmcnt(0)
	v_fmac_f64_e32 v[104:105], v[108:109], v[110:111]
	v_add_f64 v[102:103], v[102:103], -v[104:105]
	buffer_store_dword v103, off, s[0:3], 0 offset:20
	buffer_store_dword v102, off, s[0:3], 0 offset:16
	s_and_saveexec_b64 s[4:5], vcc
	s_cbranch_execz .LBB113_305
; %bb.304:
	buffer_load_dword v102, off, s[0:3], 0 offset:8
	buffer_load_dword v103, off, s[0:3], 0 offset:12
	s_waitcnt vmcnt(0)
	ds_write_b64 v1, v[102:103]
	buffer_store_dword v106, off, s[0:3], 0 offset:8
	buffer_store_dword v106, off, s[0:3], 0 offset:12
.LBB113_305:
	s_or_b64 exec, exec, s[4:5]
	s_waitcnt lgkmcnt(0)
	; wave barrier
	s_waitcnt lgkmcnt(0)
	buffer_load_dword v102, off, s[0:3], 0 offset:8
	buffer_load_dword v103, off, s[0:3], 0 offset:12
	;; [unrolled: 1-line block ×16, first 2 shown]
	ds_read_b128 v[108:111], v106 offset:416
	ds_read_b128 v[112:115], v106 offset:432
	;; [unrolled: 1-line block ×4, first 2 shown]
	v_cmp_ne_u32_e32 vcc, 0, v0
	s_waitcnt vmcnt(12) lgkmcnt(3)
	v_fma_f64 v[104:105], v[104:105], v[108:109], 0
	buffer_load_dword v109, off, s[0:3], 0 offset:76
	buffer_load_dword v108, off, s[0:3], 0 offset:72
	s_waitcnt vmcnt(12)
	v_fmac_f64_e32 v[104:105], v[124:125], v[110:111]
	s_waitcnt vmcnt(10) lgkmcnt(2)
	v_fmac_f64_e32 v[104:105], v[126:127], v[112:113]
	buffer_load_dword v113, off, s[0:3], 0 offset:84
	buffer_load_dword v112, off, s[0:3], 0 offset:80
	s_waitcnt vmcnt(10)
	v_fmac_f64_e32 v[104:105], v[128:129], v[114:115]
	s_waitcnt vmcnt(8) lgkmcnt(1)
	v_fmac_f64_e32 v[104:105], v[130:131], v[116:117]
	s_waitcnt vmcnt(6)
	v_fmac_f64_e32 v[104:105], v[132:133], v[118:119]
	s_waitcnt vmcnt(4) lgkmcnt(0)
	v_fmac_f64_e32 v[104:105], v[134:135], v[120:121]
	s_waitcnt vmcnt(2)
	v_fmac_f64_e32 v[104:105], v[108:109], v[122:123]
	ds_read_b128 v[108:111], v106 offset:480
	s_waitcnt vmcnt(0) lgkmcnt(0)
	v_fmac_f64_e32 v[104:105], v[112:113], v[108:109]
	buffer_load_dword v109, off, s[0:3], 0 offset:92
	buffer_load_dword v108, off, s[0:3], 0 offset:88
	buffer_load_dword v113, off, s[0:3], 0 offset:100
	buffer_load_dword v112, off, s[0:3], 0 offset:96
	s_waitcnt vmcnt(2)
	v_fmac_f64_e32 v[104:105], v[108:109], v[110:111]
	ds_read_b128 v[108:111], v106 offset:496
	s_waitcnt vmcnt(0) lgkmcnt(0)
	v_fmac_f64_e32 v[104:105], v[112:113], v[108:109]
	buffer_load_dword v109, off, s[0:3], 0 offset:108
	buffer_load_dword v108, off, s[0:3], 0 offset:104
	buffer_load_dword v113, off, s[0:3], 0 offset:116
	buffer_load_dword v112, off, s[0:3], 0 offset:112
	;; [unrolled: 9-line block ×18, first 2 shown]
	s_waitcnt vmcnt(2)
	v_fmac_f64_e32 v[104:105], v[108:109], v[110:111]
	ds_read_b128 v[108:111], v106 offset:768
	s_waitcnt vmcnt(0) lgkmcnt(0)
	v_fmac_f64_e32 v[104:105], v[112:113], v[108:109]
	buffer_load_dword v109, off, s[0:3], 0 offset:380
	buffer_load_dword v108, off, s[0:3], 0 offset:376
	s_waitcnt vmcnt(0)
	v_fmac_f64_e32 v[104:105], v[108:109], v[110:111]
	buffer_load_dword v111, off, s[0:3], 0 offset:388
	buffer_load_dword v110, off, s[0:3], 0 offset:384
	ds_read_b128 v[106:109], v106 offset:784
	s_waitcnt vmcnt(0) lgkmcnt(0)
	v_fmac_f64_e32 v[104:105], v[110:111], v[106:107]
	buffer_load_dword v107, off, s[0:3], 0 offset:396
	buffer_load_dword v106, off, s[0:3], 0 offset:392
	s_waitcnt vmcnt(0)
	v_fmac_f64_e32 v[104:105], v[106:107], v[108:109]
	v_add_f64 v[102:103], v[102:103], -v[104:105]
	buffer_store_dword v103, off, s[0:3], 0 offset:12
	buffer_store_dword v102, off, s[0:3], 0 offset:8
	s_and_saveexec_b64 s[4:5], vcc
	s_cbranch_execz .LBB113_307
; %bb.306:
	buffer_load_dword v102, off, s[0:3], 0
	buffer_load_dword v103, off, s[0:3], 0 offset:4
	v_mov_b32_e32 v0, 0
	buffer_store_dword v0, off, s[0:3], 0
	buffer_store_dword v0, off, s[0:3], 0 offset:4
	s_waitcnt vmcnt(2)
	ds_write_b64 v1, v[102:103]
.LBB113_307:
	s_or_b64 exec, exec, s[4:5]
	s_waitcnt lgkmcnt(0)
	; wave barrier
	s_waitcnt lgkmcnt(0)
	buffer_load_dword v0, off, s[0:3], 0
	buffer_load_dword v1, off, s[0:3], 0 offset:4
	buffer_load_dword v108, off, s[0:3], 0 offset:8
	;; [unrolled: 1-line block ×15, first 2 shown]
	v_mov_b32_e32 v106, 0
	ds_read2_b64 v[102:105], v106 offset0:51 offset1:52
	s_and_b64 vcc, exec, s[16:17]
	s_waitcnt vmcnt(12) lgkmcnt(0)
	v_fma_f64 v[102:103], v[108:109], v[102:103], 0
	s_waitcnt vmcnt(10)
	v_fmac_f64_e32 v[102:103], v[110:111], v[104:105]
	ds_read2_b64 v[108:111], v106 offset0:53 offset1:54
	s_waitcnt vmcnt(8) lgkmcnt(0)
	v_fmac_f64_e32 v[102:103], v[112:113], v[108:109]
	s_waitcnt vmcnt(6)
	v_fmac_f64_e32 v[102:103], v[114:115], v[110:111]
	ds_read2_b64 v[108:111], v106 offset0:55 offset1:56
	s_waitcnt vmcnt(4) lgkmcnt(0)
	v_fmac_f64_e32 v[102:103], v[116:117], v[108:109]
	s_waitcnt vmcnt(2)
	v_fmac_f64_e32 v[102:103], v[118:119], v[110:111]
	ds_read2_b64 v[108:111], v106 offset0:57 offset1:58
	buffer_load_dword v105, off, s[0:3], 0 offset:68
	buffer_load_dword v104, off, s[0:3], 0 offset:64
	s_waitcnt vmcnt(2) lgkmcnt(0)
	v_fmac_f64_e32 v[102:103], v[120:121], v[108:109]
	s_waitcnt vmcnt(0)
	v_fmac_f64_e32 v[102:103], v[104:105], v[110:111]
	buffer_load_dword v105, off, s[0:3], 0 offset:76
	buffer_load_dword v104, off, s[0:3], 0 offset:72
	ds_read2_b64 v[108:111], v106 offset0:59 offset1:60
	s_waitcnt vmcnt(0) lgkmcnt(0)
	v_fmac_f64_e32 v[102:103], v[104:105], v[108:109]
	buffer_load_dword v105, off, s[0:3], 0 offset:84
	buffer_load_dword v104, off, s[0:3], 0 offset:80
	s_waitcnt vmcnt(0)
	v_fmac_f64_e32 v[102:103], v[104:105], v[110:111]
	buffer_load_dword v105, off, s[0:3], 0 offset:92
	buffer_load_dword v104, off, s[0:3], 0 offset:88
	ds_read2_b64 v[108:111], v106 offset0:61 offset1:62
	s_waitcnt vmcnt(0) lgkmcnt(0)
	v_fmac_f64_e32 v[102:103], v[104:105], v[108:109]
	buffer_load_dword v105, off, s[0:3], 0 offset:100
	buffer_load_dword v104, off, s[0:3], 0 offset:96
	;; [unrolled: 9-line block ×20, first 2 shown]
	buffer_load_dword v109, off, s[0:3], 0 offset:396
	buffer_load_dword v108, off, s[0:3], 0 offset:392
	ds_read_b64 v[106:107], v106 offset:792
	s_waitcnt vmcnt(2)
	v_fmac_f64_e32 v[102:103], v[104:105], v[110:111]
	s_waitcnt vmcnt(0) lgkmcnt(0)
	v_fmac_f64_e32 v[102:103], v[108:109], v[106:107]
	v_add_f64 v[0:1], v[0:1], -v[102:103]
	buffer_store_dword v1, off, s[0:3], 0 offset:4
	buffer_store_dword v0, off, s[0:3], 0
	s_cbranch_vccz .LBB113_407
; %bb.308:
	v_pk_mov_b32 v[0:1], s[10:11], s[10:11] op_sel:[0,1]
	flat_load_dword v0, v[0:1] offset:192
	s_waitcnt vmcnt(0) lgkmcnt(0)
	v_add_u32_e32 v0, -1, v0
	v_cmp_ne_u32_e32 vcc, 48, v0
	s_and_saveexec_b64 s[4:5], vcc
	s_cbranch_execz .LBB113_310
; %bb.309:
	v_mov_b32_e32 v1, 0
	v_lshl_add_u32 v0, v0, 3, v1
	buffer_load_dword v1, v0, s[0:3], 0 offen offset:4
	buffer_load_dword v102, v0, s[0:3], 0 offen
	s_waitcnt vmcnt(1)
	buffer_store_dword v1, off, s[0:3], 0 offset:388
	s_waitcnt vmcnt(1)
	buffer_store_dword v102, off, s[0:3], 0 offset:384
	buffer_store_dword v105, v0, s[0:3], 0 offen offset:4
	buffer_store_dword v104, v0, s[0:3], 0 offen
.LBB113_310:
	s_or_b64 exec, exec, s[4:5]
	v_pk_mov_b32 v[0:1], s[10:11], s[10:11] op_sel:[0,1]
	flat_load_dword v0, v[0:1] offset:188
	s_waitcnt vmcnt(0) lgkmcnt(0)
	v_add_u32_e32 v0, -1, v0
	v_cmp_ne_u32_e32 vcc, 47, v0
	s_and_saveexec_b64 s[4:5], vcc
	s_cbranch_execz .LBB113_312
; %bb.311:
	v_mov_b32_e32 v1, 0
	v_lshl_add_u32 v0, v0, 3, v1
	buffer_load_dword v1, v0, s[0:3], 0 offen
	buffer_load_dword v102, v0, s[0:3], 0 offen offset:4
	buffer_load_dword v103, off, s[0:3], 0 offset:376
	buffer_load_dword v104, off, s[0:3], 0 offset:380
	s_waitcnt vmcnt(3)
	buffer_store_dword v1, off, s[0:3], 0 offset:376
	s_waitcnt vmcnt(3)
	buffer_store_dword v102, off, s[0:3], 0 offset:380
	s_waitcnt vmcnt(3)
	buffer_store_dword v103, v0, s[0:3], 0 offen
	s_waitcnt vmcnt(3)
	buffer_store_dword v104, v0, s[0:3], 0 offen offset:4
.LBB113_312:
	s_or_b64 exec, exec, s[4:5]
	v_pk_mov_b32 v[0:1], s[10:11], s[10:11] op_sel:[0,1]
	flat_load_dword v0, v[0:1] offset:184
	s_waitcnt vmcnt(0) lgkmcnt(0)
	v_add_u32_e32 v0, -1, v0
	v_cmp_ne_u32_e32 vcc, 46, v0
	s_and_saveexec_b64 s[4:5], vcc
	s_cbranch_execz .LBB113_314
; %bb.313:
	v_mov_b32_e32 v1, 0
	v_lshl_add_u32 v0, v0, 3, v1
	buffer_load_dword v1, v0, s[0:3], 0 offen
	buffer_load_dword v102, v0, s[0:3], 0 offen offset:4
	buffer_load_dword v103, off, s[0:3], 0 offset:372
	buffer_load_dword v104, off, s[0:3], 0 offset:368
	s_waitcnt vmcnt(3)
	buffer_store_dword v1, off, s[0:3], 0 offset:368
	s_waitcnt vmcnt(3)
	buffer_store_dword v102, off, s[0:3], 0 offset:372
	s_waitcnt vmcnt(3)
	buffer_store_dword v103, v0, s[0:3], 0 offen offset:4
	s_waitcnt vmcnt(3)
	buffer_store_dword v104, v0, s[0:3], 0 offen
.LBB113_314:
	s_or_b64 exec, exec, s[4:5]
	v_pk_mov_b32 v[0:1], s[10:11], s[10:11] op_sel:[0,1]
	flat_load_dword v0, v[0:1] offset:180
	s_waitcnt vmcnt(0) lgkmcnt(0)
	v_add_u32_e32 v0, -1, v0
	v_cmp_ne_u32_e32 vcc, 45, v0
	s_and_saveexec_b64 s[4:5], vcc
	s_cbranch_execz .LBB113_316
; %bb.315:
	v_mov_b32_e32 v1, 0
	v_lshl_add_u32 v0, v0, 3, v1
	buffer_load_dword v1, v0, s[0:3], 0 offen
	buffer_load_dword v102, v0, s[0:3], 0 offen offset:4
	buffer_load_dword v103, off, s[0:3], 0 offset:360
	buffer_load_dword v104, off, s[0:3], 0 offset:364
	s_waitcnt vmcnt(3)
	buffer_store_dword v1, off, s[0:3], 0 offset:360
	s_waitcnt vmcnt(3)
	buffer_store_dword v102, off, s[0:3], 0 offset:364
	s_waitcnt vmcnt(3)
	buffer_store_dword v103, v0, s[0:3], 0 offen
	s_waitcnt vmcnt(3)
	buffer_store_dword v104, v0, s[0:3], 0 offen offset:4
.LBB113_316:
	s_or_b64 exec, exec, s[4:5]
	v_pk_mov_b32 v[0:1], s[10:11], s[10:11] op_sel:[0,1]
	flat_load_dword v0, v[0:1] offset:176
	s_waitcnt vmcnt(0) lgkmcnt(0)
	v_add_u32_e32 v0, -1, v0
	v_cmp_ne_u32_e32 vcc, 44, v0
	s_and_saveexec_b64 s[4:5], vcc
	s_cbranch_execz .LBB113_318
; %bb.317:
	v_mov_b32_e32 v1, 0
	v_lshl_add_u32 v0, v0, 3, v1
	buffer_load_dword v1, v0, s[0:3], 0 offen
	buffer_load_dword v102, v0, s[0:3], 0 offen offset:4
	buffer_load_dword v103, off, s[0:3], 0 offset:356
	buffer_load_dword v104, off, s[0:3], 0 offset:352
	s_waitcnt vmcnt(3)
	buffer_store_dword v1, off, s[0:3], 0 offset:352
	s_waitcnt vmcnt(3)
	buffer_store_dword v102, off, s[0:3], 0 offset:356
	s_waitcnt vmcnt(3)
	buffer_store_dword v103, v0, s[0:3], 0 offen offset:4
	s_waitcnt vmcnt(3)
	buffer_store_dword v104, v0, s[0:3], 0 offen
.LBB113_318:
	;; [unrolled: 48-line block ×23, first 2 shown]
	s_or_b64 exec, exec, s[4:5]
	v_pk_mov_b32 v[0:1], s[10:11], s[10:11] op_sel:[0,1]
	flat_load_dword v0, v[0:1] offset:4
	s_waitcnt vmcnt(0) lgkmcnt(0)
	v_add_u32_e32 v0, -1, v0
	v_cmp_ne_u32_e32 vcc, 1, v0
	s_and_saveexec_b64 s[4:5], vcc
	s_cbranch_execz .LBB113_404
; %bb.403:
	v_mov_b32_e32 v1, 0
	v_lshl_add_u32 v0, v0, 3, v1
	buffer_load_dword v1, v0, s[0:3], 0 offen
	buffer_load_dword v102, v0, s[0:3], 0 offen offset:4
	buffer_load_dword v103, off, s[0:3], 0 offset:8
	buffer_load_dword v104, off, s[0:3], 0 offset:12
	s_waitcnt vmcnt(3)
	buffer_store_dword v1, off, s[0:3], 0 offset:8
	s_waitcnt vmcnt(3)
	buffer_store_dword v102, off, s[0:3], 0 offset:12
	s_waitcnt vmcnt(3)
	buffer_store_dword v103, v0, s[0:3], 0 offen
	s_waitcnt vmcnt(3)
	buffer_store_dword v104, v0, s[0:3], 0 offen offset:4
.LBB113_404:
	s_or_b64 exec, exec, s[4:5]
	v_pk_mov_b32 v[0:1], s[10:11], s[10:11] op_sel:[0,1]
	flat_load_dword v102, v[0:1]
	s_nop 0
	buffer_load_dword v0, off, s[0:3], 0
	buffer_load_dword v1, off, s[0:3], 0 offset:4
	s_waitcnt vmcnt(0) lgkmcnt(0)
	v_add_u32_e32 v102, -1, v102
	v_cmp_ne_u32_e32 vcc, 0, v102
	s_and_saveexec_b64 s[4:5], vcc
	s_cbranch_execz .LBB113_406
; %bb.405:
	v_mov_b32_e32 v103, 0
	v_lshl_add_u32 v102, v102, 3, v103
	buffer_load_dword v103, v102, s[0:3], 0 offen offset:4
	buffer_load_dword v104, v102, s[0:3], 0 offen
	s_waitcnt vmcnt(1)
	buffer_store_dword v103, off, s[0:3], 0 offset:4
	s_waitcnt vmcnt(1)
	buffer_store_dword v104, off, s[0:3], 0
	buffer_store_dword v1, v102, s[0:3], 0 offen offset:4
	buffer_store_dword v0, v102, s[0:3], 0 offen
	buffer_load_dword v0, off, s[0:3], 0
	s_nop 0
	buffer_load_dword v1, off, s[0:3], 0 offset:4
.LBB113_406:
	s_or_b64 exec, exec, s[4:5]
.LBB113_407:
	s_waitcnt vmcnt(0)
	global_store_dwordx2 v[100:101], v[0:1], off
	buffer_load_dword v0, off, s[0:3], 0 offset:8
	s_nop 0
	buffer_load_dword v1, off, s[0:3], 0 offset:12
	buffer_load_dword v100, off, s[0:3], 0 offset:16
	;; [unrolled: 1-line block ×15, first 2 shown]
	s_waitcnt vmcnt(14)
	global_store_dwordx2 v[98:99], v[0:1], off
	s_waitcnt vmcnt(13)
	global_store_dwordx2 v[2:3], v[100:101], off
	;; [unrolled: 2-line block ×8, first 2 shown]
	buffer_load_dword v0, off, s[0:3], 0 offset:72
	buffer_load_dword v1, off, s[0:3], 0 offset:76
	s_waitcnt vmcnt(0)
	global_store_dwordx2 v[14:15], v[0:1], off
	buffer_load_dword v0, off, s[0:3], 0 offset:80
	s_nop 0
	buffer_load_dword v1, off, s[0:3], 0 offset:84
	s_waitcnt vmcnt(0)
	global_store_dwordx2 v[16:17], v[0:1], off
	buffer_load_dword v0, off, s[0:3], 0 offset:88
	s_nop 0
	;; [unrolled: 5-line block ×40, first 2 shown]
	buffer_load_dword v1, off, s[0:3], 0 offset:396
	s_waitcnt vmcnt(0)
	global_store_dwordx2 v[82:83], v[0:1], off
	s_endpgm
	.section	.rodata,"a",@progbits
	.p2align	6, 0x0
	.amdhsa_kernel _ZN9rocsolver6v33100L18getri_kernel_smallILi50EdPKPdEEvT1_iilPiilS6_bb
		.amdhsa_group_segment_fixed_size 808
		.amdhsa_private_segment_fixed_size 416
		.amdhsa_kernarg_size 60
		.amdhsa_user_sgpr_count 8
		.amdhsa_user_sgpr_private_segment_buffer 1
		.amdhsa_user_sgpr_dispatch_ptr 0
		.amdhsa_user_sgpr_queue_ptr 0
		.amdhsa_user_sgpr_kernarg_segment_ptr 1
		.amdhsa_user_sgpr_dispatch_id 0
		.amdhsa_user_sgpr_flat_scratch_init 1
		.amdhsa_user_sgpr_kernarg_preload_length 0
		.amdhsa_user_sgpr_kernarg_preload_offset 0
		.amdhsa_user_sgpr_private_segment_size 0
		.amdhsa_uses_dynamic_stack 0
		.amdhsa_system_sgpr_private_segment_wavefront_offset 1
		.amdhsa_system_sgpr_workgroup_id_x 1
		.amdhsa_system_sgpr_workgroup_id_y 0
		.amdhsa_system_sgpr_workgroup_id_z 0
		.amdhsa_system_sgpr_workgroup_info 0
		.amdhsa_system_vgpr_workitem_id 0
		.amdhsa_next_free_vgpr 166
		.amdhsa_next_free_sgpr 22
		.amdhsa_accum_offset 168
		.amdhsa_reserve_vcc 1
		.amdhsa_reserve_flat_scratch 1
		.amdhsa_float_round_mode_32 0
		.amdhsa_float_round_mode_16_64 0
		.amdhsa_float_denorm_mode_32 3
		.amdhsa_float_denorm_mode_16_64 3
		.amdhsa_dx10_clamp 1
		.amdhsa_ieee_mode 1
		.amdhsa_fp16_overflow 0
		.amdhsa_tg_split 0
		.amdhsa_exception_fp_ieee_invalid_op 0
		.amdhsa_exception_fp_denorm_src 0
		.amdhsa_exception_fp_ieee_div_zero 0
		.amdhsa_exception_fp_ieee_overflow 0
		.amdhsa_exception_fp_ieee_underflow 0
		.amdhsa_exception_fp_ieee_inexact 0
		.amdhsa_exception_int_div_zero 0
	.end_amdhsa_kernel
	.section	.text._ZN9rocsolver6v33100L18getri_kernel_smallILi50EdPKPdEEvT1_iilPiilS6_bb,"axG",@progbits,_ZN9rocsolver6v33100L18getri_kernel_smallILi50EdPKPdEEvT1_iilPiilS6_bb,comdat
.Lfunc_end113:
	.size	_ZN9rocsolver6v33100L18getri_kernel_smallILi50EdPKPdEEvT1_iilPiilS6_bb, .Lfunc_end113-_ZN9rocsolver6v33100L18getri_kernel_smallILi50EdPKPdEEvT1_iilPiilS6_bb
                                        ; -- End function
	.section	.AMDGPU.csdata,"",@progbits
; Kernel info:
; codeLenInByte = 60548
; NumSgprs: 28
; NumVgprs: 166
; NumAgprs: 0
; TotalNumVgprs: 166
; ScratchSize: 416
; MemoryBound: 1
; FloatMode: 240
; IeeeMode: 1
; LDSByteSize: 808 bytes/workgroup (compile time only)
; SGPRBlocks: 3
; VGPRBlocks: 20
; NumSGPRsForWavesPerEU: 28
; NumVGPRsForWavesPerEU: 166
; AccumOffset: 168
; Occupancy: 3
; WaveLimiterHint : 1
; COMPUTE_PGM_RSRC2:SCRATCH_EN: 1
; COMPUTE_PGM_RSRC2:USER_SGPR: 8
; COMPUTE_PGM_RSRC2:TRAP_HANDLER: 0
; COMPUTE_PGM_RSRC2:TGID_X_EN: 1
; COMPUTE_PGM_RSRC2:TGID_Y_EN: 0
; COMPUTE_PGM_RSRC2:TGID_Z_EN: 0
; COMPUTE_PGM_RSRC2:TIDIG_COMP_CNT: 0
; COMPUTE_PGM_RSRC3_GFX90A:ACCUM_OFFSET: 41
; COMPUTE_PGM_RSRC3_GFX90A:TG_SPLIT: 0
	.section	.text._ZN9rocsolver6v33100L18getri_kernel_smallILi51EdPKPdEEvT1_iilPiilS6_bb,"axG",@progbits,_ZN9rocsolver6v33100L18getri_kernel_smallILi51EdPKPdEEvT1_iilPiilS6_bb,comdat
	.globl	_ZN9rocsolver6v33100L18getri_kernel_smallILi51EdPKPdEEvT1_iilPiilS6_bb ; -- Begin function _ZN9rocsolver6v33100L18getri_kernel_smallILi51EdPKPdEEvT1_iilPiilS6_bb
	.p2align	8
	.type	_ZN9rocsolver6v33100L18getri_kernel_smallILi51EdPKPdEEvT1_iilPiilS6_bb,@function
_ZN9rocsolver6v33100L18getri_kernel_smallILi51EdPKPdEEvT1_iilPiilS6_bb: ; @_ZN9rocsolver6v33100L18getri_kernel_smallILi51EdPKPdEEvT1_iilPiilS6_bb
; %bb.0:
	s_add_u32 flat_scratch_lo, s6, s9
	s_addc_u32 flat_scratch_hi, s7, 0
	s_add_u32 s0, s0, s9
	s_addc_u32 s1, s1, 0
	v_cmp_gt_u32_e32 vcc, 51, v0
	s_and_saveexec_b64 s[6:7], vcc
	s_cbranch_execz .LBB114_212
; %bb.1:
	s_load_dword s18, s[4:5], 0x38
	s_load_dwordx2 s[6:7], s[4:5], 0x0
	s_load_dwordx4 s[12:15], s[4:5], 0x28
	s_waitcnt lgkmcnt(0)
	s_bitcmp1_b32 s18, 8
	s_cselect_b64 s[16:17], -1, 0
	s_ashr_i32 s9, s8, 31
	s_lshl_b64 s[10:11], s[8:9], 3
	s_add_u32 s6, s6, s10
	s_addc_u32 s7, s7, s11
	s_load_dwordx2 s[6:7], s[6:7], 0x0
	s_bfe_u32 s10, s18, 0x10008
	s_cmp_eq_u32 s10, 0
                                        ; implicit-def: $sgpr10_sgpr11
	s_cbranch_scc1 .LBB114_3
; %bb.2:
	s_load_dword s10, s[4:5], 0x20
	s_load_dwordx2 s[20:21], s[4:5], 0x18
	s_mul_i32 s11, s8, s13
	s_mul_hi_u32 s13, s8, s12
	s_add_i32 s13, s13, s11
	s_mul_i32 s19, s9, s12
	s_add_i32 s13, s13, s19
	s_mul_i32 s12, s8, s12
	s_waitcnt lgkmcnt(0)
	s_ashr_i32 s11, s10, 31
	s_lshl_b64 s[12:13], s[12:13], 2
	s_add_u32 s12, s20, s12
	s_addc_u32 s13, s21, s13
	s_lshl_b64 s[10:11], s[10:11], 2
	s_add_u32 s10, s12, s10
	s_addc_u32 s11, s13, s11
.LBB114_3:
	s_load_dwordx2 s[4:5], s[4:5], 0x8
	s_waitcnt lgkmcnt(0)
	s_ashr_i32 s13, s4, 31
	s_mov_b32 s12, s4
	s_lshl_b64 s[12:13], s[12:13], 3
	s_add_u32 s6, s6, s12
	s_addc_u32 s7, s7, s13
	s_add_i32 s4, s5, s5
	v_add_u32_e32 v4, s4, v0
	v_ashrrev_i32_e32 v5, 31, v4
	v_lshlrev_b64 v[2:3], 3, v[4:5]
	v_add_u32_e32 v6, s5, v4
	v_mov_b32_e32 v1, s7
	v_add_co_u32_e32 v2, vcc, s6, v2
	v_ashrrev_i32_e32 v7, 31, v6
	v_addc_co_u32_e32 v3, vcc, v1, v3, vcc
	v_lshlrev_b64 v[4:5], 3, v[6:7]
	v_add_u32_e32 v8, s5, v6
	v_add_co_u32_e32 v4, vcc, s6, v4
	v_ashrrev_i32_e32 v9, 31, v8
	v_addc_co_u32_e32 v5, vcc, v1, v5, vcc
	v_lshlrev_b64 v[6:7], 3, v[8:9]
	v_add_u32_e32 v10, s5, v8
	v_add_co_u32_e32 v6, vcc, s6, v6
	v_ashrrev_i32_e32 v11, 31, v10
	v_addc_co_u32_e32 v7, vcc, v1, v7, vcc
	v_lshlrev_b64 v[8:9], 3, v[10:11]
	v_add_u32_e32 v12, s5, v10
	v_add_co_u32_e32 v8, vcc, s6, v8
	v_ashrrev_i32_e32 v13, 31, v12
	v_addc_co_u32_e32 v9, vcc, v1, v9, vcc
	v_lshlrev_b64 v[10:11], 3, v[12:13]
	v_add_u32_e32 v14, s5, v12
	v_add_co_u32_e32 v10, vcc, s6, v10
	v_ashrrev_i32_e32 v15, 31, v14
	v_addc_co_u32_e32 v11, vcc, v1, v11, vcc
	v_lshlrev_b64 v[12:13], 3, v[14:15]
	v_add_u32_e32 v14, s5, v14
	v_add_co_u32_e32 v12, vcc, s6, v12
	v_ashrrev_i32_e32 v15, 31, v14
	v_addc_co_u32_e32 v13, vcc, v1, v13, vcc
	v_lshlrev_b64 v[16:17], 3, v[14:15]
	v_add_co_u32_e32 v18, vcc, s6, v16
	v_add_u32_e32 v16, s5, v14
	v_addc_co_u32_e32 v19, vcc, v1, v17, vcc
	v_ashrrev_i32_e32 v17, 31, v16
	v_lshlrev_b64 v[14:15], 3, v[16:17]
	v_add_u32_e32 v20, s5, v16
	v_add_co_u32_e32 v14, vcc, s6, v14
	v_ashrrev_i32_e32 v21, 31, v20
	v_addc_co_u32_e32 v15, vcc, v1, v15, vcc
	v_lshlrev_b64 v[16:17], 3, v[20:21]
	v_add_u32_e32 v22, s5, v20
	v_add_co_u32_e32 v16, vcc, s6, v16
	v_ashrrev_i32_e32 v23, 31, v22
	v_addc_co_u32_e32 v17, vcc, v1, v17, vcc
	;; [unrolled: 5-line block ×33, first 2 shown]
	v_lshlrev_b64 v[82:83], 3, v[84:85]
	v_add_co_u32_e32 v82, vcc, s6, v82
	v_add_u32_e32 v84, s5, v84
	v_addc_co_u32_e32 v83, vcc, v1, v83, vcc
	v_ashrrev_i32_e32 v85, 31, v84
	v_lshlrev_b32_e32 v1, 3, v0
	v_lshlrev_b64 v[86:87], 3, v[84:85]
	v_mov_b32_e32 v85, s7
	v_add_co_u32_e32 v102, vcc, s6, v1
	s_ashr_i32 s13, s5, 31
	s_mov_b32 s12, s5
	v_addc_co_u32_e32 v103, vcc, 0, v85, vcc
	s_lshl_b64 s[12:13], s[12:13], 3
	v_mov_b32_e32 v85, s13
	v_add_co_u32_e32 v100, vcc, s12, v102
	global_load_dwordx2 v[104:105], v1, s[6:7]
	global_load_dwordx2 v[108:109], v[2:3], off
	global_load_dwordx2 v[110:111], v[4:5], off
	;; [unrolled: 1-line block ×3, first 2 shown]
	v_addc_co_u32_e32 v101, vcc, v103, v85, vcc
	global_load_dwordx2 v[106:107], v[100:101], off
	global_load_dwordx2 v[114:115], v[8:9], off
	;; [unrolled: 1-line block ×17, first 2 shown]
	v_add_u32_e32 v84, s5, v84
	v_mov_b32_e32 v88, s7
	v_add_co_u32_e32 v86, vcc, s6, v86
	v_ashrrev_i32_e32 v85, 31, v84
	v_addc_co_u32_e32 v87, vcc, v88, v87, vcc
	v_lshlrev_b64 v[88:89], 3, v[84:85]
	v_add_u32_e32 v84, s5, v84
	v_mov_b32_e32 v90, s7
	v_add_co_u32_e32 v88, vcc, s6, v88
	v_ashrrev_i32_e32 v85, 31, v84
	v_addc_co_u32_e32 v89, vcc, v90, v89, vcc
	v_lshlrev_b64 v[90:91], 3, v[84:85]
	;; [unrolled: 6-line block ×7, first 2 shown]
	v_add_co_u32_e32 v84, vcc, s6, v84
	v_addc_co_u32_e32 v85, vcc, v146, v85, vcc
	global_load_dwordx2 v[146:147], v[84:85], off
	s_waitcnt vmcnt(21)
	buffer_store_dword v105, off, s[0:3], 0 offset:4
	buffer_store_dword v104, off, s[0:3], 0
	s_waitcnt vmcnt(19)
	buffer_store_dword v107, off, s[0:3], 0 offset:12
	buffer_store_dword v106, off, s[0:3], 0 offset:8
	;; [unrolled: 1-line block ×8, first 2 shown]
	s_waitcnt vmcnt(26)
	buffer_store_dword v115, off, s[0:3], 0 offset:44
	buffer_store_dword v114, off, s[0:3], 0 offset:40
	s_waitcnt vmcnt(27)
	buffer_store_dword v117, off, s[0:3], 0 offset:52
	buffer_store_dword v116, off, s[0:3], 0 offset:48
	global_load_dwordx2 v[104:105], v[40:41], off
	global_load_dwordx2 v[106:107], v[42:43], off
	;; [unrolled: 1-line block ×15, first 2 shown]
	s_bitcmp0_b32 s18, 0
	s_waitcnt vmcnt(43)
	buffer_store_dword v119, off, s[0:3], 0 offset:60
	buffer_store_dword v118, off, s[0:3], 0 offset:56
	global_load_dwordx2 v[118:119], v[54:55], off
	s_mov_b64 s[6:7], -1
	s_waitcnt vmcnt(45)
	buffer_store_dword v121, off, s[0:3], 0 offset:68
	buffer_store_dword v120, off, s[0:3], 0 offset:64
	global_load_dwordx2 v[120:121], v[56:57], off
	s_waitcnt vmcnt(47)
	buffer_store_dword v122, off, s[0:3], 0 offset:72
	buffer_store_dword v123, off, s[0:3], 0 offset:76
	global_load_dwordx2 v[122:123], v[58:59], off
	;; [unrolled: 4-line block ×10, first 2 shown]
	s_nop 0
	buffer_store_dword v140, off, s[0:3], 0 offset:144
	buffer_store_dword v141, off, s[0:3], 0 offset:148
	global_load_dwordx2 v[140:141], v[90:91], off
	s_waitcnt vmcnt(62)
	buffer_store_dword v143, off, s[0:3], 0 offset:156
	buffer_store_dword v142, off, s[0:3], 0 offset:152
	global_load_dwordx2 v[142:143], v[94:95], off
	s_nop 0
	buffer_store_dword v145, off, s[0:3], 0 offset:164
	buffer_store_dword v144, off, s[0:3], 0 offset:160
	global_load_dwordx2 v[144:145], v[98:99], off
	s_waitcnt vmcnt(56)
	buffer_store_dword v104, off, s[0:3], 0 offset:168
	buffer_store_dword v105, off, s[0:3], 0 offset:172
	s_waitcnt vmcnt(57)
	buffer_store_dword v106, off, s[0:3], 0 offset:176
	buffer_store_dword v107, off, s[0:3], 0 offset:180
	;; [unrolled: 3-line block ×13, first 2 shown]
	buffer_store_dword v148, off, s[0:3], 0 offset:272
	buffer_store_dword v149, off, s[0:3], 0 offset:276
	s_waitcnt vmcnt(49)
	buffer_store_dword v130, off, s[0:3], 0 offset:280
	buffer_store_dword v131, off, s[0:3], 0 offset:284
	buffer_store_dword v150, off, s[0:3], 0 offset:288
	buffer_store_dword v151, off, s[0:3], 0 offset:292
	s_waitcnt vmcnt(50)
	buffer_store_dword v133, off, s[0:3], 0 offset:300
	buffer_store_dword v132, off, s[0:3], 0 offset:296
	;; [unrolled: 5-line block ×8, first 2 shown]
	buffer_store_dword v147, off, s[0:3], 0 offset:404
	buffer_store_dword v146, off, s[0:3], 0 offset:400
	s_cbranch_scc1 .LBB114_210
; %bb.4:
	v_cmp_eq_u32_e64 s[4:5], 0, v0
	s_and_saveexec_b64 s[6:7], s[4:5]
	s_cbranch_execz .LBB114_6
; %bb.5:
	v_mov_b32_e32 v104, 0
	ds_write_b32 v104, v104 offset:408
.LBB114_6:
	s_or_b64 exec, exec, s[6:7]
	v_mov_b32_e32 v104, 0
	v_lshl_add_u32 v104, v0, 3, v104
	s_waitcnt lgkmcnt(0)
	; wave barrier
	s_waitcnt lgkmcnt(0)
	buffer_load_dword v106, v104, s[0:3], 0 offen
	buffer_load_dword v107, v104, s[0:3], 0 offen offset:4
	s_waitcnt vmcnt(0)
	v_cmp_eq_f64_e32 vcc, 0, v[106:107]
	s_and_saveexec_b64 s[12:13], vcc
	s_cbranch_execz .LBB114_10
; %bb.7:
	v_mov_b32_e32 v105, 0
	ds_read_b32 v107, v105 offset:408
	v_add_u32_e32 v106, 1, v0
	s_waitcnt lgkmcnt(0)
	v_readfirstlane_b32 s6, v107
	s_cmp_eq_u32 s6, 0
	s_cselect_b64 s[18:19], -1, 0
	v_cmp_gt_i32_e32 vcc, s6, v106
	s_or_b64 s[18:19], s[18:19], vcc
	s_and_b64 exec, exec, s[18:19]
	s_cbranch_execz .LBB114_10
; %bb.8:
	s_mov_b64 s[18:19], 0
	v_mov_b32_e32 v107, s6
.LBB114_9:                              ; =>This Inner Loop Header: Depth=1
	ds_cmpst_rtn_b32 v107, v105, v107, v106 offset:408
	s_waitcnt lgkmcnt(0)
	v_cmp_ne_u32_e32 vcc, 0, v107
	v_cmp_le_i32_e64 s[6:7], v107, v106
	s_and_b64 s[6:7], vcc, s[6:7]
	s_and_b64 s[6:7], exec, s[6:7]
	s_or_b64 s[18:19], s[6:7], s[18:19]
	s_andn2_b64 exec, exec, s[18:19]
	s_cbranch_execnz .LBB114_9
.LBB114_10:
	s_or_b64 exec, exec, s[12:13]
	v_mov_b32_e32 v106, 0
	s_waitcnt lgkmcnt(0)
	; wave barrier
	ds_read_b32 v105, v106 offset:408
	s_and_saveexec_b64 s[6:7], s[4:5]
	s_cbranch_execz .LBB114_12
; %bb.11:
	s_lshl_b64 s[12:13], s[8:9], 2
	s_add_u32 s12, s14, s12
	s_addc_u32 s13, s15, s13
	s_waitcnt lgkmcnt(0)
	global_store_dword v106, v105, s[12:13]
.LBB114_12:
	s_or_b64 exec, exec, s[6:7]
	s_waitcnt lgkmcnt(0)
	v_cmp_ne_u32_e32 vcc, 0, v105
	s_mov_b64 s[6:7], 0
	s_cbranch_vccnz .LBB114_210
; %bb.13:
	buffer_load_dword v106, v104, s[0:3], 0 offen
	buffer_load_dword v107, v104, s[0:3], 0 offen offset:4
	s_waitcnt vmcnt(0)
	v_div_scale_f64 v[108:109], s[6:7], v[106:107], v[106:107], 1.0
	v_rcp_f64_e32 v[110:111], v[108:109]
	v_div_scale_f64 v[112:113], vcc, 1.0, v[106:107], 1.0
	v_fma_f64 v[114:115], -v[108:109], v[110:111], 1.0
	v_fmac_f64_e32 v[110:111], v[110:111], v[114:115]
	v_fma_f64 v[114:115], -v[108:109], v[110:111], 1.0
	v_fmac_f64_e32 v[110:111], v[110:111], v[114:115]
	v_mul_f64 v[114:115], v[112:113], v[110:111]
	v_fma_f64 v[108:109], -v[108:109], v[114:115], v[112:113]
	v_div_fmas_f64 v[108:109], v[108:109], v[110:111], v[114:115]
	v_div_fixup_f64 v[108:109], v[108:109], v[106:107], 1.0
	buffer_store_dword v109, v104, s[0:3], 0 offen offset:4
	buffer_store_dword v108, v104, s[0:3], 0 offen
	buffer_load_dword v111, off, s[0:3], 0 offset:12
	buffer_load_dword v110, off, s[0:3], 0 offset:8
	v_add_u32_e32 v106, 0x1a0, v1
	v_xor_b32_e32 v109, 0x80000000, v109
	s_waitcnt vmcnt(0)
	ds_write2_b64 v1, v[108:109], v[110:111] offset1:52
	s_waitcnt lgkmcnt(0)
	; wave barrier
	s_waitcnt lgkmcnt(0)
	s_and_saveexec_b64 s[6:7], s[4:5]
	s_cbranch_execz .LBB114_15
; %bb.14:
	buffer_load_dword v108, v104, s[0:3], 0 offen
	buffer_load_dword v109, v104, s[0:3], 0 offen offset:4
	v_mov_b32_e32 v105, 0
	ds_read_b64 v[110:111], v106
	ds_read_b64 v[112:113], v105 offset:8
	s_waitcnt vmcnt(0) lgkmcnt(1)
	v_fma_f64 v[108:109], v[108:109], v[110:111], 0
	s_waitcnt lgkmcnt(0)
	v_mul_f64 v[108:109], v[108:109], v[112:113]
	buffer_store_dword v108, off, s[0:3], 0 offset:8
	buffer_store_dword v109, off, s[0:3], 0 offset:12
.LBB114_15:
	s_or_b64 exec, exec, s[6:7]
	s_waitcnt lgkmcnt(0)
	; wave barrier
	buffer_load_dword v108, off, s[0:3], 0 offset:16
	buffer_load_dword v109, off, s[0:3], 0 offset:20
	v_cmp_gt_u32_e32 vcc, 2, v0
	s_waitcnt vmcnt(0)
	ds_write_b64 v106, v[108:109]
	s_waitcnt lgkmcnt(0)
	; wave barrier
	s_waitcnt lgkmcnt(0)
	s_and_saveexec_b64 s[6:7], vcc
	s_cbranch_execz .LBB114_17
; %bb.16:
	buffer_load_dword v105, v104, s[0:3], 0 offen offset:4
	buffer_load_dword v112, off, s[0:3], 0 offset:8
	s_nop 0
	buffer_load_dword v104, v104, s[0:3], 0 offen
	s_nop 0
	buffer_load_dword v113, off, s[0:3], 0 offset:12
	ds_read_b64 v[114:115], v106
	v_mov_b32_e32 v107, 0
	ds_read2_b64 v[108:111], v107 offset0:2 offset1:53
	s_waitcnt vmcnt(1) lgkmcnt(1)
	v_fma_f64 v[104:105], v[104:105], v[114:115], 0
	s_waitcnt vmcnt(0) lgkmcnt(0)
	v_fma_f64 v[110:111], v[112:113], v[110:111], v[104:105]
	v_cndmask_b32_e64 v105, v105, v111, s[4:5]
	v_cndmask_b32_e64 v104, v104, v110, s[4:5]
	v_mul_f64 v[104:105], v[104:105], v[108:109]
	buffer_store_dword v105, off, s[0:3], 0 offset:20
	buffer_store_dword v104, off, s[0:3], 0 offset:16
.LBB114_17:
	s_or_b64 exec, exec, s[6:7]
	s_waitcnt lgkmcnt(0)
	; wave barrier
	buffer_load_dword v104, off, s[0:3], 0 offset:24
	buffer_load_dword v105, off, s[0:3], 0 offset:28
	v_cmp_gt_u32_e32 vcc, 3, v0
	v_add_u32_e32 v107, -1, v0
	s_waitcnt vmcnt(0)
	ds_write_b64 v106, v[104:105]
	s_waitcnt lgkmcnt(0)
	; wave barrier
	s_waitcnt lgkmcnt(0)
	s_and_saveexec_b64 s[4:5], vcc
	s_cbranch_execz .LBB114_21
; %bb.18:
	v_add_u32_e32 v108, -1, v0
	v_add_u32_e32 v109, 0x1a0, v1
	v_add_u32_e32 v110, 0, v1
	s_mov_b64 s[6:7], 0
	v_pk_mov_b32 v[104:105], 0, 0
.LBB114_19:                             ; =>This Inner Loop Header: Depth=1
	buffer_load_dword v112, v110, s[0:3], 0 offen
	buffer_load_dword v113, v110, s[0:3], 0 offen offset:4
	ds_read_b64 v[114:115], v109
	v_add_u32_e32 v108, 1, v108
	v_cmp_lt_u32_e32 vcc, 1, v108
	v_add_u32_e32 v109, 8, v109
	v_add_u32_e32 v110, 8, v110
	s_or_b64 s[6:7], vcc, s[6:7]
	s_waitcnt vmcnt(0) lgkmcnt(0)
	v_fmac_f64_e32 v[104:105], v[112:113], v[114:115]
	s_andn2_b64 exec, exec, s[6:7]
	s_cbranch_execnz .LBB114_19
; %bb.20:
	s_or_b64 exec, exec, s[6:7]
	v_mov_b32_e32 v108, 0
	ds_read_b64 v[108:109], v108 offset:24
	s_waitcnt lgkmcnt(0)
	v_mul_f64 v[104:105], v[104:105], v[108:109]
	buffer_store_dword v105, off, s[0:3], 0 offset:28
	buffer_store_dword v104, off, s[0:3], 0 offset:24
.LBB114_21:
	s_or_b64 exec, exec, s[4:5]
	s_waitcnt lgkmcnt(0)
	; wave barrier
	buffer_load_dword v104, off, s[0:3], 0 offset:32
	buffer_load_dword v105, off, s[0:3], 0 offset:36
	v_cmp_gt_u32_e32 vcc, 4, v0
	s_waitcnt vmcnt(0)
	ds_write_b64 v106, v[104:105]
	s_waitcnt lgkmcnt(0)
	; wave barrier
	s_waitcnt lgkmcnt(0)
	s_and_saveexec_b64 s[4:5], vcc
	s_cbranch_execz .LBB114_25
; %bb.22:
	v_add_u32_e32 v108, -1, v0
	v_add_u32_e32 v109, 0x1a0, v1
	v_add_u32_e32 v110, 0, v1
	s_mov_b64 s[6:7], 0
	v_pk_mov_b32 v[104:105], 0, 0
.LBB114_23:                             ; =>This Inner Loop Header: Depth=1
	buffer_load_dword v112, v110, s[0:3], 0 offen
	buffer_load_dword v113, v110, s[0:3], 0 offen offset:4
	ds_read_b64 v[114:115], v109
	v_add_u32_e32 v108, 1, v108
	v_cmp_lt_u32_e32 vcc, 2, v108
	v_add_u32_e32 v109, 8, v109
	v_add_u32_e32 v110, 8, v110
	s_or_b64 s[6:7], vcc, s[6:7]
	s_waitcnt vmcnt(0) lgkmcnt(0)
	v_fmac_f64_e32 v[104:105], v[112:113], v[114:115]
	s_andn2_b64 exec, exec, s[6:7]
	s_cbranch_execnz .LBB114_23
; %bb.24:
	s_or_b64 exec, exec, s[6:7]
	v_mov_b32_e32 v108, 0
	ds_read_b64 v[108:109], v108 offset:32
	s_waitcnt lgkmcnt(0)
	v_mul_f64 v[104:105], v[104:105], v[108:109]
	buffer_store_dword v105, off, s[0:3], 0 offset:36
	buffer_store_dword v104, off, s[0:3], 0 offset:32
.LBB114_25:
	s_or_b64 exec, exec, s[4:5]
	s_waitcnt lgkmcnt(0)
	; wave barrier
	buffer_load_dword v104, off, s[0:3], 0 offset:40
	buffer_load_dword v105, off, s[0:3], 0 offset:44
	v_cmp_gt_u32_e32 vcc, 5, v0
	s_waitcnt vmcnt(0)
	ds_write_b64 v106, v[104:105]
	s_waitcnt lgkmcnt(0)
	; wave barrier
	s_waitcnt lgkmcnt(0)
	s_and_saveexec_b64 s[4:5], vcc
	s_cbranch_execz .LBB114_29
; %bb.26:
	v_add_u32_e32 v108, -1, v0
	v_add_u32_e32 v109, 0x1a0, v1
	v_add_u32_e32 v110, 0, v1
	s_mov_b64 s[6:7], 0
	v_pk_mov_b32 v[104:105], 0, 0
.LBB114_27:                             ; =>This Inner Loop Header: Depth=1
	buffer_load_dword v112, v110, s[0:3], 0 offen
	buffer_load_dword v113, v110, s[0:3], 0 offen offset:4
	ds_read_b64 v[114:115], v109
	v_add_u32_e32 v108, 1, v108
	v_cmp_lt_u32_e32 vcc, 3, v108
	v_add_u32_e32 v109, 8, v109
	v_add_u32_e32 v110, 8, v110
	s_or_b64 s[6:7], vcc, s[6:7]
	s_waitcnt vmcnt(0) lgkmcnt(0)
	v_fmac_f64_e32 v[104:105], v[112:113], v[114:115]
	s_andn2_b64 exec, exec, s[6:7]
	s_cbranch_execnz .LBB114_27
; %bb.28:
	s_or_b64 exec, exec, s[6:7]
	v_mov_b32_e32 v108, 0
	ds_read_b64 v[108:109], v108 offset:40
	s_waitcnt lgkmcnt(0)
	v_mul_f64 v[104:105], v[104:105], v[108:109]
	buffer_store_dword v105, off, s[0:3], 0 offset:44
	buffer_store_dword v104, off, s[0:3], 0 offset:40
.LBB114_29:
	s_or_b64 exec, exec, s[4:5]
	s_waitcnt lgkmcnt(0)
	; wave barrier
	buffer_load_dword v104, off, s[0:3], 0 offset:48
	buffer_load_dword v105, off, s[0:3], 0 offset:52
	v_cmp_gt_u32_e32 vcc, 6, v0
	s_waitcnt vmcnt(0)
	ds_write_b64 v106, v[104:105]
	s_waitcnt lgkmcnt(0)
	; wave barrier
	s_waitcnt lgkmcnt(0)
	s_and_saveexec_b64 s[4:5], vcc
	s_cbranch_execz .LBB114_33
; %bb.30:
	v_add_u32_e32 v108, -1, v0
	v_add_u32_e32 v109, 0x1a0, v1
	v_add_u32_e32 v110, 0, v1
	s_mov_b64 s[6:7], 0
	v_pk_mov_b32 v[104:105], 0, 0
.LBB114_31:                             ; =>This Inner Loop Header: Depth=1
	buffer_load_dword v112, v110, s[0:3], 0 offen
	buffer_load_dword v113, v110, s[0:3], 0 offen offset:4
	ds_read_b64 v[114:115], v109
	v_add_u32_e32 v108, 1, v108
	v_cmp_lt_u32_e32 vcc, 4, v108
	v_add_u32_e32 v109, 8, v109
	v_add_u32_e32 v110, 8, v110
	s_or_b64 s[6:7], vcc, s[6:7]
	s_waitcnt vmcnt(0) lgkmcnt(0)
	v_fmac_f64_e32 v[104:105], v[112:113], v[114:115]
	s_andn2_b64 exec, exec, s[6:7]
	s_cbranch_execnz .LBB114_31
; %bb.32:
	s_or_b64 exec, exec, s[6:7]
	v_mov_b32_e32 v108, 0
	ds_read_b64 v[108:109], v108 offset:48
	s_waitcnt lgkmcnt(0)
	v_mul_f64 v[104:105], v[104:105], v[108:109]
	buffer_store_dword v105, off, s[0:3], 0 offset:52
	buffer_store_dword v104, off, s[0:3], 0 offset:48
.LBB114_33:
	s_or_b64 exec, exec, s[4:5]
	s_waitcnt lgkmcnt(0)
	; wave barrier
	buffer_load_dword v104, off, s[0:3], 0 offset:56
	buffer_load_dword v105, off, s[0:3], 0 offset:60
	v_cmp_gt_u32_e32 vcc, 7, v0
	s_waitcnt vmcnt(0)
	ds_write_b64 v106, v[104:105]
	s_waitcnt lgkmcnt(0)
	; wave barrier
	s_waitcnt lgkmcnt(0)
	s_and_saveexec_b64 s[4:5], vcc
	s_cbranch_execz .LBB114_37
; %bb.34:
	v_add_u32_e32 v108, -1, v0
	v_add_u32_e32 v109, 0x1a0, v1
	v_add_u32_e32 v110, 0, v1
	s_mov_b64 s[6:7], 0
	v_pk_mov_b32 v[104:105], 0, 0
.LBB114_35:                             ; =>This Inner Loop Header: Depth=1
	buffer_load_dword v112, v110, s[0:3], 0 offen
	buffer_load_dword v113, v110, s[0:3], 0 offen offset:4
	ds_read_b64 v[114:115], v109
	v_add_u32_e32 v108, 1, v108
	v_cmp_lt_u32_e32 vcc, 5, v108
	v_add_u32_e32 v109, 8, v109
	v_add_u32_e32 v110, 8, v110
	s_or_b64 s[6:7], vcc, s[6:7]
	s_waitcnt vmcnt(0) lgkmcnt(0)
	v_fmac_f64_e32 v[104:105], v[112:113], v[114:115]
	s_andn2_b64 exec, exec, s[6:7]
	s_cbranch_execnz .LBB114_35
; %bb.36:
	s_or_b64 exec, exec, s[6:7]
	v_mov_b32_e32 v108, 0
	ds_read_b64 v[108:109], v108 offset:56
	s_waitcnt lgkmcnt(0)
	v_mul_f64 v[104:105], v[104:105], v[108:109]
	buffer_store_dword v105, off, s[0:3], 0 offset:60
	buffer_store_dword v104, off, s[0:3], 0 offset:56
.LBB114_37:
	s_or_b64 exec, exec, s[4:5]
	s_waitcnt lgkmcnt(0)
	; wave barrier
	buffer_load_dword v104, off, s[0:3], 0 offset:64
	buffer_load_dword v105, off, s[0:3], 0 offset:68
	v_cmp_gt_u32_e32 vcc, 8, v0
	s_waitcnt vmcnt(0)
	ds_write_b64 v106, v[104:105]
	s_waitcnt lgkmcnt(0)
	; wave barrier
	s_waitcnt lgkmcnt(0)
	s_and_saveexec_b64 s[4:5], vcc
	s_cbranch_execz .LBB114_41
; %bb.38:
	v_add_u32_e32 v108, -1, v0
	v_add_u32_e32 v109, 0x1a0, v1
	v_add_u32_e32 v110, 0, v1
	s_mov_b64 s[6:7], 0
	v_pk_mov_b32 v[104:105], 0, 0
.LBB114_39:                             ; =>This Inner Loop Header: Depth=1
	buffer_load_dword v112, v110, s[0:3], 0 offen
	buffer_load_dword v113, v110, s[0:3], 0 offen offset:4
	ds_read_b64 v[114:115], v109
	v_add_u32_e32 v108, 1, v108
	v_cmp_lt_u32_e32 vcc, 6, v108
	v_add_u32_e32 v109, 8, v109
	v_add_u32_e32 v110, 8, v110
	s_or_b64 s[6:7], vcc, s[6:7]
	s_waitcnt vmcnt(0) lgkmcnt(0)
	v_fmac_f64_e32 v[104:105], v[112:113], v[114:115]
	s_andn2_b64 exec, exec, s[6:7]
	s_cbranch_execnz .LBB114_39
; %bb.40:
	s_or_b64 exec, exec, s[6:7]
	v_mov_b32_e32 v108, 0
	ds_read_b64 v[108:109], v108 offset:64
	s_waitcnt lgkmcnt(0)
	v_mul_f64 v[104:105], v[104:105], v[108:109]
	buffer_store_dword v105, off, s[0:3], 0 offset:68
	buffer_store_dword v104, off, s[0:3], 0 offset:64
.LBB114_41:
	s_or_b64 exec, exec, s[4:5]
	s_waitcnt lgkmcnt(0)
	; wave barrier
	buffer_load_dword v104, off, s[0:3], 0 offset:72
	buffer_load_dword v105, off, s[0:3], 0 offset:76
	v_cmp_gt_u32_e32 vcc, 9, v0
	s_waitcnt vmcnt(0)
	ds_write_b64 v106, v[104:105]
	s_waitcnt lgkmcnt(0)
	; wave barrier
	s_waitcnt lgkmcnt(0)
	s_and_saveexec_b64 s[4:5], vcc
	s_cbranch_execz .LBB114_45
; %bb.42:
	v_add_u32_e32 v108, -1, v0
	v_add_u32_e32 v109, 0x1a0, v1
	v_add_u32_e32 v110, 0, v1
	s_mov_b64 s[6:7], 0
	v_pk_mov_b32 v[104:105], 0, 0
.LBB114_43:                             ; =>This Inner Loop Header: Depth=1
	buffer_load_dword v112, v110, s[0:3], 0 offen
	buffer_load_dword v113, v110, s[0:3], 0 offen offset:4
	ds_read_b64 v[114:115], v109
	v_add_u32_e32 v108, 1, v108
	v_cmp_lt_u32_e32 vcc, 7, v108
	v_add_u32_e32 v109, 8, v109
	v_add_u32_e32 v110, 8, v110
	s_or_b64 s[6:7], vcc, s[6:7]
	s_waitcnt vmcnt(0) lgkmcnt(0)
	v_fmac_f64_e32 v[104:105], v[112:113], v[114:115]
	s_andn2_b64 exec, exec, s[6:7]
	s_cbranch_execnz .LBB114_43
; %bb.44:
	s_or_b64 exec, exec, s[6:7]
	v_mov_b32_e32 v108, 0
	ds_read_b64 v[108:109], v108 offset:72
	s_waitcnt lgkmcnt(0)
	v_mul_f64 v[104:105], v[104:105], v[108:109]
	buffer_store_dword v105, off, s[0:3], 0 offset:76
	buffer_store_dword v104, off, s[0:3], 0 offset:72
.LBB114_45:
	s_or_b64 exec, exec, s[4:5]
	s_waitcnt lgkmcnt(0)
	; wave barrier
	buffer_load_dword v104, off, s[0:3], 0 offset:80
	buffer_load_dword v105, off, s[0:3], 0 offset:84
	v_cmp_gt_u32_e32 vcc, 10, v0
	s_waitcnt vmcnt(0)
	ds_write_b64 v106, v[104:105]
	s_waitcnt lgkmcnt(0)
	; wave barrier
	s_waitcnt lgkmcnt(0)
	s_and_saveexec_b64 s[4:5], vcc
	s_cbranch_execz .LBB114_49
; %bb.46:
	v_add_u32_e32 v108, -1, v0
	v_add_u32_e32 v109, 0x1a0, v1
	v_add_u32_e32 v110, 0, v1
	s_mov_b64 s[6:7], 0
	v_pk_mov_b32 v[104:105], 0, 0
.LBB114_47:                             ; =>This Inner Loop Header: Depth=1
	buffer_load_dword v112, v110, s[0:3], 0 offen
	buffer_load_dword v113, v110, s[0:3], 0 offen offset:4
	ds_read_b64 v[114:115], v109
	v_add_u32_e32 v108, 1, v108
	v_cmp_lt_u32_e32 vcc, 8, v108
	v_add_u32_e32 v109, 8, v109
	v_add_u32_e32 v110, 8, v110
	s_or_b64 s[6:7], vcc, s[6:7]
	s_waitcnt vmcnt(0) lgkmcnt(0)
	v_fmac_f64_e32 v[104:105], v[112:113], v[114:115]
	s_andn2_b64 exec, exec, s[6:7]
	s_cbranch_execnz .LBB114_47
; %bb.48:
	s_or_b64 exec, exec, s[6:7]
	v_mov_b32_e32 v108, 0
	ds_read_b64 v[108:109], v108 offset:80
	s_waitcnt lgkmcnt(0)
	v_mul_f64 v[104:105], v[104:105], v[108:109]
	buffer_store_dword v105, off, s[0:3], 0 offset:84
	buffer_store_dword v104, off, s[0:3], 0 offset:80
.LBB114_49:
	s_or_b64 exec, exec, s[4:5]
	s_waitcnt lgkmcnt(0)
	; wave barrier
	buffer_load_dword v104, off, s[0:3], 0 offset:88
	buffer_load_dword v105, off, s[0:3], 0 offset:92
	v_cmp_gt_u32_e32 vcc, 11, v0
	s_waitcnt vmcnt(0)
	ds_write_b64 v106, v[104:105]
	s_waitcnt lgkmcnt(0)
	; wave barrier
	s_waitcnt lgkmcnt(0)
	s_and_saveexec_b64 s[4:5], vcc
	s_cbranch_execz .LBB114_53
; %bb.50:
	v_add_u32_e32 v108, -1, v0
	v_add_u32_e32 v109, 0x1a0, v1
	v_add_u32_e32 v110, 0, v1
	s_mov_b64 s[6:7], 0
	v_pk_mov_b32 v[104:105], 0, 0
.LBB114_51:                             ; =>This Inner Loop Header: Depth=1
	buffer_load_dword v112, v110, s[0:3], 0 offen
	buffer_load_dword v113, v110, s[0:3], 0 offen offset:4
	ds_read_b64 v[114:115], v109
	v_add_u32_e32 v108, 1, v108
	v_cmp_lt_u32_e32 vcc, 9, v108
	v_add_u32_e32 v109, 8, v109
	v_add_u32_e32 v110, 8, v110
	s_or_b64 s[6:7], vcc, s[6:7]
	s_waitcnt vmcnt(0) lgkmcnt(0)
	v_fmac_f64_e32 v[104:105], v[112:113], v[114:115]
	s_andn2_b64 exec, exec, s[6:7]
	s_cbranch_execnz .LBB114_51
; %bb.52:
	s_or_b64 exec, exec, s[6:7]
	v_mov_b32_e32 v108, 0
	ds_read_b64 v[108:109], v108 offset:88
	s_waitcnt lgkmcnt(0)
	v_mul_f64 v[104:105], v[104:105], v[108:109]
	buffer_store_dword v105, off, s[0:3], 0 offset:92
	buffer_store_dword v104, off, s[0:3], 0 offset:88
.LBB114_53:
	s_or_b64 exec, exec, s[4:5]
	s_waitcnt lgkmcnt(0)
	; wave barrier
	buffer_load_dword v104, off, s[0:3], 0 offset:96
	buffer_load_dword v105, off, s[0:3], 0 offset:100
	v_cmp_gt_u32_e32 vcc, 12, v0
	s_waitcnt vmcnt(0)
	ds_write_b64 v106, v[104:105]
	s_waitcnt lgkmcnt(0)
	; wave barrier
	s_waitcnt lgkmcnt(0)
	s_and_saveexec_b64 s[4:5], vcc
	s_cbranch_execz .LBB114_57
; %bb.54:
	v_add_u32_e32 v108, -1, v0
	v_add_u32_e32 v109, 0x1a0, v1
	v_add_u32_e32 v110, 0, v1
	s_mov_b64 s[6:7], 0
	v_pk_mov_b32 v[104:105], 0, 0
.LBB114_55:                             ; =>This Inner Loop Header: Depth=1
	buffer_load_dword v112, v110, s[0:3], 0 offen
	buffer_load_dword v113, v110, s[0:3], 0 offen offset:4
	ds_read_b64 v[114:115], v109
	v_add_u32_e32 v108, 1, v108
	v_cmp_lt_u32_e32 vcc, 10, v108
	v_add_u32_e32 v109, 8, v109
	v_add_u32_e32 v110, 8, v110
	s_or_b64 s[6:7], vcc, s[6:7]
	s_waitcnt vmcnt(0) lgkmcnt(0)
	v_fmac_f64_e32 v[104:105], v[112:113], v[114:115]
	s_andn2_b64 exec, exec, s[6:7]
	s_cbranch_execnz .LBB114_55
; %bb.56:
	s_or_b64 exec, exec, s[6:7]
	v_mov_b32_e32 v108, 0
	ds_read_b64 v[108:109], v108 offset:96
	s_waitcnt lgkmcnt(0)
	v_mul_f64 v[104:105], v[104:105], v[108:109]
	buffer_store_dword v105, off, s[0:3], 0 offset:100
	buffer_store_dword v104, off, s[0:3], 0 offset:96
.LBB114_57:
	s_or_b64 exec, exec, s[4:5]
	s_waitcnt lgkmcnt(0)
	; wave barrier
	buffer_load_dword v104, off, s[0:3], 0 offset:104
	buffer_load_dword v105, off, s[0:3], 0 offset:108
	v_cmp_gt_u32_e32 vcc, 13, v0
	s_waitcnt vmcnt(0)
	ds_write_b64 v106, v[104:105]
	s_waitcnt lgkmcnt(0)
	; wave barrier
	s_waitcnt lgkmcnt(0)
	s_and_saveexec_b64 s[4:5], vcc
	s_cbranch_execz .LBB114_61
; %bb.58:
	v_add_u32_e32 v108, -1, v0
	v_add_u32_e32 v109, 0x1a0, v1
	v_add_u32_e32 v110, 0, v1
	s_mov_b64 s[6:7], 0
	v_pk_mov_b32 v[104:105], 0, 0
.LBB114_59:                             ; =>This Inner Loop Header: Depth=1
	buffer_load_dword v112, v110, s[0:3], 0 offen
	buffer_load_dword v113, v110, s[0:3], 0 offen offset:4
	ds_read_b64 v[114:115], v109
	v_add_u32_e32 v108, 1, v108
	v_cmp_lt_u32_e32 vcc, 11, v108
	v_add_u32_e32 v109, 8, v109
	v_add_u32_e32 v110, 8, v110
	s_or_b64 s[6:7], vcc, s[6:7]
	s_waitcnt vmcnt(0) lgkmcnt(0)
	v_fmac_f64_e32 v[104:105], v[112:113], v[114:115]
	s_andn2_b64 exec, exec, s[6:7]
	s_cbranch_execnz .LBB114_59
; %bb.60:
	s_or_b64 exec, exec, s[6:7]
	v_mov_b32_e32 v108, 0
	ds_read_b64 v[108:109], v108 offset:104
	s_waitcnt lgkmcnt(0)
	v_mul_f64 v[104:105], v[104:105], v[108:109]
	buffer_store_dword v105, off, s[0:3], 0 offset:108
	buffer_store_dword v104, off, s[0:3], 0 offset:104
.LBB114_61:
	s_or_b64 exec, exec, s[4:5]
	s_waitcnt lgkmcnt(0)
	; wave barrier
	buffer_load_dword v104, off, s[0:3], 0 offset:112
	buffer_load_dword v105, off, s[0:3], 0 offset:116
	v_cmp_gt_u32_e32 vcc, 14, v0
	s_waitcnt vmcnt(0)
	ds_write_b64 v106, v[104:105]
	s_waitcnt lgkmcnt(0)
	; wave barrier
	s_waitcnt lgkmcnt(0)
	s_and_saveexec_b64 s[4:5], vcc
	s_cbranch_execz .LBB114_65
; %bb.62:
	v_add_u32_e32 v108, -1, v0
	v_add_u32_e32 v109, 0x1a0, v1
	v_add_u32_e32 v110, 0, v1
	s_mov_b64 s[6:7], 0
	v_pk_mov_b32 v[104:105], 0, 0
.LBB114_63:                             ; =>This Inner Loop Header: Depth=1
	buffer_load_dword v112, v110, s[0:3], 0 offen
	buffer_load_dword v113, v110, s[0:3], 0 offen offset:4
	ds_read_b64 v[114:115], v109
	v_add_u32_e32 v108, 1, v108
	v_cmp_lt_u32_e32 vcc, 12, v108
	v_add_u32_e32 v109, 8, v109
	v_add_u32_e32 v110, 8, v110
	s_or_b64 s[6:7], vcc, s[6:7]
	s_waitcnt vmcnt(0) lgkmcnt(0)
	v_fmac_f64_e32 v[104:105], v[112:113], v[114:115]
	s_andn2_b64 exec, exec, s[6:7]
	s_cbranch_execnz .LBB114_63
; %bb.64:
	s_or_b64 exec, exec, s[6:7]
	v_mov_b32_e32 v108, 0
	ds_read_b64 v[108:109], v108 offset:112
	s_waitcnt lgkmcnt(0)
	v_mul_f64 v[104:105], v[104:105], v[108:109]
	buffer_store_dword v105, off, s[0:3], 0 offset:116
	buffer_store_dword v104, off, s[0:3], 0 offset:112
.LBB114_65:
	s_or_b64 exec, exec, s[4:5]
	s_waitcnt lgkmcnt(0)
	; wave barrier
	buffer_load_dword v104, off, s[0:3], 0 offset:120
	buffer_load_dword v105, off, s[0:3], 0 offset:124
	v_cmp_gt_u32_e32 vcc, 15, v0
	s_waitcnt vmcnt(0)
	ds_write_b64 v106, v[104:105]
	s_waitcnt lgkmcnt(0)
	; wave barrier
	s_waitcnt lgkmcnt(0)
	s_and_saveexec_b64 s[4:5], vcc
	s_cbranch_execz .LBB114_69
; %bb.66:
	v_add_u32_e32 v108, -1, v0
	v_add_u32_e32 v109, 0x1a0, v1
	v_add_u32_e32 v110, 0, v1
	s_mov_b64 s[6:7], 0
	v_pk_mov_b32 v[104:105], 0, 0
.LBB114_67:                             ; =>This Inner Loop Header: Depth=1
	buffer_load_dword v112, v110, s[0:3], 0 offen
	buffer_load_dword v113, v110, s[0:3], 0 offen offset:4
	ds_read_b64 v[114:115], v109
	v_add_u32_e32 v108, 1, v108
	v_cmp_lt_u32_e32 vcc, 13, v108
	v_add_u32_e32 v109, 8, v109
	v_add_u32_e32 v110, 8, v110
	s_or_b64 s[6:7], vcc, s[6:7]
	s_waitcnt vmcnt(0) lgkmcnt(0)
	v_fmac_f64_e32 v[104:105], v[112:113], v[114:115]
	s_andn2_b64 exec, exec, s[6:7]
	s_cbranch_execnz .LBB114_67
; %bb.68:
	s_or_b64 exec, exec, s[6:7]
	v_mov_b32_e32 v108, 0
	ds_read_b64 v[108:109], v108 offset:120
	s_waitcnt lgkmcnt(0)
	v_mul_f64 v[104:105], v[104:105], v[108:109]
	buffer_store_dword v105, off, s[0:3], 0 offset:124
	buffer_store_dword v104, off, s[0:3], 0 offset:120
.LBB114_69:
	s_or_b64 exec, exec, s[4:5]
	s_waitcnt lgkmcnt(0)
	; wave barrier
	buffer_load_dword v104, off, s[0:3], 0 offset:128
	buffer_load_dword v105, off, s[0:3], 0 offset:132
	v_cmp_gt_u32_e32 vcc, 16, v0
	s_waitcnt vmcnt(0)
	ds_write_b64 v106, v[104:105]
	s_waitcnt lgkmcnt(0)
	; wave barrier
	s_waitcnt lgkmcnt(0)
	s_and_saveexec_b64 s[4:5], vcc
	s_cbranch_execz .LBB114_73
; %bb.70:
	v_add_u32_e32 v108, -1, v0
	v_add_u32_e32 v109, 0x1a0, v1
	v_add_u32_e32 v110, 0, v1
	s_mov_b64 s[6:7], 0
	v_pk_mov_b32 v[104:105], 0, 0
.LBB114_71:                             ; =>This Inner Loop Header: Depth=1
	buffer_load_dword v112, v110, s[0:3], 0 offen
	buffer_load_dword v113, v110, s[0:3], 0 offen offset:4
	ds_read_b64 v[114:115], v109
	v_add_u32_e32 v108, 1, v108
	v_cmp_lt_u32_e32 vcc, 14, v108
	v_add_u32_e32 v109, 8, v109
	v_add_u32_e32 v110, 8, v110
	s_or_b64 s[6:7], vcc, s[6:7]
	s_waitcnt vmcnt(0) lgkmcnt(0)
	v_fmac_f64_e32 v[104:105], v[112:113], v[114:115]
	s_andn2_b64 exec, exec, s[6:7]
	s_cbranch_execnz .LBB114_71
; %bb.72:
	s_or_b64 exec, exec, s[6:7]
	v_mov_b32_e32 v108, 0
	ds_read_b64 v[108:109], v108 offset:128
	s_waitcnt lgkmcnt(0)
	v_mul_f64 v[104:105], v[104:105], v[108:109]
	buffer_store_dword v105, off, s[0:3], 0 offset:132
	buffer_store_dword v104, off, s[0:3], 0 offset:128
.LBB114_73:
	s_or_b64 exec, exec, s[4:5]
	s_waitcnt lgkmcnt(0)
	; wave barrier
	buffer_load_dword v104, off, s[0:3], 0 offset:136
	buffer_load_dword v105, off, s[0:3], 0 offset:140
	v_cmp_gt_u32_e32 vcc, 17, v0
	s_waitcnt vmcnt(0)
	ds_write_b64 v106, v[104:105]
	s_waitcnt lgkmcnt(0)
	; wave barrier
	s_waitcnt lgkmcnt(0)
	s_and_saveexec_b64 s[4:5], vcc
	s_cbranch_execz .LBB114_77
; %bb.74:
	v_add_u32_e32 v108, -1, v0
	v_add_u32_e32 v109, 0x1a0, v1
	v_add_u32_e32 v110, 0, v1
	s_mov_b64 s[6:7], 0
	v_pk_mov_b32 v[104:105], 0, 0
.LBB114_75:                             ; =>This Inner Loop Header: Depth=1
	buffer_load_dword v112, v110, s[0:3], 0 offen
	buffer_load_dword v113, v110, s[0:3], 0 offen offset:4
	ds_read_b64 v[114:115], v109
	v_add_u32_e32 v108, 1, v108
	v_cmp_lt_u32_e32 vcc, 15, v108
	v_add_u32_e32 v109, 8, v109
	v_add_u32_e32 v110, 8, v110
	s_or_b64 s[6:7], vcc, s[6:7]
	s_waitcnt vmcnt(0) lgkmcnt(0)
	v_fmac_f64_e32 v[104:105], v[112:113], v[114:115]
	s_andn2_b64 exec, exec, s[6:7]
	s_cbranch_execnz .LBB114_75
; %bb.76:
	s_or_b64 exec, exec, s[6:7]
	v_mov_b32_e32 v108, 0
	ds_read_b64 v[108:109], v108 offset:136
	s_waitcnt lgkmcnt(0)
	v_mul_f64 v[104:105], v[104:105], v[108:109]
	buffer_store_dword v105, off, s[0:3], 0 offset:140
	buffer_store_dword v104, off, s[0:3], 0 offset:136
.LBB114_77:
	s_or_b64 exec, exec, s[4:5]
	s_waitcnt lgkmcnt(0)
	; wave barrier
	buffer_load_dword v104, off, s[0:3], 0 offset:144
	buffer_load_dword v105, off, s[0:3], 0 offset:148
	v_cmp_gt_u32_e32 vcc, 18, v0
	s_waitcnt vmcnt(0)
	ds_write_b64 v106, v[104:105]
	s_waitcnt lgkmcnt(0)
	; wave barrier
	s_waitcnt lgkmcnt(0)
	s_and_saveexec_b64 s[4:5], vcc
	s_cbranch_execz .LBB114_81
; %bb.78:
	v_add_u32_e32 v108, -1, v0
	v_add_u32_e32 v109, 0x1a0, v1
	v_add_u32_e32 v110, 0, v1
	s_mov_b64 s[6:7], 0
	v_pk_mov_b32 v[104:105], 0, 0
.LBB114_79:                             ; =>This Inner Loop Header: Depth=1
	buffer_load_dword v112, v110, s[0:3], 0 offen
	buffer_load_dword v113, v110, s[0:3], 0 offen offset:4
	ds_read_b64 v[114:115], v109
	v_add_u32_e32 v108, 1, v108
	v_cmp_lt_u32_e32 vcc, 16, v108
	v_add_u32_e32 v109, 8, v109
	v_add_u32_e32 v110, 8, v110
	s_or_b64 s[6:7], vcc, s[6:7]
	s_waitcnt vmcnt(0) lgkmcnt(0)
	v_fmac_f64_e32 v[104:105], v[112:113], v[114:115]
	s_andn2_b64 exec, exec, s[6:7]
	s_cbranch_execnz .LBB114_79
; %bb.80:
	s_or_b64 exec, exec, s[6:7]
	v_mov_b32_e32 v108, 0
	ds_read_b64 v[108:109], v108 offset:144
	s_waitcnt lgkmcnt(0)
	v_mul_f64 v[104:105], v[104:105], v[108:109]
	buffer_store_dword v105, off, s[0:3], 0 offset:148
	buffer_store_dword v104, off, s[0:3], 0 offset:144
.LBB114_81:
	s_or_b64 exec, exec, s[4:5]
	s_waitcnt lgkmcnt(0)
	; wave barrier
	buffer_load_dword v104, off, s[0:3], 0 offset:152
	buffer_load_dword v105, off, s[0:3], 0 offset:156
	v_cmp_gt_u32_e32 vcc, 19, v0
	s_waitcnt vmcnt(0)
	ds_write_b64 v106, v[104:105]
	s_waitcnt lgkmcnt(0)
	; wave barrier
	s_waitcnt lgkmcnt(0)
	s_and_saveexec_b64 s[4:5], vcc
	s_cbranch_execz .LBB114_85
; %bb.82:
	v_add_u32_e32 v108, -1, v0
	v_add_u32_e32 v109, 0x1a0, v1
	v_add_u32_e32 v110, 0, v1
	s_mov_b64 s[6:7], 0
	v_pk_mov_b32 v[104:105], 0, 0
.LBB114_83:                             ; =>This Inner Loop Header: Depth=1
	buffer_load_dword v112, v110, s[0:3], 0 offen
	buffer_load_dword v113, v110, s[0:3], 0 offen offset:4
	ds_read_b64 v[114:115], v109
	v_add_u32_e32 v108, 1, v108
	v_cmp_lt_u32_e32 vcc, 17, v108
	v_add_u32_e32 v109, 8, v109
	v_add_u32_e32 v110, 8, v110
	s_or_b64 s[6:7], vcc, s[6:7]
	s_waitcnt vmcnt(0) lgkmcnt(0)
	v_fmac_f64_e32 v[104:105], v[112:113], v[114:115]
	s_andn2_b64 exec, exec, s[6:7]
	s_cbranch_execnz .LBB114_83
; %bb.84:
	s_or_b64 exec, exec, s[6:7]
	v_mov_b32_e32 v108, 0
	ds_read_b64 v[108:109], v108 offset:152
	s_waitcnt lgkmcnt(0)
	v_mul_f64 v[104:105], v[104:105], v[108:109]
	buffer_store_dword v105, off, s[0:3], 0 offset:156
	buffer_store_dword v104, off, s[0:3], 0 offset:152
.LBB114_85:
	s_or_b64 exec, exec, s[4:5]
	s_waitcnt lgkmcnt(0)
	; wave barrier
	buffer_load_dword v104, off, s[0:3], 0 offset:160
	buffer_load_dword v105, off, s[0:3], 0 offset:164
	v_cmp_gt_u32_e32 vcc, 20, v0
	s_waitcnt vmcnt(0)
	ds_write_b64 v106, v[104:105]
	s_waitcnt lgkmcnt(0)
	; wave barrier
	s_waitcnt lgkmcnt(0)
	s_and_saveexec_b64 s[4:5], vcc
	s_cbranch_execz .LBB114_89
; %bb.86:
	v_add_u32_e32 v108, -1, v0
	v_add_u32_e32 v109, 0x1a0, v1
	v_add_u32_e32 v110, 0, v1
	s_mov_b64 s[6:7], 0
	v_pk_mov_b32 v[104:105], 0, 0
.LBB114_87:                             ; =>This Inner Loop Header: Depth=1
	buffer_load_dword v112, v110, s[0:3], 0 offen
	buffer_load_dword v113, v110, s[0:3], 0 offen offset:4
	ds_read_b64 v[114:115], v109
	v_add_u32_e32 v108, 1, v108
	v_cmp_lt_u32_e32 vcc, 18, v108
	v_add_u32_e32 v109, 8, v109
	v_add_u32_e32 v110, 8, v110
	s_or_b64 s[6:7], vcc, s[6:7]
	s_waitcnt vmcnt(0) lgkmcnt(0)
	v_fmac_f64_e32 v[104:105], v[112:113], v[114:115]
	s_andn2_b64 exec, exec, s[6:7]
	s_cbranch_execnz .LBB114_87
; %bb.88:
	s_or_b64 exec, exec, s[6:7]
	v_mov_b32_e32 v108, 0
	ds_read_b64 v[108:109], v108 offset:160
	s_waitcnt lgkmcnt(0)
	v_mul_f64 v[104:105], v[104:105], v[108:109]
	buffer_store_dword v105, off, s[0:3], 0 offset:164
	buffer_store_dword v104, off, s[0:3], 0 offset:160
.LBB114_89:
	s_or_b64 exec, exec, s[4:5]
	s_waitcnt lgkmcnt(0)
	; wave barrier
	buffer_load_dword v104, off, s[0:3], 0 offset:168
	buffer_load_dword v105, off, s[0:3], 0 offset:172
	v_cmp_gt_u32_e32 vcc, 21, v0
	s_waitcnt vmcnt(0)
	ds_write_b64 v106, v[104:105]
	s_waitcnt lgkmcnt(0)
	; wave barrier
	s_waitcnt lgkmcnt(0)
	s_and_saveexec_b64 s[4:5], vcc
	s_cbranch_execz .LBB114_93
; %bb.90:
	v_add_u32_e32 v108, -1, v0
	v_add_u32_e32 v109, 0x1a0, v1
	v_add_u32_e32 v110, 0, v1
	s_mov_b64 s[6:7], 0
	v_pk_mov_b32 v[104:105], 0, 0
.LBB114_91:                             ; =>This Inner Loop Header: Depth=1
	buffer_load_dword v112, v110, s[0:3], 0 offen
	buffer_load_dword v113, v110, s[0:3], 0 offen offset:4
	ds_read_b64 v[114:115], v109
	v_add_u32_e32 v108, 1, v108
	v_cmp_lt_u32_e32 vcc, 19, v108
	v_add_u32_e32 v109, 8, v109
	v_add_u32_e32 v110, 8, v110
	s_or_b64 s[6:7], vcc, s[6:7]
	s_waitcnt vmcnt(0) lgkmcnt(0)
	v_fmac_f64_e32 v[104:105], v[112:113], v[114:115]
	s_andn2_b64 exec, exec, s[6:7]
	s_cbranch_execnz .LBB114_91
; %bb.92:
	s_or_b64 exec, exec, s[6:7]
	v_mov_b32_e32 v108, 0
	ds_read_b64 v[108:109], v108 offset:168
	s_waitcnt lgkmcnt(0)
	v_mul_f64 v[104:105], v[104:105], v[108:109]
	buffer_store_dword v105, off, s[0:3], 0 offset:172
	buffer_store_dword v104, off, s[0:3], 0 offset:168
.LBB114_93:
	s_or_b64 exec, exec, s[4:5]
	s_waitcnt lgkmcnt(0)
	; wave barrier
	buffer_load_dword v104, off, s[0:3], 0 offset:176
	buffer_load_dword v105, off, s[0:3], 0 offset:180
	v_cmp_gt_u32_e32 vcc, 22, v0
	s_waitcnt vmcnt(0)
	ds_write_b64 v106, v[104:105]
	s_waitcnt lgkmcnt(0)
	; wave barrier
	s_waitcnt lgkmcnt(0)
	s_and_saveexec_b64 s[4:5], vcc
	s_cbranch_execz .LBB114_97
; %bb.94:
	v_add_u32_e32 v108, -1, v0
	v_add_u32_e32 v109, 0x1a0, v1
	v_add_u32_e32 v110, 0, v1
	s_mov_b64 s[6:7], 0
	v_pk_mov_b32 v[104:105], 0, 0
.LBB114_95:                             ; =>This Inner Loop Header: Depth=1
	buffer_load_dword v112, v110, s[0:3], 0 offen
	buffer_load_dword v113, v110, s[0:3], 0 offen offset:4
	ds_read_b64 v[114:115], v109
	v_add_u32_e32 v108, 1, v108
	v_cmp_lt_u32_e32 vcc, 20, v108
	v_add_u32_e32 v109, 8, v109
	v_add_u32_e32 v110, 8, v110
	s_or_b64 s[6:7], vcc, s[6:7]
	s_waitcnt vmcnt(0) lgkmcnt(0)
	v_fmac_f64_e32 v[104:105], v[112:113], v[114:115]
	s_andn2_b64 exec, exec, s[6:7]
	s_cbranch_execnz .LBB114_95
; %bb.96:
	s_or_b64 exec, exec, s[6:7]
	v_mov_b32_e32 v108, 0
	ds_read_b64 v[108:109], v108 offset:176
	s_waitcnt lgkmcnt(0)
	v_mul_f64 v[104:105], v[104:105], v[108:109]
	buffer_store_dword v105, off, s[0:3], 0 offset:180
	buffer_store_dword v104, off, s[0:3], 0 offset:176
.LBB114_97:
	s_or_b64 exec, exec, s[4:5]
	s_waitcnt lgkmcnt(0)
	; wave barrier
	buffer_load_dword v104, off, s[0:3], 0 offset:184
	buffer_load_dword v105, off, s[0:3], 0 offset:188
	v_cmp_gt_u32_e32 vcc, 23, v0
	s_waitcnt vmcnt(0)
	ds_write_b64 v106, v[104:105]
	s_waitcnt lgkmcnt(0)
	; wave barrier
	s_waitcnt lgkmcnt(0)
	s_and_saveexec_b64 s[4:5], vcc
	s_cbranch_execz .LBB114_101
; %bb.98:
	v_add_u32_e32 v108, -1, v0
	v_add_u32_e32 v109, 0x1a0, v1
	v_add_u32_e32 v110, 0, v1
	s_mov_b64 s[6:7], 0
	v_pk_mov_b32 v[104:105], 0, 0
.LBB114_99:                             ; =>This Inner Loop Header: Depth=1
	buffer_load_dword v112, v110, s[0:3], 0 offen
	buffer_load_dword v113, v110, s[0:3], 0 offen offset:4
	ds_read_b64 v[114:115], v109
	v_add_u32_e32 v108, 1, v108
	v_cmp_lt_u32_e32 vcc, 21, v108
	v_add_u32_e32 v109, 8, v109
	v_add_u32_e32 v110, 8, v110
	s_or_b64 s[6:7], vcc, s[6:7]
	s_waitcnt vmcnt(0) lgkmcnt(0)
	v_fmac_f64_e32 v[104:105], v[112:113], v[114:115]
	s_andn2_b64 exec, exec, s[6:7]
	s_cbranch_execnz .LBB114_99
; %bb.100:
	s_or_b64 exec, exec, s[6:7]
	v_mov_b32_e32 v108, 0
	ds_read_b64 v[108:109], v108 offset:184
	s_waitcnt lgkmcnt(0)
	v_mul_f64 v[104:105], v[104:105], v[108:109]
	buffer_store_dword v105, off, s[0:3], 0 offset:188
	buffer_store_dword v104, off, s[0:3], 0 offset:184
.LBB114_101:
	s_or_b64 exec, exec, s[4:5]
	s_waitcnt lgkmcnt(0)
	; wave barrier
	buffer_load_dword v104, off, s[0:3], 0 offset:192
	buffer_load_dword v105, off, s[0:3], 0 offset:196
	v_cmp_gt_u32_e32 vcc, 24, v0
	s_waitcnt vmcnt(0)
	ds_write_b64 v106, v[104:105]
	s_waitcnt lgkmcnt(0)
	; wave barrier
	s_waitcnt lgkmcnt(0)
	s_and_saveexec_b64 s[4:5], vcc
	s_cbranch_execz .LBB114_105
; %bb.102:
	v_add_u32_e32 v108, -1, v0
	v_add_u32_e32 v109, 0x1a0, v1
	v_add_u32_e32 v110, 0, v1
	s_mov_b64 s[6:7], 0
	v_pk_mov_b32 v[104:105], 0, 0
.LBB114_103:                            ; =>This Inner Loop Header: Depth=1
	buffer_load_dword v112, v110, s[0:3], 0 offen
	buffer_load_dword v113, v110, s[0:3], 0 offen offset:4
	ds_read_b64 v[114:115], v109
	v_add_u32_e32 v108, 1, v108
	v_cmp_lt_u32_e32 vcc, 22, v108
	v_add_u32_e32 v109, 8, v109
	v_add_u32_e32 v110, 8, v110
	s_or_b64 s[6:7], vcc, s[6:7]
	s_waitcnt vmcnt(0) lgkmcnt(0)
	v_fmac_f64_e32 v[104:105], v[112:113], v[114:115]
	s_andn2_b64 exec, exec, s[6:7]
	s_cbranch_execnz .LBB114_103
; %bb.104:
	s_or_b64 exec, exec, s[6:7]
	v_mov_b32_e32 v108, 0
	ds_read_b64 v[108:109], v108 offset:192
	s_waitcnt lgkmcnt(0)
	v_mul_f64 v[104:105], v[104:105], v[108:109]
	buffer_store_dword v105, off, s[0:3], 0 offset:196
	buffer_store_dword v104, off, s[0:3], 0 offset:192
.LBB114_105:
	s_or_b64 exec, exec, s[4:5]
	s_waitcnt lgkmcnt(0)
	; wave barrier
	buffer_load_dword v104, off, s[0:3], 0 offset:200
	buffer_load_dword v105, off, s[0:3], 0 offset:204
	v_cmp_gt_u32_e32 vcc, 25, v0
	s_waitcnt vmcnt(0)
	ds_write_b64 v106, v[104:105]
	s_waitcnt lgkmcnt(0)
	; wave barrier
	s_waitcnt lgkmcnt(0)
	s_and_saveexec_b64 s[4:5], vcc
	s_cbranch_execz .LBB114_109
; %bb.106:
	v_add_u32_e32 v108, -1, v0
	v_add_u32_e32 v109, 0x1a0, v1
	v_add_u32_e32 v110, 0, v1
	s_mov_b64 s[6:7], 0
	v_pk_mov_b32 v[104:105], 0, 0
.LBB114_107:                            ; =>This Inner Loop Header: Depth=1
	buffer_load_dword v112, v110, s[0:3], 0 offen
	buffer_load_dword v113, v110, s[0:3], 0 offen offset:4
	ds_read_b64 v[114:115], v109
	v_add_u32_e32 v108, 1, v108
	v_cmp_lt_u32_e32 vcc, 23, v108
	v_add_u32_e32 v109, 8, v109
	v_add_u32_e32 v110, 8, v110
	s_or_b64 s[6:7], vcc, s[6:7]
	s_waitcnt vmcnt(0) lgkmcnt(0)
	v_fmac_f64_e32 v[104:105], v[112:113], v[114:115]
	s_andn2_b64 exec, exec, s[6:7]
	s_cbranch_execnz .LBB114_107
; %bb.108:
	s_or_b64 exec, exec, s[6:7]
	v_mov_b32_e32 v108, 0
	ds_read_b64 v[108:109], v108 offset:200
	s_waitcnt lgkmcnt(0)
	v_mul_f64 v[104:105], v[104:105], v[108:109]
	buffer_store_dword v105, off, s[0:3], 0 offset:204
	buffer_store_dword v104, off, s[0:3], 0 offset:200
.LBB114_109:
	s_or_b64 exec, exec, s[4:5]
	s_waitcnt lgkmcnt(0)
	; wave barrier
	buffer_load_dword v104, off, s[0:3], 0 offset:208
	buffer_load_dword v105, off, s[0:3], 0 offset:212
	v_cmp_gt_u32_e32 vcc, 26, v0
	;; [unrolled: 41-line block ×25, first 2 shown]
	s_waitcnt vmcnt(0)
	ds_write_b64 v106, v[104:105]
	s_waitcnt lgkmcnt(0)
	; wave barrier
	s_waitcnt lgkmcnt(0)
	s_and_saveexec_b64 s[4:5], vcc
	s_cbranch_execz .LBB114_205
; %bb.202:
	v_add_u32_e32 v108, -1, v0
	v_add_u32_e32 v109, 0x1a0, v1
	v_add_u32_e32 v110, 0, v1
	s_mov_b64 s[6:7], 0
	v_pk_mov_b32 v[104:105], 0, 0
.LBB114_203:                            ; =>This Inner Loop Header: Depth=1
	buffer_load_dword v112, v110, s[0:3], 0 offen
	buffer_load_dword v113, v110, s[0:3], 0 offen offset:4
	ds_read_b64 v[114:115], v109
	v_add_u32_e32 v108, 1, v108
	v_cmp_lt_u32_e32 vcc, 47, v108
	v_add_u32_e32 v109, 8, v109
	v_add_u32_e32 v110, 8, v110
	s_or_b64 s[6:7], vcc, s[6:7]
	s_waitcnt vmcnt(0) lgkmcnt(0)
	v_fmac_f64_e32 v[104:105], v[112:113], v[114:115]
	s_andn2_b64 exec, exec, s[6:7]
	s_cbranch_execnz .LBB114_203
; %bb.204:
	s_or_b64 exec, exec, s[6:7]
	v_mov_b32_e32 v108, 0
	ds_read_b64 v[108:109], v108 offset:392
	s_waitcnt lgkmcnt(0)
	v_mul_f64 v[104:105], v[104:105], v[108:109]
	buffer_store_dword v105, off, s[0:3], 0 offset:396
	buffer_store_dword v104, off, s[0:3], 0 offset:392
.LBB114_205:
	s_or_b64 exec, exec, s[4:5]
	s_waitcnt lgkmcnt(0)
	; wave barrier
	buffer_load_dword v104, off, s[0:3], 0 offset:400
	buffer_load_dword v105, off, s[0:3], 0 offset:404
	v_cmp_ne_u32_e32 vcc, 50, v0
	s_waitcnt vmcnt(0)
	ds_write_b64 v106, v[104:105]
	s_waitcnt lgkmcnt(0)
	; wave barrier
	s_waitcnt lgkmcnt(0)
	s_and_saveexec_b64 s[4:5], vcc
	s_cbranch_execz .LBB114_209
; %bb.206:
	v_add_u32_e32 v106, 0x1a0, v1
	v_add_u32_e32 v1, 0, v1
	s_mov_b64 s[6:7], 0
	v_pk_mov_b32 v[104:105], 0, 0
.LBB114_207:                            ; =>This Inner Loop Header: Depth=1
	buffer_load_dword v108, v1, s[0:3], 0 offen
	buffer_load_dword v109, v1, s[0:3], 0 offen offset:4
	ds_read_b64 v[110:111], v106
	v_add_u32_e32 v107, 1, v107
	v_cmp_lt_u32_e32 vcc, 48, v107
	v_add_u32_e32 v106, 8, v106
	v_add_u32_e32 v1, 8, v1
	s_or_b64 s[6:7], vcc, s[6:7]
	s_waitcnt vmcnt(0) lgkmcnt(0)
	v_fmac_f64_e32 v[104:105], v[108:109], v[110:111]
	s_andn2_b64 exec, exec, s[6:7]
	s_cbranch_execnz .LBB114_207
; %bb.208:
	s_or_b64 exec, exec, s[6:7]
	v_mov_b32_e32 v1, 0
	ds_read_b64 v[106:107], v1 offset:400
	s_waitcnt lgkmcnt(0)
	v_mul_f64 v[104:105], v[104:105], v[106:107]
	buffer_store_dword v105, off, s[0:3], 0 offset:404
	buffer_store_dword v104, off, s[0:3], 0 offset:400
.LBB114_209:
	s_or_b64 exec, exec, s[4:5]
	s_mov_b64 s[6:7], -1
	s_waitcnt lgkmcnt(0)
	; wave barrier
.LBB114_210:
	s_and_b64 vcc, exec, s[6:7]
	s_cbranch_vccz .LBB114_212
; %bb.211:
	s_lshl_b64 s[4:5], s[8:9], 2
	s_add_u32 s4, s14, s4
	s_addc_u32 s5, s15, s5
	v_mov_b32_e32 v1, 0
	global_load_dword v1, v1, s[4:5]
	s_waitcnt vmcnt(0)
	v_cmp_ne_u32_e32 vcc, 0, v1
	s_cbranch_vccz .LBB114_213
.LBB114_212:
	s_endpgm
.LBB114_213:
	v_mov_b32_e32 v1, 0x1a0
	v_lshl_add_u32 v1, v0, 3, v1
	v_cmp_eq_u32_e32 vcc, 50, v0
	s_and_saveexec_b64 s[4:5], vcc
	s_cbranch_execz .LBB114_215
; %bb.214:
	buffer_load_dword v104, off, s[0:3], 0 offset:392
	buffer_load_dword v105, off, s[0:3], 0 offset:396
	v_mov_b32_e32 v106, 0
	buffer_store_dword v106, off, s[0:3], 0 offset:392
	buffer_store_dword v106, off, s[0:3], 0 offset:396
	s_waitcnt vmcnt(2)
	ds_write_b64 v1, v[104:105]
.LBB114_215:
	s_or_b64 exec, exec, s[4:5]
	s_waitcnt lgkmcnt(0)
	; wave barrier
	s_waitcnt lgkmcnt(0)
	buffer_load_dword v106, off, s[0:3], 0 offset:400
	buffer_load_dword v107, off, s[0:3], 0 offset:404
	;; [unrolled: 1-line block ×4, first 2 shown]
	v_mov_b32_e32 v104, 0
	ds_read_b64 v[110:111], v104 offset:816
	v_cmp_lt_u32_e32 vcc, 48, v0
	s_waitcnt vmcnt(2) lgkmcnt(0)
	v_fma_f64 v[106:107], v[106:107], v[110:111], 0
	s_waitcnt vmcnt(0)
	v_add_f64 v[106:107], v[108:109], -v[106:107]
	buffer_store_dword v106, off, s[0:3], 0 offset:392
	buffer_store_dword v107, off, s[0:3], 0 offset:396
	s_and_saveexec_b64 s[4:5], vcc
	s_cbranch_execz .LBB114_217
; %bb.216:
	buffer_load_dword v106, off, s[0:3], 0 offset:384
	buffer_load_dword v107, off, s[0:3], 0 offset:388
	s_waitcnt vmcnt(0)
	ds_write_b64 v1, v[106:107]
	buffer_store_dword v104, off, s[0:3], 0 offset:384
	buffer_store_dword v104, off, s[0:3], 0 offset:388
.LBB114_217:
	s_or_b64 exec, exec, s[4:5]
	s_waitcnt lgkmcnt(0)
	; wave barrier
	s_waitcnt lgkmcnt(0)
	buffer_load_dword v108, off, s[0:3], 0 offset:392
	buffer_load_dword v109, off, s[0:3], 0 offset:396
	;; [unrolled: 1-line block ×6, first 2 shown]
	ds_read2_b64 v[104:107], v104 offset0:101 offset1:102
	v_cmp_lt_u32_e32 vcc, 47, v0
	s_waitcnt vmcnt(4) lgkmcnt(0)
	v_fma_f64 v[104:105], v[108:109], v[104:105], 0
	s_waitcnt vmcnt(2)
	v_fmac_f64_e32 v[104:105], v[110:111], v[106:107]
	s_waitcnt vmcnt(0)
	v_add_f64 v[104:105], v[112:113], -v[104:105]
	buffer_store_dword v104, off, s[0:3], 0 offset:384
	buffer_store_dword v105, off, s[0:3], 0 offset:388
	s_and_saveexec_b64 s[4:5], vcc
	s_cbranch_execz .LBB114_219
; %bb.218:
	buffer_load_dword v104, off, s[0:3], 0 offset:376
	buffer_load_dword v105, off, s[0:3], 0 offset:380
	v_mov_b32_e32 v106, 0
	buffer_store_dword v106, off, s[0:3], 0 offset:376
	buffer_store_dword v106, off, s[0:3], 0 offset:380
	s_waitcnt vmcnt(2)
	ds_write_b64 v1, v[104:105]
.LBB114_219:
	s_or_b64 exec, exec, s[4:5]
	s_waitcnt lgkmcnt(0)
	; wave barrier
	s_waitcnt lgkmcnt(0)
	buffer_load_dword v110, off, s[0:3], 0 offset:384
	buffer_load_dword v111, off, s[0:3], 0 offset:388
	;; [unrolled: 1-line block ×8, first 2 shown]
	v_mov_b32_e32 v104, 0
	ds_read_b128 v[106:109], v104 offset:800
	ds_read_b64 v[118:119], v104 offset:816
	v_cmp_lt_u32_e32 vcc, 46, v0
	s_waitcnt vmcnt(6) lgkmcnt(1)
	v_fma_f64 v[106:107], v[110:111], v[106:107], 0
	s_waitcnt vmcnt(4)
	v_fmac_f64_e32 v[106:107], v[112:113], v[108:109]
	s_waitcnt vmcnt(2) lgkmcnt(0)
	v_fmac_f64_e32 v[106:107], v[114:115], v[118:119]
	s_waitcnt vmcnt(0)
	v_add_f64 v[106:107], v[116:117], -v[106:107]
	buffer_store_dword v106, off, s[0:3], 0 offset:376
	buffer_store_dword v107, off, s[0:3], 0 offset:380
	s_and_saveexec_b64 s[4:5], vcc
	s_cbranch_execz .LBB114_221
; %bb.220:
	buffer_load_dword v106, off, s[0:3], 0 offset:368
	buffer_load_dword v107, off, s[0:3], 0 offset:372
	s_waitcnt vmcnt(0)
	ds_write_b64 v1, v[106:107]
	buffer_store_dword v104, off, s[0:3], 0 offset:368
	buffer_store_dword v104, off, s[0:3], 0 offset:372
.LBB114_221:
	s_or_b64 exec, exec, s[4:5]
	s_waitcnt lgkmcnt(0)
	; wave barrier
	s_waitcnt lgkmcnt(0)
	buffer_load_dword v114, off, s[0:3], 0 offset:376
	buffer_load_dword v115, off, s[0:3], 0 offset:380
	;; [unrolled: 1-line block ×10, first 2 shown]
	ds_read2_b64 v[106:109], v104 offset0:99 offset1:100
	ds_read2_b64 v[110:113], v104 offset0:101 offset1:102
	v_cmp_lt_u32_e32 vcc, 45, v0
	s_waitcnt vmcnt(8) lgkmcnt(1)
	v_fma_f64 v[104:105], v[114:115], v[106:107], 0
	s_waitcnt vmcnt(6)
	v_fmac_f64_e32 v[104:105], v[116:117], v[108:109]
	s_waitcnt vmcnt(4) lgkmcnt(0)
	v_fmac_f64_e32 v[104:105], v[118:119], v[110:111]
	s_waitcnt vmcnt(2)
	v_fmac_f64_e32 v[104:105], v[120:121], v[112:113]
	s_waitcnt vmcnt(0)
	v_add_f64 v[104:105], v[122:123], -v[104:105]
	buffer_store_dword v104, off, s[0:3], 0 offset:368
	buffer_store_dword v105, off, s[0:3], 0 offset:372
	s_and_saveexec_b64 s[4:5], vcc
	s_cbranch_execz .LBB114_223
; %bb.222:
	buffer_load_dword v104, off, s[0:3], 0 offset:360
	buffer_load_dword v105, off, s[0:3], 0 offset:364
	v_mov_b32_e32 v106, 0
	buffer_store_dword v106, off, s[0:3], 0 offset:360
	buffer_store_dword v106, off, s[0:3], 0 offset:364
	s_waitcnt vmcnt(2)
	ds_write_b64 v1, v[104:105]
.LBB114_223:
	s_or_b64 exec, exec, s[4:5]
	s_waitcnt lgkmcnt(0)
	; wave barrier
	s_waitcnt lgkmcnt(0)
	buffer_load_dword v114, off, s[0:3], 0 offset:368
	buffer_load_dword v115, off, s[0:3], 0 offset:372
	;; [unrolled: 1-line block ×12, first 2 shown]
	v_mov_b32_e32 v104, 0
	ds_read_b128 v[106:109], v104 offset:784
	ds_read_b128 v[110:113], v104 offset:800
	ds_read_b64 v[126:127], v104 offset:816
	v_cmp_lt_u32_e32 vcc, 44, v0
	s_waitcnt vmcnt(10) lgkmcnt(2)
	v_fma_f64 v[106:107], v[114:115], v[106:107], 0
	s_waitcnt vmcnt(8)
	v_fmac_f64_e32 v[106:107], v[116:117], v[108:109]
	s_waitcnt vmcnt(6) lgkmcnt(1)
	v_fmac_f64_e32 v[106:107], v[118:119], v[110:111]
	s_waitcnt vmcnt(4)
	v_fmac_f64_e32 v[106:107], v[120:121], v[112:113]
	s_waitcnt vmcnt(2) lgkmcnt(0)
	v_fmac_f64_e32 v[106:107], v[122:123], v[126:127]
	s_waitcnt vmcnt(0)
	v_add_f64 v[106:107], v[124:125], -v[106:107]
	buffer_store_dword v106, off, s[0:3], 0 offset:360
	buffer_store_dword v107, off, s[0:3], 0 offset:364
	s_and_saveexec_b64 s[4:5], vcc
	s_cbranch_execz .LBB114_225
; %bb.224:
	buffer_load_dword v106, off, s[0:3], 0 offset:352
	buffer_load_dword v107, off, s[0:3], 0 offset:356
	s_waitcnt vmcnt(0)
	ds_write_b64 v1, v[106:107]
	buffer_store_dword v104, off, s[0:3], 0 offset:352
	buffer_store_dword v104, off, s[0:3], 0 offset:356
.LBB114_225:
	s_or_b64 exec, exec, s[4:5]
	s_waitcnt lgkmcnt(0)
	; wave barrier
	s_waitcnt lgkmcnt(0)
	buffer_load_dword v118, off, s[0:3], 0 offset:360
	buffer_load_dword v119, off, s[0:3], 0 offset:364
	;; [unrolled: 1-line block ×14, first 2 shown]
	ds_read2_b64 v[106:109], v104 offset0:97 offset1:98
	ds_read2_b64 v[110:113], v104 offset0:99 offset1:100
	;; [unrolled: 1-line block ×3, first 2 shown]
	v_cmp_lt_u32_e32 vcc, 43, v0
	s_waitcnt vmcnt(12) lgkmcnt(2)
	v_fma_f64 v[104:105], v[118:119], v[106:107], 0
	s_waitcnt vmcnt(10)
	v_fmac_f64_e32 v[104:105], v[120:121], v[108:109]
	s_waitcnt vmcnt(8) lgkmcnt(1)
	v_fmac_f64_e32 v[104:105], v[122:123], v[110:111]
	s_waitcnt vmcnt(6)
	v_fmac_f64_e32 v[104:105], v[124:125], v[112:113]
	s_waitcnt vmcnt(4) lgkmcnt(0)
	v_fmac_f64_e32 v[104:105], v[126:127], v[114:115]
	s_waitcnt vmcnt(2)
	v_fmac_f64_e32 v[104:105], v[128:129], v[116:117]
	s_waitcnt vmcnt(0)
	v_add_f64 v[104:105], v[130:131], -v[104:105]
	buffer_store_dword v104, off, s[0:3], 0 offset:352
	buffer_store_dword v105, off, s[0:3], 0 offset:356
	s_and_saveexec_b64 s[4:5], vcc
	s_cbranch_execz .LBB114_227
; %bb.226:
	buffer_load_dword v104, off, s[0:3], 0 offset:344
	buffer_load_dword v105, off, s[0:3], 0 offset:348
	v_mov_b32_e32 v106, 0
	buffer_store_dword v106, off, s[0:3], 0 offset:344
	buffer_store_dword v106, off, s[0:3], 0 offset:348
	s_waitcnt vmcnt(2)
	ds_write_b64 v1, v[104:105]
.LBB114_227:
	s_or_b64 exec, exec, s[4:5]
	s_waitcnt lgkmcnt(0)
	; wave barrier
	s_waitcnt lgkmcnt(0)
	buffer_load_dword v118, off, s[0:3], 0 offset:352
	buffer_load_dword v119, off, s[0:3], 0 offset:356
	;; [unrolled: 1-line block ×16, first 2 shown]
	v_mov_b32_e32 v104, 0
	ds_read_b128 v[106:109], v104 offset:768
	ds_read_b128 v[110:113], v104 offset:784
	;; [unrolled: 1-line block ×3, first 2 shown]
	ds_read_b64 v[134:135], v104 offset:816
	v_cmp_lt_u32_e32 vcc, 42, v0
	s_waitcnt vmcnt(14) lgkmcnt(3)
	v_fma_f64 v[106:107], v[118:119], v[106:107], 0
	s_waitcnt vmcnt(12)
	v_fmac_f64_e32 v[106:107], v[120:121], v[108:109]
	s_waitcnt vmcnt(10) lgkmcnt(2)
	v_fmac_f64_e32 v[106:107], v[122:123], v[110:111]
	s_waitcnt vmcnt(8)
	v_fmac_f64_e32 v[106:107], v[124:125], v[112:113]
	s_waitcnt vmcnt(6) lgkmcnt(1)
	v_fmac_f64_e32 v[106:107], v[126:127], v[114:115]
	;; [unrolled: 4-line block ×3, first 2 shown]
	s_waitcnt vmcnt(0)
	v_add_f64 v[106:107], v[132:133], -v[106:107]
	buffer_store_dword v106, off, s[0:3], 0 offset:344
	buffer_store_dword v107, off, s[0:3], 0 offset:348
	s_and_saveexec_b64 s[4:5], vcc
	s_cbranch_execz .LBB114_229
; %bb.228:
	buffer_load_dword v106, off, s[0:3], 0 offset:336
	buffer_load_dword v107, off, s[0:3], 0 offset:340
	s_waitcnt vmcnt(0)
	ds_write_b64 v1, v[106:107]
	buffer_store_dword v104, off, s[0:3], 0 offset:336
	buffer_store_dword v104, off, s[0:3], 0 offset:340
.LBB114_229:
	s_or_b64 exec, exec, s[4:5]
	s_waitcnt lgkmcnt(0)
	; wave barrier
	s_waitcnt lgkmcnt(0)
	buffer_load_dword v122, off, s[0:3], 0 offset:344
	buffer_load_dword v123, off, s[0:3], 0 offset:348
	;; [unrolled: 1-line block ×18, first 2 shown]
	ds_read2_b64 v[106:109], v104 offset0:95 offset1:96
	ds_read2_b64 v[110:113], v104 offset0:97 offset1:98
	;; [unrolled: 1-line block ×4, first 2 shown]
	v_cmp_lt_u32_e32 vcc, 41, v0
	s_waitcnt vmcnt(16) lgkmcnt(3)
	v_fma_f64 v[104:105], v[122:123], v[106:107], 0
	s_waitcnt vmcnt(14)
	v_fmac_f64_e32 v[104:105], v[124:125], v[108:109]
	s_waitcnt vmcnt(12) lgkmcnt(2)
	v_fmac_f64_e32 v[104:105], v[126:127], v[110:111]
	s_waitcnt vmcnt(10)
	v_fmac_f64_e32 v[104:105], v[128:129], v[112:113]
	s_waitcnt vmcnt(8) lgkmcnt(1)
	v_fmac_f64_e32 v[104:105], v[130:131], v[114:115]
	;; [unrolled: 4-line block ×3, first 2 shown]
	s_waitcnt vmcnt(2)
	v_fmac_f64_e32 v[104:105], v[136:137], v[120:121]
	s_waitcnt vmcnt(0)
	v_add_f64 v[104:105], v[138:139], -v[104:105]
	buffer_store_dword v104, off, s[0:3], 0 offset:336
	buffer_store_dword v105, off, s[0:3], 0 offset:340
	s_and_saveexec_b64 s[4:5], vcc
	s_cbranch_execz .LBB114_231
; %bb.230:
	buffer_load_dword v104, off, s[0:3], 0 offset:328
	buffer_load_dword v105, off, s[0:3], 0 offset:332
	v_mov_b32_e32 v106, 0
	buffer_store_dword v106, off, s[0:3], 0 offset:328
	buffer_store_dword v106, off, s[0:3], 0 offset:332
	s_waitcnt vmcnt(2)
	ds_write_b64 v1, v[104:105]
.LBB114_231:
	s_or_b64 exec, exec, s[4:5]
	s_waitcnt lgkmcnt(0)
	; wave barrier
	s_waitcnt lgkmcnt(0)
	buffer_load_dword v122, off, s[0:3], 0 offset:336
	buffer_load_dword v123, off, s[0:3], 0 offset:340
	;; [unrolled: 1-line block ×20, first 2 shown]
	v_mov_b32_e32 v104, 0
	ds_read_b128 v[106:109], v104 offset:752
	ds_read_b128 v[110:113], v104 offset:768
	;; [unrolled: 1-line block ×4, first 2 shown]
	ds_read_b64 v[142:143], v104 offset:816
	v_cmp_lt_u32_e32 vcc, 40, v0
	s_waitcnt vmcnt(18) lgkmcnt(4)
	v_fma_f64 v[106:107], v[122:123], v[106:107], 0
	s_waitcnt vmcnt(16)
	v_fmac_f64_e32 v[106:107], v[124:125], v[108:109]
	s_waitcnt vmcnt(14) lgkmcnt(3)
	v_fmac_f64_e32 v[106:107], v[126:127], v[110:111]
	s_waitcnt vmcnt(12)
	v_fmac_f64_e32 v[106:107], v[128:129], v[112:113]
	s_waitcnt vmcnt(10) lgkmcnt(2)
	v_fmac_f64_e32 v[106:107], v[130:131], v[114:115]
	;; [unrolled: 4-line block ×3, first 2 shown]
	s_waitcnt vmcnt(2)
	v_fmac_f64_e32 v[106:107], v[138:139], v[120:121]
	s_waitcnt lgkmcnt(0)
	v_fmac_f64_e32 v[106:107], v[136:137], v[142:143]
	s_waitcnt vmcnt(0)
	v_add_f64 v[106:107], v[140:141], -v[106:107]
	buffer_store_dword v106, off, s[0:3], 0 offset:328
	buffer_store_dword v107, off, s[0:3], 0 offset:332
	s_and_saveexec_b64 s[4:5], vcc
	s_cbranch_execz .LBB114_233
; %bb.232:
	buffer_load_dword v106, off, s[0:3], 0 offset:320
	buffer_load_dword v107, off, s[0:3], 0 offset:324
	s_waitcnt vmcnt(0)
	ds_write_b64 v1, v[106:107]
	buffer_store_dword v104, off, s[0:3], 0 offset:320
	buffer_store_dword v104, off, s[0:3], 0 offset:324
.LBB114_233:
	s_or_b64 exec, exec, s[4:5]
	s_waitcnt lgkmcnt(0)
	; wave barrier
	s_waitcnt lgkmcnt(0)
	buffer_load_dword v126, off, s[0:3], 0 offset:328
	buffer_load_dword v127, off, s[0:3], 0 offset:332
	;; [unrolled: 1-line block ×22, first 2 shown]
	ds_read2_b64 v[106:109], v104 offset0:93 offset1:94
	ds_read2_b64 v[110:113], v104 offset0:95 offset1:96
	;; [unrolled: 1-line block ×5, first 2 shown]
	v_cmp_lt_u32_e32 vcc, 39, v0
	s_waitcnt vmcnt(20) lgkmcnt(4)
	v_fma_f64 v[104:105], v[126:127], v[106:107], 0
	s_waitcnt vmcnt(18)
	v_fmac_f64_e32 v[104:105], v[128:129], v[108:109]
	s_waitcnt vmcnt(16) lgkmcnt(3)
	v_fmac_f64_e32 v[104:105], v[130:131], v[110:111]
	s_waitcnt vmcnt(14)
	v_fmac_f64_e32 v[104:105], v[132:133], v[112:113]
	s_waitcnt vmcnt(12) lgkmcnt(2)
	v_fmac_f64_e32 v[104:105], v[134:135], v[114:115]
	;; [unrolled: 4-line block ×3, first 2 shown]
	s_waitcnt vmcnt(3)
	v_fmac_f64_e32 v[104:105], v[144:145], v[120:121]
	s_waitcnt lgkmcnt(0)
	v_fmac_f64_e32 v[104:105], v[142:143], v[122:123]
	s_waitcnt vmcnt(2)
	v_fmac_f64_e32 v[104:105], v[140:141], v[124:125]
	s_waitcnt vmcnt(0)
	v_add_f64 v[104:105], v[146:147], -v[104:105]
	buffer_store_dword v104, off, s[0:3], 0 offset:320
	buffer_store_dword v105, off, s[0:3], 0 offset:324
	s_and_saveexec_b64 s[4:5], vcc
	s_cbranch_execz .LBB114_235
; %bb.234:
	buffer_load_dword v104, off, s[0:3], 0 offset:312
	buffer_load_dword v105, off, s[0:3], 0 offset:316
	v_mov_b32_e32 v106, 0
	buffer_store_dword v106, off, s[0:3], 0 offset:312
	buffer_store_dword v106, off, s[0:3], 0 offset:316
	s_waitcnt vmcnt(2)
	ds_write_b64 v1, v[104:105]
.LBB114_235:
	s_or_b64 exec, exec, s[4:5]
	s_waitcnt lgkmcnt(0)
	; wave barrier
	s_waitcnt lgkmcnt(0)
	buffer_load_dword v126, off, s[0:3], 0 offset:320
	buffer_load_dword v127, off, s[0:3], 0 offset:324
	;; [unrolled: 1-line block ×24, first 2 shown]
	v_mov_b32_e32 v104, 0
	ds_read_b128 v[106:109], v104 offset:736
	ds_read_b128 v[110:113], v104 offset:752
	;; [unrolled: 1-line block ×5, first 2 shown]
	ds_read_b64 v[150:151], v104 offset:816
	v_cmp_lt_u32_e32 vcc, 38, v0
	s_waitcnt vmcnt(22) lgkmcnt(5)
	v_fma_f64 v[106:107], v[126:127], v[106:107], 0
	s_waitcnt vmcnt(20)
	v_fmac_f64_e32 v[106:107], v[128:129], v[108:109]
	s_waitcnt vmcnt(18) lgkmcnt(4)
	v_fmac_f64_e32 v[106:107], v[130:131], v[110:111]
	s_waitcnt vmcnt(16)
	v_fmac_f64_e32 v[106:107], v[132:133], v[112:113]
	s_waitcnt vmcnt(14) lgkmcnt(3)
	v_fmac_f64_e32 v[106:107], v[134:135], v[114:115]
	;; [unrolled: 4-line block ×3, first 2 shown]
	s_waitcnt vmcnt(4)
	v_fmac_f64_e32 v[106:107], v[146:147], v[120:121]
	s_waitcnt lgkmcnt(1)
	v_fmac_f64_e32 v[106:107], v[144:145], v[122:123]
	s_waitcnt vmcnt(3)
	v_fmac_f64_e32 v[106:107], v[142:143], v[124:125]
	s_waitcnt vmcnt(2) lgkmcnt(0)
	v_fmac_f64_e32 v[106:107], v[140:141], v[150:151]
	s_waitcnt vmcnt(0)
	v_add_f64 v[106:107], v[148:149], -v[106:107]
	buffer_store_dword v107, off, s[0:3], 0 offset:316
	buffer_store_dword v106, off, s[0:3], 0 offset:312
	s_and_saveexec_b64 s[4:5], vcc
	s_cbranch_execz .LBB114_237
; %bb.236:
	buffer_load_dword v106, off, s[0:3], 0 offset:304
	buffer_load_dword v107, off, s[0:3], 0 offset:308
	s_waitcnt vmcnt(0)
	ds_write_b64 v1, v[106:107]
	buffer_store_dword v104, off, s[0:3], 0 offset:304
	buffer_store_dword v104, off, s[0:3], 0 offset:308
.LBB114_237:
	s_or_b64 exec, exec, s[4:5]
	s_waitcnt lgkmcnt(0)
	; wave barrier
	s_waitcnt lgkmcnt(0)
	buffer_load_dword v130, off, s[0:3], 0 offset:312
	buffer_load_dword v131, off, s[0:3], 0 offset:316
	;; [unrolled: 1-line block ×26, first 2 shown]
	ds_read2_b64 v[106:109], v104 offset0:91 offset1:92
	ds_read2_b64 v[110:113], v104 offset0:93 offset1:94
	;; [unrolled: 1-line block ×6, first 2 shown]
	v_cmp_lt_u32_e32 vcc, 37, v0
	s_waitcnt vmcnt(24) lgkmcnt(5)
	v_fma_f64 v[104:105], v[130:131], v[106:107], 0
	s_waitcnt vmcnt(22)
	v_fmac_f64_e32 v[104:105], v[132:133], v[108:109]
	s_waitcnt vmcnt(20) lgkmcnt(4)
	v_fmac_f64_e32 v[104:105], v[134:135], v[110:111]
	s_waitcnt vmcnt(18)
	v_fmac_f64_e32 v[104:105], v[136:137], v[112:113]
	s_waitcnt vmcnt(16) lgkmcnt(3)
	v_fmac_f64_e32 v[104:105], v[138:139], v[114:115]
	;; [unrolled: 4-line block ×3, first 2 shown]
	s_waitcnt vmcnt(5)
	v_fmac_f64_e32 v[104:105], v[150:151], v[120:121]
	s_waitcnt lgkmcnt(1)
	v_fmac_f64_e32 v[104:105], v[148:149], v[122:123]
	v_fmac_f64_e32 v[104:105], v[146:147], v[124:125]
	s_waitcnt vmcnt(4) lgkmcnt(0)
	v_fmac_f64_e32 v[104:105], v[144:145], v[126:127]
	s_waitcnt vmcnt(2)
	v_fmac_f64_e32 v[104:105], v[152:153], v[128:129]
	s_waitcnt vmcnt(0)
	v_add_f64 v[104:105], v[154:155], -v[104:105]
	buffer_store_dword v105, off, s[0:3], 0 offset:308
	buffer_store_dword v104, off, s[0:3], 0 offset:304
	s_and_saveexec_b64 s[4:5], vcc
	s_cbranch_execz .LBB114_239
; %bb.238:
	buffer_load_dword v104, off, s[0:3], 0 offset:296
	buffer_load_dword v105, off, s[0:3], 0 offset:300
	v_mov_b32_e32 v106, 0
	buffer_store_dword v106, off, s[0:3], 0 offset:296
	buffer_store_dword v106, off, s[0:3], 0 offset:300
	s_waitcnt vmcnt(2)
	ds_write_b64 v1, v[104:105]
.LBB114_239:
	s_or_b64 exec, exec, s[4:5]
	s_waitcnt lgkmcnt(0)
	; wave barrier
	s_waitcnt lgkmcnt(0)
	buffer_load_dword v130, off, s[0:3], 0 offset:304
	buffer_load_dword v131, off, s[0:3], 0 offset:308
	;; [unrolled: 1-line block ×28, first 2 shown]
	v_mov_b32_e32 v104, 0
	ds_read_b128 v[106:109], v104 offset:720
	ds_read_b128 v[110:113], v104 offset:736
	;; [unrolled: 1-line block ×6, first 2 shown]
	ds_read_b64 v[158:159], v104 offset:816
	v_cmp_lt_u32_e32 vcc, 36, v0
	s_waitcnt vmcnt(26) lgkmcnt(6)
	v_fma_f64 v[106:107], v[130:131], v[106:107], 0
	s_waitcnt vmcnt(24)
	v_fmac_f64_e32 v[106:107], v[132:133], v[108:109]
	s_waitcnt vmcnt(22) lgkmcnt(5)
	v_fmac_f64_e32 v[106:107], v[134:135], v[110:111]
	s_waitcnt vmcnt(20)
	v_fmac_f64_e32 v[106:107], v[136:137], v[112:113]
	s_waitcnt vmcnt(18) lgkmcnt(4)
	v_fmac_f64_e32 v[106:107], v[138:139], v[114:115]
	;; [unrolled: 4-line block ×3, first 2 shown]
	s_waitcnt vmcnt(6)
	v_fmac_f64_e32 v[106:107], v[150:151], v[120:121]
	s_waitcnt lgkmcnt(2)
	v_fmac_f64_e32 v[106:107], v[148:149], v[122:123]
	v_fmac_f64_e32 v[106:107], v[146:147], v[124:125]
	s_waitcnt lgkmcnt(1)
	v_fmac_f64_e32 v[106:107], v[144:145], v[126:127]
	s_waitcnt vmcnt(2)
	v_fmac_f64_e32 v[106:107], v[154:155], v[128:129]
	s_waitcnt lgkmcnt(0)
	v_fmac_f64_e32 v[106:107], v[152:153], v[158:159]
	s_waitcnt vmcnt(0)
	v_add_f64 v[106:107], v[156:157], -v[106:107]
	buffer_store_dword v107, off, s[0:3], 0 offset:300
	buffer_store_dword v106, off, s[0:3], 0 offset:296
	s_and_saveexec_b64 s[4:5], vcc
	s_cbranch_execz .LBB114_241
; %bb.240:
	buffer_load_dword v106, off, s[0:3], 0 offset:288
	buffer_load_dword v107, off, s[0:3], 0 offset:292
	s_waitcnt vmcnt(0)
	ds_write_b64 v1, v[106:107]
	buffer_store_dword v104, off, s[0:3], 0 offset:288
	buffer_store_dword v104, off, s[0:3], 0 offset:292
.LBB114_241:
	s_or_b64 exec, exec, s[4:5]
	s_waitcnt lgkmcnt(0)
	; wave barrier
	s_waitcnt lgkmcnt(0)
	buffer_load_dword v134, off, s[0:3], 0 offset:296
	buffer_load_dword v135, off, s[0:3], 0 offset:300
	;; [unrolled: 1-line block ×30, first 2 shown]
	ds_read2_b64 v[106:109], v104 offset0:89 offset1:90
	ds_read2_b64 v[110:113], v104 offset0:91 offset1:92
	;; [unrolled: 1-line block ×7, first 2 shown]
	v_cmp_lt_u32_e32 vcc, 35, v0
	s_waitcnt vmcnt(28) lgkmcnt(6)
	v_fma_f64 v[104:105], v[134:135], v[106:107], 0
	s_waitcnt vmcnt(26)
	v_fmac_f64_e32 v[104:105], v[136:137], v[108:109]
	s_waitcnt vmcnt(24) lgkmcnt(5)
	v_fmac_f64_e32 v[104:105], v[138:139], v[110:111]
	s_waitcnt vmcnt(22)
	v_fmac_f64_e32 v[104:105], v[140:141], v[112:113]
	s_waitcnt vmcnt(20) lgkmcnt(4)
	v_fmac_f64_e32 v[104:105], v[142:143], v[114:115]
	;; [unrolled: 4-line block ×3, first 2 shown]
	s_waitcnt vmcnt(8)
	v_fmac_f64_e32 v[104:105], v[154:155], v[120:121]
	s_waitcnt lgkmcnt(2)
	v_fmac_f64_e32 v[104:105], v[152:153], v[122:123]
	v_fmac_f64_e32 v[104:105], v[150:151], v[124:125]
	s_waitcnt lgkmcnt(1)
	v_fmac_f64_e32 v[104:105], v[148:149], v[126:127]
	s_waitcnt vmcnt(3)
	v_fmac_f64_e32 v[104:105], v[160:161], v[128:129]
	s_waitcnt lgkmcnt(0)
	v_fmac_f64_e32 v[104:105], v[158:159], v[130:131]
	s_waitcnt vmcnt(2)
	v_fmac_f64_e32 v[104:105], v[156:157], v[132:133]
	s_waitcnt vmcnt(0)
	v_add_f64 v[104:105], v[162:163], -v[104:105]
	buffer_store_dword v105, off, s[0:3], 0 offset:292
	buffer_store_dword v104, off, s[0:3], 0 offset:288
	s_and_saveexec_b64 s[4:5], vcc
	s_cbranch_execz .LBB114_243
; %bb.242:
	buffer_load_dword v104, off, s[0:3], 0 offset:280
	buffer_load_dword v105, off, s[0:3], 0 offset:284
	v_mov_b32_e32 v106, 0
	buffer_store_dword v106, off, s[0:3], 0 offset:280
	buffer_store_dword v106, off, s[0:3], 0 offset:284
	s_waitcnt vmcnt(2)
	ds_write_b64 v1, v[104:105]
.LBB114_243:
	s_or_b64 exec, exec, s[4:5]
	s_waitcnt lgkmcnt(0)
	; wave barrier
	s_waitcnt lgkmcnt(0)
	buffer_load_dword v122, off, s[0:3], 0 offset:280
	buffer_load_dword v123, off, s[0:3], 0 offset:284
	;; [unrolled: 1-line block ×16, first 2 shown]
	v_mov_b32_e32 v104, 0
	ds_read_b128 v[106:109], v104 offset:704
	ds_read_b128 v[110:113], v104 offset:720
	;; [unrolled: 1-line block ×4, first 2 shown]
	v_cmp_lt_u32_e32 vcc, 34, v0
	s_waitcnt vmcnt(12) lgkmcnt(3)
	v_fma_f64 v[124:125], v[124:125], v[106:107], 0
	buffer_load_dword v107, off, s[0:3], 0 offset:348
	buffer_load_dword v106, off, s[0:3], 0 offset:344
	s_waitcnt vmcnt(12)
	v_fmac_f64_e32 v[124:125], v[126:127], v[108:109]
	s_waitcnt vmcnt(10) lgkmcnt(2)
	v_fmac_f64_e32 v[124:125], v[128:129], v[110:111]
	buffer_load_dword v111, off, s[0:3], 0 offset:356
	buffer_load_dword v110, off, s[0:3], 0 offset:352
	s_waitcnt vmcnt(10)
	v_fmac_f64_e32 v[124:125], v[130:131], v[112:113]
	s_waitcnt vmcnt(8) lgkmcnt(1)
	v_fmac_f64_e32 v[124:125], v[132:133], v[114:115]
	s_waitcnt vmcnt(6)
	v_fmac_f64_e32 v[124:125], v[134:135], v[116:117]
	s_waitcnt vmcnt(4) lgkmcnt(0)
	v_fmac_f64_e32 v[124:125], v[136:137], v[118:119]
	s_waitcnt vmcnt(2)
	v_fmac_f64_e32 v[124:125], v[106:107], v[120:121]
	ds_read_b128 v[106:109], v104 offset:768
	s_waitcnt vmcnt(0) lgkmcnt(0)
	v_fmac_f64_e32 v[124:125], v[110:111], v[106:107]
	buffer_load_dword v107, off, s[0:3], 0 offset:364
	buffer_load_dword v106, off, s[0:3], 0 offset:360
	;; [unrolled: 1-line block ×4, first 2 shown]
	s_waitcnt vmcnt(2)
	v_fmac_f64_e32 v[124:125], v[106:107], v[108:109]
	ds_read_b128 v[106:109], v104 offset:784
	s_waitcnt vmcnt(0) lgkmcnt(0)
	v_fmac_f64_e32 v[124:125], v[110:111], v[106:107]
	buffer_load_dword v107, off, s[0:3], 0 offset:380
	buffer_load_dword v106, off, s[0:3], 0 offset:376
	;; [unrolled: 1-line block ×4, first 2 shown]
	s_waitcnt vmcnt(2)
	v_fmac_f64_e32 v[124:125], v[106:107], v[108:109]
	ds_read_b128 v[106:109], v104 offset:800
	s_waitcnt vmcnt(0) lgkmcnt(0)
	v_fmac_f64_e32 v[124:125], v[110:111], v[106:107]
	buffer_load_dword v107, off, s[0:3], 0 offset:396
	buffer_load_dword v106, off, s[0:3], 0 offset:392
	s_waitcnt vmcnt(0)
	v_fmac_f64_e32 v[124:125], v[106:107], v[108:109]
	buffer_load_dword v107, off, s[0:3], 0 offset:404
	buffer_load_dword v106, off, s[0:3], 0 offset:400
	ds_read_b64 v[108:109], v104 offset:816
	s_waitcnt vmcnt(0) lgkmcnt(0)
	v_fmac_f64_e32 v[124:125], v[106:107], v[108:109]
	v_add_f64 v[106:107], v[122:123], -v[124:125]
	buffer_store_dword v107, off, s[0:3], 0 offset:284
	buffer_store_dword v106, off, s[0:3], 0 offset:280
	s_and_saveexec_b64 s[4:5], vcc
	s_cbranch_execz .LBB114_245
; %bb.244:
	buffer_load_dword v106, off, s[0:3], 0 offset:272
	buffer_load_dword v107, off, s[0:3], 0 offset:276
	s_waitcnt vmcnt(0)
	ds_write_b64 v1, v[106:107]
	buffer_store_dword v104, off, s[0:3], 0 offset:272
	buffer_store_dword v104, off, s[0:3], 0 offset:276
.LBB114_245:
	s_or_b64 exec, exec, s[4:5]
	s_waitcnt lgkmcnt(0)
	; wave barrier
	s_waitcnt lgkmcnt(0)
	buffer_load_dword v110, off, s[0:3], 0 offset:272
	buffer_load_dword v111, off, s[0:3], 0 offset:276
	;; [unrolled: 1-line block ×16, first 2 shown]
	ds_read2_b64 v[106:109], v104 offset0:87 offset1:88
	v_cmp_lt_u32_e32 vcc, 33, v0
	s_waitcnt vmcnt(12) lgkmcnt(0)
	v_fma_f64 v[112:113], v[112:113], v[106:107], 0
	s_waitcnt vmcnt(10)
	v_fmac_f64_e32 v[112:113], v[114:115], v[108:109]
	ds_read2_b64 v[106:109], v104 offset0:89 offset1:90
	s_waitcnt vmcnt(8) lgkmcnt(0)
	v_fmac_f64_e32 v[112:113], v[116:117], v[106:107]
	s_waitcnt vmcnt(6)
	v_fmac_f64_e32 v[112:113], v[118:119], v[108:109]
	ds_read2_b64 v[106:109], v104 offset0:91 offset1:92
	s_waitcnt vmcnt(4) lgkmcnt(0)
	v_fmac_f64_e32 v[112:113], v[120:121], v[106:107]
	;; [unrolled: 5-line block ×3, first 2 shown]
	buffer_load_dword v107, off, s[0:3], 0 offset:340
	buffer_load_dword v106, off, s[0:3], 0 offset:336
	buffer_load_dword v115, off, s[0:3], 0 offset:348
	buffer_load_dword v114, off, s[0:3], 0 offset:344
	s_waitcnt vmcnt(2)
	v_fmac_f64_e32 v[112:113], v[106:107], v[108:109]
	ds_read2_b64 v[106:109], v104 offset0:95 offset1:96
	s_waitcnt vmcnt(0) lgkmcnt(0)
	v_fmac_f64_e32 v[112:113], v[114:115], v[106:107]
	buffer_load_dword v107, off, s[0:3], 0 offset:356
	buffer_load_dword v106, off, s[0:3], 0 offset:352
	buffer_load_dword v115, off, s[0:3], 0 offset:364
	buffer_load_dword v114, off, s[0:3], 0 offset:360
	s_waitcnt vmcnt(2)
	v_fmac_f64_e32 v[112:113], v[106:107], v[108:109]
	ds_read2_b64 v[106:109], v104 offset0:97 offset1:98
	s_waitcnt vmcnt(0) lgkmcnt(0)
	v_fmac_f64_e32 v[112:113], v[114:115], v[106:107]
	;; [unrolled: 9-line block ×3, first 2 shown]
	buffer_load_dword v107, off, s[0:3], 0 offset:388
	buffer_load_dword v106, off, s[0:3], 0 offset:384
	s_waitcnt vmcnt(0)
	v_fmac_f64_e32 v[112:113], v[106:107], v[108:109]
	buffer_load_dword v109, off, s[0:3], 0 offset:396
	buffer_load_dword v108, off, s[0:3], 0 offset:392
	ds_read2_b64 v[104:107], v104 offset0:101 offset1:102
	s_waitcnt vmcnt(0) lgkmcnt(0)
	v_fmac_f64_e32 v[112:113], v[108:109], v[104:105]
	buffer_load_dword v105, off, s[0:3], 0 offset:404
	buffer_load_dword v104, off, s[0:3], 0 offset:400
	s_waitcnt vmcnt(0)
	v_fmac_f64_e32 v[112:113], v[104:105], v[106:107]
	v_add_f64 v[104:105], v[110:111], -v[112:113]
	buffer_store_dword v105, off, s[0:3], 0 offset:276
	buffer_store_dword v104, off, s[0:3], 0 offset:272
	s_and_saveexec_b64 s[4:5], vcc
	s_cbranch_execz .LBB114_247
; %bb.246:
	buffer_load_dword v104, off, s[0:3], 0 offset:264
	buffer_load_dword v105, off, s[0:3], 0 offset:268
	v_mov_b32_e32 v106, 0
	buffer_store_dword v106, off, s[0:3], 0 offset:264
	buffer_store_dword v106, off, s[0:3], 0 offset:268
	s_waitcnt vmcnt(2)
	ds_write_b64 v1, v[104:105]
.LBB114_247:
	s_or_b64 exec, exec, s[4:5]
	s_waitcnt lgkmcnt(0)
	; wave barrier
	s_waitcnt lgkmcnt(0)
	buffer_load_dword v104, off, s[0:3], 0 offset:264
	buffer_load_dword v105, off, s[0:3], 0 offset:268
	;; [unrolled: 1-line block ×16, first 2 shown]
	v_mov_b32_e32 v108, 0
	ds_read_b128 v[110:113], v108 offset:688
	ds_read_b128 v[114:117], v108 offset:704
	ds_read_b128 v[118:121], v108 offset:720
	ds_read_b128 v[122:125], v108 offset:736
	v_cmp_lt_u32_e32 vcc, 32, v0
	s_waitcnt vmcnt(12) lgkmcnt(3)
	v_fma_f64 v[106:107], v[106:107], v[110:111], 0
	buffer_load_dword v111, off, s[0:3], 0 offset:332
	buffer_load_dword v110, off, s[0:3], 0 offset:328
	s_waitcnt vmcnt(12)
	v_fmac_f64_e32 v[106:107], v[126:127], v[112:113]
	s_waitcnt vmcnt(10) lgkmcnt(2)
	v_fmac_f64_e32 v[106:107], v[128:129], v[114:115]
	buffer_load_dword v115, off, s[0:3], 0 offset:340
	buffer_load_dword v114, off, s[0:3], 0 offset:336
	s_waitcnt vmcnt(10)
	v_fmac_f64_e32 v[106:107], v[130:131], v[116:117]
	s_waitcnt vmcnt(8) lgkmcnt(1)
	v_fmac_f64_e32 v[106:107], v[132:133], v[118:119]
	s_waitcnt vmcnt(6)
	v_fmac_f64_e32 v[106:107], v[134:135], v[120:121]
	s_waitcnt vmcnt(4) lgkmcnt(0)
	v_fmac_f64_e32 v[106:107], v[136:137], v[122:123]
	s_waitcnt vmcnt(2)
	v_fmac_f64_e32 v[106:107], v[110:111], v[124:125]
	ds_read_b128 v[110:113], v108 offset:752
	s_waitcnt vmcnt(0) lgkmcnt(0)
	v_fmac_f64_e32 v[106:107], v[114:115], v[110:111]
	buffer_load_dword v111, off, s[0:3], 0 offset:348
	buffer_load_dword v110, off, s[0:3], 0 offset:344
	buffer_load_dword v115, off, s[0:3], 0 offset:356
	buffer_load_dword v114, off, s[0:3], 0 offset:352
	s_waitcnt vmcnt(2)
	v_fmac_f64_e32 v[106:107], v[110:111], v[112:113]
	ds_read_b128 v[110:113], v108 offset:768
	s_waitcnt vmcnt(0) lgkmcnt(0)
	v_fmac_f64_e32 v[106:107], v[114:115], v[110:111]
	buffer_load_dword v111, off, s[0:3], 0 offset:364
	buffer_load_dword v110, off, s[0:3], 0 offset:360
	buffer_load_dword v115, off, s[0:3], 0 offset:372
	buffer_load_dword v114, off, s[0:3], 0 offset:368
	;; [unrolled: 9-line block ×3, first 2 shown]
	s_waitcnt vmcnt(2)
	v_fmac_f64_e32 v[106:107], v[110:111], v[112:113]
	ds_read_b128 v[110:113], v108 offset:800
	s_waitcnt vmcnt(0) lgkmcnt(0)
	v_fmac_f64_e32 v[106:107], v[114:115], v[110:111]
	buffer_load_dword v111, off, s[0:3], 0 offset:396
	buffer_load_dword v110, off, s[0:3], 0 offset:392
	s_waitcnt vmcnt(0)
	v_fmac_f64_e32 v[106:107], v[110:111], v[112:113]
	buffer_load_dword v111, off, s[0:3], 0 offset:404
	buffer_load_dword v110, off, s[0:3], 0 offset:400
	ds_read_b64 v[112:113], v108 offset:816
	s_waitcnt vmcnt(0) lgkmcnt(0)
	v_fmac_f64_e32 v[106:107], v[110:111], v[112:113]
	v_add_f64 v[104:105], v[104:105], -v[106:107]
	buffer_store_dword v105, off, s[0:3], 0 offset:268
	buffer_store_dword v104, off, s[0:3], 0 offset:264
	s_and_saveexec_b64 s[4:5], vcc
	s_cbranch_execz .LBB114_249
; %bb.248:
	buffer_load_dword v104, off, s[0:3], 0 offset:256
	buffer_load_dword v105, off, s[0:3], 0 offset:260
	s_waitcnt vmcnt(0)
	ds_write_b64 v1, v[104:105]
	buffer_store_dword v108, off, s[0:3], 0 offset:256
	buffer_store_dword v108, off, s[0:3], 0 offset:260
.LBB114_249:
	s_or_b64 exec, exec, s[4:5]
	s_waitcnt lgkmcnt(0)
	; wave barrier
	s_waitcnt lgkmcnt(0)
	buffer_load_dword v104, off, s[0:3], 0 offset:256
	buffer_load_dword v105, off, s[0:3], 0 offset:260
	;; [unrolled: 1-line block ×16, first 2 shown]
	ds_read2_b64 v[110:113], v108 offset0:85 offset1:86
	v_cmp_lt_u32_e32 vcc, 31, v0
	s_waitcnt vmcnt(12) lgkmcnt(0)
	v_fma_f64 v[106:107], v[106:107], v[110:111], 0
	s_waitcnt vmcnt(10)
	v_fmac_f64_e32 v[106:107], v[114:115], v[112:113]
	ds_read2_b64 v[110:113], v108 offset0:87 offset1:88
	s_waitcnt vmcnt(8) lgkmcnt(0)
	v_fmac_f64_e32 v[106:107], v[116:117], v[110:111]
	s_waitcnt vmcnt(6)
	v_fmac_f64_e32 v[106:107], v[118:119], v[112:113]
	ds_read2_b64 v[110:113], v108 offset0:89 offset1:90
	s_waitcnt vmcnt(4) lgkmcnt(0)
	v_fmac_f64_e32 v[106:107], v[120:121], v[110:111]
	;; [unrolled: 5-line block ×3, first 2 shown]
	buffer_load_dword v111, off, s[0:3], 0 offset:324
	buffer_load_dword v110, off, s[0:3], 0 offset:320
	buffer_load_dword v115, off, s[0:3], 0 offset:332
	buffer_load_dword v114, off, s[0:3], 0 offset:328
	s_waitcnt vmcnt(2)
	v_fmac_f64_e32 v[106:107], v[110:111], v[112:113]
	ds_read2_b64 v[110:113], v108 offset0:93 offset1:94
	s_waitcnt vmcnt(0) lgkmcnt(0)
	v_fmac_f64_e32 v[106:107], v[114:115], v[110:111]
	buffer_load_dword v111, off, s[0:3], 0 offset:340
	buffer_load_dword v110, off, s[0:3], 0 offset:336
	buffer_load_dword v115, off, s[0:3], 0 offset:348
	buffer_load_dword v114, off, s[0:3], 0 offset:344
	s_waitcnt vmcnt(2)
	v_fmac_f64_e32 v[106:107], v[110:111], v[112:113]
	ds_read2_b64 v[110:113], v108 offset0:95 offset1:96
	s_waitcnt vmcnt(0) lgkmcnt(0)
	v_fmac_f64_e32 v[106:107], v[114:115], v[110:111]
	;; [unrolled: 9-line block ×4, first 2 shown]
	buffer_load_dword v111, off, s[0:3], 0 offset:388
	buffer_load_dword v110, off, s[0:3], 0 offset:384
	s_waitcnt vmcnt(0)
	v_fmac_f64_e32 v[106:107], v[110:111], v[112:113]
	buffer_load_dword v113, off, s[0:3], 0 offset:396
	buffer_load_dword v112, off, s[0:3], 0 offset:392
	ds_read2_b64 v[108:111], v108 offset0:101 offset1:102
	s_waitcnt vmcnt(0) lgkmcnt(0)
	v_fmac_f64_e32 v[106:107], v[112:113], v[108:109]
	buffer_load_dword v109, off, s[0:3], 0 offset:404
	buffer_load_dword v108, off, s[0:3], 0 offset:400
	s_waitcnt vmcnt(0)
	v_fmac_f64_e32 v[106:107], v[108:109], v[110:111]
	v_add_f64 v[104:105], v[104:105], -v[106:107]
	buffer_store_dword v105, off, s[0:3], 0 offset:260
	buffer_store_dword v104, off, s[0:3], 0 offset:256
	s_and_saveexec_b64 s[4:5], vcc
	s_cbranch_execz .LBB114_251
; %bb.250:
	buffer_load_dword v104, off, s[0:3], 0 offset:248
	buffer_load_dword v105, off, s[0:3], 0 offset:252
	v_mov_b32_e32 v106, 0
	buffer_store_dword v106, off, s[0:3], 0 offset:248
	buffer_store_dword v106, off, s[0:3], 0 offset:252
	s_waitcnt vmcnt(2)
	ds_write_b64 v1, v[104:105]
.LBB114_251:
	s_or_b64 exec, exec, s[4:5]
	s_waitcnt lgkmcnt(0)
	; wave barrier
	s_waitcnt lgkmcnt(0)
	buffer_load_dword v104, off, s[0:3], 0 offset:248
	buffer_load_dword v105, off, s[0:3], 0 offset:252
	;; [unrolled: 1-line block ×16, first 2 shown]
	v_mov_b32_e32 v108, 0
	ds_read_b128 v[110:113], v108 offset:672
	ds_read_b128 v[114:117], v108 offset:688
	;; [unrolled: 1-line block ×4, first 2 shown]
	v_cmp_lt_u32_e32 vcc, 30, v0
	s_waitcnt vmcnt(12) lgkmcnt(3)
	v_fma_f64 v[106:107], v[106:107], v[110:111], 0
	buffer_load_dword v111, off, s[0:3], 0 offset:316
	buffer_load_dword v110, off, s[0:3], 0 offset:312
	s_waitcnt vmcnt(12)
	v_fmac_f64_e32 v[106:107], v[126:127], v[112:113]
	s_waitcnt vmcnt(10) lgkmcnt(2)
	v_fmac_f64_e32 v[106:107], v[128:129], v[114:115]
	buffer_load_dword v115, off, s[0:3], 0 offset:324
	buffer_load_dword v114, off, s[0:3], 0 offset:320
	s_waitcnt vmcnt(10)
	v_fmac_f64_e32 v[106:107], v[130:131], v[116:117]
	s_waitcnt vmcnt(8) lgkmcnt(1)
	v_fmac_f64_e32 v[106:107], v[132:133], v[118:119]
	s_waitcnt vmcnt(6)
	v_fmac_f64_e32 v[106:107], v[134:135], v[120:121]
	s_waitcnt vmcnt(4) lgkmcnt(0)
	v_fmac_f64_e32 v[106:107], v[136:137], v[122:123]
	s_waitcnt vmcnt(2)
	v_fmac_f64_e32 v[106:107], v[110:111], v[124:125]
	ds_read_b128 v[110:113], v108 offset:736
	s_waitcnt vmcnt(0) lgkmcnt(0)
	v_fmac_f64_e32 v[106:107], v[114:115], v[110:111]
	buffer_load_dword v111, off, s[0:3], 0 offset:332
	buffer_load_dword v110, off, s[0:3], 0 offset:328
	buffer_load_dword v115, off, s[0:3], 0 offset:340
	buffer_load_dword v114, off, s[0:3], 0 offset:336
	s_waitcnt vmcnt(2)
	v_fmac_f64_e32 v[106:107], v[110:111], v[112:113]
	ds_read_b128 v[110:113], v108 offset:752
	s_waitcnt vmcnt(0) lgkmcnt(0)
	v_fmac_f64_e32 v[106:107], v[114:115], v[110:111]
	buffer_load_dword v111, off, s[0:3], 0 offset:348
	buffer_load_dword v110, off, s[0:3], 0 offset:344
	buffer_load_dword v115, off, s[0:3], 0 offset:356
	buffer_load_dword v114, off, s[0:3], 0 offset:352
	;; [unrolled: 9-line block ×4, first 2 shown]
	s_waitcnt vmcnt(2)
	v_fmac_f64_e32 v[106:107], v[110:111], v[112:113]
	ds_read_b128 v[110:113], v108 offset:800
	s_waitcnt vmcnt(0) lgkmcnt(0)
	v_fmac_f64_e32 v[106:107], v[114:115], v[110:111]
	buffer_load_dword v111, off, s[0:3], 0 offset:396
	buffer_load_dword v110, off, s[0:3], 0 offset:392
	s_waitcnt vmcnt(0)
	v_fmac_f64_e32 v[106:107], v[110:111], v[112:113]
	buffer_load_dword v111, off, s[0:3], 0 offset:404
	buffer_load_dword v110, off, s[0:3], 0 offset:400
	ds_read_b64 v[112:113], v108 offset:816
	s_waitcnt vmcnt(0) lgkmcnt(0)
	v_fmac_f64_e32 v[106:107], v[110:111], v[112:113]
	v_add_f64 v[104:105], v[104:105], -v[106:107]
	buffer_store_dword v105, off, s[0:3], 0 offset:252
	buffer_store_dword v104, off, s[0:3], 0 offset:248
	s_and_saveexec_b64 s[4:5], vcc
	s_cbranch_execz .LBB114_253
; %bb.252:
	buffer_load_dword v104, off, s[0:3], 0 offset:240
	buffer_load_dword v105, off, s[0:3], 0 offset:244
	s_waitcnt vmcnt(0)
	ds_write_b64 v1, v[104:105]
	buffer_store_dword v108, off, s[0:3], 0 offset:240
	buffer_store_dword v108, off, s[0:3], 0 offset:244
.LBB114_253:
	s_or_b64 exec, exec, s[4:5]
	s_waitcnt lgkmcnt(0)
	; wave barrier
	s_waitcnt lgkmcnt(0)
	buffer_load_dword v104, off, s[0:3], 0 offset:240
	buffer_load_dword v105, off, s[0:3], 0 offset:244
	;; [unrolled: 1-line block ×16, first 2 shown]
	ds_read2_b64 v[110:113], v108 offset0:83 offset1:84
	v_cmp_lt_u32_e32 vcc, 29, v0
	s_waitcnt vmcnt(12) lgkmcnt(0)
	v_fma_f64 v[106:107], v[106:107], v[110:111], 0
	s_waitcnt vmcnt(10)
	v_fmac_f64_e32 v[106:107], v[114:115], v[112:113]
	ds_read2_b64 v[110:113], v108 offset0:85 offset1:86
	s_waitcnt vmcnt(8) lgkmcnt(0)
	v_fmac_f64_e32 v[106:107], v[116:117], v[110:111]
	s_waitcnt vmcnt(6)
	v_fmac_f64_e32 v[106:107], v[118:119], v[112:113]
	ds_read2_b64 v[110:113], v108 offset0:87 offset1:88
	s_waitcnt vmcnt(4) lgkmcnt(0)
	v_fmac_f64_e32 v[106:107], v[120:121], v[110:111]
	;; [unrolled: 5-line block ×3, first 2 shown]
	buffer_load_dword v111, off, s[0:3], 0 offset:308
	buffer_load_dword v110, off, s[0:3], 0 offset:304
	buffer_load_dword v115, off, s[0:3], 0 offset:316
	buffer_load_dword v114, off, s[0:3], 0 offset:312
	s_waitcnt vmcnt(2)
	v_fmac_f64_e32 v[106:107], v[110:111], v[112:113]
	ds_read2_b64 v[110:113], v108 offset0:91 offset1:92
	s_waitcnt vmcnt(0) lgkmcnt(0)
	v_fmac_f64_e32 v[106:107], v[114:115], v[110:111]
	buffer_load_dword v111, off, s[0:3], 0 offset:324
	buffer_load_dword v110, off, s[0:3], 0 offset:320
	buffer_load_dword v115, off, s[0:3], 0 offset:332
	buffer_load_dword v114, off, s[0:3], 0 offset:328
	s_waitcnt vmcnt(2)
	v_fmac_f64_e32 v[106:107], v[110:111], v[112:113]
	ds_read2_b64 v[110:113], v108 offset0:93 offset1:94
	s_waitcnt vmcnt(0) lgkmcnt(0)
	v_fmac_f64_e32 v[106:107], v[114:115], v[110:111]
	;; [unrolled: 9-line block ×5, first 2 shown]
	buffer_load_dword v111, off, s[0:3], 0 offset:388
	buffer_load_dword v110, off, s[0:3], 0 offset:384
	s_waitcnt vmcnt(0)
	v_fmac_f64_e32 v[106:107], v[110:111], v[112:113]
	buffer_load_dword v113, off, s[0:3], 0 offset:396
	buffer_load_dword v112, off, s[0:3], 0 offset:392
	ds_read2_b64 v[108:111], v108 offset0:101 offset1:102
	s_waitcnt vmcnt(0) lgkmcnt(0)
	v_fmac_f64_e32 v[106:107], v[112:113], v[108:109]
	buffer_load_dword v109, off, s[0:3], 0 offset:404
	buffer_load_dword v108, off, s[0:3], 0 offset:400
	s_waitcnt vmcnt(0)
	v_fmac_f64_e32 v[106:107], v[108:109], v[110:111]
	v_add_f64 v[104:105], v[104:105], -v[106:107]
	buffer_store_dword v105, off, s[0:3], 0 offset:244
	buffer_store_dword v104, off, s[0:3], 0 offset:240
	s_and_saveexec_b64 s[4:5], vcc
	s_cbranch_execz .LBB114_255
; %bb.254:
	buffer_load_dword v104, off, s[0:3], 0 offset:232
	buffer_load_dword v105, off, s[0:3], 0 offset:236
	v_mov_b32_e32 v106, 0
	buffer_store_dword v106, off, s[0:3], 0 offset:232
	buffer_store_dword v106, off, s[0:3], 0 offset:236
	s_waitcnt vmcnt(2)
	ds_write_b64 v1, v[104:105]
.LBB114_255:
	s_or_b64 exec, exec, s[4:5]
	s_waitcnt lgkmcnt(0)
	; wave barrier
	s_waitcnt lgkmcnt(0)
	buffer_load_dword v104, off, s[0:3], 0 offset:232
	buffer_load_dword v105, off, s[0:3], 0 offset:236
	;; [unrolled: 1-line block ×16, first 2 shown]
	v_mov_b32_e32 v108, 0
	ds_read_b128 v[110:113], v108 offset:656
	ds_read_b128 v[114:117], v108 offset:672
	;; [unrolled: 1-line block ×4, first 2 shown]
	v_cmp_lt_u32_e32 vcc, 28, v0
	s_waitcnt vmcnt(12) lgkmcnt(3)
	v_fma_f64 v[106:107], v[106:107], v[110:111], 0
	buffer_load_dword v111, off, s[0:3], 0 offset:300
	buffer_load_dword v110, off, s[0:3], 0 offset:296
	s_waitcnt vmcnt(12)
	v_fmac_f64_e32 v[106:107], v[126:127], v[112:113]
	s_waitcnt vmcnt(10) lgkmcnt(2)
	v_fmac_f64_e32 v[106:107], v[128:129], v[114:115]
	buffer_load_dword v115, off, s[0:3], 0 offset:308
	buffer_load_dword v114, off, s[0:3], 0 offset:304
	s_waitcnt vmcnt(10)
	v_fmac_f64_e32 v[106:107], v[130:131], v[116:117]
	s_waitcnt vmcnt(8) lgkmcnt(1)
	v_fmac_f64_e32 v[106:107], v[132:133], v[118:119]
	s_waitcnt vmcnt(6)
	v_fmac_f64_e32 v[106:107], v[134:135], v[120:121]
	s_waitcnt vmcnt(4) lgkmcnt(0)
	v_fmac_f64_e32 v[106:107], v[136:137], v[122:123]
	s_waitcnt vmcnt(2)
	v_fmac_f64_e32 v[106:107], v[110:111], v[124:125]
	ds_read_b128 v[110:113], v108 offset:720
	s_waitcnt vmcnt(0) lgkmcnt(0)
	v_fmac_f64_e32 v[106:107], v[114:115], v[110:111]
	buffer_load_dword v111, off, s[0:3], 0 offset:316
	buffer_load_dword v110, off, s[0:3], 0 offset:312
	buffer_load_dword v115, off, s[0:3], 0 offset:324
	buffer_load_dword v114, off, s[0:3], 0 offset:320
	s_waitcnt vmcnt(2)
	v_fmac_f64_e32 v[106:107], v[110:111], v[112:113]
	ds_read_b128 v[110:113], v108 offset:736
	s_waitcnt vmcnt(0) lgkmcnt(0)
	v_fmac_f64_e32 v[106:107], v[114:115], v[110:111]
	buffer_load_dword v111, off, s[0:3], 0 offset:332
	buffer_load_dword v110, off, s[0:3], 0 offset:328
	buffer_load_dword v115, off, s[0:3], 0 offset:340
	buffer_load_dword v114, off, s[0:3], 0 offset:336
	;; [unrolled: 9-line block ×5, first 2 shown]
	s_waitcnt vmcnt(2)
	v_fmac_f64_e32 v[106:107], v[110:111], v[112:113]
	ds_read_b128 v[110:113], v108 offset:800
	s_waitcnt vmcnt(0) lgkmcnt(0)
	v_fmac_f64_e32 v[106:107], v[114:115], v[110:111]
	buffer_load_dword v111, off, s[0:3], 0 offset:396
	buffer_load_dword v110, off, s[0:3], 0 offset:392
	s_waitcnt vmcnt(0)
	v_fmac_f64_e32 v[106:107], v[110:111], v[112:113]
	buffer_load_dword v111, off, s[0:3], 0 offset:404
	buffer_load_dword v110, off, s[0:3], 0 offset:400
	ds_read_b64 v[112:113], v108 offset:816
	s_waitcnt vmcnt(0) lgkmcnt(0)
	v_fmac_f64_e32 v[106:107], v[110:111], v[112:113]
	v_add_f64 v[104:105], v[104:105], -v[106:107]
	buffer_store_dword v105, off, s[0:3], 0 offset:236
	buffer_store_dword v104, off, s[0:3], 0 offset:232
	s_and_saveexec_b64 s[4:5], vcc
	s_cbranch_execz .LBB114_257
; %bb.256:
	buffer_load_dword v104, off, s[0:3], 0 offset:224
	buffer_load_dword v105, off, s[0:3], 0 offset:228
	s_waitcnt vmcnt(0)
	ds_write_b64 v1, v[104:105]
	buffer_store_dword v108, off, s[0:3], 0 offset:224
	buffer_store_dword v108, off, s[0:3], 0 offset:228
.LBB114_257:
	s_or_b64 exec, exec, s[4:5]
	s_waitcnt lgkmcnt(0)
	; wave barrier
	s_waitcnt lgkmcnt(0)
	buffer_load_dword v104, off, s[0:3], 0 offset:224
	buffer_load_dword v105, off, s[0:3], 0 offset:228
	;; [unrolled: 1-line block ×16, first 2 shown]
	ds_read2_b64 v[110:113], v108 offset0:81 offset1:82
	v_cmp_lt_u32_e32 vcc, 27, v0
	s_waitcnt vmcnt(12) lgkmcnt(0)
	v_fma_f64 v[106:107], v[106:107], v[110:111], 0
	s_waitcnt vmcnt(10)
	v_fmac_f64_e32 v[106:107], v[114:115], v[112:113]
	ds_read2_b64 v[110:113], v108 offset0:83 offset1:84
	s_waitcnt vmcnt(8) lgkmcnt(0)
	v_fmac_f64_e32 v[106:107], v[116:117], v[110:111]
	s_waitcnt vmcnt(6)
	v_fmac_f64_e32 v[106:107], v[118:119], v[112:113]
	ds_read2_b64 v[110:113], v108 offset0:85 offset1:86
	s_waitcnt vmcnt(4) lgkmcnt(0)
	v_fmac_f64_e32 v[106:107], v[120:121], v[110:111]
	s_waitcnt vmcnt(2)
	v_fmac_f64_e32 v[106:107], v[122:123], v[112:113]
	ds_read2_b64 v[110:113], v108 offset0:87 offset1:88
	s_waitcnt vmcnt(0) lgkmcnt(0)
	v_fmac_f64_e32 v[106:107], v[124:125], v[110:111]
	buffer_load_dword v111, off, s[0:3], 0 offset:292
	buffer_load_dword v110, off, s[0:3], 0 offset:288
	buffer_load_dword v115, off, s[0:3], 0 offset:300
	buffer_load_dword v114, off, s[0:3], 0 offset:296
	s_waitcnt vmcnt(2)
	v_fmac_f64_e32 v[106:107], v[110:111], v[112:113]
	ds_read2_b64 v[110:113], v108 offset0:89 offset1:90
	s_waitcnt vmcnt(0) lgkmcnt(0)
	v_fmac_f64_e32 v[106:107], v[114:115], v[110:111]
	buffer_load_dword v111, off, s[0:3], 0 offset:308
	buffer_load_dword v110, off, s[0:3], 0 offset:304
	buffer_load_dword v115, off, s[0:3], 0 offset:316
	buffer_load_dword v114, off, s[0:3], 0 offset:312
	s_waitcnt vmcnt(2)
	v_fmac_f64_e32 v[106:107], v[110:111], v[112:113]
	ds_read2_b64 v[110:113], v108 offset0:91 offset1:92
	s_waitcnt vmcnt(0) lgkmcnt(0)
	v_fmac_f64_e32 v[106:107], v[114:115], v[110:111]
	;; [unrolled: 9-line block ×6, first 2 shown]
	buffer_load_dword v111, off, s[0:3], 0 offset:388
	buffer_load_dword v110, off, s[0:3], 0 offset:384
	s_waitcnt vmcnt(0)
	v_fmac_f64_e32 v[106:107], v[110:111], v[112:113]
	buffer_load_dword v113, off, s[0:3], 0 offset:396
	buffer_load_dword v112, off, s[0:3], 0 offset:392
	ds_read2_b64 v[108:111], v108 offset0:101 offset1:102
	s_waitcnt vmcnt(0) lgkmcnt(0)
	v_fmac_f64_e32 v[106:107], v[112:113], v[108:109]
	buffer_load_dword v109, off, s[0:3], 0 offset:404
	buffer_load_dword v108, off, s[0:3], 0 offset:400
	s_waitcnt vmcnt(0)
	v_fmac_f64_e32 v[106:107], v[108:109], v[110:111]
	v_add_f64 v[104:105], v[104:105], -v[106:107]
	buffer_store_dword v105, off, s[0:3], 0 offset:228
	buffer_store_dword v104, off, s[0:3], 0 offset:224
	s_and_saveexec_b64 s[4:5], vcc
	s_cbranch_execz .LBB114_259
; %bb.258:
	buffer_load_dword v104, off, s[0:3], 0 offset:216
	buffer_load_dword v105, off, s[0:3], 0 offset:220
	v_mov_b32_e32 v106, 0
	buffer_store_dword v106, off, s[0:3], 0 offset:216
	buffer_store_dword v106, off, s[0:3], 0 offset:220
	s_waitcnt vmcnt(2)
	ds_write_b64 v1, v[104:105]
.LBB114_259:
	s_or_b64 exec, exec, s[4:5]
	s_waitcnt lgkmcnt(0)
	; wave barrier
	s_waitcnt lgkmcnt(0)
	buffer_load_dword v104, off, s[0:3], 0 offset:216
	buffer_load_dword v105, off, s[0:3], 0 offset:220
	;; [unrolled: 1-line block ×16, first 2 shown]
	v_mov_b32_e32 v108, 0
	ds_read_b128 v[110:113], v108 offset:640
	ds_read_b128 v[114:117], v108 offset:656
	;; [unrolled: 1-line block ×4, first 2 shown]
	v_cmp_lt_u32_e32 vcc, 26, v0
	s_waitcnt vmcnt(12) lgkmcnt(3)
	v_fma_f64 v[106:107], v[106:107], v[110:111], 0
	buffer_load_dword v111, off, s[0:3], 0 offset:284
	buffer_load_dword v110, off, s[0:3], 0 offset:280
	s_waitcnt vmcnt(12)
	v_fmac_f64_e32 v[106:107], v[126:127], v[112:113]
	s_waitcnt vmcnt(10) lgkmcnt(2)
	v_fmac_f64_e32 v[106:107], v[128:129], v[114:115]
	buffer_load_dword v115, off, s[0:3], 0 offset:292
	buffer_load_dword v114, off, s[0:3], 0 offset:288
	s_waitcnt vmcnt(10)
	v_fmac_f64_e32 v[106:107], v[130:131], v[116:117]
	s_waitcnt vmcnt(8) lgkmcnt(1)
	v_fmac_f64_e32 v[106:107], v[132:133], v[118:119]
	s_waitcnt vmcnt(6)
	v_fmac_f64_e32 v[106:107], v[134:135], v[120:121]
	s_waitcnt vmcnt(4) lgkmcnt(0)
	v_fmac_f64_e32 v[106:107], v[136:137], v[122:123]
	s_waitcnt vmcnt(2)
	v_fmac_f64_e32 v[106:107], v[110:111], v[124:125]
	ds_read_b128 v[110:113], v108 offset:704
	s_waitcnt vmcnt(0) lgkmcnt(0)
	v_fmac_f64_e32 v[106:107], v[114:115], v[110:111]
	buffer_load_dword v111, off, s[0:3], 0 offset:300
	buffer_load_dword v110, off, s[0:3], 0 offset:296
	buffer_load_dword v115, off, s[0:3], 0 offset:308
	buffer_load_dword v114, off, s[0:3], 0 offset:304
	s_waitcnt vmcnt(2)
	v_fmac_f64_e32 v[106:107], v[110:111], v[112:113]
	ds_read_b128 v[110:113], v108 offset:720
	s_waitcnt vmcnt(0) lgkmcnt(0)
	v_fmac_f64_e32 v[106:107], v[114:115], v[110:111]
	buffer_load_dword v111, off, s[0:3], 0 offset:316
	buffer_load_dword v110, off, s[0:3], 0 offset:312
	buffer_load_dword v115, off, s[0:3], 0 offset:324
	buffer_load_dword v114, off, s[0:3], 0 offset:320
	;; [unrolled: 9-line block ×6, first 2 shown]
	s_waitcnt vmcnt(2)
	v_fmac_f64_e32 v[106:107], v[110:111], v[112:113]
	ds_read_b128 v[110:113], v108 offset:800
	s_waitcnt vmcnt(0) lgkmcnt(0)
	v_fmac_f64_e32 v[106:107], v[114:115], v[110:111]
	buffer_load_dword v111, off, s[0:3], 0 offset:396
	buffer_load_dword v110, off, s[0:3], 0 offset:392
	s_waitcnt vmcnt(0)
	v_fmac_f64_e32 v[106:107], v[110:111], v[112:113]
	buffer_load_dword v111, off, s[0:3], 0 offset:404
	buffer_load_dword v110, off, s[0:3], 0 offset:400
	ds_read_b64 v[112:113], v108 offset:816
	s_waitcnt vmcnt(0) lgkmcnt(0)
	v_fmac_f64_e32 v[106:107], v[110:111], v[112:113]
	v_add_f64 v[104:105], v[104:105], -v[106:107]
	buffer_store_dword v105, off, s[0:3], 0 offset:220
	buffer_store_dword v104, off, s[0:3], 0 offset:216
	s_and_saveexec_b64 s[4:5], vcc
	s_cbranch_execz .LBB114_261
; %bb.260:
	buffer_load_dword v104, off, s[0:3], 0 offset:208
	buffer_load_dword v105, off, s[0:3], 0 offset:212
	s_waitcnt vmcnt(0)
	ds_write_b64 v1, v[104:105]
	buffer_store_dword v108, off, s[0:3], 0 offset:208
	buffer_store_dword v108, off, s[0:3], 0 offset:212
.LBB114_261:
	s_or_b64 exec, exec, s[4:5]
	s_waitcnt lgkmcnt(0)
	; wave barrier
	s_waitcnt lgkmcnt(0)
	buffer_load_dword v104, off, s[0:3], 0 offset:208
	buffer_load_dword v105, off, s[0:3], 0 offset:212
	;; [unrolled: 1-line block ×16, first 2 shown]
	ds_read2_b64 v[110:113], v108 offset0:79 offset1:80
	v_cmp_lt_u32_e32 vcc, 25, v0
	s_waitcnt vmcnt(12) lgkmcnt(0)
	v_fma_f64 v[106:107], v[106:107], v[110:111], 0
	s_waitcnt vmcnt(10)
	v_fmac_f64_e32 v[106:107], v[114:115], v[112:113]
	ds_read2_b64 v[110:113], v108 offset0:81 offset1:82
	s_waitcnt vmcnt(8) lgkmcnt(0)
	v_fmac_f64_e32 v[106:107], v[116:117], v[110:111]
	s_waitcnt vmcnt(6)
	v_fmac_f64_e32 v[106:107], v[118:119], v[112:113]
	ds_read2_b64 v[110:113], v108 offset0:83 offset1:84
	s_waitcnt vmcnt(4) lgkmcnt(0)
	v_fmac_f64_e32 v[106:107], v[120:121], v[110:111]
	;; [unrolled: 5-line block ×3, first 2 shown]
	buffer_load_dword v111, off, s[0:3], 0 offset:276
	buffer_load_dword v110, off, s[0:3], 0 offset:272
	buffer_load_dword v115, off, s[0:3], 0 offset:284
	buffer_load_dword v114, off, s[0:3], 0 offset:280
	s_waitcnt vmcnt(2)
	v_fmac_f64_e32 v[106:107], v[110:111], v[112:113]
	ds_read2_b64 v[110:113], v108 offset0:87 offset1:88
	s_waitcnt vmcnt(0) lgkmcnt(0)
	v_fmac_f64_e32 v[106:107], v[114:115], v[110:111]
	buffer_load_dword v111, off, s[0:3], 0 offset:292
	buffer_load_dword v110, off, s[0:3], 0 offset:288
	buffer_load_dword v115, off, s[0:3], 0 offset:300
	buffer_load_dword v114, off, s[0:3], 0 offset:296
	s_waitcnt vmcnt(2)
	v_fmac_f64_e32 v[106:107], v[110:111], v[112:113]
	ds_read2_b64 v[110:113], v108 offset0:89 offset1:90
	s_waitcnt vmcnt(0) lgkmcnt(0)
	v_fmac_f64_e32 v[106:107], v[114:115], v[110:111]
	;; [unrolled: 9-line block ×7, first 2 shown]
	buffer_load_dword v111, off, s[0:3], 0 offset:388
	buffer_load_dword v110, off, s[0:3], 0 offset:384
	s_waitcnt vmcnt(0)
	v_fmac_f64_e32 v[106:107], v[110:111], v[112:113]
	buffer_load_dword v113, off, s[0:3], 0 offset:396
	buffer_load_dword v112, off, s[0:3], 0 offset:392
	ds_read2_b64 v[108:111], v108 offset0:101 offset1:102
	s_waitcnt vmcnt(0) lgkmcnt(0)
	v_fmac_f64_e32 v[106:107], v[112:113], v[108:109]
	buffer_load_dword v109, off, s[0:3], 0 offset:404
	buffer_load_dword v108, off, s[0:3], 0 offset:400
	s_waitcnt vmcnt(0)
	v_fmac_f64_e32 v[106:107], v[108:109], v[110:111]
	v_add_f64 v[104:105], v[104:105], -v[106:107]
	buffer_store_dword v105, off, s[0:3], 0 offset:212
	buffer_store_dword v104, off, s[0:3], 0 offset:208
	s_and_saveexec_b64 s[4:5], vcc
	s_cbranch_execz .LBB114_263
; %bb.262:
	buffer_load_dword v104, off, s[0:3], 0 offset:200
	buffer_load_dword v105, off, s[0:3], 0 offset:204
	v_mov_b32_e32 v106, 0
	buffer_store_dword v106, off, s[0:3], 0 offset:200
	buffer_store_dword v106, off, s[0:3], 0 offset:204
	s_waitcnt vmcnt(2)
	ds_write_b64 v1, v[104:105]
.LBB114_263:
	s_or_b64 exec, exec, s[4:5]
	s_waitcnt lgkmcnt(0)
	; wave barrier
	s_waitcnt lgkmcnt(0)
	buffer_load_dword v104, off, s[0:3], 0 offset:200
	buffer_load_dword v105, off, s[0:3], 0 offset:204
	;; [unrolled: 1-line block ×16, first 2 shown]
	v_mov_b32_e32 v108, 0
	ds_read_b128 v[110:113], v108 offset:624
	ds_read_b128 v[114:117], v108 offset:640
	;; [unrolled: 1-line block ×4, first 2 shown]
	v_cmp_lt_u32_e32 vcc, 24, v0
	s_waitcnt vmcnt(12) lgkmcnt(3)
	v_fma_f64 v[106:107], v[106:107], v[110:111], 0
	buffer_load_dword v111, off, s[0:3], 0 offset:268
	buffer_load_dword v110, off, s[0:3], 0 offset:264
	s_waitcnt vmcnt(12)
	v_fmac_f64_e32 v[106:107], v[126:127], v[112:113]
	s_waitcnt vmcnt(10) lgkmcnt(2)
	v_fmac_f64_e32 v[106:107], v[128:129], v[114:115]
	buffer_load_dword v115, off, s[0:3], 0 offset:276
	buffer_load_dword v114, off, s[0:3], 0 offset:272
	s_waitcnt vmcnt(10)
	v_fmac_f64_e32 v[106:107], v[130:131], v[116:117]
	s_waitcnt vmcnt(8) lgkmcnt(1)
	v_fmac_f64_e32 v[106:107], v[132:133], v[118:119]
	s_waitcnt vmcnt(6)
	v_fmac_f64_e32 v[106:107], v[134:135], v[120:121]
	s_waitcnt vmcnt(4) lgkmcnt(0)
	v_fmac_f64_e32 v[106:107], v[136:137], v[122:123]
	s_waitcnt vmcnt(2)
	v_fmac_f64_e32 v[106:107], v[110:111], v[124:125]
	ds_read_b128 v[110:113], v108 offset:688
	s_waitcnt vmcnt(0) lgkmcnt(0)
	v_fmac_f64_e32 v[106:107], v[114:115], v[110:111]
	buffer_load_dword v111, off, s[0:3], 0 offset:284
	buffer_load_dword v110, off, s[0:3], 0 offset:280
	buffer_load_dword v115, off, s[0:3], 0 offset:292
	buffer_load_dword v114, off, s[0:3], 0 offset:288
	s_waitcnt vmcnt(2)
	v_fmac_f64_e32 v[106:107], v[110:111], v[112:113]
	ds_read_b128 v[110:113], v108 offset:704
	s_waitcnt vmcnt(0) lgkmcnt(0)
	v_fmac_f64_e32 v[106:107], v[114:115], v[110:111]
	buffer_load_dword v111, off, s[0:3], 0 offset:300
	buffer_load_dword v110, off, s[0:3], 0 offset:296
	buffer_load_dword v115, off, s[0:3], 0 offset:308
	buffer_load_dword v114, off, s[0:3], 0 offset:304
	;; [unrolled: 9-line block ×7, first 2 shown]
	s_waitcnt vmcnt(2)
	v_fmac_f64_e32 v[106:107], v[110:111], v[112:113]
	ds_read_b128 v[110:113], v108 offset:800
	s_waitcnt vmcnt(0) lgkmcnt(0)
	v_fmac_f64_e32 v[106:107], v[114:115], v[110:111]
	buffer_load_dword v111, off, s[0:3], 0 offset:396
	buffer_load_dword v110, off, s[0:3], 0 offset:392
	s_waitcnt vmcnt(0)
	v_fmac_f64_e32 v[106:107], v[110:111], v[112:113]
	buffer_load_dword v111, off, s[0:3], 0 offset:404
	buffer_load_dword v110, off, s[0:3], 0 offset:400
	ds_read_b64 v[112:113], v108 offset:816
	s_waitcnt vmcnt(0) lgkmcnt(0)
	v_fmac_f64_e32 v[106:107], v[110:111], v[112:113]
	v_add_f64 v[104:105], v[104:105], -v[106:107]
	buffer_store_dword v105, off, s[0:3], 0 offset:204
	buffer_store_dword v104, off, s[0:3], 0 offset:200
	s_and_saveexec_b64 s[4:5], vcc
	s_cbranch_execz .LBB114_265
; %bb.264:
	buffer_load_dword v104, off, s[0:3], 0 offset:192
	buffer_load_dword v105, off, s[0:3], 0 offset:196
	s_waitcnt vmcnt(0)
	ds_write_b64 v1, v[104:105]
	buffer_store_dword v108, off, s[0:3], 0 offset:192
	buffer_store_dword v108, off, s[0:3], 0 offset:196
.LBB114_265:
	s_or_b64 exec, exec, s[4:5]
	s_waitcnt lgkmcnt(0)
	; wave barrier
	s_waitcnt lgkmcnt(0)
	buffer_load_dword v104, off, s[0:3], 0 offset:192
	buffer_load_dword v105, off, s[0:3], 0 offset:196
	;; [unrolled: 1-line block ×16, first 2 shown]
	ds_read2_b64 v[110:113], v108 offset0:77 offset1:78
	v_cmp_lt_u32_e32 vcc, 23, v0
	s_waitcnt vmcnt(12) lgkmcnt(0)
	v_fma_f64 v[106:107], v[106:107], v[110:111], 0
	s_waitcnt vmcnt(10)
	v_fmac_f64_e32 v[106:107], v[114:115], v[112:113]
	ds_read2_b64 v[110:113], v108 offset0:79 offset1:80
	s_waitcnt vmcnt(8) lgkmcnt(0)
	v_fmac_f64_e32 v[106:107], v[116:117], v[110:111]
	s_waitcnt vmcnt(6)
	v_fmac_f64_e32 v[106:107], v[118:119], v[112:113]
	ds_read2_b64 v[110:113], v108 offset0:81 offset1:82
	s_waitcnt vmcnt(4) lgkmcnt(0)
	v_fmac_f64_e32 v[106:107], v[120:121], v[110:111]
	;; [unrolled: 5-line block ×3, first 2 shown]
	buffer_load_dword v111, off, s[0:3], 0 offset:260
	buffer_load_dword v110, off, s[0:3], 0 offset:256
	buffer_load_dword v115, off, s[0:3], 0 offset:268
	buffer_load_dword v114, off, s[0:3], 0 offset:264
	s_waitcnt vmcnt(2)
	v_fmac_f64_e32 v[106:107], v[110:111], v[112:113]
	ds_read2_b64 v[110:113], v108 offset0:85 offset1:86
	s_waitcnt vmcnt(0) lgkmcnt(0)
	v_fmac_f64_e32 v[106:107], v[114:115], v[110:111]
	buffer_load_dword v111, off, s[0:3], 0 offset:276
	buffer_load_dword v110, off, s[0:3], 0 offset:272
	buffer_load_dword v115, off, s[0:3], 0 offset:284
	buffer_load_dword v114, off, s[0:3], 0 offset:280
	s_waitcnt vmcnt(2)
	v_fmac_f64_e32 v[106:107], v[110:111], v[112:113]
	ds_read2_b64 v[110:113], v108 offset0:87 offset1:88
	s_waitcnt vmcnt(0) lgkmcnt(0)
	v_fmac_f64_e32 v[106:107], v[114:115], v[110:111]
	;; [unrolled: 9-line block ×8, first 2 shown]
	buffer_load_dword v111, off, s[0:3], 0 offset:388
	buffer_load_dword v110, off, s[0:3], 0 offset:384
	s_waitcnt vmcnt(0)
	v_fmac_f64_e32 v[106:107], v[110:111], v[112:113]
	buffer_load_dword v113, off, s[0:3], 0 offset:396
	buffer_load_dword v112, off, s[0:3], 0 offset:392
	ds_read2_b64 v[108:111], v108 offset0:101 offset1:102
	s_waitcnt vmcnt(0) lgkmcnt(0)
	v_fmac_f64_e32 v[106:107], v[112:113], v[108:109]
	buffer_load_dword v109, off, s[0:3], 0 offset:404
	buffer_load_dword v108, off, s[0:3], 0 offset:400
	s_waitcnt vmcnt(0)
	v_fmac_f64_e32 v[106:107], v[108:109], v[110:111]
	v_add_f64 v[104:105], v[104:105], -v[106:107]
	buffer_store_dword v105, off, s[0:3], 0 offset:196
	buffer_store_dword v104, off, s[0:3], 0 offset:192
	s_and_saveexec_b64 s[4:5], vcc
	s_cbranch_execz .LBB114_267
; %bb.266:
	buffer_load_dword v104, off, s[0:3], 0 offset:184
	buffer_load_dword v105, off, s[0:3], 0 offset:188
	v_mov_b32_e32 v106, 0
	buffer_store_dword v106, off, s[0:3], 0 offset:184
	buffer_store_dword v106, off, s[0:3], 0 offset:188
	s_waitcnt vmcnt(2)
	ds_write_b64 v1, v[104:105]
.LBB114_267:
	s_or_b64 exec, exec, s[4:5]
	s_waitcnt lgkmcnt(0)
	; wave barrier
	s_waitcnt lgkmcnt(0)
	buffer_load_dword v104, off, s[0:3], 0 offset:184
	buffer_load_dword v105, off, s[0:3], 0 offset:188
	;; [unrolled: 1-line block ×16, first 2 shown]
	v_mov_b32_e32 v108, 0
	ds_read_b128 v[110:113], v108 offset:608
	ds_read_b128 v[114:117], v108 offset:624
	;; [unrolled: 1-line block ×4, first 2 shown]
	v_cmp_lt_u32_e32 vcc, 22, v0
	s_waitcnt vmcnt(12) lgkmcnt(3)
	v_fma_f64 v[106:107], v[106:107], v[110:111], 0
	buffer_load_dword v111, off, s[0:3], 0 offset:252
	buffer_load_dword v110, off, s[0:3], 0 offset:248
	s_waitcnt vmcnt(12)
	v_fmac_f64_e32 v[106:107], v[126:127], v[112:113]
	s_waitcnt vmcnt(10) lgkmcnt(2)
	v_fmac_f64_e32 v[106:107], v[128:129], v[114:115]
	buffer_load_dword v115, off, s[0:3], 0 offset:260
	buffer_load_dword v114, off, s[0:3], 0 offset:256
	s_waitcnt vmcnt(10)
	v_fmac_f64_e32 v[106:107], v[130:131], v[116:117]
	s_waitcnt vmcnt(8) lgkmcnt(1)
	v_fmac_f64_e32 v[106:107], v[132:133], v[118:119]
	s_waitcnt vmcnt(6)
	v_fmac_f64_e32 v[106:107], v[134:135], v[120:121]
	s_waitcnt vmcnt(4) lgkmcnt(0)
	v_fmac_f64_e32 v[106:107], v[136:137], v[122:123]
	s_waitcnt vmcnt(2)
	v_fmac_f64_e32 v[106:107], v[110:111], v[124:125]
	ds_read_b128 v[110:113], v108 offset:672
	s_waitcnt vmcnt(0) lgkmcnt(0)
	v_fmac_f64_e32 v[106:107], v[114:115], v[110:111]
	buffer_load_dword v111, off, s[0:3], 0 offset:268
	buffer_load_dword v110, off, s[0:3], 0 offset:264
	buffer_load_dword v115, off, s[0:3], 0 offset:276
	buffer_load_dword v114, off, s[0:3], 0 offset:272
	s_waitcnt vmcnt(2)
	v_fmac_f64_e32 v[106:107], v[110:111], v[112:113]
	ds_read_b128 v[110:113], v108 offset:688
	s_waitcnt vmcnt(0) lgkmcnt(0)
	v_fmac_f64_e32 v[106:107], v[114:115], v[110:111]
	buffer_load_dword v111, off, s[0:3], 0 offset:284
	buffer_load_dword v110, off, s[0:3], 0 offset:280
	buffer_load_dword v115, off, s[0:3], 0 offset:292
	buffer_load_dword v114, off, s[0:3], 0 offset:288
	;; [unrolled: 9-line block ×8, first 2 shown]
	s_waitcnt vmcnt(2)
	v_fmac_f64_e32 v[106:107], v[110:111], v[112:113]
	ds_read_b128 v[110:113], v108 offset:800
	s_waitcnt vmcnt(0) lgkmcnt(0)
	v_fmac_f64_e32 v[106:107], v[114:115], v[110:111]
	buffer_load_dword v111, off, s[0:3], 0 offset:396
	buffer_load_dword v110, off, s[0:3], 0 offset:392
	s_waitcnt vmcnt(0)
	v_fmac_f64_e32 v[106:107], v[110:111], v[112:113]
	buffer_load_dword v111, off, s[0:3], 0 offset:404
	buffer_load_dword v110, off, s[0:3], 0 offset:400
	ds_read_b64 v[112:113], v108 offset:816
	s_waitcnt vmcnt(0) lgkmcnt(0)
	v_fmac_f64_e32 v[106:107], v[110:111], v[112:113]
	v_add_f64 v[104:105], v[104:105], -v[106:107]
	buffer_store_dword v105, off, s[0:3], 0 offset:188
	buffer_store_dword v104, off, s[0:3], 0 offset:184
	s_and_saveexec_b64 s[4:5], vcc
	s_cbranch_execz .LBB114_269
; %bb.268:
	buffer_load_dword v104, off, s[0:3], 0 offset:176
	buffer_load_dword v105, off, s[0:3], 0 offset:180
	s_waitcnt vmcnt(0)
	ds_write_b64 v1, v[104:105]
	buffer_store_dword v108, off, s[0:3], 0 offset:176
	buffer_store_dword v108, off, s[0:3], 0 offset:180
.LBB114_269:
	s_or_b64 exec, exec, s[4:5]
	s_waitcnt lgkmcnt(0)
	; wave barrier
	s_waitcnt lgkmcnt(0)
	buffer_load_dword v104, off, s[0:3], 0 offset:176
	buffer_load_dword v105, off, s[0:3], 0 offset:180
	;; [unrolled: 1-line block ×16, first 2 shown]
	ds_read2_b64 v[110:113], v108 offset0:75 offset1:76
	v_cmp_lt_u32_e32 vcc, 21, v0
	s_waitcnt vmcnt(12) lgkmcnt(0)
	v_fma_f64 v[106:107], v[106:107], v[110:111], 0
	s_waitcnt vmcnt(10)
	v_fmac_f64_e32 v[106:107], v[114:115], v[112:113]
	ds_read2_b64 v[110:113], v108 offset0:77 offset1:78
	s_waitcnt vmcnt(8) lgkmcnt(0)
	v_fmac_f64_e32 v[106:107], v[116:117], v[110:111]
	s_waitcnt vmcnt(6)
	v_fmac_f64_e32 v[106:107], v[118:119], v[112:113]
	ds_read2_b64 v[110:113], v108 offset0:79 offset1:80
	s_waitcnt vmcnt(4) lgkmcnt(0)
	v_fmac_f64_e32 v[106:107], v[120:121], v[110:111]
	;; [unrolled: 5-line block ×3, first 2 shown]
	buffer_load_dword v111, off, s[0:3], 0 offset:244
	buffer_load_dword v110, off, s[0:3], 0 offset:240
	buffer_load_dword v115, off, s[0:3], 0 offset:252
	buffer_load_dword v114, off, s[0:3], 0 offset:248
	s_waitcnt vmcnt(2)
	v_fmac_f64_e32 v[106:107], v[110:111], v[112:113]
	ds_read2_b64 v[110:113], v108 offset0:83 offset1:84
	s_waitcnt vmcnt(0) lgkmcnt(0)
	v_fmac_f64_e32 v[106:107], v[114:115], v[110:111]
	buffer_load_dword v111, off, s[0:3], 0 offset:260
	buffer_load_dword v110, off, s[0:3], 0 offset:256
	buffer_load_dword v115, off, s[0:3], 0 offset:268
	buffer_load_dword v114, off, s[0:3], 0 offset:264
	s_waitcnt vmcnt(2)
	v_fmac_f64_e32 v[106:107], v[110:111], v[112:113]
	ds_read2_b64 v[110:113], v108 offset0:85 offset1:86
	s_waitcnt vmcnt(0) lgkmcnt(0)
	v_fmac_f64_e32 v[106:107], v[114:115], v[110:111]
	;; [unrolled: 9-line block ×9, first 2 shown]
	buffer_load_dword v111, off, s[0:3], 0 offset:388
	buffer_load_dword v110, off, s[0:3], 0 offset:384
	s_waitcnt vmcnt(0)
	v_fmac_f64_e32 v[106:107], v[110:111], v[112:113]
	buffer_load_dword v113, off, s[0:3], 0 offset:396
	buffer_load_dword v112, off, s[0:3], 0 offset:392
	ds_read2_b64 v[108:111], v108 offset0:101 offset1:102
	s_waitcnt vmcnt(0) lgkmcnt(0)
	v_fmac_f64_e32 v[106:107], v[112:113], v[108:109]
	buffer_load_dword v109, off, s[0:3], 0 offset:404
	buffer_load_dword v108, off, s[0:3], 0 offset:400
	s_waitcnt vmcnt(0)
	v_fmac_f64_e32 v[106:107], v[108:109], v[110:111]
	v_add_f64 v[104:105], v[104:105], -v[106:107]
	buffer_store_dword v105, off, s[0:3], 0 offset:180
	buffer_store_dword v104, off, s[0:3], 0 offset:176
	s_and_saveexec_b64 s[4:5], vcc
	s_cbranch_execz .LBB114_271
; %bb.270:
	buffer_load_dword v104, off, s[0:3], 0 offset:168
	buffer_load_dword v105, off, s[0:3], 0 offset:172
	v_mov_b32_e32 v106, 0
	buffer_store_dword v106, off, s[0:3], 0 offset:168
	buffer_store_dword v106, off, s[0:3], 0 offset:172
	s_waitcnt vmcnt(2)
	ds_write_b64 v1, v[104:105]
.LBB114_271:
	s_or_b64 exec, exec, s[4:5]
	s_waitcnt lgkmcnt(0)
	; wave barrier
	s_waitcnt lgkmcnt(0)
	buffer_load_dword v104, off, s[0:3], 0 offset:168
	buffer_load_dword v105, off, s[0:3], 0 offset:172
	;; [unrolled: 1-line block ×16, first 2 shown]
	v_mov_b32_e32 v108, 0
	ds_read_b128 v[110:113], v108 offset:592
	ds_read_b128 v[114:117], v108 offset:608
	;; [unrolled: 1-line block ×4, first 2 shown]
	v_cmp_lt_u32_e32 vcc, 20, v0
	s_waitcnt vmcnt(12) lgkmcnt(3)
	v_fma_f64 v[106:107], v[106:107], v[110:111], 0
	buffer_load_dword v111, off, s[0:3], 0 offset:236
	buffer_load_dword v110, off, s[0:3], 0 offset:232
	s_waitcnt vmcnt(12)
	v_fmac_f64_e32 v[106:107], v[126:127], v[112:113]
	s_waitcnt vmcnt(10) lgkmcnt(2)
	v_fmac_f64_e32 v[106:107], v[128:129], v[114:115]
	buffer_load_dword v115, off, s[0:3], 0 offset:244
	buffer_load_dword v114, off, s[0:3], 0 offset:240
	s_waitcnt vmcnt(10)
	v_fmac_f64_e32 v[106:107], v[130:131], v[116:117]
	s_waitcnt vmcnt(8) lgkmcnt(1)
	v_fmac_f64_e32 v[106:107], v[132:133], v[118:119]
	s_waitcnt vmcnt(6)
	v_fmac_f64_e32 v[106:107], v[134:135], v[120:121]
	s_waitcnt vmcnt(4) lgkmcnt(0)
	v_fmac_f64_e32 v[106:107], v[136:137], v[122:123]
	s_waitcnt vmcnt(2)
	v_fmac_f64_e32 v[106:107], v[110:111], v[124:125]
	ds_read_b128 v[110:113], v108 offset:656
	s_waitcnt vmcnt(0) lgkmcnt(0)
	v_fmac_f64_e32 v[106:107], v[114:115], v[110:111]
	buffer_load_dword v111, off, s[0:3], 0 offset:252
	buffer_load_dword v110, off, s[0:3], 0 offset:248
	buffer_load_dword v115, off, s[0:3], 0 offset:260
	buffer_load_dword v114, off, s[0:3], 0 offset:256
	s_waitcnt vmcnt(2)
	v_fmac_f64_e32 v[106:107], v[110:111], v[112:113]
	ds_read_b128 v[110:113], v108 offset:672
	s_waitcnt vmcnt(0) lgkmcnt(0)
	v_fmac_f64_e32 v[106:107], v[114:115], v[110:111]
	buffer_load_dword v111, off, s[0:3], 0 offset:268
	buffer_load_dword v110, off, s[0:3], 0 offset:264
	buffer_load_dword v115, off, s[0:3], 0 offset:276
	buffer_load_dword v114, off, s[0:3], 0 offset:272
	;; [unrolled: 9-line block ×9, first 2 shown]
	s_waitcnt vmcnt(2)
	v_fmac_f64_e32 v[106:107], v[110:111], v[112:113]
	ds_read_b128 v[110:113], v108 offset:800
	s_waitcnt vmcnt(0) lgkmcnt(0)
	v_fmac_f64_e32 v[106:107], v[114:115], v[110:111]
	buffer_load_dword v111, off, s[0:3], 0 offset:396
	buffer_load_dword v110, off, s[0:3], 0 offset:392
	s_waitcnt vmcnt(0)
	v_fmac_f64_e32 v[106:107], v[110:111], v[112:113]
	buffer_load_dword v111, off, s[0:3], 0 offset:404
	buffer_load_dword v110, off, s[0:3], 0 offset:400
	ds_read_b64 v[112:113], v108 offset:816
	s_waitcnt vmcnt(0) lgkmcnt(0)
	v_fmac_f64_e32 v[106:107], v[110:111], v[112:113]
	v_add_f64 v[104:105], v[104:105], -v[106:107]
	buffer_store_dword v105, off, s[0:3], 0 offset:172
	buffer_store_dword v104, off, s[0:3], 0 offset:168
	s_and_saveexec_b64 s[4:5], vcc
	s_cbranch_execz .LBB114_273
; %bb.272:
	buffer_load_dword v104, off, s[0:3], 0 offset:160
	buffer_load_dword v105, off, s[0:3], 0 offset:164
	s_waitcnt vmcnt(0)
	ds_write_b64 v1, v[104:105]
	buffer_store_dword v108, off, s[0:3], 0 offset:160
	buffer_store_dword v108, off, s[0:3], 0 offset:164
.LBB114_273:
	s_or_b64 exec, exec, s[4:5]
	s_waitcnt lgkmcnt(0)
	; wave barrier
	s_waitcnt lgkmcnt(0)
	buffer_load_dword v104, off, s[0:3], 0 offset:160
	buffer_load_dword v105, off, s[0:3], 0 offset:164
	;; [unrolled: 1-line block ×16, first 2 shown]
	ds_read2_b64 v[110:113], v108 offset0:73 offset1:74
	v_cmp_lt_u32_e32 vcc, 19, v0
	s_waitcnt vmcnt(12) lgkmcnt(0)
	v_fma_f64 v[106:107], v[106:107], v[110:111], 0
	s_waitcnt vmcnt(10)
	v_fmac_f64_e32 v[106:107], v[114:115], v[112:113]
	ds_read2_b64 v[110:113], v108 offset0:75 offset1:76
	s_waitcnt vmcnt(8) lgkmcnt(0)
	v_fmac_f64_e32 v[106:107], v[116:117], v[110:111]
	s_waitcnt vmcnt(6)
	v_fmac_f64_e32 v[106:107], v[118:119], v[112:113]
	ds_read2_b64 v[110:113], v108 offset0:77 offset1:78
	s_waitcnt vmcnt(4) lgkmcnt(0)
	v_fmac_f64_e32 v[106:107], v[120:121], v[110:111]
	;; [unrolled: 5-line block ×3, first 2 shown]
	buffer_load_dword v111, off, s[0:3], 0 offset:228
	buffer_load_dword v110, off, s[0:3], 0 offset:224
	buffer_load_dword v115, off, s[0:3], 0 offset:236
	buffer_load_dword v114, off, s[0:3], 0 offset:232
	s_waitcnt vmcnt(2)
	v_fmac_f64_e32 v[106:107], v[110:111], v[112:113]
	ds_read2_b64 v[110:113], v108 offset0:81 offset1:82
	s_waitcnt vmcnt(0) lgkmcnt(0)
	v_fmac_f64_e32 v[106:107], v[114:115], v[110:111]
	buffer_load_dword v111, off, s[0:3], 0 offset:244
	buffer_load_dword v110, off, s[0:3], 0 offset:240
	buffer_load_dword v115, off, s[0:3], 0 offset:252
	buffer_load_dword v114, off, s[0:3], 0 offset:248
	s_waitcnt vmcnt(2)
	v_fmac_f64_e32 v[106:107], v[110:111], v[112:113]
	ds_read2_b64 v[110:113], v108 offset0:83 offset1:84
	s_waitcnt vmcnt(0) lgkmcnt(0)
	v_fmac_f64_e32 v[106:107], v[114:115], v[110:111]
	;; [unrolled: 9-line block ×10, first 2 shown]
	buffer_load_dword v111, off, s[0:3], 0 offset:388
	buffer_load_dword v110, off, s[0:3], 0 offset:384
	s_waitcnt vmcnt(0)
	v_fmac_f64_e32 v[106:107], v[110:111], v[112:113]
	buffer_load_dword v113, off, s[0:3], 0 offset:396
	buffer_load_dword v112, off, s[0:3], 0 offset:392
	ds_read2_b64 v[108:111], v108 offset0:101 offset1:102
	s_waitcnt vmcnt(0) lgkmcnt(0)
	v_fmac_f64_e32 v[106:107], v[112:113], v[108:109]
	buffer_load_dword v109, off, s[0:3], 0 offset:404
	buffer_load_dword v108, off, s[0:3], 0 offset:400
	s_waitcnt vmcnt(0)
	v_fmac_f64_e32 v[106:107], v[108:109], v[110:111]
	v_add_f64 v[104:105], v[104:105], -v[106:107]
	buffer_store_dword v105, off, s[0:3], 0 offset:164
	buffer_store_dword v104, off, s[0:3], 0 offset:160
	s_and_saveexec_b64 s[4:5], vcc
	s_cbranch_execz .LBB114_275
; %bb.274:
	buffer_load_dword v104, off, s[0:3], 0 offset:152
	buffer_load_dword v105, off, s[0:3], 0 offset:156
	v_mov_b32_e32 v106, 0
	buffer_store_dword v106, off, s[0:3], 0 offset:152
	buffer_store_dword v106, off, s[0:3], 0 offset:156
	s_waitcnt vmcnt(2)
	ds_write_b64 v1, v[104:105]
.LBB114_275:
	s_or_b64 exec, exec, s[4:5]
	s_waitcnt lgkmcnt(0)
	; wave barrier
	s_waitcnt lgkmcnt(0)
	buffer_load_dword v104, off, s[0:3], 0 offset:152
	buffer_load_dword v105, off, s[0:3], 0 offset:156
	;; [unrolled: 1-line block ×16, first 2 shown]
	v_mov_b32_e32 v108, 0
	ds_read_b128 v[110:113], v108 offset:576
	ds_read_b128 v[114:117], v108 offset:592
	;; [unrolled: 1-line block ×4, first 2 shown]
	v_cmp_lt_u32_e32 vcc, 18, v0
	s_waitcnt vmcnt(12) lgkmcnt(3)
	v_fma_f64 v[106:107], v[106:107], v[110:111], 0
	buffer_load_dword v111, off, s[0:3], 0 offset:220
	buffer_load_dword v110, off, s[0:3], 0 offset:216
	s_waitcnt vmcnt(12)
	v_fmac_f64_e32 v[106:107], v[126:127], v[112:113]
	s_waitcnt vmcnt(10) lgkmcnt(2)
	v_fmac_f64_e32 v[106:107], v[128:129], v[114:115]
	buffer_load_dword v115, off, s[0:3], 0 offset:228
	buffer_load_dword v114, off, s[0:3], 0 offset:224
	s_waitcnt vmcnt(10)
	v_fmac_f64_e32 v[106:107], v[130:131], v[116:117]
	s_waitcnt vmcnt(8) lgkmcnt(1)
	v_fmac_f64_e32 v[106:107], v[132:133], v[118:119]
	s_waitcnt vmcnt(6)
	v_fmac_f64_e32 v[106:107], v[134:135], v[120:121]
	s_waitcnt vmcnt(4) lgkmcnt(0)
	v_fmac_f64_e32 v[106:107], v[136:137], v[122:123]
	s_waitcnt vmcnt(2)
	v_fmac_f64_e32 v[106:107], v[110:111], v[124:125]
	ds_read_b128 v[110:113], v108 offset:640
	s_waitcnt vmcnt(0) lgkmcnt(0)
	v_fmac_f64_e32 v[106:107], v[114:115], v[110:111]
	buffer_load_dword v111, off, s[0:3], 0 offset:236
	buffer_load_dword v110, off, s[0:3], 0 offset:232
	buffer_load_dword v115, off, s[0:3], 0 offset:244
	buffer_load_dword v114, off, s[0:3], 0 offset:240
	s_waitcnt vmcnt(2)
	v_fmac_f64_e32 v[106:107], v[110:111], v[112:113]
	ds_read_b128 v[110:113], v108 offset:656
	s_waitcnt vmcnt(0) lgkmcnt(0)
	v_fmac_f64_e32 v[106:107], v[114:115], v[110:111]
	buffer_load_dword v111, off, s[0:3], 0 offset:252
	buffer_load_dword v110, off, s[0:3], 0 offset:248
	buffer_load_dword v115, off, s[0:3], 0 offset:260
	buffer_load_dword v114, off, s[0:3], 0 offset:256
	;; [unrolled: 9-line block ×10, first 2 shown]
	s_waitcnt vmcnt(2)
	v_fmac_f64_e32 v[106:107], v[110:111], v[112:113]
	ds_read_b128 v[110:113], v108 offset:800
	s_waitcnt vmcnt(0) lgkmcnt(0)
	v_fmac_f64_e32 v[106:107], v[114:115], v[110:111]
	buffer_load_dword v111, off, s[0:3], 0 offset:396
	buffer_load_dword v110, off, s[0:3], 0 offset:392
	s_waitcnt vmcnt(0)
	v_fmac_f64_e32 v[106:107], v[110:111], v[112:113]
	buffer_load_dword v111, off, s[0:3], 0 offset:404
	buffer_load_dword v110, off, s[0:3], 0 offset:400
	ds_read_b64 v[112:113], v108 offset:816
	s_waitcnt vmcnt(0) lgkmcnt(0)
	v_fmac_f64_e32 v[106:107], v[110:111], v[112:113]
	v_add_f64 v[104:105], v[104:105], -v[106:107]
	buffer_store_dword v105, off, s[0:3], 0 offset:156
	buffer_store_dword v104, off, s[0:3], 0 offset:152
	s_and_saveexec_b64 s[4:5], vcc
	s_cbranch_execz .LBB114_277
; %bb.276:
	buffer_load_dword v104, off, s[0:3], 0 offset:144
	buffer_load_dword v105, off, s[0:3], 0 offset:148
	s_waitcnt vmcnt(0)
	ds_write_b64 v1, v[104:105]
	buffer_store_dword v108, off, s[0:3], 0 offset:144
	buffer_store_dword v108, off, s[0:3], 0 offset:148
.LBB114_277:
	s_or_b64 exec, exec, s[4:5]
	s_waitcnt lgkmcnt(0)
	; wave barrier
	s_waitcnt lgkmcnt(0)
	buffer_load_dword v104, off, s[0:3], 0 offset:144
	buffer_load_dword v105, off, s[0:3], 0 offset:148
	;; [unrolled: 1-line block ×16, first 2 shown]
	ds_read2_b64 v[110:113], v108 offset0:71 offset1:72
	v_cmp_lt_u32_e32 vcc, 17, v0
	s_waitcnt vmcnt(12) lgkmcnt(0)
	v_fma_f64 v[106:107], v[106:107], v[110:111], 0
	s_waitcnt vmcnt(10)
	v_fmac_f64_e32 v[106:107], v[114:115], v[112:113]
	ds_read2_b64 v[110:113], v108 offset0:73 offset1:74
	s_waitcnt vmcnt(8) lgkmcnt(0)
	v_fmac_f64_e32 v[106:107], v[116:117], v[110:111]
	s_waitcnt vmcnt(6)
	v_fmac_f64_e32 v[106:107], v[118:119], v[112:113]
	ds_read2_b64 v[110:113], v108 offset0:75 offset1:76
	s_waitcnt vmcnt(4) lgkmcnt(0)
	v_fmac_f64_e32 v[106:107], v[120:121], v[110:111]
	;; [unrolled: 5-line block ×3, first 2 shown]
	buffer_load_dword v111, off, s[0:3], 0 offset:212
	buffer_load_dword v110, off, s[0:3], 0 offset:208
	buffer_load_dword v115, off, s[0:3], 0 offset:220
	buffer_load_dword v114, off, s[0:3], 0 offset:216
	s_waitcnt vmcnt(2)
	v_fmac_f64_e32 v[106:107], v[110:111], v[112:113]
	ds_read2_b64 v[110:113], v108 offset0:79 offset1:80
	s_waitcnt vmcnt(0) lgkmcnt(0)
	v_fmac_f64_e32 v[106:107], v[114:115], v[110:111]
	buffer_load_dword v111, off, s[0:3], 0 offset:228
	buffer_load_dword v110, off, s[0:3], 0 offset:224
	buffer_load_dword v115, off, s[0:3], 0 offset:236
	buffer_load_dword v114, off, s[0:3], 0 offset:232
	s_waitcnt vmcnt(2)
	v_fmac_f64_e32 v[106:107], v[110:111], v[112:113]
	ds_read2_b64 v[110:113], v108 offset0:81 offset1:82
	s_waitcnt vmcnt(0) lgkmcnt(0)
	v_fmac_f64_e32 v[106:107], v[114:115], v[110:111]
	;; [unrolled: 9-line block ×11, first 2 shown]
	buffer_load_dword v111, off, s[0:3], 0 offset:388
	buffer_load_dword v110, off, s[0:3], 0 offset:384
	s_waitcnt vmcnt(0)
	v_fmac_f64_e32 v[106:107], v[110:111], v[112:113]
	buffer_load_dword v113, off, s[0:3], 0 offset:396
	buffer_load_dword v112, off, s[0:3], 0 offset:392
	ds_read2_b64 v[108:111], v108 offset0:101 offset1:102
	s_waitcnt vmcnt(0) lgkmcnt(0)
	v_fmac_f64_e32 v[106:107], v[112:113], v[108:109]
	buffer_load_dword v109, off, s[0:3], 0 offset:404
	buffer_load_dword v108, off, s[0:3], 0 offset:400
	s_waitcnt vmcnt(0)
	v_fmac_f64_e32 v[106:107], v[108:109], v[110:111]
	v_add_f64 v[104:105], v[104:105], -v[106:107]
	buffer_store_dword v105, off, s[0:3], 0 offset:148
	buffer_store_dword v104, off, s[0:3], 0 offset:144
	s_and_saveexec_b64 s[4:5], vcc
	s_cbranch_execz .LBB114_279
; %bb.278:
	buffer_load_dword v104, off, s[0:3], 0 offset:136
	buffer_load_dword v105, off, s[0:3], 0 offset:140
	v_mov_b32_e32 v106, 0
	buffer_store_dword v106, off, s[0:3], 0 offset:136
	buffer_store_dword v106, off, s[0:3], 0 offset:140
	s_waitcnt vmcnt(2)
	ds_write_b64 v1, v[104:105]
.LBB114_279:
	s_or_b64 exec, exec, s[4:5]
	s_waitcnt lgkmcnt(0)
	; wave barrier
	s_waitcnt lgkmcnt(0)
	buffer_load_dword v104, off, s[0:3], 0 offset:136
	buffer_load_dword v105, off, s[0:3], 0 offset:140
	;; [unrolled: 1-line block ×16, first 2 shown]
	v_mov_b32_e32 v108, 0
	ds_read_b128 v[110:113], v108 offset:560
	ds_read_b128 v[114:117], v108 offset:576
	;; [unrolled: 1-line block ×4, first 2 shown]
	v_cmp_lt_u32_e32 vcc, 16, v0
	s_waitcnt vmcnt(12) lgkmcnt(3)
	v_fma_f64 v[106:107], v[106:107], v[110:111], 0
	buffer_load_dword v111, off, s[0:3], 0 offset:204
	buffer_load_dword v110, off, s[0:3], 0 offset:200
	s_waitcnt vmcnt(12)
	v_fmac_f64_e32 v[106:107], v[126:127], v[112:113]
	s_waitcnt vmcnt(10) lgkmcnt(2)
	v_fmac_f64_e32 v[106:107], v[128:129], v[114:115]
	buffer_load_dword v115, off, s[0:3], 0 offset:212
	buffer_load_dword v114, off, s[0:3], 0 offset:208
	s_waitcnt vmcnt(10)
	v_fmac_f64_e32 v[106:107], v[130:131], v[116:117]
	s_waitcnt vmcnt(8) lgkmcnt(1)
	v_fmac_f64_e32 v[106:107], v[132:133], v[118:119]
	s_waitcnt vmcnt(6)
	v_fmac_f64_e32 v[106:107], v[134:135], v[120:121]
	s_waitcnt vmcnt(4) lgkmcnt(0)
	v_fmac_f64_e32 v[106:107], v[136:137], v[122:123]
	s_waitcnt vmcnt(2)
	v_fmac_f64_e32 v[106:107], v[110:111], v[124:125]
	ds_read_b128 v[110:113], v108 offset:624
	s_waitcnt vmcnt(0) lgkmcnt(0)
	v_fmac_f64_e32 v[106:107], v[114:115], v[110:111]
	buffer_load_dword v111, off, s[0:3], 0 offset:220
	buffer_load_dword v110, off, s[0:3], 0 offset:216
	buffer_load_dword v115, off, s[0:3], 0 offset:228
	buffer_load_dword v114, off, s[0:3], 0 offset:224
	s_waitcnt vmcnt(2)
	v_fmac_f64_e32 v[106:107], v[110:111], v[112:113]
	ds_read_b128 v[110:113], v108 offset:640
	s_waitcnt vmcnt(0) lgkmcnt(0)
	v_fmac_f64_e32 v[106:107], v[114:115], v[110:111]
	buffer_load_dword v111, off, s[0:3], 0 offset:236
	buffer_load_dword v110, off, s[0:3], 0 offset:232
	buffer_load_dword v115, off, s[0:3], 0 offset:244
	buffer_load_dword v114, off, s[0:3], 0 offset:240
	;; [unrolled: 9-line block ×11, first 2 shown]
	s_waitcnt vmcnt(2)
	v_fmac_f64_e32 v[106:107], v[110:111], v[112:113]
	ds_read_b128 v[110:113], v108 offset:800
	s_waitcnt vmcnt(0) lgkmcnt(0)
	v_fmac_f64_e32 v[106:107], v[114:115], v[110:111]
	buffer_load_dword v111, off, s[0:3], 0 offset:396
	buffer_load_dword v110, off, s[0:3], 0 offset:392
	s_waitcnt vmcnt(0)
	v_fmac_f64_e32 v[106:107], v[110:111], v[112:113]
	buffer_load_dword v111, off, s[0:3], 0 offset:404
	buffer_load_dword v110, off, s[0:3], 0 offset:400
	ds_read_b64 v[112:113], v108 offset:816
	s_waitcnt vmcnt(0) lgkmcnt(0)
	v_fmac_f64_e32 v[106:107], v[110:111], v[112:113]
	v_add_f64 v[104:105], v[104:105], -v[106:107]
	buffer_store_dword v105, off, s[0:3], 0 offset:140
	buffer_store_dword v104, off, s[0:3], 0 offset:136
	s_and_saveexec_b64 s[4:5], vcc
	s_cbranch_execz .LBB114_281
; %bb.280:
	buffer_load_dword v104, off, s[0:3], 0 offset:128
	buffer_load_dword v105, off, s[0:3], 0 offset:132
	s_waitcnt vmcnt(0)
	ds_write_b64 v1, v[104:105]
	buffer_store_dword v108, off, s[0:3], 0 offset:128
	buffer_store_dword v108, off, s[0:3], 0 offset:132
.LBB114_281:
	s_or_b64 exec, exec, s[4:5]
	s_waitcnt lgkmcnt(0)
	; wave barrier
	s_waitcnt lgkmcnt(0)
	buffer_load_dword v104, off, s[0:3], 0 offset:128
	buffer_load_dword v105, off, s[0:3], 0 offset:132
	;; [unrolled: 1-line block ×16, first 2 shown]
	ds_read2_b64 v[110:113], v108 offset0:69 offset1:70
	v_cmp_lt_u32_e32 vcc, 15, v0
	s_waitcnt vmcnt(12) lgkmcnt(0)
	v_fma_f64 v[106:107], v[106:107], v[110:111], 0
	s_waitcnt vmcnt(10)
	v_fmac_f64_e32 v[106:107], v[114:115], v[112:113]
	ds_read2_b64 v[110:113], v108 offset0:71 offset1:72
	s_waitcnt vmcnt(8) lgkmcnt(0)
	v_fmac_f64_e32 v[106:107], v[116:117], v[110:111]
	s_waitcnt vmcnt(6)
	v_fmac_f64_e32 v[106:107], v[118:119], v[112:113]
	ds_read2_b64 v[110:113], v108 offset0:73 offset1:74
	s_waitcnt vmcnt(4) lgkmcnt(0)
	v_fmac_f64_e32 v[106:107], v[120:121], v[110:111]
	;; [unrolled: 5-line block ×3, first 2 shown]
	buffer_load_dword v111, off, s[0:3], 0 offset:196
	buffer_load_dword v110, off, s[0:3], 0 offset:192
	buffer_load_dword v115, off, s[0:3], 0 offset:204
	buffer_load_dword v114, off, s[0:3], 0 offset:200
	s_waitcnt vmcnt(2)
	v_fmac_f64_e32 v[106:107], v[110:111], v[112:113]
	ds_read2_b64 v[110:113], v108 offset0:77 offset1:78
	s_waitcnt vmcnt(0) lgkmcnt(0)
	v_fmac_f64_e32 v[106:107], v[114:115], v[110:111]
	buffer_load_dword v111, off, s[0:3], 0 offset:212
	buffer_load_dword v110, off, s[0:3], 0 offset:208
	buffer_load_dword v115, off, s[0:3], 0 offset:220
	buffer_load_dword v114, off, s[0:3], 0 offset:216
	s_waitcnt vmcnt(2)
	v_fmac_f64_e32 v[106:107], v[110:111], v[112:113]
	ds_read2_b64 v[110:113], v108 offset0:79 offset1:80
	s_waitcnt vmcnt(0) lgkmcnt(0)
	v_fmac_f64_e32 v[106:107], v[114:115], v[110:111]
	buffer_load_dword v111, off, s[0:3], 0 offset:228
	buffer_load_dword v110, off, s[0:3], 0 offset:224
	buffer_load_dword v115, off, s[0:3], 0 offset:236
	buffer_load_dword v114, off, s[0:3], 0 offset:232
	s_waitcnt vmcnt(2)
	v_fmac_f64_e32 v[106:107], v[110:111], v[112:113]
	ds_read2_b64 v[110:113], v108 offset0:81 offset1:82
	s_waitcnt vmcnt(0) lgkmcnt(0)
	v_fmac_f64_e32 v[106:107], v[114:115], v[110:111]
	buffer_load_dword v111, off, s[0:3], 0 offset:244
	buffer_load_dword v110, off, s[0:3], 0 offset:240
	buffer_load_dword v115, off, s[0:3], 0 offset:252
	buffer_load_dword v114, off, s[0:3], 0 offset:248
	s_waitcnt vmcnt(2)
	v_fmac_f64_e32 v[106:107], v[110:111], v[112:113]
	ds_read2_b64 v[110:113], v108 offset0:83 offset1:84
	s_waitcnt vmcnt(0) lgkmcnt(0)
	v_fmac_f64_e32 v[106:107], v[114:115], v[110:111]
	buffer_load_dword v111, off, s[0:3], 0 offset:260
	buffer_load_dword v110, off, s[0:3], 0 offset:256
	buffer_load_dword v115, off, s[0:3], 0 offset:268
	buffer_load_dword v114, off, s[0:3], 0 offset:264
	s_waitcnt vmcnt(2)
	v_fmac_f64_e32 v[106:107], v[110:111], v[112:113]
	ds_read2_b64 v[110:113], v108 offset0:85 offset1:86
	s_waitcnt vmcnt(0) lgkmcnt(0)
	v_fmac_f64_e32 v[106:107], v[114:115], v[110:111]
	buffer_load_dword v111, off, s[0:3], 0 offset:276
	buffer_load_dword v110, off, s[0:3], 0 offset:272
	buffer_load_dword v115, off, s[0:3], 0 offset:284
	buffer_load_dword v114, off, s[0:3], 0 offset:280
	s_waitcnt vmcnt(2)
	v_fmac_f64_e32 v[106:107], v[110:111], v[112:113]
	ds_read2_b64 v[110:113], v108 offset0:87 offset1:88
	s_waitcnt vmcnt(0) lgkmcnt(0)
	v_fmac_f64_e32 v[106:107], v[114:115], v[110:111]
	buffer_load_dword v111, off, s[0:3], 0 offset:292
	buffer_load_dword v110, off, s[0:3], 0 offset:288
	buffer_load_dword v115, off, s[0:3], 0 offset:300
	buffer_load_dword v114, off, s[0:3], 0 offset:296
	s_waitcnt vmcnt(2)
	v_fmac_f64_e32 v[106:107], v[110:111], v[112:113]
	ds_read2_b64 v[110:113], v108 offset0:89 offset1:90
	s_waitcnt vmcnt(0) lgkmcnt(0)
	v_fmac_f64_e32 v[106:107], v[114:115], v[110:111]
	buffer_load_dword v111, off, s[0:3], 0 offset:308
	buffer_load_dword v110, off, s[0:3], 0 offset:304
	buffer_load_dword v115, off, s[0:3], 0 offset:316
	buffer_load_dword v114, off, s[0:3], 0 offset:312
	s_waitcnt vmcnt(2)
	v_fmac_f64_e32 v[106:107], v[110:111], v[112:113]
	ds_read2_b64 v[110:113], v108 offset0:91 offset1:92
	s_waitcnt vmcnt(0) lgkmcnt(0)
	v_fmac_f64_e32 v[106:107], v[114:115], v[110:111]
	buffer_load_dword v111, off, s[0:3], 0 offset:324
	buffer_load_dword v110, off, s[0:3], 0 offset:320
	buffer_load_dword v115, off, s[0:3], 0 offset:332
	buffer_load_dword v114, off, s[0:3], 0 offset:328
	s_waitcnt vmcnt(2)
	v_fmac_f64_e32 v[106:107], v[110:111], v[112:113]
	ds_read2_b64 v[110:113], v108 offset0:93 offset1:94
	s_waitcnt vmcnt(0) lgkmcnt(0)
	v_fmac_f64_e32 v[106:107], v[114:115], v[110:111]
	buffer_load_dword v111, off, s[0:3], 0 offset:340
	buffer_load_dword v110, off, s[0:3], 0 offset:336
	buffer_load_dword v115, off, s[0:3], 0 offset:348
	buffer_load_dword v114, off, s[0:3], 0 offset:344
	s_waitcnt vmcnt(2)
	v_fmac_f64_e32 v[106:107], v[110:111], v[112:113]
	ds_read2_b64 v[110:113], v108 offset0:95 offset1:96
	s_waitcnt vmcnt(0) lgkmcnt(0)
	v_fmac_f64_e32 v[106:107], v[114:115], v[110:111]
	buffer_load_dword v111, off, s[0:3], 0 offset:356
	buffer_load_dword v110, off, s[0:3], 0 offset:352
	buffer_load_dword v115, off, s[0:3], 0 offset:364
	buffer_load_dword v114, off, s[0:3], 0 offset:360
	s_waitcnt vmcnt(2)
	v_fmac_f64_e32 v[106:107], v[110:111], v[112:113]
	ds_read2_b64 v[110:113], v108 offset0:97 offset1:98
	s_waitcnt vmcnt(0) lgkmcnt(0)
	v_fmac_f64_e32 v[106:107], v[114:115], v[110:111]
	buffer_load_dword v111, off, s[0:3], 0 offset:372
	buffer_load_dword v110, off, s[0:3], 0 offset:368
	buffer_load_dword v115, off, s[0:3], 0 offset:380
	buffer_load_dword v114, off, s[0:3], 0 offset:376
	s_waitcnt vmcnt(2)
	v_fmac_f64_e32 v[106:107], v[110:111], v[112:113]
	ds_read2_b64 v[110:113], v108 offset0:99 offset1:100
	s_waitcnt vmcnt(0) lgkmcnt(0)
	v_fmac_f64_e32 v[106:107], v[114:115], v[110:111]
	buffer_load_dword v111, off, s[0:3], 0 offset:388
	buffer_load_dword v110, off, s[0:3], 0 offset:384
	s_waitcnt vmcnt(0)
	v_fmac_f64_e32 v[106:107], v[110:111], v[112:113]
	buffer_load_dword v113, off, s[0:3], 0 offset:396
	buffer_load_dword v112, off, s[0:3], 0 offset:392
	ds_read2_b64 v[108:111], v108 offset0:101 offset1:102
	s_waitcnt vmcnt(0) lgkmcnt(0)
	v_fmac_f64_e32 v[106:107], v[112:113], v[108:109]
	buffer_load_dword v109, off, s[0:3], 0 offset:404
	buffer_load_dword v108, off, s[0:3], 0 offset:400
	s_waitcnt vmcnt(0)
	v_fmac_f64_e32 v[106:107], v[108:109], v[110:111]
	v_add_f64 v[104:105], v[104:105], -v[106:107]
	buffer_store_dword v105, off, s[0:3], 0 offset:132
	buffer_store_dword v104, off, s[0:3], 0 offset:128
	s_and_saveexec_b64 s[4:5], vcc
	s_cbranch_execz .LBB114_283
; %bb.282:
	buffer_load_dword v104, off, s[0:3], 0 offset:120
	buffer_load_dword v105, off, s[0:3], 0 offset:124
	v_mov_b32_e32 v106, 0
	buffer_store_dword v106, off, s[0:3], 0 offset:120
	buffer_store_dword v106, off, s[0:3], 0 offset:124
	s_waitcnt vmcnt(2)
	ds_write_b64 v1, v[104:105]
.LBB114_283:
	s_or_b64 exec, exec, s[4:5]
	s_waitcnt lgkmcnt(0)
	; wave barrier
	s_waitcnt lgkmcnt(0)
	buffer_load_dword v104, off, s[0:3], 0 offset:120
	buffer_load_dword v105, off, s[0:3], 0 offset:124
	;; [unrolled: 1-line block ×16, first 2 shown]
	v_mov_b32_e32 v108, 0
	ds_read_b128 v[110:113], v108 offset:544
	ds_read_b128 v[114:117], v108 offset:560
	;; [unrolled: 1-line block ×4, first 2 shown]
	v_cmp_lt_u32_e32 vcc, 14, v0
	s_waitcnt vmcnt(12) lgkmcnt(3)
	v_fma_f64 v[106:107], v[106:107], v[110:111], 0
	buffer_load_dword v111, off, s[0:3], 0 offset:188
	buffer_load_dword v110, off, s[0:3], 0 offset:184
	s_waitcnt vmcnt(12)
	v_fmac_f64_e32 v[106:107], v[126:127], v[112:113]
	s_waitcnt vmcnt(10) lgkmcnt(2)
	v_fmac_f64_e32 v[106:107], v[128:129], v[114:115]
	buffer_load_dword v115, off, s[0:3], 0 offset:196
	buffer_load_dword v114, off, s[0:3], 0 offset:192
	s_waitcnt vmcnt(10)
	v_fmac_f64_e32 v[106:107], v[130:131], v[116:117]
	s_waitcnt vmcnt(8) lgkmcnt(1)
	v_fmac_f64_e32 v[106:107], v[132:133], v[118:119]
	s_waitcnt vmcnt(6)
	v_fmac_f64_e32 v[106:107], v[134:135], v[120:121]
	s_waitcnt vmcnt(4) lgkmcnt(0)
	v_fmac_f64_e32 v[106:107], v[136:137], v[122:123]
	s_waitcnt vmcnt(2)
	v_fmac_f64_e32 v[106:107], v[110:111], v[124:125]
	ds_read_b128 v[110:113], v108 offset:608
	s_waitcnt vmcnt(0) lgkmcnt(0)
	v_fmac_f64_e32 v[106:107], v[114:115], v[110:111]
	buffer_load_dword v111, off, s[0:3], 0 offset:204
	buffer_load_dword v110, off, s[0:3], 0 offset:200
	buffer_load_dword v115, off, s[0:3], 0 offset:212
	buffer_load_dword v114, off, s[0:3], 0 offset:208
	s_waitcnt vmcnt(2)
	v_fmac_f64_e32 v[106:107], v[110:111], v[112:113]
	ds_read_b128 v[110:113], v108 offset:624
	s_waitcnt vmcnt(0) lgkmcnt(0)
	v_fmac_f64_e32 v[106:107], v[114:115], v[110:111]
	buffer_load_dword v111, off, s[0:3], 0 offset:220
	buffer_load_dword v110, off, s[0:3], 0 offset:216
	buffer_load_dword v115, off, s[0:3], 0 offset:228
	buffer_load_dword v114, off, s[0:3], 0 offset:224
	;; [unrolled: 9-line block ×12, first 2 shown]
	s_waitcnt vmcnt(2)
	v_fmac_f64_e32 v[106:107], v[110:111], v[112:113]
	ds_read_b128 v[110:113], v108 offset:800
	s_waitcnt vmcnt(0) lgkmcnt(0)
	v_fmac_f64_e32 v[106:107], v[114:115], v[110:111]
	buffer_load_dword v111, off, s[0:3], 0 offset:396
	buffer_load_dword v110, off, s[0:3], 0 offset:392
	s_waitcnt vmcnt(0)
	v_fmac_f64_e32 v[106:107], v[110:111], v[112:113]
	buffer_load_dword v111, off, s[0:3], 0 offset:404
	buffer_load_dword v110, off, s[0:3], 0 offset:400
	ds_read_b64 v[112:113], v108 offset:816
	s_waitcnt vmcnt(0) lgkmcnt(0)
	v_fmac_f64_e32 v[106:107], v[110:111], v[112:113]
	v_add_f64 v[104:105], v[104:105], -v[106:107]
	buffer_store_dword v105, off, s[0:3], 0 offset:124
	buffer_store_dword v104, off, s[0:3], 0 offset:120
	s_and_saveexec_b64 s[4:5], vcc
	s_cbranch_execz .LBB114_285
; %bb.284:
	buffer_load_dword v104, off, s[0:3], 0 offset:112
	buffer_load_dword v105, off, s[0:3], 0 offset:116
	s_waitcnt vmcnt(0)
	ds_write_b64 v1, v[104:105]
	buffer_store_dword v108, off, s[0:3], 0 offset:112
	buffer_store_dword v108, off, s[0:3], 0 offset:116
.LBB114_285:
	s_or_b64 exec, exec, s[4:5]
	s_waitcnt lgkmcnt(0)
	; wave barrier
	s_waitcnt lgkmcnt(0)
	buffer_load_dword v104, off, s[0:3], 0 offset:112
	buffer_load_dword v105, off, s[0:3], 0 offset:116
	;; [unrolled: 1-line block ×16, first 2 shown]
	ds_read2_b64 v[110:113], v108 offset0:67 offset1:68
	v_cmp_lt_u32_e32 vcc, 13, v0
	s_waitcnt vmcnt(12) lgkmcnt(0)
	v_fma_f64 v[106:107], v[106:107], v[110:111], 0
	s_waitcnt vmcnt(10)
	v_fmac_f64_e32 v[106:107], v[114:115], v[112:113]
	ds_read2_b64 v[110:113], v108 offset0:69 offset1:70
	s_waitcnt vmcnt(8) lgkmcnt(0)
	v_fmac_f64_e32 v[106:107], v[116:117], v[110:111]
	s_waitcnt vmcnt(6)
	v_fmac_f64_e32 v[106:107], v[118:119], v[112:113]
	ds_read2_b64 v[110:113], v108 offset0:71 offset1:72
	s_waitcnt vmcnt(4) lgkmcnt(0)
	v_fmac_f64_e32 v[106:107], v[120:121], v[110:111]
	;; [unrolled: 5-line block ×3, first 2 shown]
	buffer_load_dword v111, off, s[0:3], 0 offset:180
	buffer_load_dword v110, off, s[0:3], 0 offset:176
	buffer_load_dword v115, off, s[0:3], 0 offset:188
	buffer_load_dword v114, off, s[0:3], 0 offset:184
	s_waitcnt vmcnt(2)
	v_fmac_f64_e32 v[106:107], v[110:111], v[112:113]
	ds_read2_b64 v[110:113], v108 offset0:75 offset1:76
	s_waitcnt vmcnt(0) lgkmcnt(0)
	v_fmac_f64_e32 v[106:107], v[114:115], v[110:111]
	buffer_load_dword v111, off, s[0:3], 0 offset:196
	buffer_load_dword v110, off, s[0:3], 0 offset:192
	buffer_load_dword v115, off, s[0:3], 0 offset:204
	buffer_load_dword v114, off, s[0:3], 0 offset:200
	s_waitcnt vmcnt(2)
	v_fmac_f64_e32 v[106:107], v[110:111], v[112:113]
	ds_read2_b64 v[110:113], v108 offset0:77 offset1:78
	s_waitcnt vmcnt(0) lgkmcnt(0)
	v_fmac_f64_e32 v[106:107], v[114:115], v[110:111]
	;; [unrolled: 9-line block ×13, first 2 shown]
	buffer_load_dword v111, off, s[0:3], 0 offset:388
	buffer_load_dword v110, off, s[0:3], 0 offset:384
	s_waitcnt vmcnt(0)
	v_fmac_f64_e32 v[106:107], v[110:111], v[112:113]
	buffer_load_dword v113, off, s[0:3], 0 offset:396
	buffer_load_dword v112, off, s[0:3], 0 offset:392
	ds_read2_b64 v[108:111], v108 offset0:101 offset1:102
	s_waitcnt vmcnt(0) lgkmcnt(0)
	v_fmac_f64_e32 v[106:107], v[112:113], v[108:109]
	buffer_load_dword v109, off, s[0:3], 0 offset:404
	buffer_load_dword v108, off, s[0:3], 0 offset:400
	s_waitcnt vmcnt(0)
	v_fmac_f64_e32 v[106:107], v[108:109], v[110:111]
	v_add_f64 v[104:105], v[104:105], -v[106:107]
	buffer_store_dword v105, off, s[0:3], 0 offset:116
	buffer_store_dword v104, off, s[0:3], 0 offset:112
	s_and_saveexec_b64 s[4:5], vcc
	s_cbranch_execz .LBB114_287
; %bb.286:
	buffer_load_dword v104, off, s[0:3], 0 offset:104
	buffer_load_dword v105, off, s[0:3], 0 offset:108
	v_mov_b32_e32 v106, 0
	buffer_store_dword v106, off, s[0:3], 0 offset:104
	buffer_store_dword v106, off, s[0:3], 0 offset:108
	s_waitcnt vmcnt(2)
	ds_write_b64 v1, v[104:105]
.LBB114_287:
	s_or_b64 exec, exec, s[4:5]
	s_waitcnt lgkmcnt(0)
	; wave barrier
	s_waitcnt lgkmcnt(0)
	buffer_load_dword v104, off, s[0:3], 0 offset:104
	buffer_load_dword v105, off, s[0:3], 0 offset:108
	;; [unrolled: 1-line block ×16, first 2 shown]
	v_mov_b32_e32 v108, 0
	ds_read_b128 v[110:113], v108 offset:528
	ds_read_b128 v[114:117], v108 offset:544
	;; [unrolled: 1-line block ×4, first 2 shown]
	v_cmp_lt_u32_e32 vcc, 12, v0
	s_waitcnt vmcnt(12) lgkmcnt(3)
	v_fma_f64 v[106:107], v[106:107], v[110:111], 0
	buffer_load_dword v111, off, s[0:3], 0 offset:172
	buffer_load_dword v110, off, s[0:3], 0 offset:168
	s_waitcnt vmcnt(12)
	v_fmac_f64_e32 v[106:107], v[126:127], v[112:113]
	s_waitcnt vmcnt(10) lgkmcnt(2)
	v_fmac_f64_e32 v[106:107], v[128:129], v[114:115]
	buffer_load_dword v115, off, s[0:3], 0 offset:180
	buffer_load_dword v114, off, s[0:3], 0 offset:176
	s_waitcnt vmcnt(10)
	v_fmac_f64_e32 v[106:107], v[130:131], v[116:117]
	s_waitcnt vmcnt(8) lgkmcnt(1)
	v_fmac_f64_e32 v[106:107], v[132:133], v[118:119]
	s_waitcnt vmcnt(6)
	v_fmac_f64_e32 v[106:107], v[134:135], v[120:121]
	s_waitcnt vmcnt(4) lgkmcnt(0)
	v_fmac_f64_e32 v[106:107], v[136:137], v[122:123]
	s_waitcnt vmcnt(2)
	v_fmac_f64_e32 v[106:107], v[110:111], v[124:125]
	ds_read_b128 v[110:113], v108 offset:592
	s_waitcnt vmcnt(0) lgkmcnt(0)
	v_fmac_f64_e32 v[106:107], v[114:115], v[110:111]
	buffer_load_dword v111, off, s[0:3], 0 offset:188
	buffer_load_dword v110, off, s[0:3], 0 offset:184
	buffer_load_dword v115, off, s[0:3], 0 offset:196
	buffer_load_dword v114, off, s[0:3], 0 offset:192
	s_waitcnt vmcnt(2)
	v_fmac_f64_e32 v[106:107], v[110:111], v[112:113]
	ds_read_b128 v[110:113], v108 offset:608
	s_waitcnt vmcnt(0) lgkmcnt(0)
	v_fmac_f64_e32 v[106:107], v[114:115], v[110:111]
	buffer_load_dword v111, off, s[0:3], 0 offset:204
	buffer_load_dword v110, off, s[0:3], 0 offset:200
	buffer_load_dword v115, off, s[0:3], 0 offset:212
	buffer_load_dword v114, off, s[0:3], 0 offset:208
	;; [unrolled: 9-line block ×13, first 2 shown]
	s_waitcnt vmcnt(2)
	v_fmac_f64_e32 v[106:107], v[110:111], v[112:113]
	ds_read_b128 v[110:113], v108 offset:800
	s_waitcnt vmcnt(0) lgkmcnt(0)
	v_fmac_f64_e32 v[106:107], v[114:115], v[110:111]
	buffer_load_dword v111, off, s[0:3], 0 offset:396
	buffer_load_dword v110, off, s[0:3], 0 offset:392
	s_waitcnt vmcnt(0)
	v_fmac_f64_e32 v[106:107], v[110:111], v[112:113]
	buffer_load_dword v111, off, s[0:3], 0 offset:404
	buffer_load_dword v110, off, s[0:3], 0 offset:400
	ds_read_b64 v[112:113], v108 offset:816
	s_waitcnt vmcnt(0) lgkmcnt(0)
	v_fmac_f64_e32 v[106:107], v[110:111], v[112:113]
	v_add_f64 v[104:105], v[104:105], -v[106:107]
	buffer_store_dword v105, off, s[0:3], 0 offset:108
	buffer_store_dword v104, off, s[0:3], 0 offset:104
	s_and_saveexec_b64 s[4:5], vcc
	s_cbranch_execz .LBB114_289
; %bb.288:
	buffer_load_dword v104, off, s[0:3], 0 offset:96
	buffer_load_dword v105, off, s[0:3], 0 offset:100
	s_waitcnt vmcnt(0)
	ds_write_b64 v1, v[104:105]
	buffer_store_dword v108, off, s[0:3], 0 offset:96
	buffer_store_dword v108, off, s[0:3], 0 offset:100
.LBB114_289:
	s_or_b64 exec, exec, s[4:5]
	s_waitcnt lgkmcnt(0)
	; wave barrier
	s_waitcnt lgkmcnt(0)
	buffer_load_dword v104, off, s[0:3], 0 offset:96
	buffer_load_dword v105, off, s[0:3], 0 offset:100
	;; [unrolled: 1-line block ×16, first 2 shown]
	ds_read2_b64 v[110:113], v108 offset0:65 offset1:66
	v_cmp_lt_u32_e32 vcc, 11, v0
	s_waitcnt vmcnt(12) lgkmcnt(0)
	v_fma_f64 v[106:107], v[106:107], v[110:111], 0
	s_waitcnt vmcnt(10)
	v_fmac_f64_e32 v[106:107], v[114:115], v[112:113]
	ds_read2_b64 v[110:113], v108 offset0:67 offset1:68
	s_waitcnt vmcnt(8) lgkmcnt(0)
	v_fmac_f64_e32 v[106:107], v[116:117], v[110:111]
	s_waitcnt vmcnt(6)
	v_fmac_f64_e32 v[106:107], v[118:119], v[112:113]
	ds_read2_b64 v[110:113], v108 offset0:69 offset1:70
	s_waitcnt vmcnt(4) lgkmcnt(0)
	v_fmac_f64_e32 v[106:107], v[120:121], v[110:111]
	;; [unrolled: 5-line block ×3, first 2 shown]
	buffer_load_dword v111, off, s[0:3], 0 offset:164
	buffer_load_dword v110, off, s[0:3], 0 offset:160
	buffer_load_dword v115, off, s[0:3], 0 offset:172
	buffer_load_dword v114, off, s[0:3], 0 offset:168
	s_waitcnt vmcnt(2)
	v_fmac_f64_e32 v[106:107], v[110:111], v[112:113]
	ds_read2_b64 v[110:113], v108 offset0:73 offset1:74
	s_waitcnt vmcnt(0) lgkmcnt(0)
	v_fmac_f64_e32 v[106:107], v[114:115], v[110:111]
	buffer_load_dword v111, off, s[0:3], 0 offset:180
	buffer_load_dword v110, off, s[0:3], 0 offset:176
	buffer_load_dword v115, off, s[0:3], 0 offset:188
	buffer_load_dword v114, off, s[0:3], 0 offset:184
	s_waitcnt vmcnt(2)
	v_fmac_f64_e32 v[106:107], v[110:111], v[112:113]
	ds_read2_b64 v[110:113], v108 offset0:75 offset1:76
	s_waitcnt vmcnt(0) lgkmcnt(0)
	v_fmac_f64_e32 v[106:107], v[114:115], v[110:111]
	;; [unrolled: 9-line block ×14, first 2 shown]
	buffer_load_dword v111, off, s[0:3], 0 offset:388
	buffer_load_dword v110, off, s[0:3], 0 offset:384
	s_waitcnt vmcnt(0)
	v_fmac_f64_e32 v[106:107], v[110:111], v[112:113]
	buffer_load_dword v113, off, s[0:3], 0 offset:396
	buffer_load_dword v112, off, s[0:3], 0 offset:392
	ds_read2_b64 v[108:111], v108 offset0:101 offset1:102
	s_waitcnt vmcnt(0) lgkmcnt(0)
	v_fmac_f64_e32 v[106:107], v[112:113], v[108:109]
	buffer_load_dword v109, off, s[0:3], 0 offset:404
	buffer_load_dword v108, off, s[0:3], 0 offset:400
	s_waitcnt vmcnt(0)
	v_fmac_f64_e32 v[106:107], v[108:109], v[110:111]
	v_add_f64 v[104:105], v[104:105], -v[106:107]
	buffer_store_dword v105, off, s[0:3], 0 offset:100
	buffer_store_dword v104, off, s[0:3], 0 offset:96
	s_and_saveexec_b64 s[4:5], vcc
	s_cbranch_execz .LBB114_291
; %bb.290:
	buffer_load_dword v104, off, s[0:3], 0 offset:88
	buffer_load_dword v105, off, s[0:3], 0 offset:92
	v_mov_b32_e32 v106, 0
	buffer_store_dword v106, off, s[0:3], 0 offset:88
	buffer_store_dword v106, off, s[0:3], 0 offset:92
	s_waitcnt vmcnt(2)
	ds_write_b64 v1, v[104:105]
.LBB114_291:
	s_or_b64 exec, exec, s[4:5]
	s_waitcnt lgkmcnt(0)
	; wave barrier
	s_waitcnt lgkmcnt(0)
	buffer_load_dword v104, off, s[0:3], 0 offset:88
	buffer_load_dword v105, off, s[0:3], 0 offset:92
	;; [unrolled: 1-line block ×16, first 2 shown]
	v_mov_b32_e32 v108, 0
	ds_read_b128 v[110:113], v108 offset:512
	ds_read_b128 v[114:117], v108 offset:528
	;; [unrolled: 1-line block ×4, first 2 shown]
	v_cmp_lt_u32_e32 vcc, 10, v0
	s_waitcnt vmcnt(12) lgkmcnt(3)
	v_fma_f64 v[106:107], v[106:107], v[110:111], 0
	buffer_load_dword v111, off, s[0:3], 0 offset:156
	buffer_load_dword v110, off, s[0:3], 0 offset:152
	s_waitcnt vmcnt(12)
	v_fmac_f64_e32 v[106:107], v[126:127], v[112:113]
	s_waitcnt vmcnt(10) lgkmcnt(2)
	v_fmac_f64_e32 v[106:107], v[128:129], v[114:115]
	buffer_load_dword v115, off, s[0:3], 0 offset:164
	buffer_load_dword v114, off, s[0:3], 0 offset:160
	s_waitcnt vmcnt(10)
	v_fmac_f64_e32 v[106:107], v[130:131], v[116:117]
	s_waitcnt vmcnt(8) lgkmcnt(1)
	v_fmac_f64_e32 v[106:107], v[132:133], v[118:119]
	s_waitcnt vmcnt(6)
	v_fmac_f64_e32 v[106:107], v[134:135], v[120:121]
	s_waitcnt vmcnt(4) lgkmcnt(0)
	v_fmac_f64_e32 v[106:107], v[136:137], v[122:123]
	s_waitcnt vmcnt(2)
	v_fmac_f64_e32 v[106:107], v[110:111], v[124:125]
	ds_read_b128 v[110:113], v108 offset:576
	s_waitcnt vmcnt(0) lgkmcnt(0)
	v_fmac_f64_e32 v[106:107], v[114:115], v[110:111]
	buffer_load_dword v111, off, s[0:3], 0 offset:172
	buffer_load_dword v110, off, s[0:3], 0 offset:168
	buffer_load_dword v115, off, s[0:3], 0 offset:180
	buffer_load_dword v114, off, s[0:3], 0 offset:176
	s_waitcnt vmcnt(2)
	v_fmac_f64_e32 v[106:107], v[110:111], v[112:113]
	ds_read_b128 v[110:113], v108 offset:592
	s_waitcnt vmcnt(0) lgkmcnt(0)
	v_fmac_f64_e32 v[106:107], v[114:115], v[110:111]
	buffer_load_dword v111, off, s[0:3], 0 offset:188
	buffer_load_dword v110, off, s[0:3], 0 offset:184
	buffer_load_dword v115, off, s[0:3], 0 offset:196
	buffer_load_dword v114, off, s[0:3], 0 offset:192
	;; [unrolled: 9-line block ×14, first 2 shown]
	s_waitcnt vmcnt(2)
	v_fmac_f64_e32 v[106:107], v[110:111], v[112:113]
	ds_read_b128 v[110:113], v108 offset:800
	s_waitcnt vmcnt(0) lgkmcnt(0)
	v_fmac_f64_e32 v[106:107], v[114:115], v[110:111]
	buffer_load_dword v111, off, s[0:3], 0 offset:396
	buffer_load_dword v110, off, s[0:3], 0 offset:392
	s_waitcnt vmcnt(0)
	v_fmac_f64_e32 v[106:107], v[110:111], v[112:113]
	buffer_load_dword v111, off, s[0:3], 0 offset:404
	buffer_load_dword v110, off, s[0:3], 0 offset:400
	ds_read_b64 v[112:113], v108 offset:816
	s_waitcnt vmcnt(0) lgkmcnt(0)
	v_fmac_f64_e32 v[106:107], v[110:111], v[112:113]
	v_add_f64 v[104:105], v[104:105], -v[106:107]
	buffer_store_dword v105, off, s[0:3], 0 offset:92
	buffer_store_dword v104, off, s[0:3], 0 offset:88
	s_and_saveexec_b64 s[4:5], vcc
	s_cbranch_execz .LBB114_293
; %bb.292:
	buffer_load_dword v104, off, s[0:3], 0 offset:80
	buffer_load_dword v105, off, s[0:3], 0 offset:84
	s_waitcnt vmcnt(0)
	ds_write_b64 v1, v[104:105]
	buffer_store_dword v108, off, s[0:3], 0 offset:80
	buffer_store_dword v108, off, s[0:3], 0 offset:84
.LBB114_293:
	s_or_b64 exec, exec, s[4:5]
	s_waitcnt lgkmcnt(0)
	; wave barrier
	s_waitcnt lgkmcnt(0)
	buffer_load_dword v104, off, s[0:3], 0 offset:80
	buffer_load_dword v105, off, s[0:3], 0 offset:84
	;; [unrolled: 1-line block ×16, first 2 shown]
	ds_read2_b64 v[110:113], v108 offset0:63 offset1:64
	v_cmp_lt_u32_e32 vcc, 9, v0
	s_waitcnt vmcnt(12) lgkmcnt(0)
	v_fma_f64 v[106:107], v[106:107], v[110:111], 0
	s_waitcnt vmcnt(10)
	v_fmac_f64_e32 v[106:107], v[114:115], v[112:113]
	ds_read2_b64 v[110:113], v108 offset0:65 offset1:66
	s_waitcnt vmcnt(8) lgkmcnt(0)
	v_fmac_f64_e32 v[106:107], v[116:117], v[110:111]
	s_waitcnt vmcnt(6)
	v_fmac_f64_e32 v[106:107], v[118:119], v[112:113]
	ds_read2_b64 v[110:113], v108 offset0:67 offset1:68
	s_waitcnt vmcnt(4) lgkmcnt(0)
	v_fmac_f64_e32 v[106:107], v[120:121], v[110:111]
	;; [unrolled: 5-line block ×3, first 2 shown]
	buffer_load_dword v111, off, s[0:3], 0 offset:148
	buffer_load_dword v110, off, s[0:3], 0 offset:144
	buffer_load_dword v115, off, s[0:3], 0 offset:156
	buffer_load_dword v114, off, s[0:3], 0 offset:152
	s_waitcnt vmcnt(2)
	v_fmac_f64_e32 v[106:107], v[110:111], v[112:113]
	ds_read2_b64 v[110:113], v108 offset0:71 offset1:72
	s_waitcnt vmcnt(0) lgkmcnt(0)
	v_fmac_f64_e32 v[106:107], v[114:115], v[110:111]
	buffer_load_dword v111, off, s[0:3], 0 offset:164
	buffer_load_dword v110, off, s[0:3], 0 offset:160
	buffer_load_dword v115, off, s[0:3], 0 offset:172
	buffer_load_dword v114, off, s[0:3], 0 offset:168
	s_waitcnt vmcnt(2)
	v_fmac_f64_e32 v[106:107], v[110:111], v[112:113]
	ds_read2_b64 v[110:113], v108 offset0:73 offset1:74
	s_waitcnt vmcnt(0) lgkmcnt(0)
	v_fmac_f64_e32 v[106:107], v[114:115], v[110:111]
	;; [unrolled: 9-line block ×15, first 2 shown]
	buffer_load_dword v111, off, s[0:3], 0 offset:388
	buffer_load_dword v110, off, s[0:3], 0 offset:384
	s_waitcnt vmcnt(0)
	v_fmac_f64_e32 v[106:107], v[110:111], v[112:113]
	buffer_load_dword v113, off, s[0:3], 0 offset:396
	buffer_load_dword v112, off, s[0:3], 0 offset:392
	ds_read2_b64 v[108:111], v108 offset0:101 offset1:102
	s_waitcnt vmcnt(0) lgkmcnt(0)
	v_fmac_f64_e32 v[106:107], v[112:113], v[108:109]
	buffer_load_dword v109, off, s[0:3], 0 offset:404
	buffer_load_dword v108, off, s[0:3], 0 offset:400
	s_waitcnt vmcnt(0)
	v_fmac_f64_e32 v[106:107], v[108:109], v[110:111]
	v_add_f64 v[104:105], v[104:105], -v[106:107]
	buffer_store_dword v105, off, s[0:3], 0 offset:84
	buffer_store_dword v104, off, s[0:3], 0 offset:80
	s_and_saveexec_b64 s[4:5], vcc
	s_cbranch_execz .LBB114_295
; %bb.294:
	buffer_load_dword v104, off, s[0:3], 0 offset:72
	buffer_load_dword v105, off, s[0:3], 0 offset:76
	v_mov_b32_e32 v106, 0
	buffer_store_dword v106, off, s[0:3], 0 offset:72
	buffer_store_dword v106, off, s[0:3], 0 offset:76
	s_waitcnt vmcnt(2)
	ds_write_b64 v1, v[104:105]
.LBB114_295:
	s_or_b64 exec, exec, s[4:5]
	s_waitcnt lgkmcnt(0)
	; wave barrier
	s_waitcnt lgkmcnt(0)
	buffer_load_dword v104, off, s[0:3], 0 offset:72
	buffer_load_dword v105, off, s[0:3], 0 offset:76
	;; [unrolled: 1-line block ×16, first 2 shown]
	v_mov_b32_e32 v108, 0
	ds_read_b128 v[110:113], v108 offset:496
	ds_read_b128 v[114:117], v108 offset:512
	;; [unrolled: 1-line block ×4, first 2 shown]
	v_cmp_lt_u32_e32 vcc, 8, v0
	s_waitcnt vmcnt(12) lgkmcnt(3)
	v_fma_f64 v[106:107], v[106:107], v[110:111], 0
	buffer_load_dword v111, off, s[0:3], 0 offset:140
	buffer_load_dword v110, off, s[0:3], 0 offset:136
	s_waitcnt vmcnt(12)
	v_fmac_f64_e32 v[106:107], v[126:127], v[112:113]
	s_waitcnt vmcnt(10) lgkmcnt(2)
	v_fmac_f64_e32 v[106:107], v[128:129], v[114:115]
	buffer_load_dword v115, off, s[0:3], 0 offset:148
	buffer_load_dword v114, off, s[0:3], 0 offset:144
	s_waitcnt vmcnt(10)
	v_fmac_f64_e32 v[106:107], v[130:131], v[116:117]
	s_waitcnt vmcnt(8) lgkmcnt(1)
	v_fmac_f64_e32 v[106:107], v[132:133], v[118:119]
	s_waitcnt vmcnt(6)
	v_fmac_f64_e32 v[106:107], v[134:135], v[120:121]
	s_waitcnt vmcnt(4) lgkmcnt(0)
	v_fmac_f64_e32 v[106:107], v[136:137], v[122:123]
	s_waitcnt vmcnt(2)
	v_fmac_f64_e32 v[106:107], v[110:111], v[124:125]
	ds_read_b128 v[110:113], v108 offset:560
	s_waitcnt vmcnt(0) lgkmcnt(0)
	v_fmac_f64_e32 v[106:107], v[114:115], v[110:111]
	buffer_load_dword v111, off, s[0:3], 0 offset:156
	buffer_load_dword v110, off, s[0:3], 0 offset:152
	buffer_load_dword v115, off, s[0:3], 0 offset:164
	buffer_load_dword v114, off, s[0:3], 0 offset:160
	s_waitcnt vmcnt(2)
	v_fmac_f64_e32 v[106:107], v[110:111], v[112:113]
	ds_read_b128 v[110:113], v108 offset:576
	s_waitcnt vmcnt(0) lgkmcnt(0)
	v_fmac_f64_e32 v[106:107], v[114:115], v[110:111]
	buffer_load_dword v111, off, s[0:3], 0 offset:172
	buffer_load_dword v110, off, s[0:3], 0 offset:168
	buffer_load_dword v115, off, s[0:3], 0 offset:180
	buffer_load_dword v114, off, s[0:3], 0 offset:176
	;; [unrolled: 9-line block ×15, first 2 shown]
	s_waitcnt vmcnt(2)
	v_fmac_f64_e32 v[106:107], v[110:111], v[112:113]
	ds_read_b128 v[110:113], v108 offset:800
	s_waitcnt vmcnt(0) lgkmcnt(0)
	v_fmac_f64_e32 v[106:107], v[114:115], v[110:111]
	buffer_load_dword v111, off, s[0:3], 0 offset:396
	buffer_load_dword v110, off, s[0:3], 0 offset:392
	s_waitcnt vmcnt(0)
	v_fmac_f64_e32 v[106:107], v[110:111], v[112:113]
	buffer_load_dword v111, off, s[0:3], 0 offset:404
	buffer_load_dword v110, off, s[0:3], 0 offset:400
	ds_read_b64 v[112:113], v108 offset:816
	s_waitcnt vmcnt(0) lgkmcnt(0)
	v_fmac_f64_e32 v[106:107], v[110:111], v[112:113]
	v_add_f64 v[104:105], v[104:105], -v[106:107]
	buffer_store_dword v105, off, s[0:3], 0 offset:76
	buffer_store_dword v104, off, s[0:3], 0 offset:72
	s_and_saveexec_b64 s[4:5], vcc
	s_cbranch_execz .LBB114_297
; %bb.296:
	buffer_load_dword v104, off, s[0:3], 0 offset:64
	buffer_load_dword v105, off, s[0:3], 0 offset:68
	s_waitcnt vmcnt(0)
	ds_write_b64 v1, v[104:105]
	buffer_store_dword v108, off, s[0:3], 0 offset:64
	buffer_store_dword v108, off, s[0:3], 0 offset:68
.LBB114_297:
	s_or_b64 exec, exec, s[4:5]
	s_waitcnt lgkmcnt(0)
	; wave barrier
	s_waitcnt lgkmcnt(0)
	buffer_load_dword v104, off, s[0:3], 0 offset:64
	buffer_load_dword v105, off, s[0:3], 0 offset:68
	;; [unrolled: 1-line block ×16, first 2 shown]
	ds_read2_b64 v[110:113], v108 offset0:61 offset1:62
	v_cmp_lt_u32_e32 vcc, 7, v0
	s_waitcnt vmcnt(12) lgkmcnt(0)
	v_fma_f64 v[106:107], v[106:107], v[110:111], 0
	s_waitcnt vmcnt(10)
	v_fmac_f64_e32 v[106:107], v[114:115], v[112:113]
	ds_read2_b64 v[110:113], v108 offset0:63 offset1:64
	s_waitcnt vmcnt(8) lgkmcnt(0)
	v_fmac_f64_e32 v[106:107], v[116:117], v[110:111]
	s_waitcnt vmcnt(6)
	v_fmac_f64_e32 v[106:107], v[118:119], v[112:113]
	ds_read2_b64 v[110:113], v108 offset0:65 offset1:66
	s_waitcnt vmcnt(4) lgkmcnt(0)
	v_fmac_f64_e32 v[106:107], v[120:121], v[110:111]
	;; [unrolled: 5-line block ×3, first 2 shown]
	buffer_load_dword v111, off, s[0:3], 0 offset:132
	buffer_load_dword v110, off, s[0:3], 0 offset:128
	buffer_load_dword v115, off, s[0:3], 0 offset:140
	buffer_load_dword v114, off, s[0:3], 0 offset:136
	s_waitcnt vmcnt(2)
	v_fmac_f64_e32 v[106:107], v[110:111], v[112:113]
	ds_read2_b64 v[110:113], v108 offset0:69 offset1:70
	s_waitcnt vmcnt(0) lgkmcnt(0)
	v_fmac_f64_e32 v[106:107], v[114:115], v[110:111]
	buffer_load_dword v111, off, s[0:3], 0 offset:148
	buffer_load_dword v110, off, s[0:3], 0 offset:144
	buffer_load_dword v115, off, s[0:3], 0 offset:156
	buffer_load_dword v114, off, s[0:3], 0 offset:152
	s_waitcnt vmcnt(2)
	v_fmac_f64_e32 v[106:107], v[110:111], v[112:113]
	ds_read2_b64 v[110:113], v108 offset0:71 offset1:72
	s_waitcnt vmcnt(0) lgkmcnt(0)
	v_fmac_f64_e32 v[106:107], v[114:115], v[110:111]
	;; [unrolled: 9-line block ×16, first 2 shown]
	buffer_load_dword v111, off, s[0:3], 0 offset:388
	buffer_load_dword v110, off, s[0:3], 0 offset:384
	s_waitcnt vmcnt(0)
	v_fmac_f64_e32 v[106:107], v[110:111], v[112:113]
	buffer_load_dword v113, off, s[0:3], 0 offset:396
	buffer_load_dword v112, off, s[0:3], 0 offset:392
	ds_read2_b64 v[108:111], v108 offset0:101 offset1:102
	s_waitcnt vmcnt(0) lgkmcnt(0)
	v_fmac_f64_e32 v[106:107], v[112:113], v[108:109]
	buffer_load_dword v109, off, s[0:3], 0 offset:404
	buffer_load_dword v108, off, s[0:3], 0 offset:400
	s_waitcnt vmcnt(0)
	v_fmac_f64_e32 v[106:107], v[108:109], v[110:111]
	v_add_f64 v[104:105], v[104:105], -v[106:107]
	buffer_store_dword v105, off, s[0:3], 0 offset:68
	buffer_store_dword v104, off, s[0:3], 0 offset:64
	s_and_saveexec_b64 s[4:5], vcc
	s_cbranch_execz .LBB114_299
; %bb.298:
	buffer_load_dword v104, off, s[0:3], 0 offset:56
	buffer_load_dword v105, off, s[0:3], 0 offset:60
	v_mov_b32_e32 v106, 0
	buffer_store_dword v106, off, s[0:3], 0 offset:56
	buffer_store_dword v106, off, s[0:3], 0 offset:60
	s_waitcnt vmcnt(2)
	ds_write_b64 v1, v[104:105]
.LBB114_299:
	s_or_b64 exec, exec, s[4:5]
	s_waitcnt lgkmcnt(0)
	; wave barrier
	s_waitcnt lgkmcnt(0)
	buffer_load_dword v104, off, s[0:3], 0 offset:56
	buffer_load_dword v105, off, s[0:3], 0 offset:60
	;; [unrolled: 1-line block ×16, first 2 shown]
	v_mov_b32_e32 v108, 0
	ds_read_b128 v[110:113], v108 offset:480
	ds_read_b128 v[114:117], v108 offset:496
	ds_read_b128 v[118:121], v108 offset:512
	ds_read_b128 v[122:125], v108 offset:528
	v_cmp_lt_u32_e32 vcc, 6, v0
	s_waitcnt vmcnt(12) lgkmcnt(3)
	v_fma_f64 v[106:107], v[106:107], v[110:111], 0
	buffer_load_dword v111, off, s[0:3], 0 offset:124
	buffer_load_dword v110, off, s[0:3], 0 offset:120
	s_waitcnt vmcnt(12)
	v_fmac_f64_e32 v[106:107], v[126:127], v[112:113]
	s_waitcnt vmcnt(10) lgkmcnt(2)
	v_fmac_f64_e32 v[106:107], v[128:129], v[114:115]
	buffer_load_dword v115, off, s[0:3], 0 offset:132
	buffer_load_dword v114, off, s[0:3], 0 offset:128
	s_waitcnt vmcnt(10)
	v_fmac_f64_e32 v[106:107], v[130:131], v[116:117]
	s_waitcnt vmcnt(8) lgkmcnt(1)
	v_fmac_f64_e32 v[106:107], v[132:133], v[118:119]
	s_waitcnt vmcnt(6)
	v_fmac_f64_e32 v[106:107], v[134:135], v[120:121]
	s_waitcnt vmcnt(4) lgkmcnt(0)
	v_fmac_f64_e32 v[106:107], v[136:137], v[122:123]
	s_waitcnt vmcnt(2)
	v_fmac_f64_e32 v[106:107], v[110:111], v[124:125]
	ds_read_b128 v[110:113], v108 offset:544
	s_waitcnt vmcnt(0) lgkmcnt(0)
	v_fmac_f64_e32 v[106:107], v[114:115], v[110:111]
	buffer_load_dword v111, off, s[0:3], 0 offset:140
	buffer_load_dword v110, off, s[0:3], 0 offset:136
	buffer_load_dword v115, off, s[0:3], 0 offset:148
	buffer_load_dword v114, off, s[0:3], 0 offset:144
	s_waitcnt vmcnt(2)
	v_fmac_f64_e32 v[106:107], v[110:111], v[112:113]
	ds_read_b128 v[110:113], v108 offset:560
	s_waitcnt vmcnt(0) lgkmcnt(0)
	v_fmac_f64_e32 v[106:107], v[114:115], v[110:111]
	buffer_load_dword v111, off, s[0:3], 0 offset:156
	buffer_load_dword v110, off, s[0:3], 0 offset:152
	buffer_load_dword v115, off, s[0:3], 0 offset:164
	buffer_load_dword v114, off, s[0:3], 0 offset:160
	;; [unrolled: 9-line block ×16, first 2 shown]
	s_waitcnt vmcnt(2)
	v_fmac_f64_e32 v[106:107], v[110:111], v[112:113]
	ds_read_b128 v[110:113], v108 offset:800
	s_waitcnt vmcnt(0) lgkmcnt(0)
	v_fmac_f64_e32 v[106:107], v[114:115], v[110:111]
	buffer_load_dword v111, off, s[0:3], 0 offset:396
	buffer_load_dword v110, off, s[0:3], 0 offset:392
	s_waitcnt vmcnt(0)
	v_fmac_f64_e32 v[106:107], v[110:111], v[112:113]
	buffer_load_dword v111, off, s[0:3], 0 offset:404
	buffer_load_dword v110, off, s[0:3], 0 offset:400
	ds_read_b64 v[112:113], v108 offset:816
	s_waitcnt vmcnt(0) lgkmcnt(0)
	v_fmac_f64_e32 v[106:107], v[110:111], v[112:113]
	v_add_f64 v[104:105], v[104:105], -v[106:107]
	buffer_store_dword v105, off, s[0:3], 0 offset:60
	buffer_store_dword v104, off, s[0:3], 0 offset:56
	s_and_saveexec_b64 s[4:5], vcc
	s_cbranch_execz .LBB114_301
; %bb.300:
	buffer_load_dword v104, off, s[0:3], 0 offset:48
	buffer_load_dword v105, off, s[0:3], 0 offset:52
	s_waitcnt vmcnt(0)
	ds_write_b64 v1, v[104:105]
	buffer_store_dword v108, off, s[0:3], 0 offset:48
	buffer_store_dword v108, off, s[0:3], 0 offset:52
.LBB114_301:
	s_or_b64 exec, exec, s[4:5]
	s_waitcnt lgkmcnt(0)
	; wave barrier
	s_waitcnt lgkmcnt(0)
	buffer_load_dword v104, off, s[0:3], 0 offset:48
	buffer_load_dword v105, off, s[0:3], 0 offset:52
	;; [unrolled: 1-line block ×16, first 2 shown]
	ds_read2_b64 v[110:113], v108 offset0:59 offset1:60
	v_cmp_lt_u32_e32 vcc, 5, v0
	s_waitcnt vmcnt(12) lgkmcnt(0)
	v_fma_f64 v[106:107], v[106:107], v[110:111], 0
	s_waitcnt vmcnt(10)
	v_fmac_f64_e32 v[106:107], v[114:115], v[112:113]
	ds_read2_b64 v[110:113], v108 offset0:61 offset1:62
	s_waitcnt vmcnt(8) lgkmcnt(0)
	v_fmac_f64_e32 v[106:107], v[116:117], v[110:111]
	s_waitcnt vmcnt(6)
	v_fmac_f64_e32 v[106:107], v[118:119], v[112:113]
	ds_read2_b64 v[110:113], v108 offset0:63 offset1:64
	s_waitcnt vmcnt(4) lgkmcnt(0)
	v_fmac_f64_e32 v[106:107], v[120:121], v[110:111]
	;; [unrolled: 5-line block ×3, first 2 shown]
	buffer_load_dword v111, off, s[0:3], 0 offset:116
	buffer_load_dword v110, off, s[0:3], 0 offset:112
	buffer_load_dword v115, off, s[0:3], 0 offset:124
	buffer_load_dword v114, off, s[0:3], 0 offset:120
	s_waitcnt vmcnt(2)
	v_fmac_f64_e32 v[106:107], v[110:111], v[112:113]
	ds_read2_b64 v[110:113], v108 offset0:67 offset1:68
	s_waitcnt vmcnt(0) lgkmcnt(0)
	v_fmac_f64_e32 v[106:107], v[114:115], v[110:111]
	buffer_load_dword v111, off, s[0:3], 0 offset:132
	buffer_load_dword v110, off, s[0:3], 0 offset:128
	buffer_load_dword v115, off, s[0:3], 0 offset:140
	buffer_load_dword v114, off, s[0:3], 0 offset:136
	s_waitcnt vmcnt(2)
	v_fmac_f64_e32 v[106:107], v[110:111], v[112:113]
	ds_read2_b64 v[110:113], v108 offset0:69 offset1:70
	s_waitcnt vmcnt(0) lgkmcnt(0)
	v_fmac_f64_e32 v[106:107], v[114:115], v[110:111]
	;; [unrolled: 9-line block ×17, first 2 shown]
	buffer_load_dword v111, off, s[0:3], 0 offset:388
	buffer_load_dword v110, off, s[0:3], 0 offset:384
	s_waitcnt vmcnt(0)
	v_fmac_f64_e32 v[106:107], v[110:111], v[112:113]
	buffer_load_dword v113, off, s[0:3], 0 offset:396
	buffer_load_dword v112, off, s[0:3], 0 offset:392
	ds_read2_b64 v[108:111], v108 offset0:101 offset1:102
	s_waitcnt vmcnt(0) lgkmcnt(0)
	v_fmac_f64_e32 v[106:107], v[112:113], v[108:109]
	buffer_load_dword v109, off, s[0:3], 0 offset:404
	buffer_load_dword v108, off, s[0:3], 0 offset:400
	s_waitcnt vmcnt(0)
	v_fmac_f64_e32 v[106:107], v[108:109], v[110:111]
	v_add_f64 v[104:105], v[104:105], -v[106:107]
	buffer_store_dword v105, off, s[0:3], 0 offset:52
	buffer_store_dword v104, off, s[0:3], 0 offset:48
	s_and_saveexec_b64 s[4:5], vcc
	s_cbranch_execz .LBB114_303
; %bb.302:
	buffer_load_dword v104, off, s[0:3], 0 offset:40
	buffer_load_dword v105, off, s[0:3], 0 offset:44
	v_mov_b32_e32 v106, 0
	buffer_store_dword v106, off, s[0:3], 0 offset:40
	buffer_store_dword v106, off, s[0:3], 0 offset:44
	s_waitcnt vmcnt(2)
	ds_write_b64 v1, v[104:105]
.LBB114_303:
	s_or_b64 exec, exec, s[4:5]
	s_waitcnt lgkmcnt(0)
	; wave barrier
	s_waitcnt lgkmcnt(0)
	buffer_load_dword v104, off, s[0:3], 0 offset:40
	buffer_load_dword v105, off, s[0:3], 0 offset:44
	buffer_load_dword v106, off, s[0:3], 0 offset:48
	buffer_load_dword v107, off, s[0:3], 0 offset:52
	buffer_load_dword v126, off, s[0:3], 0 offset:56
	buffer_load_dword v127, off, s[0:3], 0 offset:60
	buffer_load_dword v128, off, s[0:3], 0 offset:64
	buffer_load_dword v129, off, s[0:3], 0 offset:68
	buffer_load_dword v130, off, s[0:3], 0 offset:72
	buffer_load_dword v131, off, s[0:3], 0 offset:76
	buffer_load_dword v132, off, s[0:3], 0 offset:80
	buffer_load_dword v133, off, s[0:3], 0 offset:84
	buffer_load_dword v134, off, s[0:3], 0 offset:88
	buffer_load_dword v135, off, s[0:3], 0 offset:92
	buffer_load_dword v136, off, s[0:3], 0 offset:96
	buffer_load_dword v137, off, s[0:3], 0 offset:100
	v_mov_b32_e32 v108, 0
	ds_read_b128 v[110:113], v108 offset:464
	ds_read_b128 v[114:117], v108 offset:480
	;; [unrolled: 1-line block ×4, first 2 shown]
	v_cmp_lt_u32_e32 vcc, 4, v0
	s_waitcnt vmcnt(12) lgkmcnt(3)
	v_fma_f64 v[106:107], v[106:107], v[110:111], 0
	buffer_load_dword v111, off, s[0:3], 0 offset:108
	buffer_load_dword v110, off, s[0:3], 0 offset:104
	s_waitcnt vmcnt(12)
	v_fmac_f64_e32 v[106:107], v[126:127], v[112:113]
	s_waitcnt vmcnt(10) lgkmcnt(2)
	v_fmac_f64_e32 v[106:107], v[128:129], v[114:115]
	buffer_load_dword v115, off, s[0:3], 0 offset:116
	buffer_load_dword v114, off, s[0:3], 0 offset:112
	s_waitcnt vmcnt(10)
	v_fmac_f64_e32 v[106:107], v[130:131], v[116:117]
	s_waitcnt vmcnt(8) lgkmcnt(1)
	v_fmac_f64_e32 v[106:107], v[132:133], v[118:119]
	s_waitcnt vmcnt(6)
	v_fmac_f64_e32 v[106:107], v[134:135], v[120:121]
	s_waitcnt vmcnt(4) lgkmcnt(0)
	v_fmac_f64_e32 v[106:107], v[136:137], v[122:123]
	s_waitcnt vmcnt(2)
	v_fmac_f64_e32 v[106:107], v[110:111], v[124:125]
	ds_read_b128 v[110:113], v108 offset:528
	s_waitcnt vmcnt(0) lgkmcnt(0)
	v_fmac_f64_e32 v[106:107], v[114:115], v[110:111]
	buffer_load_dword v111, off, s[0:3], 0 offset:124
	buffer_load_dword v110, off, s[0:3], 0 offset:120
	buffer_load_dword v115, off, s[0:3], 0 offset:132
	buffer_load_dword v114, off, s[0:3], 0 offset:128
	s_waitcnt vmcnt(2)
	v_fmac_f64_e32 v[106:107], v[110:111], v[112:113]
	ds_read_b128 v[110:113], v108 offset:544
	s_waitcnt vmcnt(0) lgkmcnt(0)
	v_fmac_f64_e32 v[106:107], v[114:115], v[110:111]
	buffer_load_dword v111, off, s[0:3], 0 offset:140
	buffer_load_dword v110, off, s[0:3], 0 offset:136
	buffer_load_dword v115, off, s[0:3], 0 offset:148
	buffer_load_dword v114, off, s[0:3], 0 offset:144
	s_waitcnt vmcnt(2)
	v_fmac_f64_e32 v[106:107], v[110:111], v[112:113]
	ds_read_b128 v[110:113], v108 offset:560
	s_waitcnt vmcnt(0) lgkmcnt(0)
	v_fmac_f64_e32 v[106:107], v[114:115], v[110:111]
	buffer_load_dword v111, off, s[0:3], 0 offset:156
	buffer_load_dword v110, off, s[0:3], 0 offset:152
	buffer_load_dword v115, off, s[0:3], 0 offset:164
	buffer_load_dword v114, off, s[0:3], 0 offset:160
	s_waitcnt vmcnt(2)
	v_fmac_f64_e32 v[106:107], v[110:111], v[112:113]
	ds_read_b128 v[110:113], v108 offset:576
	s_waitcnt vmcnt(0) lgkmcnt(0)
	v_fmac_f64_e32 v[106:107], v[114:115], v[110:111]
	buffer_load_dword v111, off, s[0:3], 0 offset:172
	buffer_load_dword v110, off, s[0:3], 0 offset:168
	buffer_load_dword v115, off, s[0:3], 0 offset:180
	buffer_load_dword v114, off, s[0:3], 0 offset:176
	s_waitcnt vmcnt(2)
	v_fmac_f64_e32 v[106:107], v[110:111], v[112:113]
	ds_read_b128 v[110:113], v108 offset:592
	s_waitcnt vmcnt(0) lgkmcnt(0)
	v_fmac_f64_e32 v[106:107], v[114:115], v[110:111]
	buffer_load_dword v111, off, s[0:3], 0 offset:188
	buffer_load_dword v110, off, s[0:3], 0 offset:184
	buffer_load_dword v115, off, s[0:3], 0 offset:196
	buffer_load_dword v114, off, s[0:3], 0 offset:192
	s_waitcnt vmcnt(2)
	v_fmac_f64_e32 v[106:107], v[110:111], v[112:113]
	ds_read_b128 v[110:113], v108 offset:608
	s_waitcnt vmcnt(0) lgkmcnt(0)
	v_fmac_f64_e32 v[106:107], v[114:115], v[110:111]
	buffer_load_dword v111, off, s[0:3], 0 offset:204
	buffer_load_dword v110, off, s[0:3], 0 offset:200
	buffer_load_dword v115, off, s[0:3], 0 offset:212
	buffer_load_dword v114, off, s[0:3], 0 offset:208
	s_waitcnt vmcnt(2)
	v_fmac_f64_e32 v[106:107], v[110:111], v[112:113]
	ds_read_b128 v[110:113], v108 offset:624
	s_waitcnt vmcnt(0) lgkmcnt(0)
	v_fmac_f64_e32 v[106:107], v[114:115], v[110:111]
	buffer_load_dword v111, off, s[0:3], 0 offset:220
	buffer_load_dword v110, off, s[0:3], 0 offset:216
	buffer_load_dword v115, off, s[0:3], 0 offset:228
	buffer_load_dword v114, off, s[0:3], 0 offset:224
	s_waitcnt vmcnt(2)
	v_fmac_f64_e32 v[106:107], v[110:111], v[112:113]
	ds_read_b128 v[110:113], v108 offset:640
	s_waitcnt vmcnt(0) lgkmcnt(0)
	v_fmac_f64_e32 v[106:107], v[114:115], v[110:111]
	buffer_load_dword v111, off, s[0:3], 0 offset:236
	buffer_load_dword v110, off, s[0:3], 0 offset:232
	buffer_load_dword v115, off, s[0:3], 0 offset:244
	buffer_load_dword v114, off, s[0:3], 0 offset:240
	s_waitcnt vmcnt(2)
	v_fmac_f64_e32 v[106:107], v[110:111], v[112:113]
	ds_read_b128 v[110:113], v108 offset:656
	s_waitcnt vmcnt(0) lgkmcnt(0)
	v_fmac_f64_e32 v[106:107], v[114:115], v[110:111]
	buffer_load_dword v111, off, s[0:3], 0 offset:252
	buffer_load_dword v110, off, s[0:3], 0 offset:248
	buffer_load_dword v115, off, s[0:3], 0 offset:260
	buffer_load_dword v114, off, s[0:3], 0 offset:256
	s_waitcnt vmcnt(2)
	v_fmac_f64_e32 v[106:107], v[110:111], v[112:113]
	ds_read_b128 v[110:113], v108 offset:672
	s_waitcnt vmcnt(0) lgkmcnt(0)
	v_fmac_f64_e32 v[106:107], v[114:115], v[110:111]
	buffer_load_dword v111, off, s[0:3], 0 offset:268
	buffer_load_dword v110, off, s[0:3], 0 offset:264
	buffer_load_dword v115, off, s[0:3], 0 offset:276
	buffer_load_dword v114, off, s[0:3], 0 offset:272
	s_waitcnt vmcnt(2)
	v_fmac_f64_e32 v[106:107], v[110:111], v[112:113]
	ds_read_b128 v[110:113], v108 offset:688
	s_waitcnt vmcnt(0) lgkmcnt(0)
	v_fmac_f64_e32 v[106:107], v[114:115], v[110:111]
	buffer_load_dword v111, off, s[0:3], 0 offset:284
	buffer_load_dword v110, off, s[0:3], 0 offset:280
	buffer_load_dword v115, off, s[0:3], 0 offset:292
	buffer_load_dword v114, off, s[0:3], 0 offset:288
	s_waitcnt vmcnt(2)
	v_fmac_f64_e32 v[106:107], v[110:111], v[112:113]
	ds_read_b128 v[110:113], v108 offset:704
	s_waitcnt vmcnt(0) lgkmcnt(0)
	v_fmac_f64_e32 v[106:107], v[114:115], v[110:111]
	buffer_load_dword v111, off, s[0:3], 0 offset:300
	buffer_load_dword v110, off, s[0:3], 0 offset:296
	buffer_load_dword v115, off, s[0:3], 0 offset:308
	buffer_load_dword v114, off, s[0:3], 0 offset:304
	s_waitcnt vmcnt(2)
	v_fmac_f64_e32 v[106:107], v[110:111], v[112:113]
	ds_read_b128 v[110:113], v108 offset:720
	s_waitcnt vmcnt(0) lgkmcnt(0)
	v_fmac_f64_e32 v[106:107], v[114:115], v[110:111]
	buffer_load_dword v111, off, s[0:3], 0 offset:316
	buffer_load_dword v110, off, s[0:3], 0 offset:312
	buffer_load_dword v115, off, s[0:3], 0 offset:324
	buffer_load_dword v114, off, s[0:3], 0 offset:320
	s_waitcnt vmcnt(2)
	v_fmac_f64_e32 v[106:107], v[110:111], v[112:113]
	ds_read_b128 v[110:113], v108 offset:736
	s_waitcnt vmcnt(0) lgkmcnt(0)
	v_fmac_f64_e32 v[106:107], v[114:115], v[110:111]
	buffer_load_dword v111, off, s[0:3], 0 offset:332
	buffer_load_dword v110, off, s[0:3], 0 offset:328
	buffer_load_dword v115, off, s[0:3], 0 offset:340
	buffer_load_dword v114, off, s[0:3], 0 offset:336
	s_waitcnt vmcnt(2)
	v_fmac_f64_e32 v[106:107], v[110:111], v[112:113]
	ds_read_b128 v[110:113], v108 offset:752
	s_waitcnt vmcnt(0) lgkmcnt(0)
	v_fmac_f64_e32 v[106:107], v[114:115], v[110:111]
	buffer_load_dword v111, off, s[0:3], 0 offset:348
	buffer_load_dword v110, off, s[0:3], 0 offset:344
	buffer_load_dword v115, off, s[0:3], 0 offset:356
	buffer_load_dword v114, off, s[0:3], 0 offset:352
	s_waitcnt vmcnt(2)
	v_fmac_f64_e32 v[106:107], v[110:111], v[112:113]
	ds_read_b128 v[110:113], v108 offset:768
	s_waitcnt vmcnt(0) lgkmcnt(0)
	v_fmac_f64_e32 v[106:107], v[114:115], v[110:111]
	buffer_load_dword v111, off, s[0:3], 0 offset:364
	buffer_load_dword v110, off, s[0:3], 0 offset:360
	buffer_load_dword v115, off, s[0:3], 0 offset:372
	buffer_load_dword v114, off, s[0:3], 0 offset:368
	s_waitcnt vmcnt(2)
	v_fmac_f64_e32 v[106:107], v[110:111], v[112:113]
	ds_read_b128 v[110:113], v108 offset:784
	s_waitcnt vmcnt(0) lgkmcnt(0)
	v_fmac_f64_e32 v[106:107], v[114:115], v[110:111]
	buffer_load_dword v111, off, s[0:3], 0 offset:380
	buffer_load_dword v110, off, s[0:3], 0 offset:376
	buffer_load_dword v115, off, s[0:3], 0 offset:388
	buffer_load_dword v114, off, s[0:3], 0 offset:384
	s_waitcnt vmcnt(2)
	v_fmac_f64_e32 v[106:107], v[110:111], v[112:113]
	ds_read_b128 v[110:113], v108 offset:800
	s_waitcnt vmcnt(0) lgkmcnt(0)
	v_fmac_f64_e32 v[106:107], v[114:115], v[110:111]
	buffer_load_dword v111, off, s[0:3], 0 offset:396
	buffer_load_dword v110, off, s[0:3], 0 offset:392
	s_waitcnt vmcnt(0)
	v_fmac_f64_e32 v[106:107], v[110:111], v[112:113]
	buffer_load_dword v111, off, s[0:3], 0 offset:404
	buffer_load_dword v110, off, s[0:3], 0 offset:400
	ds_read_b64 v[112:113], v108 offset:816
	s_waitcnt vmcnt(0) lgkmcnt(0)
	v_fmac_f64_e32 v[106:107], v[110:111], v[112:113]
	v_add_f64 v[104:105], v[104:105], -v[106:107]
	buffer_store_dword v105, off, s[0:3], 0 offset:44
	buffer_store_dword v104, off, s[0:3], 0 offset:40
	s_and_saveexec_b64 s[4:5], vcc
	s_cbranch_execz .LBB114_305
; %bb.304:
	buffer_load_dword v104, off, s[0:3], 0 offset:32
	buffer_load_dword v105, off, s[0:3], 0 offset:36
	s_waitcnt vmcnt(0)
	ds_write_b64 v1, v[104:105]
	buffer_store_dword v108, off, s[0:3], 0 offset:32
	buffer_store_dword v108, off, s[0:3], 0 offset:36
.LBB114_305:
	s_or_b64 exec, exec, s[4:5]
	s_waitcnt lgkmcnt(0)
	; wave barrier
	s_waitcnt lgkmcnt(0)
	buffer_load_dword v104, off, s[0:3], 0 offset:32
	buffer_load_dword v105, off, s[0:3], 0 offset:36
	;; [unrolled: 1-line block ×16, first 2 shown]
	ds_read2_b64 v[110:113], v108 offset0:57 offset1:58
	v_cmp_lt_u32_e32 vcc, 3, v0
	s_waitcnt vmcnt(12) lgkmcnt(0)
	v_fma_f64 v[106:107], v[106:107], v[110:111], 0
	s_waitcnt vmcnt(10)
	v_fmac_f64_e32 v[106:107], v[114:115], v[112:113]
	ds_read2_b64 v[110:113], v108 offset0:59 offset1:60
	s_waitcnt vmcnt(8) lgkmcnt(0)
	v_fmac_f64_e32 v[106:107], v[116:117], v[110:111]
	s_waitcnt vmcnt(6)
	v_fmac_f64_e32 v[106:107], v[118:119], v[112:113]
	ds_read2_b64 v[110:113], v108 offset0:61 offset1:62
	s_waitcnt vmcnt(4) lgkmcnt(0)
	v_fmac_f64_e32 v[106:107], v[120:121], v[110:111]
	;; [unrolled: 5-line block ×3, first 2 shown]
	buffer_load_dword v111, off, s[0:3], 0 offset:100
	buffer_load_dword v110, off, s[0:3], 0 offset:96
	buffer_load_dword v115, off, s[0:3], 0 offset:108
	buffer_load_dword v114, off, s[0:3], 0 offset:104
	s_waitcnt vmcnt(2)
	v_fmac_f64_e32 v[106:107], v[110:111], v[112:113]
	ds_read2_b64 v[110:113], v108 offset0:65 offset1:66
	s_waitcnt vmcnt(0) lgkmcnt(0)
	v_fmac_f64_e32 v[106:107], v[114:115], v[110:111]
	buffer_load_dword v111, off, s[0:3], 0 offset:116
	buffer_load_dword v110, off, s[0:3], 0 offset:112
	buffer_load_dword v115, off, s[0:3], 0 offset:124
	buffer_load_dword v114, off, s[0:3], 0 offset:120
	s_waitcnt vmcnt(2)
	v_fmac_f64_e32 v[106:107], v[110:111], v[112:113]
	ds_read2_b64 v[110:113], v108 offset0:67 offset1:68
	s_waitcnt vmcnt(0) lgkmcnt(0)
	v_fmac_f64_e32 v[106:107], v[114:115], v[110:111]
	;; [unrolled: 9-line block ×18, first 2 shown]
	buffer_load_dword v111, off, s[0:3], 0 offset:388
	buffer_load_dword v110, off, s[0:3], 0 offset:384
	s_waitcnt vmcnt(0)
	v_fmac_f64_e32 v[106:107], v[110:111], v[112:113]
	buffer_load_dword v113, off, s[0:3], 0 offset:396
	buffer_load_dword v112, off, s[0:3], 0 offset:392
	ds_read2_b64 v[108:111], v108 offset0:101 offset1:102
	s_waitcnt vmcnt(0) lgkmcnt(0)
	v_fmac_f64_e32 v[106:107], v[112:113], v[108:109]
	buffer_load_dword v109, off, s[0:3], 0 offset:404
	buffer_load_dword v108, off, s[0:3], 0 offset:400
	s_waitcnt vmcnt(0)
	v_fmac_f64_e32 v[106:107], v[108:109], v[110:111]
	v_add_f64 v[104:105], v[104:105], -v[106:107]
	buffer_store_dword v105, off, s[0:3], 0 offset:36
	buffer_store_dword v104, off, s[0:3], 0 offset:32
	s_and_saveexec_b64 s[4:5], vcc
	s_cbranch_execz .LBB114_307
; %bb.306:
	buffer_load_dword v104, off, s[0:3], 0 offset:24
	buffer_load_dword v105, off, s[0:3], 0 offset:28
	v_mov_b32_e32 v106, 0
	buffer_store_dword v106, off, s[0:3], 0 offset:24
	buffer_store_dword v106, off, s[0:3], 0 offset:28
	s_waitcnt vmcnt(2)
	ds_write_b64 v1, v[104:105]
.LBB114_307:
	s_or_b64 exec, exec, s[4:5]
	s_waitcnt lgkmcnt(0)
	; wave barrier
	s_waitcnt lgkmcnt(0)
	buffer_load_dword v104, off, s[0:3], 0 offset:24
	buffer_load_dword v105, off, s[0:3], 0 offset:28
	;; [unrolled: 1-line block ×16, first 2 shown]
	v_mov_b32_e32 v108, 0
	ds_read_b128 v[110:113], v108 offset:448
	ds_read_b128 v[114:117], v108 offset:464
	;; [unrolled: 1-line block ×4, first 2 shown]
	v_cmp_lt_u32_e32 vcc, 2, v0
	s_waitcnt vmcnt(12) lgkmcnt(3)
	v_fma_f64 v[106:107], v[106:107], v[110:111], 0
	buffer_load_dword v111, off, s[0:3], 0 offset:92
	buffer_load_dword v110, off, s[0:3], 0 offset:88
	s_waitcnt vmcnt(12)
	v_fmac_f64_e32 v[106:107], v[126:127], v[112:113]
	s_waitcnt vmcnt(10) lgkmcnt(2)
	v_fmac_f64_e32 v[106:107], v[128:129], v[114:115]
	buffer_load_dword v115, off, s[0:3], 0 offset:100
	buffer_load_dword v114, off, s[0:3], 0 offset:96
	s_waitcnt vmcnt(10)
	v_fmac_f64_e32 v[106:107], v[130:131], v[116:117]
	s_waitcnt vmcnt(8) lgkmcnt(1)
	v_fmac_f64_e32 v[106:107], v[132:133], v[118:119]
	s_waitcnt vmcnt(6)
	v_fmac_f64_e32 v[106:107], v[134:135], v[120:121]
	s_waitcnt vmcnt(4) lgkmcnt(0)
	v_fmac_f64_e32 v[106:107], v[136:137], v[122:123]
	s_waitcnt vmcnt(2)
	v_fmac_f64_e32 v[106:107], v[110:111], v[124:125]
	ds_read_b128 v[110:113], v108 offset:512
	s_waitcnt vmcnt(0) lgkmcnt(0)
	v_fmac_f64_e32 v[106:107], v[114:115], v[110:111]
	buffer_load_dword v111, off, s[0:3], 0 offset:108
	buffer_load_dword v110, off, s[0:3], 0 offset:104
	buffer_load_dword v115, off, s[0:3], 0 offset:116
	buffer_load_dword v114, off, s[0:3], 0 offset:112
	s_waitcnt vmcnt(2)
	v_fmac_f64_e32 v[106:107], v[110:111], v[112:113]
	ds_read_b128 v[110:113], v108 offset:528
	s_waitcnt vmcnt(0) lgkmcnt(0)
	v_fmac_f64_e32 v[106:107], v[114:115], v[110:111]
	buffer_load_dword v111, off, s[0:3], 0 offset:124
	buffer_load_dword v110, off, s[0:3], 0 offset:120
	buffer_load_dword v115, off, s[0:3], 0 offset:132
	buffer_load_dword v114, off, s[0:3], 0 offset:128
	;; [unrolled: 9-line block ×18, first 2 shown]
	s_waitcnt vmcnt(2)
	v_fmac_f64_e32 v[106:107], v[110:111], v[112:113]
	ds_read_b128 v[110:113], v108 offset:800
	s_waitcnt vmcnt(0) lgkmcnt(0)
	v_fmac_f64_e32 v[106:107], v[114:115], v[110:111]
	buffer_load_dword v111, off, s[0:3], 0 offset:396
	buffer_load_dword v110, off, s[0:3], 0 offset:392
	s_waitcnt vmcnt(0)
	v_fmac_f64_e32 v[106:107], v[110:111], v[112:113]
	buffer_load_dword v111, off, s[0:3], 0 offset:404
	buffer_load_dword v110, off, s[0:3], 0 offset:400
	ds_read_b64 v[112:113], v108 offset:816
	s_waitcnt vmcnt(0) lgkmcnt(0)
	v_fmac_f64_e32 v[106:107], v[110:111], v[112:113]
	v_add_f64 v[104:105], v[104:105], -v[106:107]
	buffer_store_dword v105, off, s[0:3], 0 offset:28
	buffer_store_dword v104, off, s[0:3], 0 offset:24
	s_and_saveexec_b64 s[4:5], vcc
	s_cbranch_execz .LBB114_309
; %bb.308:
	buffer_load_dword v104, off, s[0:3], 0 offset:16
	buffer_load_dword v105, off, s[0:3], 0 offset:20
	s_waitcnt vmcnt(0)
	ds_write_b64 v1, v[104:105]
	buffer_store_dword v108, off, s[0:3], 0 offset:16
	buffer_store_dword v108, off, s[0:3], 0 offset:20
.LBB114_309:
	s_or_b64 exec, exec, s[4:5]
	s_waitcnt lgkmcnt(0)
	; wave barrier
	s_waitcnt lgkmcnt(0)
	buffer_load_dword v104, off, s[0:3], 0 offset:16
	buffer_load_dword v105, off, s[0:3], 0 offset:20
	;; [unrolled: 1-line block ×16, first 2 shown]
	ds_read2_b64 v[110:113], v108 offset0:55 offset1:56
	v_cmp_lt_u32_e32 vcc, 1, v0
	s_waitcnt vmcnt(12) lgkmcnt(0)
	v_fma_f64 v[106:107], v[106:107], v[110:111], 0
	s_waitcnt vmcnt(10)
	v_fmac_f64_e32 v[106:107], v[114:115], v[112:113]
	ds_read2_b64 v[110:113], v108 offset0:57 offset1:58
	s_waitcnt vmcnt(8) lgkmcnt(0)
	v_fmac_f64_e32 v[106:107], v[116:117], v[110:111]
	s_waitcnt vmcnt(6)
	v_fmac_f64_e32 v[106:107], v[118:119], v[112:113]
	ds_read2_b64 v[110:113], v108 offset0:59 offset1:60
	s_waitcnt vmcnt(4) lgkmcnt(0)
	v_fmac_f64_e32 v[106:107], v[120:121], v[110:111]
	;; [unrolled: 5-line block ×3, first 2 shown]
	buffer_load_dword v111, off, s[0:3], 0 offset:84
	buffer_load_dword v110, off, s[0:3], 0 offset:80
	buffer_load_dword v115, off, s[0:3], 0 offset:92
	buffer_load_dword v114, off, s[0:3], 0 offset:88
	s_waitcnt vmcnt(2)
	v_fmac_f64_e32 v[106:107], v[110:111], v[112:113]
	ds_read2_b64 v[110:113], v108 offset0:63 offset1:64
	s_waitcnt vmcnt(0) lgkmcnt(0)
	v_fmac_f64_e32 v[106:107], v[114:115], v[110:111]
	buffer_load_dword v111, off, s[0:3], 0 offset:100
	buffer_load_dword v110, off, s[0:3], 0 offset:96
	buffer_load_dword v115, off, s[0:3], 0 offset:108
	buffer_load_dword v114, off, s[0:3], 0 offset:104
	s_waitcnt vmcnt(2)
	v_fmac_f64_e32 v[106:107], v[110:111], v[112:113]
	ds_read2_b64 v[110:113], v108 offset0:65 offset1:66
	s_waitcnt vmcnt(0) lgkmcnt(0)
	v_fmac_f64_e32 v[106:107], v[114:115], v[110:111]
	;; [unrolled: 9-line block ×19, first 2 shown]
	buffer_load_dword v111, off, s[0:3], 0 offset:388
	buffer_load_dword v110, off, s[0:3], 0 offset:384
	s_waitcnt vmcnt(0)
	v_fmac_f64_e32 v[106:107], v[110:111], v[112:113]
	buffer_load_dword v113, off, s[0:3], 0 offset:396
	buffer_load_dword v112, off, s[0:3], 0 offset:392
	ds_read2_b64 v[108:111], v108 offset0:101 offset1:102
	s_waitcnt vmcnt(0) lgkmcnt(0)
	v_fmac_f64_e32 v[106:107], v[112:113], v[108:109]
	buffer_load_dword v109, off, s[0:3], 0 offset:404
	buffer_load_dword v108, off, s[0:3], 0 offset:400
	s_waitcnt vmcnt(0)
	v_fmac_f64_e32 v[106:107], v[108:109], v[110:111]
	v_add_f64 v[104:105], v[104:105], -v[106:107]
	buffer_store_dword v105, off, s[0:3], 0 offset:20
	buffer_store_dword v104, off, s[0:3], 0 offset:16
	s_and_saveexec_b64 s[4:5], vcc
	s_cbranch_execz .LBB114_311
; %bb.310:
	buffer_load_dword v104, off, s[0:3], 0 offset:8
	buffer_load_dword v105, off, s[0:3], 0 offset:12
	v_mov_b32_e32 v106, 0
	buffer_store_dword v106, off, s[0:3], 0 offset:8
	buffer_store_dword v106, off, s[0:3], 0 offset:12
	s_waitcnt vmcnt(2)
	ds_write_b64 v1, v[104:105]
.LBB114_311:
	s_or_b64 exec, exec, s[4:5]
	s_waitcnt lgkmcnt(0)
	; wave barrier
	s_waitcnt lgkmcnt(0)
	buffer_load_dword v104, off, s[0:3], 0 offset:8
	buffer_load_dword v105, off, s[0:3], 0 offset:12
	;; [unrolled: 1-line block ×16, first 2 shown]
	v_mov_b32_e32 v108, 0
	ds_read_b128 v[110:113], v108 offset:432
	v_cmp_ne_u32_e32 vcc, 0, v0
	s_waitcnt vmcnt(12) lgkmcnt(0)
	v_fma_f64 v[106:107], v[106:107], v[110:111], 0
	s_waitcnt vmcnt(10)
	v_fmac_f64_e32 v[106:107], v[114:115], v[112:113]
	ds_read_b128 v[110:113], v108 offset:448
	s_waitcnt vmcnt(8) lgkmcnt(0)
	v_fmac_f64_e32 v[106:107], v[116:117], v[110:111]
	s_waitcnt vmcnt(6)
	v_fmac_f64_e32 v[106:107], v[118:119], v[112:113]
	ds_read_b128 v[110:113], v108 offset:464
	s_waitcnt vmcnt(4) lgkmcnt(0)
	v_fmac_f64_e32 v[106:107], v[120:121], v[110:111]
	;; [unrolled: 5-line block ×3, first 2 shown]
	buffer_load_dword v111, off, s[0:3], 0 offset:76
	buffer_load_dword v110, off, s[0:3], 0 offset:72
	buffer_load_dword v115, off, s[0:3], 0 offset:84
	buffer_load_dword v114, off, s[0:3], 0 offset:80
	s_waitcnt vmcnt(2)
	v_fmac_f64_e32 v[106:107], v[110:111], v[112:113]
	ds_read_b128 v[110:113], v108 offset:496
	s_waitcnt vmcnt(0) lgkmcnt(0)
	v_fmac_f64_e32 v[106:107], v[114:115], v[110:111]
	buffer_load_dword v111, off, s[0:3], 0 offset:92
	buffer_load_dword v110, off, s[0:3], 0 offset:88
	buffer_load_dword v115, off, s[0:3], 0 offset:100
	buffer_load_dword v114, off, s[0:3], 0 offset:96
	s_waitcnt vmcnt(2)
	v_fmac_f64_e32 v[106:107], v[110:111], v[112:113]
	ds_read_b128 v[110:113], v108 offset:512
	s_waitcnt vmcnt(0) lgkmcnt(0)
	v_fmac_f64_e32 v[106:107], v[114:115], v[110:111]
	;; [unrolled: 9-line block ×20, first 2 shown]
	buffer_load_dword v111, off, s[0:3], 0 offset:396
	buffer_load_dword v110, off, s[0:3], 0 offset:392
	s_waitcnt vmcnt(0)
	v_fmac_f64_e32 v[106:107], v[110:111], v[112:113]
	buffer_load_dword v111, off, s[0:3], 0 offset:404
	buffer_load_dword v110, off, s[0:3], 0 offset:400
	ds_read_b64 v[112:113], v108 offset:816
	s_waitcnt vmcnt(0) lgkmcnt(0)
	v_fmac_f64_e32 v[106:107], v[110:111], v[112:113]
	v_add_f64 v[104:105], v[104:105], -v[106:107]
	buffer_store_dword v105, off, s[0:3], 0 offset:12
	buffer_store_dword v104, off, s[0:3], 0 offset:8
	s_and_saveexec_b64 s[4:5], vcc
	s_cbranch_execz .LBB114_313
; %bb.312:
	buffer_load_dword v104, off, s[0:3], 0
	buffer_load_dword v105, off, s[0:3], 0 offset:4
	s_waitcnt vmcnt(0)
	ds_write_b64 v1, v[104:105]
	buffer_store_dword v108, off, s[0:3], 0
	buffer_store_dword v108, off, s[0:3], 0 offset:4
.LBB114_313:
	s_or_b64 exec, exec, s[4:5]
	s_waitcnt lgkmcnt(0)
	; wave barrier
	s_waitcnt lgkmcnt(0)
	buffer_load_dword v0, off, s[0:3], 0
	buffer_load_dword v1, off, s[0:3], 0 offset:4
	buffer_load_dword v110, off, s[0:3], 0 offset:8
	buffer_load_dword v111, off, s[0:3], 0 offset:12
	buffer_load_dword v112, off, s[0:3], 0 offset:16
	buffer_load_dword v113, off, s[0:3], 0 offset:20
	buffer_load_dword v114, off, s[0:3], 0 offset:24
	buffer_load_dword v115, off, s[0:3], 0 offset:28
	buffer_load_dword v116, off, s[0:3], 0 offset:32
	buffer_load_dword v117, off, s[0:3], 0 offset:36
	buffer_load_dword v118, off, s[0:3], 0 offset:40
	buffer_load_dword v119, off, s[0:3], 0 offset:44
	buffer_load_dword v120, off, s[0:3], 0 offset:48
	buffer_load_dword v121, off, s[0:3], 0 offset:52
	buffer_load_dword v122, off, s[0:3], 0 offset:56
	buffer_load_dword v123, off, s[0:3], 0 offset:60
	ds_read2_b64 v[104:107], v108 offset0:53 offset1:54
	s_and_b64 vcc, exec, s[16:17]
	s_waitcnt vmcnt(12) lgkmcnt(0)
	v_fma_f64 v[104:105], v[110:111], v[104:105], 0
	s_waitcnt vmcnt(10)
	v_fmac_f64_e32 v[104:105], v[112:113], v[106:107]
	ds_read2_b64 v[110:113], v108 offset0:55 offset1:56
	s_waitcnt vmcnt(8) lgkmcnt(0)
	v_fmac_f64_e32 v[104:105], v[114:115], v[110:111]
	s_waitcnt vmcnt(6)
	v_fmac_f64_e32 v[104:105], v[116:117], v[112:113]
	ds_read2_b64 v[110:113], v108 offset0:57 offset1:58
	s_waitcnt vmcnt(4) lgkmcnt(0)
	v_fmac_f64_e32 v[104:105], v[118:119], v[110:111]
	s_waitcnt vmcnt(2)
	v_fmac_f64_e32 v[104:105], v[120:121], v[112:113]
	ds_read2_b64 v[110:113], v108 offset0:59 offset1:60
	buffer_load_dword v107, off, s[0:3], 0 offset:68
	buffer_load_dword v106, off, s[0:3], 0 offset:64
	s_waitcnt vmcnt(2) lgkmcnt(0)
	v_fmac_f64_e32 v[104:105], v[122:123], v[110:111]
	s_waitcnt vmcnt(0)
	v_fmac_f64_e32 v[104:105], v[106:107], v[112:113]
	buffer_load_dword v107, off, s[0:3], 0 offset:76
	buffer_load_dword v106, off, s[0:3], 0 offset:72
	ds_read2_b64 v[110:113], v108 offset0:61 offset1:62
	s_waitcnt vmcnt(0) lgkmcnt(0)
	v_fmac_f64_e32 v[104:105], v[106:107], v[110:111]
	buffer_load_dword v107, off, s[0:3], 0 offset:84
	buffer_load_dword v106, off, s[0:3], 0 offset:80
	s_waitcnt vmcnt(0)
	v_fmac_f64_e32 v[104:105], v[106:107], v[112:113]
	buffer_load_dword v107, off, s[0:3], 0 offset:92
	buffer_load_dword v106, off, s[0:3], 0 offset:88
	ds_read2_b64 v[110:113], v108 offset0:63 offset1:64
	s_waitcnt vmcnt(0) lgkmcnt(0)
	v_fmac_f64_e32 v[104:105], v[106:107], v[110:111]
	buffer_load_dword v107, off, s[0:3], 0 offset:100
	buffer_load_dword v106, off, s[0:3], 0 offset:96
	;; [unrolled: 9-line block ×21, first 2 shown]
	s_waitcnt vmcnt(0)
	v_fmac_f64_e32 v[104:105], v[108:109], v[110:111]
	v_add_f64 v[0:1], v[0:1], -v[104:105]
	buffer_store_dword v1, off, s[0:3], 0 offset:4
	buffer_store_dword v0, off, s[0:3], 0
	s_cbranch_vccz .LBB114_415
; %bb.314:
	v_pk_mov_b32 v[0:1], s[10:11], s[10:11] op_sel:[0,1]
	flat_load_dword v0, v[0:1] offset:196
	s_waitcnt vmcnt(0) lgkmcnt(0)
	v_add_u32_e32 v0, -1, v0
	v_cmp_ne_u32_e32 vcc, 49, v0
	s_and_saveexec_b64 s[4:5], vcc
	s_cbranch_execz .LBB114_316
; %bb.315:
	v_mov_b32_e32 v1, 0
	v_lshl_add_u32 v0, v0, 3, v1
	buffer_load_dword v1, v0, s[0:3], 0 offen
	buffer_load_dword v104, v0, s[0:3], 0 offen offset:4
	s_waitcnt vmcnt(1)
	buffer_store_dword v1, off, s[0:3], 0 offset:392
	s_waitcnt vmcnt(1)
	buffer_store_dword v104, off, s[0:3], 0 offset:396
	buffer_store_dword v106, v0, s[0:3], 0 offen
	buffer_store_dword v107, v0, s[0:3], 0 offen offset:4
.LBB114_316:
	s_or_b64 exec, exec, s[4:5]
	v_pk_mov_b32 v[0:1], s[10:11], s[10:11] op_sel:[0,1]
	flat_load_dword v0, v[0:1] offset:192
	s_waitcnt vmcnt(0) lgkmcnt(0)
	v_add_u32_e32 v0, -1, v0
	v_cmp_ne_u32_e32 vcc, 48, v0
	s_and_saveexec_b64 s[4:5], vcc
	s_cbranch_execz .LBB114_318
; %bb.317:
	v_mov_b32_e32 v1, 0
	v_lshl_add_u32 v0, v0, 3, v1
	buffer_load_dword v1, v0, s[0:3], 0 offen
	buffer_load_dword v104, v0, s[0:3], 0 offen offset:4
	buffer_load_dword v105, off, s[0:3], 0 offset:388
	buffer_load_dword v106, off, s[0:3], 0 offset:384
	s_waitcnt vmcnt(3)
	buffer_store_dword v1, off, s[0:3], 0 offset:384
	s_waitcnt vmcnt(3)
	buffer_store_dword v104, off, s[0:3], 0 offset:388
	s_waitcnt vmcnt(3)
	buffer_store_dword v105, v0, s[0:3], 0 offen offset:4
	s_waitcnt vmcnt(3)
	buffer_store_dword v106, v0, s[0:3], 0 offen
.LBB114_318:
	s_or_b64 exec, exec, s[4:5]
	v_pk_mov_b32 v[0:1], s[10:11], s[10:11] op_sel:[0,1]
	flat_load_dword v0, v[0:1] offset:188
	s_waitcnt vmcnt(0) lgkmcnt(0)
	v_add_u32_e32 v0, -1, v0
	v_cmp_ne_u32_e32 vcc, 47, v0
	s_and_saveexec_b64 s[4:5], vcc
	s_cbranch_execz .LBB114_320
; %bb.319:
	v_mov_b32_e32 v1, 0
	v_lshl_add_u32 v0, v0, 3, v1
	buffer_load_dword v1, v0, s[0:3], 0 offen
	buffer_load_dword v104, v0, s[0:3], 0 offen offset:4
	buffer_load_dword v105, off, s[0:3], 0 offset:376
	buffer_load_dword v106, off, s[0:3], 0 offset:380
	s_waitcnt vmcnt(3)
	buffer_store_dword v1, off, s[0:3], 0 offset:376
	s_waitcnt vmcnt(3)
	buffer_store_dword v104, off, s[0:3], 0 offset:380
	s_waitcnt vmcnt(3)
	buffer_store_dword v105, v0, s[0:3], 0 offen
	s_waitcnt vmcnt(3)
	buffer_store_dword v106, v0, s[0:3], 0 offen offset:4
.LBB114_320:
	s_or_b64 exec, exec, s[4:5]
	v_pk_mov_b32 v[0:1], s[10:11], s[10:11] op_sel:[0,1]
	flat_load_dword v0, v[0:1] offset:184
	s_waitcnt vmcnt(0) lgkmcnt(0)
	v_add_u32_e32 v0, -1, v0
	v_cmp_ne_u32_e32 vcc, 46, v0
	s_and_saveexec_b64 s[4:5], vcc
	s_cbranch_execz .LBB114_322
; %bb.321:
	v_mov_b32_e32 v1, 0
	v_lshl_add_u32 v0, v0, 3, v1
	buffer_load_dword v1, v0, s[0:3], 0 offen
	buffer_load_dword v104, v0, s[0:3], 0 offen offset:4
	buffer_load_dword v105, off, s[0:3], 0 offset:372
	buffer_load_dword v106, off, s[0:3], 0 offset:368
	s_waitcnt vmcnt(3)
	buffer_store_dword v1, off, s[0:3], 0 offset:368
	s_waitcnt vmcnt(3)
	buffer_store_dword v104, off, s[0:3], 0 offset:372
	s_waitcnt vmcnt(3)
	buffer_store_dword v105, v0, s[0:3], 0 offen offset:4
	s_waitcnt vmcnt(3)
	buffer_store_dword v106, v0, s[0:3], 0 offen
.LBB114_322:
	s_or_b64 exec, exec, s[4:5]
	v_pk_mov_b32 v[0:1], s[10:11], s[10:11] op_sel:[0,1]
	flat_load_dword v0, v[0:1] offset:180
	s_waitcnt vmcnt(0) lgkmcnt(0)
	v_add_u32_e32 v0, -1, v0
	v_cmp_ne_u32_e32 vcc, 45, v0
	s_and_saveexec_b64 s[4:5], vcc
	s_cbranch_execz .LBB114_324
; %bb.323:
	v_mov_b32_e32 v1, 0
	v_lshl_add_u32 v0, v0, 3, v1
	buffer_load_dword v1, v0, s[0:3], 0 offen
	buffer_load_dword v104, v0, s[0:3], 0 offen offset:4
	buffer_load_dword v105, off, s[0:3], 0 offset:360
	buffer_load_dword v106, off, s[0:3], 0 offset:364
	s_waitcnt vmcnt(3)
	buffer_store_dword v1, off, s[0:3], 0 offset:360
	s_waitcnt vmcnt(3)
	buffer_store_dword v104, off, s[0:3], 0 offset:364
	s_waitcnt vmcnt(3)
	buffer_store_dword v105, v0, s[0:3], 0 offen
	s_waitcnt vmcnt(3)
	buffer_store_dword v106, v0, s[0:3], 0 offen offset:4
.LBB114_324:
	;; [unrolled: 48-line block ×24, first 2 shown]
	s_or_b64 exec, exec, s[4:5]
	v_pk_mov_b32 v[0:1], s[10:11], s[10:11] op_sel:[0,1]
	flat_load_dword v104, v[0:1]
	s_nop 0
	buffer_load_dword v0, off, s[0:3], 0
	buffer_load_dword v1, off, s[0:3], 0 offset:4
	s_waitcnt vmcnt(0) lgkmcnt(0)
	v_add_u32_e32 v104, -1, v104
	v_cmp_ne_u32_e32 vcc, 0, v104
	s_and_saveexec_b64 s[4:5], vcc
	s_cbranch_execz .LBB114_414
; %bb.413:
	v_mov_b32_e32 v105, 0
	v_lshl_add_u32 v104, v104, 3, v105
	buffer_load_dword v105, v104, s[0:3], 0 offen offset:4
	buffer_load_dword v106, v104, s[0:3], 0 offen
	s_waitcnt vmcnt(1)
	buffer_store_dword v105, off, s[0:3], 0 offset:4
	s_waitcnt vmcnt(1)
	buffer_store_dword v106, off, s[0:3], 0
	buffer_store_dword v1, v104, s[0:3], 0 offen offset:4
	buffer_store_dword v0, v104, s[0:3], 0 offen
	buffer_load_dword v0, off, s[0:3], 0
	s_nop 0
	buffer_load_dword v1, off, s[0:3], 0 offset:4
.LBB114_414:
	s_or_b64 exec, exec, s[4:5]
.LBB114_415:
	s_waitcnt vmcnt(0)
	global_store_dwordx2 v[102:103], v[0:1], off
	buffer_load_dword v0, off, s[0:3], 0 offset:8
	s_nop 0
	buffer_load_dword v1, off, s[0:3], 0 offset:12
	buffer_load_dword v102, off, s[0:3], 0 offset:16
	;; [unrolled: 1-line block ×15, first 2 shown]
	s_waitcnt vmcnt(14)
	global_store_dwordx2 v[100:101], v[0:1], off
	s_waitcnt vmcnt(13)
	global_store_dwordx2 v[2:3], v[102:103], off
	;; [unrolled: 2-line block ×8, first 2 shown]
	buffer_load_dword v0, off, s[0:3], 0 offset:72
	buffer_load_dword v1, off, s[0:3], 0 offset:76
	s_waitcnt vmcnt(0)
	global_store_dwordx2 v[14:15], v[0:1], off
	buffer_load_dword v0, off, s[0:3], 0 offset:80
	s_nop 0
	buffer_load_dword v1, off, s[0:3], 0 offset:84
	s_waitcnt vmcnt(0)
	global_store_dwordx2 v[16:17], v[0:1], off
	buffer_load_dword v0, off, s[0:3], 0 offset:88
	s_nop 0
	buffer_load_dword v1, off, s[0:3], 0 offset:92
	s_waitcnt vmcnt(0)
	global_store_dwordx2 v[20:21], v[0:1], off
	buffer_load_dword v0, off, s[0:3], 0 offset:96
	s_nop 0
	buffer_load_dword v1, off, s[0:3], 0 offset:100
	s_waitcnt vmcnt(0)
	global_store_dwordx2 v[22:23], v[0:1], off
	buffer_load_dword v0, off, s[0:3], 0 offset:104
	s_nop 0
	buffer_load_dword v1, off, s[0:3], 0 offset:108
	s_waitcnt vmcnt(0)
	global_store_dwordx2 v[24:25], v[0:1], off
	buffer_load_dword v0, off, s[0:3], 0 offset:112
	s_nop 0
	buffer_load_dword v1, off, s[0:3], 0 offset:116
	s_waitcnt vmcnt(0)
	global_store_dwordx2 v[26:27], v[0:1], off
	buffer_load_dword v0, off, s[0:3], 0 offset:120
	s_nop 0
	buffer_load_dword v1, off, s[0:3], 0 offset:124
	s_waitcnt vmcnt(0)
	global_store_dwordx2 v[28:29], v[0:1], off
	buffer_load_dword v0, off, s[0:3], 0 offset:128
	s_nop 0
	buffer_load_dword v1, off, s[0:3], 0 offset:132
	s_waitcnt vmcnt(0)
	global_store_dwordx2 v[30:31], v[0:1], off
	buffer_load_dword v0, off, s[0:3], 0 offset:136
	s_nop 0
	buffer_load_dword v1, off, s[0:3], 0 offset:140
	s_waitcnt vmcnt(0)
	global_store_dwordx2 v[32:33], v[0:1], off
	buffer_load_dword v0, off, s[0:3], 0 offset:144
	s_nop 0
	buffer_load_dword v1, off, s[0:3], 0 offset:148
	s_waitcnt vmcnt(0)
	global_store_dwordx2 v[34:35], v[0:1], off
	buffer_load_dword v0, off, s[0:3], 0 offset:152
	s_nop 0
	buffer_load_dword v1, off, s[0:3], 0 offset:156
	s_waitcnt vmcnt(0)
	global_store_dwordx2 v[36:37], v[0:1], off
	buffer_load_dword v0, off, s[0:3], 0 offset:160
	s_nop 0
	buffer_load_dword v1, off, s[0:3], 0 offset:164
	s_waitcnt vmcnt(0)
	global_store_dwordx2 v[38:39], v[0:1], off
	buffer_load_dword v0, off, s[0:3], 0 offset:168
	s_nop 0
	buffer_load_dword v1, off, s[0:3], 0 offset:172
	s_waitcnt vmcnt(0)
	global_store_dwordx2 v[40:41], v[0:1], off
	buffer_load_dword v0, off, s[0:3], 0 offset:176
	s_nop 0
	buffer_load_dword v1, off, s[0:3], 0 offset:180
	s_waitcnt vmcnt(0)
	global_store_dwordx2 v[42:43], v[0:1], off
	buffer_load_dword v0, off, s[0:3], 0 offset:184
	s_nop 0
	buffer_load_dword v1, off, s[0:3], 0 offset:188
	s_waitcnt vmcnt(0)
	global_store_dwordx2 v[44:45], v[0:1], off
	buffer_load_dword v0, off, s[0:3], 0 offset:192
	s_nop 0
	buffer_load_dword v1, off, s[0:3], 0 offset:196
	s_waitcnt vmcnt(0)
	global_store_dwordx2 v[46:47], v[0:1], off
	buffer_load_dword v0, off, s[0:3], 0 offset:200
	s_nop 0
	buffer_load_dword v1, off, s[0:3], 0 offset:204
	s_waitcnt vmcnt(0)
	global_store_dwordx2 v[48:49], v[0:1], off
	buffer_load_dword v0, off, s[0:3], 0 offset:208
	s_nop 0
	buffer_load_dword v1, off, s[0:3], 0 offset:212
	s_waitcnt vmcnt(0)
	global_store_dwordx2 v[50:51], v[0:1], off
	buffer_load_dword v0, off, s[0:3], 0 offset:216
	s_nop 0
	buffer_load_dword v1, off, s[0:3], 0 offset:220
	s_waitcnt vmcnt(0)
	global_store_dwordx2 v[52:53], v[0:1], off
	buffer_load_dword v0, off, s[0:3], 0 offset:224
	s_nop 0
	buffer_load_dword v1, off, s[0:3], 0 offset:228
	s_waitcnt vmcnt(0)
	global_store_dwordx2 v[54:55], v[0:1], off
	buffer_load_dword v0, off, s[0:3], 0 offset:232
	s_nop 0
	buffer_load_dword v1, off, s[0:3], 0 offset:236
	s_waitcnt vmcnt(0)
	global_store_dwordx2 v[56:57], v[0:1], off
	buffer_load_dword v0, off, s[0:3], 0 offset:240
	s_nop 0
	buffer_load_dword v1, off, s[0:3], 0 offset:244
	s_waitcnt vmcnt(0)
	global_store_dwordx2 v[58:59], v[0:1], off
	buffer_load_dword v0, off, s[0:3], 0 offset:248
	s_nop 0
	buffer_load_dword v1, off, s[0:3], 0 offset:252
	s_waitcnt vmcnt(0)
	global_store_dwordx2 v[60:61], v[0:1], off
	buffer_load_dword v0, off, s[0:3], 0 offset:256
	s_nop 0
	buffer_load_dword v1, off, s[0:3], 0 offset:260
	s_waitcnt vmcnt(0)
	global_store_dwordx2 v[62:63], v[0:1], off
	buffer_load_dword v0, off, s[0:3], 0 offset:264
	s_nop 0
	buffer_load_dword v1, off, s[0:3], 0 offset:268
	s_waitcnt vmcnt(0)
	global_store_dwordx2 v[64:65], v[0:1], off
	buffer_load_dword v0, off, s[0:3], 0 offset:272
	s_nop 0
	buffer_load_dword v1, off, s[0:3], 0 offset:276
	s_waitcnt vmcnt(0)
	global_store_dwordx2 v[66:67], v[0:1], off
	buffer_load_dword v0, off, s[0:3], 0 offset:280
	s_nop 0
	buffer_load_dword v1, off, s[0:3], 0 offset:284
	s_waitcnt vmcnt(0)
	global_store_dwordx2 v[68:69], v[0:1], off
	buffer_load_dword v0, off, s[0:3], 0 offset:288
	s_nop 0
	buffer_load_dword v1, off, s[0:3], 0 offset:292
	s_waitcnt vmcnt(0)
	global_store_dwordx2 v[70:71], v[0:1], off
	buffer_load_dword v0, off, s[0:3], 0 offset:296
	s_nop 0
	buffer_load_dword v1, off, s[0:3], 0 offset:300
	s_waitcnt vmcnt(0)
	global_store_dwordx2 v[72:73], v[0:1], off
	buffer_load_dword v0, off, s[0:3], 0 offset:304
	s_nop 0
	buffer_load_dword v1, off, s[0:3], 0 offset:308
	s_waitcnt vmcnt(0)
	global_store_dwordx2 v[74:75], v[0:1], off
	buffer_load_dword v0, off, s[0:3], 0 offset:312
	s_nop 0
	buffer_load_dword v1, off, s[0:3], 0 offset:316
	s_waitcnt vmcnt(0)
	global_store_dwordx2 v[76:77], v[0:1], off
	buffer_load_dword v0, off, s[0:3], 0 offset:320
	s_nop 0
	buffer_load_dword v1, off, s[0:3], 0 offset:324
	s_waitcnt vmcnt(0)
	global_store_dwordx2 v[78:79], v[0:1], off
	buffer_load_dword v0, off, s[0:3], 0 offset:328
	s_nop 0
	buffer_load_dword v1, off, s[0:3], 0 offset:332
	s_waitcnt vmcnt(0)
	global_store_dwordx2 v[80:81], v[0:1], off
	buffer_load_dword v0, off, s[0:3], 0 offset:336
	s_nop 0
	buffer_load_dword v1, off, s[0:3], 0 offset:340
	s_waitcnt vmcnt(0)
	global_store_dwordx2 v[82:83], v[0:1], off
	buffer_load_dword v0, off, s[0:3], 0 offset:344
	s_nop 0
	buffer_load_dword v1, off, s[0:3], 0 offset:348
	s_waitcnt vmcnt(0)
	global_store_dwordx2 v[86:87], v[0:1], off
	buffer_load_dword v0, off, s[0:3], 0 offset:352
	s_nop 0
	buffer_load_dword v1, off, s[0:3], 0 offset:356
	s_waitcnt vmcnt(0)
	global_store_dwordx2 v[88:89], v[0:1], off
	buffer_load_dword v0, off, s[0:3], 0 offset:360
	s_nop 0
	buffer_load_dword v1, off, s[0:3], 0 offset:364
	s_waitcnt vmcnt(0)
	global_store_dwordx2 v[90:91], v[0:1], off
	buffer_load_dword v0, off, s[0:3], 0 offset:368
	s_nop 0
	buffer_load_dword v1, off, s[0:3], 0 offset:372
	s_waitcnt vmcnt(0)
	global_store_dwordx2 v[92:93], v[0:1], off
	buffer_load_dword v0, off, s[0:3], 0 offset:376
	s_nop 0
	buffer_load_dword v1, off, s[0:3], 0 offset:380
	s_waitcnt vmcnt(0)
	global_store_dwordx2 v[94:95], v[0:1], off
	buffer_load_dword v0, off, s[0:3], 0 offset:384
	s_nop 0
	buffer_load_dword v1, off, s[0:3], 0 offset:388
	s_waitcnt vmcnt(0)
	global_store_dwordx2 v[96:97], v[0:1], off
	buffer_load_dword v0, off, s[0:3], 0 offset:392
	s_nop 0
	buffer_load_dword v1, off, s[0:3], 0 offset:396
	s_waitcnt vmcnt(0)
	global_store_dwordx2 v[98:99], v[0:1], off
	buffer_load_dword v0, off, s[0:3], 0 offset:400
	s_nop 0
	buffer_load_dword v1, off, s[0:3], 0 offset:404
	s_waitcnt vmcnt(0)
	global_store_dwordx2 v[84:85], v[0:1], off
	s_endpgm
	.section	.rodata,"a",@progbits
	.p2align	6, 0x0
	.amdhsa_kernel _ZN9rocsolver6v33100L18getri_kernel_smallILi51EdPKPdEEvT1_iilPiilS6_bb
		.amdhsa_group_segment_fixed_size 824
		.amdhsa_private_segment_fixed_size 416
		.amdhsa_kernarg_size 60
		.amdhsa_user_sgpr_count 8
		.amdhsa_user_sgpr_private_segment_buffer 1
		.amdhsa_user_sgpr_dispatch_ptr 0
		.amdhsa_user_sgpr_queue_ptr 0
		.amdhsa_user_sgpr_kernarg_segment_ptr 1
		.amdhsa_user_sgpr_dispatch_id 0
		.amdhsa_user_sgpr_flat_scratch_init 1
		.amdhsa_user_sgpr_kernarg_preload_length 0
		.amdhsa_user_sgpr_kernarg_preload_offset 0
		.amdhsa_user_sgpr_private_segment_size 0
		.amdhsa_uses_dynamic_stack 0
		.amdhsa_system_sgpr_private_segment_wavefront_offset 1
		.amdhsa_system_sgpr_workgroup_id_x 1
		.amdhsa_system_sgpr_workgroup_id_y 0
		.amdhsa_system_sgpr_workgroup_id_z 0
		.amdhsa_system_sgpr_workgroup_info 0
		.amdhsa_system_vgpr_workitem_id 0
		.amdhsa_next_free_vgpr 164
		.amdhsa_next_free_sgpr 22
		.amdhsa_accum_offset 164
		.amdhsa_reserve_vcc 1
		.amdhsa_reserve_flat_scratch 1
		.amdhsa_float_round_mode_32 0
		.amdhsa_float_round_mode_16_64 0
		.amdhsa_float_denorm_mode_32 3
		.amdhsa_float_denorm_mode_16_64 3
		.amdhsa_dx10_clamp 1
		.amdhsa_ieee_mode 1
		.amdhsa_fp16_overflow 0
		.amdhsa_tg_split 0
		.amdhsa_exception_fp_ieee_invalid_op 0
		.amdhsa_exception_fp_denorm_src 0
		.amdhsa_exception_fp_ieee_div_zero 0
		.amdhsa_exception_fp_ieee_overflow 0
		.amdhsa_exception_fp_ieee_underflow 0
		.amdhsa_exception_fp_ieee_inexact 0
		.amdhsa_exception_int_div_zero 0
	.end_amdhsa_kernel
	.section	.text._ZN9rocsolver6v33100L18getri_kernel_smallILi51EdPKPdEEvT1_iilPiilS6_bb,"axG",@progbits,_ZN9rocsolver6v33100L18getri_kernel_smallILi51EdPKPdEEvT1_iilPiilS6_bb,comdat
.Lfunc_end114:
	.size	_ZN9rocsolver6v33100L18getri_kernel_smallILi51EdPKPdEEvT1_iilPiilS6_bb, .Lfunc_end114-_ZN9rocsolver6v33100L18getri_kernel_smallILi51EdPKPdEEvT1_iilPiilS6_bb
                                        ; -- End function
	.section	.AMDGPU.csdata,"",@progbits
; Kernel info:
; codeLenInByte = 62464
; NumSgprs: 28
; NumVgprs: 164
; NumAgprs: 0
; TotalNumVgprs: 164
; ScratchSize: 416
; MemoryBound: 1
; FloatMode: 240
; IeeeMode: 1
; LDSByteSize: 824 bytes/workgroup (compile time only)
; SGPRBlocks: 3
; VGPRBlocks: 20
; NumSGPRsForWavesPerEU: 28
; NumVGPRsForWavesPerEU: 164
; AccumOffset: 164
; Occupancy: 3
; WaveLimiterHint : 1
; COMPUTE_PGM_RSRC2:SCRATCH_EN: 1
; COMPUTE_PGM_RSRC2:USER_SGPR: 8
; COMPUTE_PGM_RSRC2:TRAP_HANDLER: 0
; COMPUTE_PGM_RSRC2:TGID_X_EN: 1
; COMPUTE_PGM_RSRC2:TGID_Y_EN: 0
; COMPUTE_PGM_RSRC2:TGID_Z_EN: 0
; COMPUTE_PGM_RSRC2:TIDIG_COMP_CNT: 0
; COMPUTE_PGM_RSRC3_GFX90A:ACCUM_OFFSET: 40
; COMPUTE_PGM_RSRC3_GFX90A:TG_SPLIT: 0
	.section	.text._ZN9rocsolver6v33100L18getri_kernel_smallILi52EdPKPdEEvT1_iilPiilS6_bb,"axG",@progbits,_ZN9rocsolver6v33100L18getri_kernel_smallILi52EdPKPdEEvT1_iilPiilS6_bb,comdat
	.globl	_ZN9rocsolver6v33100L18getri_kernel_smallILi52EdPKPdEEvT1_iilPiilS6_bb ; -- Begin function _ZN9rocsolver6v33100L18getri_kernel_smallILi52EdPKPdEEvT1_iilPiilS6_bb
	.p2align	8
	.type	_ZN9rocsolver6v33100L18getri_kernel_smallILi52EdPKPdEEvT1_iilPiilS6_bb,@function
_ZN9rocsolver6v33100L18getri_kernel_smallILi52EdPKPdEEvT1_iilPiilS6_bb: ; @_ZN9rocsolver6v33100L18getri_kernel_smallILi52EdPKPdEEvT1_iilPiilS6_bb
; %bb.0:
	s_add_u32 flat_scratch_lo, s6, s9
	s_addc_u32 flat_scratch_hi, s7, 0
	s_add_u32 s0, s0, s9
	s_addc_u32 s1, s1, 0
	v_cmp_gt_u32_e32 vcc, 52, v0
	s_and_saveexec_b64 s[6:7], vcc
	s_cbranch_execz .LBB115_216
; %bb.1:
	s_load_dword s18, s[4:5], 0x38
	s_load_dwordx2 s[6:7], s[4:5], 0x0
	s_load_dwordx4 s[12:15], s[4:5], 0x28
	s_waitcnt lgkmcnt(0)
	s_bitcmp1_b32 s18, 8
	s_cselect_b64 s[16:17], -1, 0
	s_ashr_i32 s9, s8, 31
	s_lshl_b64 s[10:11], s[8:9], 3
	s_add_u32 s6, s6, s10
	s_addc_u32 s7, s7, s11
	s_load_dwordx2 s[6:7], s[6:7], 0x0
	s_bfe_u32 s10, s18, 0x10008
	s_cmp_eq_u32 s10, 0
                                        ; implicit-def: $sgpr10_sgpr11
	s_cbranch_scc1 .LBB115_3
; %bb.2:
	s_load_dword s10, s[4:5], 0x20
	s_load_dwordx2 s[20:21], s[4:5], 0x18
	s_mul_i32 s11, s8, s13
	s_mul_hi_u32 s13, s8, s12
	s_add_i32 s13, s13, s11
	s_mul_i32 s19, s9, s12
	s_add_i32 s13, s13, s19
	s_mul_i32 s12, s8, s12
	s_waitcnt lgkmcnt(0)
	s_ashr_i32 s11, s10, 31
	s_lshl_b64 s[12:13], s[12:13], 2
	s_add_u32 s12, s20, s12
	s_addc_u32 s13, s21, s13
	s_lshl_b64 s[10:11], s[10:11], 2
	s_add_u32 s10, s12, s10
	s_addc_u32 s11, s13, s11
.LBB115_3:
	s_load_dwordx2 s[4:5], s[4:5], 0x8
	s_waitcnt lgkmcnt(0)
	s_ashr_i32 s13, s4, 31
	s_mov_b32 s12, s4
	s_lshl_b64 s[12:13], s[12:13], 3
	s_add_u32 s6, s6, s12
	s_addc_u32 s7, s7, s13
	s_add_i32 s4, s5, s5
	v_add_u32_e32 v4, s4, v0
	v_ashrrev_i32_e32 v5, 31, v4
	v_lshlrev_b64 v[2:3], 3, v[4:5]
	v_add_u32_e32 v6, s5, v4
	v_mov_b32_e32 v1, s7
	v_add_co_u32_e32 v2, vcc, s6, v2
	v_ashrrev_i32_e32 v7, 31, v6
	v_addc_co_u32_e32 v3, vcc, v1, v3, vcc
	v_lshlrev_b64 v[4:5], 3, v[6:7]
	v_add_u32_e32 v8, s5, v6
	v_add_co_u32_e32 v4, vcc, s6, v4
	v_ashrrev_i32_e32 v9, 31, v8
	v_addc_co_u32_e32 v5, vcc, v1, v5, vcc
	v_lshlrev_b64 v[6:7], 3, v[8:9]
	v_add_u32_e32 v10, s5, v8
	;; [unrolled: 5-line block ×5, first 2 shown]
	v_add_co_u32_e32 v12, vcc, s6, v12
	v_ashrrev_i32_e32 v15, 31, v14
	v_addc_co_u32_e32 v13, vcc, v1, v13, vcc
	v_lshlrev_b64 v[16:17], 3, v[14:15]
	v_add_co_u32_e32 v18, vcc, s6, v16
	v_add_u32_e32 v16, s5, v14
	v_addc_co_u32_e32 v19, vcc, v1, v17, vcc
	v_ashrrev_i32_e32 v17, 31, v16
	v_lshlrev_b64 v[14:15], 3, v[16:17]
	v_add_u32_e32 v20, s5, v16
	v_add_co_u32_e32 v14, vcc, s6, v14
	v_ashrrev_i32_e32 v21, 31, v20
	v_addc_co_u32_e32 v15, vcc, v1, v15, vcc
	v_lshlrev_b64 v[16:17], 3, v[20:21]
	v_add_u32_e32 v22, s5, v20
	v_add_co_u32_e32 v16, vcc, s6, v16
	v_ashrrev_i32_e32 v23, 31, v22
	v_addc_co_u32_e32 v17, vcc, v1, v17, vcc
	;; [unrolled: 5-line block ×35, first 2 shown]
	v_lshlrev_b64 v[86:87], 3, v[88:89]
	v_add_co_u32_e32 v86, vcc, s6, v86
	v_addc_co_u32_e32 v87, vcc, v1, v87, vcc
	v_lshlrev_b32_e32 v1, 3, v0
	v_mov_b32_e32 v89, s7
	v_add_co_u32_e32 v104, vcc, s6, v1
	s_ashr_i32 s13, s5, 31
	s_mov_b32 s12, s5
	v_addc_co_u32_e32 v105, vcc, 0, v89, vcc
	s_lshl_b64 s[12:13], s[12:13], 3
	v_mov_b32_e32 v89, s13
	v_add_co_u32_e32 v102, vcc, s12, v104
	v_addc_co_u32_e32 v103, vcc, v105, v89, vcc
	global_load_dwordx2 v[106:107], v1, s[6:7]
	global_load_dwordx2 v[110:111], v[2:3], off
	global_load_dwordx2 v[112:113], v[4:5], off
	;; [unrolled: 1-line block ×19, first 2 shown]
	v_add_u32_e32 v88, s5, v88
	v_ashrrev_i32_e32 v89, 31, v88
	v_lshlrev_b64 v[90:91], 3, v[88:89]
	v_add_u32_e32 v88, s5, v88
	v_mov_b32_e32 v92, s7
	v_add_co_u32_e32 v90, vcc, s6, v90
	v_ashrrev_i32_e32 v89, 31, v88
	v_addc_co_u32_e32 v91, vcc, v92, v91, vcc
	v_lshlrev_b64 v[92:93], 3, v[88:89]
	v_add_u32_e32 v88, s5, v88
	v_mov_b32_e32 v94, s7
	v_add_co_u32_e32 v92, vcc, s6, v92
	v_ashrrev_i32_e32 v89, 31, v88
	v_addc_co_u32_e32 v93, vcc, v94, v93, vcc
	v_lshlrev_b64 v[94:95], 3, v[88:89]
	v_add_u32_e32 v88, s5, v88
	global_load_dwordx2 v[146:147], v[38:39], off
	global_load_dwordx2 v[148:149], v[40:41], off
	v_mov_b32_e32 v96, s7
	v_add_co_u32_e32 v94, vcc, s6, v94
	v_ashrrev_i32_e32 v89, 31, v88
	v_addc_co_u32_e32 v95, vcc, v96, v95, vcc
	v_lshlrev_b64 v[96:97], 3, v[88:89]
	v_add_u32_e32 v88, s5, v88
	v_mov_b32_e32 v98, s7
	v_add_co_u32_e32 v96, vcc, s6, v96
	v_ashrrev_i32_e32 v89, 31, v88
	v_addc_co_u32_e32 v97, vcc, v98, v97, vcc
	v_lshlrev_b64 v[98:99], 3, v[88:89]
	v_add_u32_e32 v88, s5, v88
	v_mov_b32_e32 v100, s7
	v_add_co_u32_e32 v98, vcc, s6, v98
	v_ashrrev_i32_e32 v89, 31, v88
	v_addc_co_u32_e32 v99, vcc, v100, v99, vcc
	v_lshlrev_b64 v[100:101], 3, v[88:89]
	v_mov_b32_e32 v150, s7
	v_add_co_u32_e32 v100, vcc, s6, v100
	v_addc_co_u32_e32 v101, vcc, v150, v101, vcc
	global_load_dwordx2 v[150:151], v[42:43], off
	v_add_u32_e32 v88, s5, v88
	v_ashrrev_i32_e32 v89, 31, v88
	v_lshlrev_b64 v[88:89], 3, v[88:89]
	v_mov_b32_e32 v152, s7
	v_add_co_u32_e32 v88, vcc, s6, v88
	v_addc_co_u32_e32 v89, vcc, v152, v89, vcc
	global_load_dwordx2 v[152:153], v[88:89], off
	s_waitcnt vmcnt(23)
	buffer_store_dword v107, off, s[0:3], 0 offset:4
	buffer_store_dword v106, off, s[0:3], 0
	s_waitcnt vmcnt(22)
	buffer_store_dword v109, off, s[0:3], 0 offset:12
	buffer_store_dword v108, off, s[0:3], 0 offset:8
	;; [unrolled: 1-line block ×6, first 2 shown]
	s_waitcnt vmcnt(27)
	buffer_store_dword v115, off, s[0:3], 0 offset:36
	buffer_store_dword v114, off, s[0:3], 0 offset:32
	s_waitcnt vmcnt(28)
	buffer_store_dword v117, off, s[0:3], 0 offset:44
	buffer_store_dword v116, off, s[0:3], 0 offset:40
	;; [unrolled: 3-line block ×5, first 2 shown]
	s_waitcnt vmcnt(32)
	buffer_store_dword v124, off, s[0:3], 0 offset:72
	global_load_dwordx2 v[106:107], v[44:45], off
	global_load_dwordx2 v[108:109], v[46:47], off
	;; [unrolled: 1-line block ×14, first 2 shown]
	s_bitcmp0_b32 s18, 0
	buffer_store_dword v125, off, s[0:3], 0 offset:76
	global_load_dwordx2 v[124:125], v[62:63], off
	s_mov_b64 s[6:7], -1
	s_waitcnt vmcnt(48)
	buffer_store_dword v126, off, s[0:3], 0 offset:80
	buffer_store_dword v127, off, s[0:3], 0 offset:84
	global_load_dwordx2 v[126:127], v[64:65], off
	s_waitcnt vmcnt(50)
	buffer_store_dword v128, off, s[0:3], 0 offset:88
	buffer_store_dword v129, off, s[0:3], 0 offset:92
	global_load_dwordx2 v[128:129], v[66:67], off
	;; [unrolled: 4-line block ×9, first 2 shown]
	s_nop 0
	buffer_store_dword v145, off, s[0:3], 0 offset:156
	buffer_store_dword v144, off, s[0:3], 0 offset:152
	global_load_dwordx2 v[144:145], v[86:87], off
	s_nop 0
	buffer_store_dword v147, off, s[0:3], 0 offset:164
	buffer_store_dword v146, off, s[0:3], 0 offset:160
	global_load_dwordx2 v[146:147], v[92:93], off
	s_waitcnt vmcnt(62)
	buffer_store_dword v148, off, s[0:3], 0 offset:168
	buffer_store_dword v149, off, s[0:3], 0 offset:172
	global_load_dwordx2 v[148:149], v[96:97], off
	s_nop 0
	buffer_store_dword v150, off, s[0:3], 0 offset:176
	buffer_store_dword v151, off, s[0:3], 0 offset:180
	global_load_dwordx2 v[150:151], v[100:101], off
	s_waitcnt vmcnt(54)
	buffer_store_dword v106, off, s[0:3], 0 offset:184
	buffer_store_dword v107, off, s[0:3], 0 offset:188
	s_waitcnt vmcnt(55)
	buffer_store_dword v108, off, s[0:3], 0 offset:192
	buffer_store_dword v109, off, s[0:3], 0 offset:196
	;; [unrolled: 3-line block ×18, first 2 shown]
	buffer_store_dword v154, off, s[0:3], 0 offset:328
	buffer_store_dword v155, off, s[0:3], 0 offset:332
	s_waitcnt vmcnt(50)
	buffer_store_dword v142, off, s[0:3], 0 offset:336
	buffer_store_dword v143, off, s[0:3], 0 offset:340
	buffer_store_dword v157, off, s[0:3], 0 offset:348
	buffer_store_dword v156, off, s[0:3], 0 offset:344
	s_waitcnt vmcnt(51)
	buffer_store_dword v145, off, s[0:3], 0 offset:356
	buffer_store_dword v144, off, s[0:3], 0 offset:352
	;; [unrolled: 5-line block ×5, first 2 shown]
	buffer_store_dword v152, off, s[0:3], 0 offset:408
	buffer_store_dword v153, off, s[0:3], 0 offset:412
	s_cbranch_scc1 .LBB115_214
; %bb.4:
	v_cmp_eq_u32_e64 s[4:5], 0, v0
	s_and_saveexec_b64 s[6:7], s[4:5]
	s_cbranch_execz .LBB115_6
; %bb.5:
	v_mov_b32_e32 v106, 0
	ds_write_b32 v106, v106 offset:832
.LBB115_6:
	s_or_b64 exec, exec, s[6:7]
	v_mov_b32_e32 v106, 0
	v_lshl_add_u32 v106, v0, 3, v106
	s_waitcnt lgkmcnt(0)
	; wave barrier
	s_waitcnt lgkmcnt(0)
	buffer_load_dword v108, v106, s[0:3], 0 offen
	buffer_load_dword v109, v106, s[0:3], 0 offen offset:4
	s_waitcnt vmcnt(0)
	v_cmp_eq_f64_e32 vcc, 0, v[108:109]
	s_and_saveexec_b64 s[12:13], vcc
	s_cbranch_execz .LBB115_10
; %bb.7:
	v_mov_b32_e32 v107, 0
	ds_read_b32 v109, v107 offset:832
	v_add_u32_e32 v108, 1, v0
	s_waitcnt lgkmcnt(0)
	v_readfirstlane_b32 s6, v109
	s_cmp_eq_u32 s6, 0
	s_cselect_b64 s[18:19], -1, 0
	v_cmp_gt_i32_e32 vcc, s6, v108
	s_or_b64 s[18:19], s[18:19], vcc
	s_and_b64 exec, exec, s[18:19]
	s_cbranch_execz .LBB115_10
; %bb.8:
	s_mov_b64 s[18:19], 0
	v_mov_b32_e32 v109, s6
.LBB115_9:                              ; =>This Inner Loop Header: Depth=1
	ds_cmpst_rtn_b32 v109, v107, v109, v108 offset:832
	s_waitcnt lgkmcnt(0)
	v_cmp_ne_u32_e32 vcc, 0, v109
	v_cmp_le_i32_e64 s[6:7], v109, v108
	s_and_b64 s[6:7], vcc, s[6:7]
	s_and_b64 s[6:7], exec, s[6:7]
	s_or_b64 s[18:19], s[6:7], s[18:19]
	s_andn2_b64 exec, exec, s[18:19]
	s_cbranch_execnz .LBB115_9
.LBB115_10:
	s_or_b64 exec, exec, s[12:13]
	v_mov_b32_e32 v108, 0
	s_waitcnt lgkmcnt(0)
	; wave barrier
	ds_read_b32 v107, v108 offset:832
	s_and_saveexec_b64 s[6:7], s[4:5]
	s_cbranch_execz .LBB115_12
; %bb.11:
	s_lshl_b64 s[12:13], s[8:9], 2
	s_add_u32 s12, s14, s12
	s_addc_u32 s13, s15, s13
	s_waitcnt lgkmcnt(0)
	global_store_dword v108, v107, s[12:13]
.LBB115_12:
	s_or_b64 exec, exec, s[6:7]
	s_waitcnt lgkmcnt(0)
	v_cmp_ne_u32_e32 vcc, 0, v107
	s_mov_b64 s[6:7], 0
	s_cbranch_vccnz .LBB115_214
; %bb.13:
	buffer_load_dword v108, v106, s[0:3], 0 offen
	buffer_load_dword v109, v106, s[0:3], 0 offen offset:4
	s_waitcnt vmcnt(0)
	v_div_scale_f64 v[110:111], s[6:7], v[108:109], v[108:109], 1.0
	v_rcp_f64_e32 v[112:113], v[110:111]
	v_div_scale_f64 v[114:115], vcc, 1.0, v[108:109], 1.0
	v_fma_f64 v[116:117], -v[110:111], v[112:113], 1.0
	v_fmac_f64_e32 v[112:113], v[112:113], v[116:117]
	v_fma_f64 v[116:117], -v[110:111], v[112:113], 1.0
	v_fmac_f64_e32 v[112:113], v[112:113], v[116:117]
	v_mul_f64 v[116:117], v[114:115], v[112:113]
	v_fma_f64 v[110:111], -v[110:111], v[116:117], v[114:115]
	v_div_fmas_f64 v[110:111], v[110:111], v[112:113], v[116:117]
	v_div_fixup_f64 v[110:111], v[110:111], v[108:109], 1.0
	buffer_store_dword v111, v106, s[0:3], 0 offen offset:4
	buffer_store_dword v110, v106, s[0:3], 0 offen
	buffer_load_dword v113, off, s[0:3], 0 offset:12
	buffer_load_dword v112, off, s[0:3], 0 offset:8
	v_add_u32_e32 v108, 0x1a0, v1
	v_xor_b32_e32 v111, 0x80000000, v111
	s_waitcnt vmcnt(0)
	ds_write2_b64 v1, v[110:111], v[112:113] offset1:52
	s_waitcnt lgkmcnt(0)
	; wave barrier
	s_waitcnt lgkmcnt(0)
	s_and_saveexec_b64 s[6:7], s[4:5]
	s_cbranch_execz .LBB115_15
; %bb.14:
	buffer_load_dword v110, v106, s[0:3], 0 offen
	buffer_load_dword v111, v106, s[0:3], 0 offen offset:4
	v_mov_b32_e32 v107, 0
	ds_read_b64 v[112:113], v108
	ds_read_b64 v[114:115], v107 offset:8
	s_waitcnt vmcnt(0) lgkmcnt(1)
	v_fma_f64 v[110:111], v[110:111], v[112:113], 0
	s_waitcnt lgkmcnt(0)
	v_mul_f64 v[110:111], v[110:111], v[114:115]
	buffer_store_dword v110, off, s[0:3], 0 offset:8
	buffer_store_dword v111, off, s[0:3], 0 offset:12
.LBB115_15:
	s_or_b64 exec, exec, s[6:7]
	s_waitcnt lgkmcnt(0)
	; wave barrier
	buffer_load_dword v110, off, s[0:3], 0 offset:16
	buffer_load_dword v111, off, s[0:3], 0 offset:20
	v_cmp_gt_u32_e32 vcc, 2, v0
	s_waitcnt vmcnt(0)
	ds_write_b64 v108, v[110:111]
	s_waitcnt lgkmcnt(0)
	; wave barrier
	s_waitcnt lgkmcnt(0)
	s_and_saveexec_b64 s[6:7], vcc
	s_cbranch_execz .LBB115_17
; %bb.16:
	buffer_load_dword v107, v106, s[0:3], 0 offen offset:4
	buffer_load_dword v114, off, s[0:3], 0 offset:8
	s_nop 0
	buffer_load_dword v106, v106, s[0:3], 0 offen
	s_nop 0
	buffer_load_dword v115, off, s[0:3], 0 offset:12
	ds_read_b64 v[116:117], v108
	v_mov_b32_e32 v109, 0
	ds_read2_b64 v[110:113], v109 offset0:2 offset1:53
	s_waitcnt vmcnt(1) lgkmcnt(1)
	v_fma_f64 v[106:107], v[106:107], v[116:117], 0
	s_waitcnt vmcnt(0) lgkmcnt(0)
	v_fma_f64 v[112:113], v[114:115], v[112:113], v[106:107]
	v_cndmask_b32_e64 v107, v107, v113, s[4:5]
	v_cndmask_b32_e64 v106, v106, v112, s[4:5]
	v_mul_f64 v[106:107], v[106:107], v[110:111]
	buffer_store_dword v107, off, s[0:3], 0 offset:20
	buffer_store_dword v106, off, s[0:3], 0 offset:16
.LBB115_17:
	s_or_b64 exec, exec, s[6:7]
	s_waitcnt lgkmcnt(0)
	; wave barrier
	buffer_load_dword v106, off, s[0:3], 0 offset:24
	buffer_load_dword v107, off, s[0:3], 0 offset:28
	v_cmp_gt_u32_e32 vcc, 3, v0
	v_add_u32_e32 v109, -1, v0
	s_waitcnt vmcnt(0)
	ds_write_b64 v108, v[106:107]
	s_waitcnt lgkmcnt(0)
	; wave barrier
	s_waitcnt lgkmcnt(0)
	s_and_saveexec_b64 s[4:5], vcc
	s_cbranch_execz .LBB115_21
; %bb.18:
	v_add_u32_e32 v110, -1, v0
	v_add_u32_e32 v111, 0x1a0, v1
	v_add_u32_e32 v112, 0, v1
	s_mov_b64 s[6:7], 0
	v_pk_mov_b32 v[106:107], 0, 0
.LBB115_19:                             ; =>This Inner Loop Header: Depth=1
	buffer_load_dword v114, v112, s[0:3], 0 offen
	buffer_load_dword v115, v112, s[0:3], 0 offen offset:4
	ds_read_b64 v[116:117], v111
	v_add_u32_e32 v110, 1, v110
	v_cmp_lt_u32_e32 vcc, 1, v110
	v_add_u32_e32 v111, 8, v111
	v_add_u32_e32 v112, 8, v112
	s_or_b64 s[6:7], vcc, s[6:7]
	s_waitcnt vmcnt(0) lgkmcnt(0)
	v_fmac_f64_e32 v[106:107], v[114:115], v[116:117]
	s_andn2_b64 exec, exec, s[6:7]
	s_cbranch_execnz .LBB115_19
; %bb.20:
	s_or_b64 exec, exec, s[6:7]
	v_mov_b32_e32 v110, 0
	ds_read_b64 v[110:111], v110 offset:24
	s_waitcnt lgkmcnt(0)
	v_mul_f64 v[106:107], v[106:107], v[110:111]
	buffer_store_dword v107, off, s[0:3], 0 offset:28
	buffer_store_dword v106, off, s[0:3], 0 offset:24
.LBB115_21:
	s_or_b64 exec, exec, s[4:5]
	s_waitcnt lgkmcnt(0)
	; wave barrier
	buffer_load_dword v106, off, s[0:3], 0 offset:32
	buffer_load_dword v107, off, s[0:3], 0 offset:36
	v_cmp_gt_u32_e32 vcc, 4, v0
	s_waitcnt vmcnt(0)
	ds_write_b64 v108, v[106:107]
	s_waitcnt lgkmcnt(0)
	; wave barrier
	s_waitcnt lgkmcnt(0)
	s_and_saveexec_b64 s[4:5], vcc
	s_cbranch_execz .LBB115_25
; %bb.22:
	v_add_u32_e32 v110, -1, v0
	v_add_u32_e32 v111, 0x1a0, v1
	v_add_u32_e32 v112, 0, v1
	s_mov_b64 s[6:7], 0
	v_pk_mov_b32 v[106:107], 0, 0
.LBB115_23:                             ; =>This Inner Loop Header: Depth=1
	buffer_load_dword v114, v112, s[0:3], 0 offen
	buffer_load_dword v115, v112, s[0:3], 0 offen offset:4
	ds_read_b64 v[116:117], v111
	v_add_u32_e32 v110, 1, v110
	v_cmp_lt_u32_e32 vcc, 2, v110
	v_add_u32_e32 v111, 8, v111
	v_add_u32_e32 v112, 8, v112
	s_or_b64 s[6:7], vcc, s[6:7]
	s_waitcnt vmcnt(0) lgkmcnt(0)
	v_fmac_f64_e32 v[106:107], v[114:115], v[116:117]
	s_andn2_b64 exec, exec, s[6:7]
	s_cbranch_execnz .LBB115_23
; %bb.24:
	s_or_b64 exec, exec, s[6:7]
	v_mov_b32_e32 v110, 0
	ds_read_b64 v[110:111], v110 offset:32
	s_waitcnt lgkmcnt(0)
	v_mul_f64 v[106:107], v[106:107], v[110:111]
	buffer_store_dword v107, off, s[0:3], 0 offset:36
	buffer_store_dword v106, off, s[0:3], 0 offset:32
.LBB115_25:
	s_or_b64 exec, exec, s[4:5]
	s_waitcnt lgkmcnt(0)
	; wave barrier
	buffer_load_dword v106, off, s[0:3], 0 offset:40
	buffer_load_dword v107, off, s[0:3], 0 offset:44
	v_cmp_gt_u32_e32 vcc, 5, v0
	;; [unrolled: 41-line block ×21, first 2 shown]
	s_waitcnt vmcnt(0)
	ds_write_b64 v108, v[106:107]
	s_waitcnt lgkmcnt(0)
	; wave barrier
	s_waitcnt lgkmcnt(0)
	s_and_saveexec_b64 s[4:5], vcc
	s_cbranch_execz .LBB115_105
; %bb.102:
	v_add_u32_e32 v110, -1, v0
	v_add_u32_e32 v111, 0x1a0, v1
	v_add_u32_e32 v112, 0, v1
	s_mov_b64 s[6:7], 0
	v_pk_mov_b32 v[106:107], 0, 0
.LBB115_103:                            ; =>This Inner Loop Header: Depth=1
	buffer_load_dword v114, v112, s[0:3], 0 offen
	buffer_load_dword v115, v112, s[0:3], 0 offen offset:4
	ds_read_b64 v[116:117], v111
	v_add_u32_e32 v110, 1, v110
	v_cmp_lt_u32_e32 vcc, 22, v110
	v_add_u32_e32 v111, 8, v111
	v_add_u32_e32 v112, 8, v112
	s_or_b64 s[6:7], vcc, s[6:7]
	s_waitcnt vmcnt(0) lgkmcnt(0)
	v_fmac_f64_e32 v[106:107], v[114:115], v[116:117]
	s_andn2_b64 exec, exec, s[6:7]
	s_cbranch_execnz .LBB115_103
; %bb.104:
	s_or_b64 exec, exec, s[6:7]
	v_mov_b32_e32 v110, 0
	ds_read_b64 v[110:111], v110 offset:192
	s_waitcnt lgkmcnt(0)
	v_mul_f64 v[106:107], v[106:107], v[110:111]
	buffer_store_dword v107, off, s[0:3], 0 offset:196
	buffer_store_dword v106, off, s[0:3], 0 offset:192
.LBB115_105:
	s_or_b64 exec, exec, s[4:5]
	s_waitcnt lgkmcnt(0)
	; wave barrier
	buffer_load_dword v106, off, s[0:3], 0 offset:200
	buffer_load_dword v107, off, s[0:3], 0 offset:204
	v_cmp_gt_u32_e32 vcc, 25, v0
	s_waitcnt vmcnt(0)
	ds_write_b64 v108, v[106:107]
	s_waitcnt lgkmcnt(0)
	; wave barrier
	s_waitcnt lgkmcnt(0)
	s_and_saveexec_b64 s[4:5], vcc
	s_cbranch_execz .LBB115_109
; %bb.106:
	v_add_u32_e32 v110, -1, v0
	v_add_u32_e32 v111, 0x1a0, v1
	v_add_u32_e32 v112, 0, v1
	s_mov_b64 s[6:7], 0
	v_pk_mov_b32 v[106:107], 0, 0
.LBB115_107:                            ; =>This Inner Loop Header: Depth=1
	buffer_load_dword v114, v112, s[0:3], 0 offen
	buffer_load_dword v115, v112, s[0:3], 0 offen offset:4
	ds_read_b64 v[116:117], v111
	v_add_u32_e32 v110, 1, v110
	v_cmp_lt_u32_e32 vcc, 23, v110
	v_add_u32_e32 v111, 8, v111
	v_add_u32_e32 v112, 8, v112
	s_or_b64 s[6:7], vcc, s[6:7]
	s_waitcnt vmcnt(0) lgkmcnt(0)
	v_fmac_f64_e32 v[106:107], v[114:115], v[116:117]
	s_andn2_b64 exec, exec, s[6:7]
	s_cbranch_execnz .LBB115_107
; %bb.108:
	s_or_b64 exec, exec, s[6:7]
	v_mov_b32_e32 v110, 0
	ds_read_b64 v[110:111], v110 offset:200
	s_waitcnt lgkmcnt(0)
	v_mul_f64 v[106:107], v[106:107], v[110:111]
	buffer_store_dword v107, off, s[0:3], 0 offset:204
	buffer_store_dword v106, off, s[0:3], 0 offset:200
.LBB115_109:
	s_or_b64 exec, exec, s[4:5]
	s_waitcnt lgkmcnt(0)
	; wave barrier
	buffer_load_dword v106, off, s[0:3], 0 offset:208
	buffer_load_dword v107, off, s[0:3], 0 offset:212
	v_cmp_gt_u32_e32 vcc, 26, v0
	;; [unrolled: 41-line block ×26, first 2 shown]
	s_waitcnt vmcnt(0)
	ds_write_b64 v108, v[106:107]
	s_waitcnt lgkmcnt(0)
	; wave barrier
	s_waitcnt lgkmcnt(0)
	s_and_saveexec_b64 s[4:5], vcc
	s_cbranch_execz .LBB115_209
; %bb.206:
	v_add_u32_e32 v110, -1, v0
	v_add_u32_e32 v111, 0x1a0, v1
	v_add_u32_e32 v112, 0, v1
	s_mov_b64 s[6:7], 0
	v_pk_mov_b32 v[106:107], 0, 0
.LBB115_207:                            ; =>This Inner Loop Header: Depth=1
	buffer_load_dword v114, v112, s[0:3], 0 offen
	buffer_load_dword v115, v112, s[0:3], 0 offen offset:4
	ds_read_b64 v[116:117], v111
	v_add_u32_e32 v110, 1, v110
	v_cmp_lt_u32_e32 vcc, 48, v110
	v_add_u32_e32 v111, 8, v111
	v_add_u32_e32 v112, 8, v112
	s_or_b64 s[6:7], vcc, s[6:7]
	s_waitcnt vmcnt(0) lgkmcnt(0)
	v_fmac_f64_e32 v[106:107], v[114:115], v[116:117]
	s_andn2_b64 exec, exec, s[6:7]
	s_cbranch_execnz .LBB115_207
; %bb.208:
	s_or_b64 exec, exec, s[6:7]
	v_mov_b32_e32 v110, 0
	ds_read_b64 v[110:111], v110 offset:400
	s_waitcnt lgkmcnt(0)
	v_mul_f64 v[106:107], v[106:107], v[110:111]
	buffer_store_dword v107, off, s[0:3], 0 offset:404
	buffer_store_dword v106, off, s[0:3], 0 offset:400
.LBB115_209:
	s_or_b64 exec, exec, s[4:5]
	s_waitcnt lgkmcnt(0)
	; wave barrier
	buffer_load_dword v106, off, s[0:3], 0 offset:408
	buffer_load_dword v107, off, s[0:3], 0 offset:412
	v_cmp_ne_u32_e32 vcc, 51, v0
	s_waitcnt vmcnt(0)
	ds_write_b64 v108, v[106:107]
	s_waitcnt lgkmcnt(0)
	; wave barrier
	s_waitcnt lgkmcnt(0)
	s_and_saveexec_b64 s[4:5], vcc
	s_cbranch_execz .LBB115_213
; %bb.210:
	v_add_u32_e32 v108, 0x1a0, v1
	v_add_u32_e32 v1, 0, v1
	s_mov_b64 s[6:7], 0
	v_pk_mov_b32 v[106:107], 0, 0
.LBB115_211:                            ; =>This Inner Loop Header: Depth=1
	buffer_load_dword v110, v1, s[0:3], 0 offen
	buffer_load_dword v111, v1, s[0:3], 0 offen offset:4
	ds_read_b64 v[112:113], v108
	v_add_u32_e32 v109, 1, v109
	v_cmp_lt_u32_e32 vcc, 49, v109
	v_add_u32_e32 v108, 8, v108
	v_add_u32_e32 v1, 8, v1
	s_or_b64 s[6:7], vcc, s[6:7]
	s_waitcnt vmcnt(0) lgkmcnt(0)
	v_fmac_f64_e32 v[106:107], v[110:111], v[112:113]
	s_andn2_b64 exec, exec, s[6:7]
	s_cbranch_execnz .LBB115_211
; %bb.212:
	s_or_b64 exec, exec, s[6:7]
	v_mov_b32_e32 v1, 0
	ds_read_b64 v[108:109], v1 offset:408
	s_waitcnt lgkmcnt(0)
	v_mul_f64 v[106:107], v[106:107], v[108:109]
	buffer_store_dword v107, off, s[0:3], 0 offset:412
	buffer_store_dword v106, off, s[0:3], 0 offset:408
.LBB115_213:
	s_or_b64 exec, exec, s[4:5]
	s_mov_b64 s[6:7], -1
	s_waitcnt lgkmcnt(0)
	; wave barrier
.LBB115_214:
	s_and_b64 vcc, exec, s[6:7]
	s_cbranch_vccz .LBB115_216
; %bb.215:
	s_lshl_b64 s[4:5], s[8:9], 2
	s_add_u32 s4, s14, s4
	s_addc_u32 s5, s15, s5
	v_mov_b32_e32 v1, 0
	global_load_dword v1, v1, s[4:5]
	s_waitcnt vmcnt(0)
	v_cmp_ne_u32_e32 vcc, 0, v1
	s_cbranch_vccz .LBB115_217
.LBB115_216:
	s_endpgm
.LBB115_217:
	v_mov_b32_e32 v1, 0x1a0
	v_lshl_add_u32 v1, v0, 3, v1
	v_cmp_eq_u32_e32 vcc, 51, v0
	s_and_saveexec_b64 s[4:5], vcc
	s_cbranch_execz .LBB115_219
; %bb.218:
	buffer_load_dword v106, off, s[0:3], 0 offset:400
	buffer_load_dword v107, off, s[0:3], 0 offset:404
	v_mov_b32_e32 v108, 0
	buffer_store_dword v108, off, s[0:3], 0 offset:400
	buffer_store_dword v108, off, s[0:3], 0 offset:404
	s_waitcnt vmcnt(2)
	ds_write_b64 v1, v[106:107]
.LBB115_219:
	s_or_b64 exec, exec, s[4:5]
	s_waitcnt lgkmcnt(0)
	; wave barrier
	s_waitcnt lgkmcnt(0)
	buffer_load_dword v108, off, s[0:3], 0 offset:408
	buffer_load_dword v109, off, s[0:3], 0 offset:412
	;; [unrolled: 1-line block ×4, first 2 shown]
	v_mov_b32_e32 v106, 0
	ds_read_b64 v[112:113], v106 offset:824
	v_cmp_lt_u32_e32 vcc, 49, v0
	s_waitcnt vmcnt(2) lgkmcnt(0)
	v_fma_f64 v[108:109], v[108:109], v[112:113], 0
	s_waitcnt vmcnt(0)
	v_add_f64 v[108:109], v[110:111], -v[108:109]
	buffer_store_dword v108, off, s[0:3], 0 offset:400
	buffer_store_dword v109, off, s[0:3], 0 offset:404
	s_and_saveexec_b64 s[4:5], vcc
	s_cbranch_execz .LBB115_221
; %bb.220:
	buffer_load_dword v108, off, s[0:3], 0 offset:392
	buffer_load_dword v109, off, s[0:3], 0 offset:396
	s_waitcnt vmcnt(0)
	ds_write_b64 v1, v[108:109]
	buffer_store_dword v106, off, s[0:3], 0 offset:392
	buffer_store_dword v106, off, s[0:3], 0 offset:396
.LBB115_221:
	s_or_b64 exec, exec, s[4:5]
	s_waitcnt lgkmcnt(0)
	; wave barrier
	s_waitcnt lgkmcnt(0)
	buffer_load_dword v110, off, s[0:3], 0 offset:400
	buffer_load_dword v111, off, s[0:3], 0 offset:404
	;; [unrolled: 1-line block ×6, first 2 shown]
	ds_read_b128 v[106:109], v106 offset:816
	v_cmp_lt_u32_e32 vcc, 48, v0
	s_waitcnt vmcnt(4) lgkmcnt(0)
	v_fma_f64 v[106:107], v[110:111], v[106:107], 0
	s_waitcnt vmcnt(2)
	v_fmac_f64_e32 v[106:107], v[112:113], v[108:109]
	s_waitcnt vmcnt(0)
	v_add_f64 v[106:107], v[114:115], -v[106:107]
	buffer_store_dword v106, off, s[0:3], 0 offset:392
	buffer_store_dword v107, off, s[0:3], 0 offset:396
	s_and_saveexec_b64 s[4:5], vcc
	s_cbranch_execz .LBB115_223
; %bb.222:
	buffer_load_dword v106, off, s[0:3], 0 offset:384
	buffer_load_dword v107, off, s[0:3], 0 offset:388
	v_mov_b32_e32 v108, 0
	buffer_store_dword v108, off, s[0:3], 0 offset:384
	buffer_store_dword v108, off, s[0:3], 0 offset:388
	s_waitcnt vmcnt(2)
	ds_write_b64 v1, v[106:107]
.LBB115_223:
	s_or_b64 exec, exec, s[4:5]
	s_waitcnt lgkmcnt(0)
	; wave barrier
	s_waitcnt lgkmcnt(0)
	buffer_load_dword v112, off, s[0:3], 0 offset:392
	buffer_load_dword v113, off, s[0:3], 0 offset:396
	;; [unrolled: 1-line block ×8, first 2 shown]
	v_mov_b32_e32 v106, 0
	ds_read2_b64 v[108:111], v106 offset0:101 offset1:102
	ds_read_b64 v[120:121], v106 offset:824
	v_cmp_lt_u32_e32 vcc, 47, v0
	s_waitcnt vmcnt(6) lgkmcnt(1)
	v_fma_f64 v[108:109], v[112:113], v[108:109], 0
	s_waitcnt vmcnt(4)
	v_fmac_f64_e32 v[108:109], v[114:115], v[110:111]
	s_waitcnt vmcnt(2) lgkmcnt(0)
	v_fmac_f64_e32 v[108:109], v[116:117], v[120:121]
	s_waitcnt vmcnt(0)
	v_add_f64 v[108:109], v[118:119], -v[108:109]
	buffer_store_dword v108, off, s[0:3], 0 offset:384
	buffer_store_dword v109, off, s[0:3], 0 offset:388
	s_and_saveexec_b64 s[4:5], vcc
	s_cbranch_execz .LBB115_225
; %bb.224:
	buffer_load_dword v108, off, s[0:3], 0 offset:376
	buffer_load_dword v109, off, s[0:3], 0 offset:380
	s_waitcnt vmcnt(0)
	ds_write_b64 v1, v[108:109]
	buffer_store_dword v106, off, s[0:3], 0 offset:376
	buffer_store_dword v106, off, s[0:3], 0 offset:380
.LBB115_225:
	s_or_b64 exec, exec, s[4:5]
	s_waitcnt lgkmcnt(0)
	; wave barrier
	s_waitcnt lgkmcnt(0)
	buffer_load_dword v116, off, s[0:3], 0 offset:384
	buffer_load_dword v117, off, s[0:3], 0 offset:388
	buffer_load_dword v118, off, s[0:3], 0 offset:392
	buffer_load_dword v119, off, s[0:3], 0 offset:396
	buffer_load_dword v120, off, s[0:3], 0 offset:400
	buffer_load_dword v121, off, s[0:3], 0 offset:404
	buffer_load_dword v122, off, s[0:3], 0 offset:408
	buffer_load_dword v123, off, s[0:3], 0 offset:412
	buffer_load_dword v124, off, s[0:3], 0 offset:376
	buffer_load_dword v125, off, s[0:3], 0 offset:380
	ds_read_b128 v[108:111], v106 offset:800
	ds_read_b128 v[112:115], v106 offset:816
	v_cmp_lt_u32_e32 vcc, 46, v0
	s_waitcnt vmcnt(8) lgkmcnt(1)
	v_fma_f64 v[106:107], v[116:117], v[108:109], 0
	s_waitcnt vmcnt(6)
	v_fmac_f64_e32 v[106:107], v[118:119], v[110:111]
	s_waitcnt vmcnt(4) lgkmcnt(0)
	v_fmac_f64_e32 v[106:107], v[120:121], v[112:113]
	s_waitcnt vmcnt(2)
	v_fmac_f64_e32 v[106:107], v[122:123], v[114:115]
	s_waitcnt vmcnt(0)
	v_add_f64 v[106:107], v[124:125], -v[106:107]
	buffer_store_dword v106, off, s[0:3], 0 offset:376
	buffer_store_dword v107, off, s[0:3], 0 offset:380
	s_and_saveexec_b64 s[4:5], vcc
	s_cbranch_execz .LBB115_227
; %bb.226:
	buffer_load_dword v106, off, s[0:3], 0 offset:368
	buffer_load_dword v107, off, s[0:3], 0 offset:372
	v_mov_b32_e32 v108, 0
	buffer_store_dword v108, off, s[0:3], 0 offset:368
	buffer_store_dword v108, off, s[0:3], 0 offset:372
	s_waitcnt vmcnt(2)
	ds_write_b64 v1, v[106:107]
.LBB115_227:
	s_or_b64 exec, exec, s[4:5]
	s_waitcnt lgkmcnt(0)
	; wave barrier
	s_waitcnt lgkmcnt(0)
	buffer_load_dword v112, off, s[0:3], 0 offset:368
	buffer_load_dword v113, off, s[0:3], 0 offset:372
	;; [unrolled: 1-line block ×12, first 2 shown]
	v_mov_b32_e32 v106, 0
	ds_read2_b64 v[108:111], v106 offset0:99 offset1:100
	v_cmp_lt_u32_e32 vcc, 45, v0
	s_waitcnt vmcnt(8) lgkmcnt(0)
	v_fma_f64 v[114:115], v[114:115], v[108:109], 0
	s_waitcnt vmcnt(6)
	v_fmac_f64_e32 v[114:115], v[116:117], v[110:111]
	ds_read2_b64 v[108:111], v106 offset0:101 offset1:102
	s_waitcnt vmcnt(4) lgkmcnt(0)
	v_fmac_f64_e32 v[114:115], v[118:119], v[108:109]
	ds_read_b64 v[108:109], v106 offset:824
	s_waitcnt vmcnt(2)
	v_fmac_f64_e32 v[114:115], v[120:121], v[110:111]
	s_waitcnt vmcnt(0) lgkmcnt(0)
	v_fmac_f64_e32 v[114:115], v[122:123], v[108:109]
	v_add_f64 v[108:109], v[112:113], -v[114:115]
	buffer_store_dword v108, off, s[0:3], 0 offset:368
	buffer_store_dword v109, off, s[0:3], 0 offset:372
	s_and_saveexec_b64 s[4:5], vcc
	s_cbranch_execz .LBB115_229
; %bb.228:
	buffer_load_dword v108, off, s[0:3], 0 offset:360
	buffer_load_dword v109, off, s[0:3], 0 offset:364
	s_waitcnt vmcnt(0)
	ds_write_b64 v1, v[108:109]
	buffer_store_dword v106, off, s[0:3], 0 offset:360
	buffer_store_dword v106, off, s[0:3], 0 offset:364
.LBB115_229:
	s_or_b64 exec, exec, s[4:5]
	s_waitcnt lgkmcnt(0)
	; wave barrier
	s_waitcnt lgkmcnt(0)
	buffer_load_dword v120, off, s[0:3], 0 offset:368
	buffer_load_dword v121, off, s[0:3], 0 offset:372
	;; [unrolled: 1-line block ×14, first 2 shown]
	ds_read_b128 v[108:111], v106 offset:784
	ds_read_b128 v[112:115], v106 offset:800
	;; [unrolled: 1-line block ×3, first 2 shown]
	v_cmp_lt_u32_e32 vcc, 44, v0
	s_waitcnt vmcnt(12) lgkmcnt(2)
	v_fma_f64 v[106:107], v[120:121], v[108:109], 0
	s_waitcnt vmcnt(10)
	v_fmac_f64_e32 v[106:107], v[122:123], v[110:111]
	s_waitcnt vmcnt(8) lgkmcnt(1)
	v_fmac_f64_e32 v[106:107], v[124:125], v[112:113]
	s_waitcnt vmcnt(6)
	v_fmac_f64_e32 v[106:107], v[126:127], v[114:115]
	s_waitcnt vmcnt(4) lgkmcnt(0)
	v_fmac_f64_e32 v[106:107], v[128:129], v[116:117]
	s_waitcnt vmcnt(2)
	v_fmac_f64_e32 v[106:107], v[130:131], v[118:119]
	s_waitcnt vmcnt(0)
	v_add_f64 v[106:107], v[132:133], -v[106:107]
	buffer_store_dword v106, off, s[0:3], 0 offset:360
	buffer_store_dword v107, off, s[0:3], 0 offset:364
	s_and_saveexec_b64 s[4:5], vcc
	s_cbranch_execz .LBB115_231
; %bb.230:
	buffer_load_dword v106, off, s[0:3], 0 offset:352
	buffer_load_dword v107, off, s[0:3], 0 offset:356
	v_mov_b32_e32 v108, 0
	buffer_store_dword v108, off, s[0:3], 0 offset:352
	buffer_store_dword v108, off, s[0:3], 0 offset:356
	s_waitcnt vmcnt(2)
	ds_write_b64 v1, v[106:107]
.LBB115_231:
	s_or_b64 exec, exec, s[4:5]
	s_waitcnt lgkmcnt(0)
	; wave barrier
	s_waitcnt lgkmcnt(0)
	buffer_load_dword v120, off, s[0:3], 0 offset:360
	buffer_load_dword v121, off, s[0:3], 0 offset:364
	;; [unrolled: 1-line block ×16, first 2 shown]
	v_mov_b32_e32 v106, 0
	ds_read2_b64 v[108:111], v106 offset0:97 offset1:98
	ds_read2_b64 v[112:115], v106 offset0:99 offset1:100
	ds_read2_b64 v[116:119], v106 offset0:101 offset1:102
	ds_read_b64 v[136:137], v106 offset:824
	v_cmp_lt_u32_e32 vcc, 43, v0
	s_waitcnt vmcnt(14) lgkmcnt(3)
	v_fma_f64 v[108:109], v[120:121], v[108:109], 0
	s_waitcnt vmcnt(12)
	v_fmac_f64_e32 v[108:109], v[122:123], v[110:111]
	s_waitcnt vmcnt(10) lgkmcnt(2)
	v_fmac_f64_e32 v[108:109], v[124:125], v[112:113]
	s_waitcnt vmcnt(8)
	v_fmac_f64_e32 v[108:109], v[126:127], v[114:115]
	s_waitcnt vmcnt(6) lgkmcnt(1)
	v_fmac_f64_e32 v[108:109], v[128:129], v[116:117]
	;; [unrolled: 4-line block ×3, first 2 shown]
	s_waitcnt vmcnt(0)
	v_add_f64 v[108:109], v[134:135], -v[108:109]
	buffer_store_dword v108, off, s[0:3], 0 offset:352
	buffer_store_dword v109, off, s[0:3], 0 offset:356
	s_and_saveexec_b64 s[4:5], vcc
	s_cbranch_execz .LBB115_233
; %bb.232:
	buffer_load_dword v108, off, s[0:3], 0 offset:344
	buffer_load_dword v109, off, s[0:3], 0 offset:348
	s_waitcnt vmcnt(0)
	ds_write_b64 v1, v[108:109]
	buffer_store_dword v106, off, s[0:3], 0 offset:344
	buffer_store_dword v106, off, s[0:3], 0 offset:348
.LBB115_233:
	s_or_b64 exec, exec, s[4:5]
	s_waitcnt lgkmcnt(0)
	; wave barrier
	s_waitcnt lgkmcnt(0)
	buffer_load_dword v124, off, s[0:3], 0 offset:352
	buffer_load_dword v125, off, s[0:3], 0 offset:356
	;; [unrolled: 1-line block ×18, first 2 shown]
	ds_read_b128 v[108:111], v106 offset:768
	ds_read_b128 v[112:115], v106 offset:784
	;; [unrolled: 1-line block ×4, first 2 shown]
	v_cmp_lt_u32_e32 vcc, 42, v0
	s_waitcnt vmcnt(16) lgkmcnt(3)
	v_fma_f64 v[106:107], v[124:125], v[108:109], 0
	s_waitcnt vmcnt(14)
	v_fmac_f64_e32 v[106:107], v[126:127], v[110:111]
	s_waitcnt vmcnt(12) lgkmcnt(2)
	v_fmac_f64_e32 v[106:107], v[128:129], v[112:113]
	s_waitcnt vmcnt(10)
	v_fmac_f64_e32 v[106:107], v[130:131], v[114:115]
	s_waitcnt vmcnt(8) lgkmcnt(1)
	v_fmac_f64_e32 v[106:107], v[132:133], v[116:117]
	;; [unrolled: 4-line block ×3, first 2 shown]
	s_waitcnt vmcnt(2)
	v_fmac_f64_e32 v[106:107], v[138:139], v[122:123]
	s_waitcnt vmcnt(0)
	v_add_f64 v[106:107], v[140:141], -v[106:107]
	buffer_store_dword v106, off, s[0:3], 0 offset:344
	buffer_store_dword v107, off, s[0:3], 0 offset:348
	s_and_saveexec_b64 s[4:5], vcc
	s_cbranch_execz .LBB115_235
; %bb.234:
	buffer_load_dword v106, off, s[0:3], 0 offset:336
	buffer_load_dword v107, off, s[0:3], 0 offset:340
	v_mov_b32_e32 v108, 0
	buffer_store_dword v108, off, s[0:3], 0 offset:336
	buffer_store_dword v108, off, s[0:3], 0 offset:340
	s_waitcnt vmcnt(2)
	ds_write_b64 v1, v[106:107]
.LBB115_235:
	s_or_b64 exec, exec, s[4:5]
	s_waitcnt lgkmcnt(0)
	; wave barrier
	s_waitcnt lgkmcnt(0)
	buffer_load_dword v124, off, s[0:3], 0 offset:344
	buffer_load_dword v125, off, s[0:3], 0 offset:348
	;; [unrolled: 1-line block ×20, first 2 shown]
	v_mov_b32_e32 v106, 0
	ds_read2_b64 v[108:111], v106 offset0:95 offset1:96
	ds_read2_b64 v[112:115], v106 offset0:97 offset1:98
	;; [unrolled: 1-line block ×4, first 2 shown]
	ds_read_b64 v[144:145], v106 offset:824
	v_cmp_lt_u32_e32 vcc, 41, v0
	s_waitcnt vmcnt(18) lgkmcnt(4)
	v_fma_f64 v[108:109], v[124:125], v[108:109], 0
	s_waitcnt vmcnt(16)
	v_fmac_f64_e32 v[108:109], v[126:127], v[110:111]
	s_waitcnt vmcnt(14) lgkmcnt(3)
	v_fmac_f64_e32 v[108:109], v[128:129], v[112:113]
	s_waitcnt vmcnt(12)
	v_fmac_f64_e32 v[108:109], v[130:131], v[114:115]
	s_waitcnt vmcnt(10) lgkmcnt(2)
	v_fmac_f64_e32 v[108:109], v[132:133], v[116:117]
	;; [unrolled: 4-line block ×3, first 2 shown]
	s_waitcnt vmcnt(2)
	v_fmac_f64_e32 v[108:109], v[140:141], v[122:123]
	s_waitcnt lgkmcnt(0)
	v_fmac_f64_e32 v[108:109], v[138:139], v[144:145]
	s_waitcnt vmcnt(0)
	v_add_f64 v[108:109], v[142:143], -v[108:109]
	buffer_store_dword v108, off, s[0:3], 0 offset:336
	buffer_store_dword v109, off, s[0:3], 0 offset:340
	s_and_saveexec_b64 s[4:5], vcc
	s_cbranch_execz .LBB115_237
; %bb.236:
	buffer_load_dword v108, off, s[0:3], 0 offset:328
	buffer_load_dword v109, off, s[0:3], 0 offset:332
	s_waitcnt vmcnt(0)
	ds_write_b64 v1, v[108:109]
	buffer_store_dword v106, off, s[0:3], 0 offset:328
	buffer_store_dword v106, off, s[0:3], 0 offset:332
.LBB115_237:
	s_or_b64 exec, exec, s[4:5]
	s_waitcnt lgkmcnt(0)
	; wave barrier
	s_waitcnt lgkmcnt(0)
	buffer_load_dword v128, off, s[0:3], 0 offset:336
	buffer_load_dword v129, off, s[0:3], 0 offset:340
	;; [unrolled: 1-line block ×22, first 2 shown]
	ds_read_b128 v[108:111], v106 offset:752
	ds_read_b128 v[112:115], v106 offset:768
	;; [unrolled: 1-line block ×5, first 2 shown]
	v_cmp_lt_u32_e32 vcc, 40, v0
	s_waitcnt vmcnt(20) lgkmcnt(4)
	v_fma_f64 v[106:107], v[128:129], v[108:109], 0
	s_waitcnt vmcnt(18)
	v_fmac_f64_e32 v[106:107], v[130:131], v[110:111]
	s_waitcnt vmcnt(16) lgkmcnt(3)
	v_fmac_f64_e32 v[106:107], v[132:133], v[112:113]
	s_waitcnt vmcnt(14)
	v_fmac_f64_e32 v[106:107], v[134:135], v[114:115]
	s_waitcnt vmcnt(12) lgkmcnt(2)
	v_fmac_f64_e32 v[106:107], v[136:137], v[116:117]
	;; [unrolled: 4-line block ×3, first 2 shown]
	s_waitcnt vmcnt(3)
	v_fmac_f64_e32 v[106:107], v[146:147], v[122:123]
	s_waitcnt lgkmcnt(0)
	v_fmac_f64_e32 v[106:107], v[144:145], v[124:125]
	s_waitcnt vmcnt(2)
	v_fmac_f64_e32 v[106:107], v[142:143], v[126:127]
	s_waitcnt vmcnt(0)
	v_add_f64 v[106:107], v[148:149], -v[106:107]
	buffer_store_dword v106, off, s[0:3], 0 offset:328
	buffer_store_dword v107, off, s[0:3], 0 offset:332
	s_and_saveexec_b64 s[4:5], vcc
	s_cbranch_execz .LBB115_239
; %bb.238:
	buffer_load_dword v106, off, s[0:3], 0 offset:320
	buffer_load_dword v107, off, s[0:3], 0 offset:324
	v_mov_b32_e32 v108, 0
	buffer_store_dword v108, off, s[0:3], 0 offset:320
	buffer_store_dword v108, off, s[0:3], 0 offset:324
	s_waitcnt vmcnt(2)
	ds_write_b64 v1, v[106:107]
.LBB115_239:
	s_or_b64 exec, exec, s[4:5]
	s_waitcnt lgkmcnt(0)
	; wave barrier
	s_waitcnt lgkmcnt(0)
	buffer_load_dword v128, off, s[0:3], 0 offset:328
	buffer_load_dword v129, off, s[0:3], 0 offset:332
	;; [unrolled: 1-line block ×24, first 2 shown]
	v_mov_b32_e32 v106, 0
	ds_read2_b64 v[108:111], v106 offset0:93 offset1:94
	ds_read2_b64 v[112:115], v106 offset0:95 offset1:96
	;; [unrolled: 1-line block ×5, first 2 shown]
	ds_read_b64 v[152:153], v106 offset:824
	v_cmp_lt_u32_e32 vcc, 39, v0
	s_waitcnt vmcnt(22) lgkmcnt(5)
	v_fma_f64 v[108:109], v[128:129], v[108:109], 0
	s_waitcnt vmcnt(20)
	v_fmac_f64_e32 v[108:109], v[130:131], v[110:111]
	s_waitcnt vmcnt(18) lgkmcnt(4)
	v_fmac_f64_e32 v[108:109], v[132:133], v[112:113]
	s_waitcnt vmcnt(16)
	v_fmac_f64_e32 v[108:109], v[134:135], v[114:115]
	s_waitcnt vmcnt(14) lgkmcnt(3)
	v_fmac_f64_e32 v[108:109], v[136:137], v[116:117]
	;; [unrolled: 4-line block ×3, first 2 shown]
	s_waitcnt vmcnt(4)
	v_fmac_f64_e32 v[108:109], v[148:149], v[122:123]
	s_waitcnt lgkmcnt(1)
	v_fmac_f64_e32 v[108:109], v[146:147], v[124:125]
	s_waitcnt vmcnt(3)
	v_fmac_f64_e32 v[108:109], v[144:145], v[126:127]
	s_waitcnt vmcnt(2) lgkmcnt(0)
	v_fmac_f64_e32 v[108:109], v[142:143], v[152:153]
	s_waitcnt vmcnt(0)
	v_add_f64 v[108:109], v[150:151], -v[108:109]
	buffer_store_dword v109, off, s[0:3], 0 offset:324
	buffer_store_dword v108, off, s[0:3], 0 offset:320
	s_and_saveexec_b64 s[4:5], vcc
	s_cbranch_execz .LBB115_241
; %bb.240:
	buffer_load_dword v108, off, s[0:3], 0 offset:312
	buffer_load_dword v109, off, s[0:3], 0 offset:316
	s_waitcnt vmcnt(0)
	ds_write_b64 v1, v[108:109]
	buffer_store_dword v106, off, s[0:3], 0 offset:312
	buffer_store_dword v106, off, s[0:3], 0 offset:316
.LBB115_241:
	s_or_b64 exec, exec, s[4:5]
	s_waitcnt lgkmcnt(0)
	; wave barrier
	s_waitcnt lgkmcnt(0)
	buffer_load_dword v132, off, s[0:3], 0 offset:320
	buffer_load_dword v133, off, s[0:3], 0 offset:324
	;; [unrolled: 1-line block ×26, first 2 shown]
	ds_read_b128 v[108:111], v106 offset:736
	ds_read_b128 v[112:115], v106 offset:752
	;; [unrolled: 1-line block ×6, first 2 shown]
	v_cmp_lt_u32_e32 vcc, 38, v0
	s_waitcnt vmcnt(24) lgkmcnt(5)
	v_fma_f64 v[106:107], v[132:133], v[108:109], 0
	s_waitcnt vmcnt(22)
	v_fmac_f64_e32 v[106:107], v[134:135], v[110:111]
	s_waitcnt vmcnt(20) lgkmcnt(4)
	v_fmac_f64_e32 v[106:107], v[136:137], v[112:113]
	s_waitcnt vmcnt(18)
	v_fmac_f64_e32 v[106:107], v[138:139], v[114:115]
	s_waitcnt vmcnt(16) lgkmcnt(3)
	v_fmac_f64_e32 v[106:107], v[140:141], v[116:117]
	;; [unrolled: 4-line block ×3, first 2 shown]
	s_waitcnt vmcnt(5)
	v_fmac_f64_e32 v[106:107], v[152:153], v[122:123]
	s_waitcnt lgkmcnt(1)
	v_fmac_f64_e32 v[106:107], v[150:151], v[124:125]
	v_fmac_f64_e32 v[106:107], v[148:149], v[126:127]
	s_waitcnt vmcnt(4) lgkmcnt(0)
	v_fmac_f64_e32 v[106:107], v[146:147], v[128:129]
	s_waitcnt vmcnt(2)
	v_fmac_f64_e32 v[106:107], v[154:155], v[130:131]
	s_waitcnt vmcnt(0)
	v_add_f64 v[106:107], v[156:157], -v[106:107]
	buffer_store_dword v107, off, s[0:3], 0 offset:316
	buffer_store_dword v106, off, s[0:3], 0 offset:312
	s_and_saveexec_b64 s[4:5], vcc
	s_cbranch_execz .LBB115_243
; %bb.242:
	buffer_load_dword v106, off, s[0:3], 0 offset:304
	buffer_load_dword v107, off, s[0:3], 0 offset:308
	v_mov_b32_e32 v108, 0
	buffer_store_dword v108, off, s[0:3], 0 offset:304
	buffer_store_dword v108, off, s[0:3], 0 offset:308
	s_waitcnt vmcnt(2)
	ds_write_b64 v1, v[106:107]
.LBB115_243:
	s_or_b64 exec, exec, s[4:5]
	s_waitcnt lgkmcnt(0)
	; wave barrier
	s_waitcnt lgkmcnt(0)
	buffer_load_dword v132, off, s[0:3], 0 offset:312
	buffer_load_dword v133, off, s[0:3], 0 offset:316
	;; [unrolled: 1-line block ×28, first 2 shown]
	v_mov_b32_e32 v106, 0
	ds_read2_b64 v[108:111], v106 offset0:91 offset1:92
	ds_read2_b64 v[112:115], v106 offset0:93 offset1:94
	;; [unrolled: 1-line block ×6, first 2 shown]
	ds_read_b64 v[160:161], v106 offset:824
	v_cmp_lt_u32_e32 vcc, 37, v0
	s_waitcnt vmcnt(26) lgkmcnt(6)
	v_fma_f64 v[108:109], v[132:133], v[108:109], 0
	s_waitcnt vmcnt(24)
	v_fmac_f64_e32 v[108:109], v[134:135], v[110:111]
	s_waitcnt vmcnt(22) lgkmcnt(5)
	v_fmac_f64_e32 v[108:109], v[136:137], v[112:113]
	s_waitcnt vmcnt(20)
	v_fmac_f64_e32 v[108:109], v[138:139], v[114:115]
	s_waitcnt vmcnt(18) lgkmcnt(4)
	v_fmac_f64_e32 v[108:109], v[140:141], v[116:117]
	s_waitcnt vmcnt(16)
	v_fmac_f64_e32 v[108:109], v[142:143], v[118:119]
	s_waitcnt vmcnt(14) lgkmcnt(3)
	v_fmac_f64_e32 v[108:109], v[144:145], v[120:121]
	s_waitcnt vmcnt(6)
	v_fmac_f64_e32 v[108:109], v[152:153], v[122:123]
	s_waitcnt lgkmcnt(2)
	v_fmac_f64_e32 v[108:109], v[150:151], v[124:125]
	v_fmac_f64_e32 v[108:109], v[148:149], v[126:127]
	s_waitcnt lgkmcnt(1)
	v_fmac_f64_e32 v[108:109], v[146:147], v[128:129]
	s_waitcnt vmcnt(2)
	v_fmac_f64_e32 v[108:109], v[156:157], v[130:131]
	s_waitcnt lgkmcnt(0)
	v_fmac_f64_e32 v[108:109], v[154:155], v[160:161]
	s_waitcnt vmcnt(0)
	v_add_f64 v[108:109], v[158:159], -v[108:109]
	buffer_store_dword v109, off, s[0:3], 0 offset:308
	buffer_store_dword v108, off, s[0:3], 0 offset:304
	s_and_saveexec_b64 s[4:5], vcc
	s_cbranch_execz .LBB115_245
; %bb.244:
	buffer_load_dword v108, off, s[0:3], 0 offset:296
	buffer_load_dword v109, off, s[0:3], 0 offset:300
	s_waitcnt vmcnt(0)
	ds_write_b64 v1, v[108:109]
	buffer_store_dword v106, off, s[0:3], 0 offset:296
	buffer_store_dword v106, off, s[0:3], 0 offset:300
.LBB115_245:
	s_or_b64 exec, exec, s[4:5]
	s_waitcnt lgkmcnt(0)
	; wave barrier
	s_waitcnt lgkmcnt(0)
	buffer_load_dword v136, off, s[0:3], 0 offset:304
	buffer_load_dword v137, off, s[0:3], 0 offset:308
	;; [unrolled: 1-line block ×30, first 2 shown]
	ds_read_b128 v[108:111], v106 offset:720
	ds_read_b128 v[112:115], v106 offset:736
	;; [unrolled: 1-line block ×7, first 2 shown]
	v_cmp_lt_u32_e32 vcc, 36, v0
	s_waitcnt vmcnt(28) lgkmcnt(6)
	v_fma_f64 v[106:107], v[136:137], v[108:109], 0
	s_waitcnt vmcnt(26)
	v_fmac_f64_e32 v[106:107], v[138:139], v[110:111]
	s_waitcnt vmcnt(24) lgkmcnt(5)
	v_fmac_f64_e32 v[106:107], v[140:141], v[112:113]
	s_waitcnt vmcnt(22)
	v_fmac_f64_e32 v[106:107], v[142:143], v[114:115]
	s_waitcnt vmcnt(20) lgkmcnt(4)
	v_fmac_f64_e32 v[106:107], v[144:145], v[116:117]
	s_waitcnt vmcnt(18)
	v_fmac_f64_e32 v[106:107], v[146:147], v[118:119]
	s_waitcnt vmcnt(16) lgkmcnt(3)
	v_fmac_f64_e32 v[106:107], v[148:149], v[120:121]
	s_waitcnt vmcnt(8)
	v_fmac_f64_e32 v[106:107], v[156:157], v[122:123]
	s_waitcnt lgkmcnt(2)
	v_fmac_f64_e32 v[106:107], v[154:155], v[124:125]
	v_fmac_f64_e32 v[106:107], v[152:153], v[126:127]
	s_waitcnt lgkmcnt(1)
	v_fmac_f64_e32 v[106:107], v[150:151], v[128:129]
	s_waitcnt vmcnt(3)
	v_fmac_f64_e32 v[106:107], v[162:163], v[130:131]
	s_waitcnt lgkmcnt(0)
	v_fmac_f64_e32 v[106:107], v[160:161], v[132:133]
	s_waitcnt vmcnt(2)
	v_fmac_f64_e32 v[106:107], v[158:159], v[134:135]
	s_waitcnt vmcnt(0)
	v_add_f64 v[106:107], v[164:165], -v[106:107]
	buffer_store_dword v107, off, s[0:3], 0 offset:300
	buffer_store_dword v106, off, s[0:3], 0 offset:296
	s_and_saveexec_b64 s[4:5], vcc
	s_cbranch_execz .LBB115_247
; %bb.246:
	buffer_load_dword v106, off, s[0:3], 0 offset:288
	buffer_load_dword v107, off, s[0:3], 0 offset:292
	v_mov_b32_e32 v108, 0
	buffer_store_dword v108, off, s[0:3], 0 offset:288
	buffer_store_dword v108, off, s[0:3], 0 offset:292
	s_waitcnt vmcnt(2)
	ds_write_b64 v1, v[106:107]
.LBB115_247:
	s_or_b64 exec, exec, s[4:5]
	s_waitcnt lgkmcnt(0)
	; wave barrier
	s_waitcnt lgkmcnt(0)
	buffer_load_dword v112, off, s[0:3], 0 offset:288
	buffer_load_dword v113, off, s[0:3], 0 offset:292
	buffer_load_dword v114, off, s[0:3], 0 offset:296
	buffer_load_dword v115, off, s[0:3], 0 offset:300
	buffer_load_dword v116, off, s[0:3], 0 offset:304
	buffer_load_dword v117, off, s[0:3], 0 offset:308
	buffer_load_dword v118, off, s[0:3], 0 offset:312
	buffer_load_dword v119, off, s[0:3], 0 offset:316
	buffer_load_dword v120, off, s[0:3], 0 offset:320
	buffer_load_dword v121, off, s[0:3], 0 offset:324
	buffer_load_dword v122, off, s[0:3], 0 offset:328
	buffer_load_dword v123, off, s[0:3], 0 offset:332
	buffer_load_dword v124, off, s[0:3], 0 offset:336
	buffer_load_dword v125, off, s[0:3], 0 offset:340
	buffer_load_dword v126, off, s[0:3], 0 offset:344
	buffer_load_dword v127, off, s[0:3], 0 offset:348
	v_mov_b32_e32 v106, 0
	ds_read2_b64 v[108:111], v106 offset0:89 offset1:90
	v_cmp_lt_u32_e32 vcc, 35, v0
	s_waitcnt vmcnt(12) lgkmcnt(0)
	v_fma_f64 v[114:115], v[114:115], v[108:109], 0
	s_waitcnt vmcnt(10)
	v_fmac_f64_e32 v[114:115], v[116:117], v[110:111]
	ds_read2_b64 v[108:111], v106 offset0:91 offset1:92
	s_waitcnt vmcnt(8) lgkmcnt(0)
	v_fmac_f64_e32 v[114:115], v[118:119], v[108:109]
	s_waitcnt vmcnt(6)
	v_fmac_f64_e32 v[114:115], v[120:121], v[110:111]
	ds_read2_b64 v[108:111], v106 offset0:93 offset1:94
	s_waitcnt vmcnt(4) lgkmcnt(0)
	v_fmac_f64_e32 v[114:115], v[122:123], v[108:109]
	;; [unrolled: 5-line block ×3, first 2 shown]
	buffer_load_dword v109, off, s[0:3], 0 offset:356
	buffer_load_dword v108, off, s[0:3], 0 offset:352
	buffer_load_dword v117, off, s[0:3], 0 offset:364
	buffer_load_dword v116, off, s[0:3], 0 offset:360
	s_waitcnt vmcnt(2)
	v_fmac_f64_e32 v[114:115], v[108:109], v[110:111]
	ds_read2_b64 v[108:111], v106 offset0:97 offset1:98
	s_waitcnt vmcnt(0) lgkmcnt(0)
	v_fmac_f64_e32 v[114:115], v[116:117], v[108:109]
	buffer_load_dword v109, off, s[0:3], 0 offset:372
	buffer_load_dword v108, off, s[0:3], 0 offset:368
	buffer_load_dword v117, off, s[0:3], 0 offset:380
	buffer_load_dword v116, off, s[0:3], 0 offset:376
	s_waitcnt vmcnt(2)
	v_fmac_f64_e32 v[114:115], v[108:109], v[110:111]
	ds_read2_b64 v[108:111], v106 offset0:99 offset1:100
	s_waitcnt vmcnt(0) lgkmcnt(0)
	v_fmac_f64_e32 v[114:115], v[116:117], v[108:109]
	;; [unrolled: 9-line block ×3, first 2 shown]
	buffer_load_dword v109, off, s[0:3], 0 offset:404
	buffer_load_dword v108, off, s[0:3], 0 offset:400
	s_waitcnt vmcnt(0)
	v_fmac_f64_e32 v[114:115], v[108:109], v[110:111]
	buffer_load_dword v109, off, s[0:3], 0 offset:412
	buffer_load_dword v108, off, s[0:3], 0 offset:408
	ds_read_b64 v[110:111], v106 offset:824
	s_waitcnt vmcnt(0) lgkmcnt(0)
	v_fmac_f64_e32 v[114:115], v[108:109], v[110:111]
	v_add_f64 v[108:109], v[112:113], -v[114:115]
	buffer_store_dword v109, off, s[0:3], 0 offset:292
	buffer_store_dword v108, off, s[0:3], 0 offset:288
	s_and_saveexec_b64 s[4:5], vcc
	s_cbranch_execz .LBB115_249
; %bb.248:
	buffer_load_dword v108, off, s[0:3], 0 offset:280
	buffer_load_dword v109, off, s[0:3], 0 offset:284
	s_waitcnt vmcnt(0)
	ds_write_b64 v1, v[108:109]
	buffer_store_dword v106, off, s[0:3], 0 offset:280
	buffer_store_dword v106, off, s[0:3], 0 offset:284
.LBB115_249:
	s_or_b64 exec, exec, s[4:5]
	s_waitcnt lgkmcnt(0)
	; wave barrier
	s_waitcnt lgkmcnt(0)
	buffer_load_dword v124, off, s[0:3], 0 offset:280
	buffer_load_dword v125, off, s[0:3], 0 offset:284
	;; [unrolled: 1-line block ×16, first 2 shown]
	ds_read_b128 v[108:111], v106 offset:704
	ds_read_b128 v[112:115], v106 offset:720
	;; [unrolled: 1-line block ×4, first 2 shown]
	v_cmp_lt_u32_e32 vcc, 34, v0
	s_waitcnt vmcnt(12) lgkmcnt(3)
	v_fma_f64 v[126:127], v[126:127], v[108:109], 0
	buffer_load_dword v109, off, s[0:3], 0 offset:348
	buffer_load_dword v108, off, s[0:3], 0 offset:344
	s_waitcnt vmcnt(12)
	v_fmac_f64_e32 v[126:127], v[128:129], v[110:111]
	s_waitcnt vmcnt(10) lgkmcnt(2)
	v_fmac_f64_e32 v[126:127], v[130:131], v[112:113]
	buffer_load_dword v113, off, s[0:3], 0 offset:356
	buffer_load_dword v112, off, s[0:3], 0 offset:352
	s_waitcnt vmcnt(10)
	v_fmac_f64_e32 v[126:127], v[132:133], v[114:115]
	s_waitcnt vmcnt(8) lgkmcnt(1)
	v_fmac_f64_e32 v[126:127], v[134:135], v[116:117]
	s_waitcnt vmcnt(6)
	v_fmac_f64_e32 v[126:127], v[136:137], v[118:119]
	s_waitcnt vmcnt(4) lgkmcnt(0)
	v_fmac_f64_e32 v[126:127], v[138:139], v[120:121]
	s_waitcnt vmcnt(2)
	v_fmac_f64_e32 v[126:127], v[108:109], v[122:123]
	ds_read_b128 v[108:111], v106 offset:768
	s_waitcnt vmcnt(0) lgkmcnt(0)
	v_fmac_f64_e32 v[126:127], v[112:113], v[108:109]
	buffer_load_dword v109, off, s[0:3], 0 offset:364
	buffer_load_dword v108, off, s[0:3], 0 offset:360
	;; [unrolled: 1-line block ×4, first 2 shown]
	s_waitcnt vmcnt(2)
	v_fmac_f64_e32 v[126:127], v[108:109], v[110:111]
	ds_read_b128 v[108:111], v106 offset:784
	s_waitcnt vmcnt(0) lgkmcnt(0)
	v_fmac_f64_e32 v[126:127], v[112:113], v[108:109]
	buffer_load_dword v109, off, s[0:3], 0 offset:380
	buffer_load_dword v108, off, s[0:3], 0 offset:376
	;; [unrolled: 1-line block ×4, first 2 shown]
	s_waitcnt vmcnt(2)
	v_fmac_f64_e32 v[126:127], v[108:109], v[110:111]
	ds_read_b128 v[108:111], v106 offset:800
	s_waitcnt vmcnt(0) lgkmcnt(0)
	v_fmac_f64_e32 v[126:127], v[112:113], v[108:109]
	buffer_load_dword v109, off, s[0:3], 0 offset:396
	buffer_load_dword v108, off, s[0:3], 0 offset:392
	s_waitcnt vmcnt(0)
	v_fmac_f64_e32 v[126:127], v[108:109], v[110:111]
	buffer_load_dword v111, off, s[0:3], 0 offset:404
	buffer_load_dword v110, off, s[0:3], 0 offset:400
	ds_read_b128 v[106:109], v106 offset:816
	s_waitcnt vmcnt(0) lgkmcnt(0)
	v_fmac_f64_e32 v[126:127], v[110:111], v[106:107]
	buffer_load_dword v107, off, s[0:3], 0 offset:412
	buffer_load_dword v106, off, s[0:3], 0 offset:408
	s_waitcnt vmcnt(0)
	v_fmac_f64_e32 v[126:127], v[106:107], v[108:109]
	v_add_f64 v[106:107], v[124:125], -v[126:127]
	buffer_store_dword v107, off, s[0:3], 0 offset:284
	buffer_store_dword v106, off, s[0:3], 0 offset:280
	s_and_saveexec_b64 s[4:5], vcc
	s_cbranch_execz .LBB115_251
; %bb.250:
	buffer_load_dword v106, off, s[0:3], 0 offset:272
	buffer_load_dword v107, off, s[0:3], 0 offset:276
	v_mov_b32_e32 v108, 0
	buffer_store_dword v108, off, s[0:3], 0 offset:272
	buffer_store_dword v108, off, s[0:3], 0 offset:276
	s_waitcnt vmcnt(2)
	ds_write_b64 v1, v[106:107]
.LBB115_251:
	s_or_b64 exec, exec, s[4:5]
	s_waitcnt lgkmcnt(0)
	; wave barrier
	s_waitcnt lgkmcnt(0)
	buffer_load_dword v106, off, s[0:3], 0 offset:272
	buffer_load_dword v107, off, s[0:3], 0 offset:276
	;; [unrolled: 1-line block ×16, first 2 shown]
	v_mov_b32_e32 v110, 0
	ds_read2_b64 v[112:115], v110 offset0:87 offset1:88
	v_cmp_lt_u32_e32 vcc, 33, v0
	s_waitcnt vmcnt(12) lgkmcnt(0)
	v_fma_f64 v[108:109], v[108:109], v[112:113], 0
	s_waitcnt vmcnt(10)
	v_fmac_f64_e32 v[108:109], v[116:117], v[114:115]
	ds_read2_b64 v[112:115], v110 offset0:89 offset1:90
	s_waitcnt vmcnt(8) lgkmcnt(0)
	v_fmac_f64_e32 v[108:109], v[118:119], v[112:113]
	s_waitcnt vmcnt(6)
	v_fmac_f64_e32 v[108:109], v[120:121], v[114:115]
	ds_read2_b64 v[112:115], v110 offset0:91 offset1:92
	s_waitcnt vmcnt(4) lgkmcnt(0)
	v_fmac_f64_e32 v[108:109], v[122:123], v[112:113]
	;; [unrolled: 5-line block ×3, first 2 shown]
	buffer_load_dword v113, off, s[0:3], 0 offset:340
	buffer_load_dword v112, off, s[0:3], 0 offset:336
	buffer_load_dword v117, off, s[0:3], 0 offset:348
	buffer_load_dword v116, off, s[0:3], 0 offset:344
	s_waitcnt vmcnt(2)
	v_fmac_f64_e32 v[108:109], v[112:113], v[114:115]
	ds_read2_b64 v[112:115], v110 offset0:95 offset1:96
	s_waitcnt vmcnt(0) lgkmcnt(0)
	v_fmac_f64_e32 v[108:109], v[116:117], v[112:113]
	buffer_load_dword v113, off, s[0:3], 0 offset:356
	buffer_load_dword v112, off, s[0:3], 0 offset:352
	buffer_load_dword v117, off, s[0:3], 0 offset:364
	buffer_load_dword v116, off, s[0:3], 0 offset:360
	s_waitcnt vmcnt(2)
	v_fmac_f64_e32 v[108:109], v[112:113], v[114:115]
	ds_read2_b64 v[112:115], v110 offset0:97 offset1:98
	s_waitcnt vmcnt(0) lgkmcnt(0)
	v_fmac_f64_e32 v[108:109], v[116:117], v[112:113]
	;; [unrolled: 9-line block ×4, first 2 shown]
	buffer_load_dword v113, off, s[0:3], 0 offset:404
	buffer_load_dword v112, off, s[0:3], 0 offset:400
	s_waitcnt vmcnt(0)
	v_fmac_f64_e32 v[108:109], v[112:113], v[114:115]
	buffer_load_dword v113, off, s[0:3], 0 offset:412
	buffer_load_dword v112, off, s[0:3], 0 offset:408
	ds_read_b64 v[114:115], v110 offset:824
	s_waitcnt vmcnt(0) lgkmcnt(0)
	v_fmac_f64_e32 v[108:109], v[112:113], v[114:115]
	v_add_f64 v[106:107], v[106:107], -v[108:109]
	buffer_store_dword v107, off, s[0:3], 0 offset:276
	buffer_store_dword v106, off, s[0:3], 0 offset:272
	s_and_saveexec_b64 s[4:5], vcc
	s_cbranch_execz .LBB115_253
; %bb.252:
	buffer_load_dword v106, off, s[0:3], 0 offset:264
	buffer_load_dword v107, off, s[0:3], 0 offset:268
	s_waitcnt vmcnt(0)
	ds_write_b64 v1, v[106:107]
	buffer_store_dword v110, off, s[0:3], 0 offset:264
	buffer_store_dword v110, off, s[0:3], 0 offset:268
.LBB115_253:
	s_or_b64 exec, exec, s[4:5]
	s_waitcnt lgkmcnt(0)
	; wave barrier
	s_waitcnt lgkmcnt(0)
	buffer_load_dword v106, off, s[0:3], 0 offset:264
	buffer_load_dword v107, off, s[0:3], 0 offset:268
	buffer_load_dword v108, off, s[0:3], 0 offset:272
	buffer_load_dword v109, off, s[0:3], 0 offset:276
	buffer_load_dword v128, off, s[0:3], 0 offset:280
	buffer_load_dword v129, off, s[0:3], 0 offset:284
	buffer_load_dword v130, off, s[0:3], 0 offset:288
	buffer_load_dword v131, off, s[0:3], 0 offset:292
	buffer_load_dword v132, off, s[0:3], 0 offset:296
	buffer_load_dword v133, off, s[0:3], 0 offset:300
	buffer_load_dword v134, off, s[0:3], 0 offset:304
	buffer_load_dword v135, off, s[0:3], 0 offset:308
	buffer_load_dword v136, off, s[0:3], 0 offset:312
	buffer_load_dword v137, off, s[0:3], 0 offset:316
	buffer_load_dword v138, off, s[0:3], 0 offset:320
	buffer_load_dword v139, off, s[0:3], 0 offset:324
	ds_read_b128 v[112:115], v110 offset:688
	ds_read_b128 v[116:119], v110 offset:704
	ds_read_b128 v[120:123], v110 offset:720
	ds_read_b128 v[124:127], v110 offset:736
	v_cmp_lt_u32_e32 vcc, 32, v0
	s_waitcnt vmcnt(12) lgkmcnt(3)
	v_fma_f64 v[108:109], v[108:109], v[112:113], 0
	buffer_load_dword v113, off, s[0:3], 0 offset:332
	buffer_load_dword v112, off, s[0:3], 0 offset:328
	s_waitcnt vmcnt(12)
	v_fmac_f64_e32 v[108:109], v[128:129], v[114:115]
	s_waitcnt vmcnt(10) lgkmcnt(2)
	v_fmac_f64_e32 v[108:109], v[130:131], v[116:117]
	buffer_load_dword v117, off, s[0:3], 0 offset:340
	buffer_load_dword v116, off, s[0:3], 0 offset:336
	s_waitcnt vmcnt(10)
	v_fmac_f64_e32 v[108:109], v[132:133], v[118:119]
	s_waitcnt vmcnt(8) lgkmcnt(1)
	v_fmac_f64_e32 v[108:109], v[134:135], v[120:121]
	s_waitcnt vmcnt(6)
	v_fmac_f64_e32 v[108:109], v[136:137], v[122:123]
	s_waitcnt vmcnt(4) lgkmcnt(0)
	v_fmac_f64_e32 v[108:109], v[138:139], v[124:125]
	s_waitcnt vmcnt(2)
	v_fmac_f64_e32 v[108:109], v[112:113], v[126:127]
	ds_read_b128 v[112:115], v110 offset:752
	s_waitcnt vmcnt(0) lgkmcnt(0)
	v_fmac_f64_e32 v[108:109], v[116:117], v[112:113]
	buffer_load_dword v113, off, s[0:3], 0 offset:348
	buffer_load_dword v112, off, s[0:3], 0 offset:344
	buffer_load_dword v117, off, s[0:3], 0 offset:356
	buffer_load_dword v116, off, s[0:3], 0 offset:352
	s_waitcnt vmcnt(2)
	v_fmac_f64_e32 v[108:109], v[112:113], v[114:115]
	ds_read_b128 v[112:115], v110 offset:768
	s_waitcnt vmcnt(0) lgkmcnt(0)
	v_fmac_f64_e32 v[108:109], v[116:117], v[112:113]
	buffer_load_dword v113, off, s[0:3], 0 offset:364
	buffer_load_dword v112, off, s[0:3], 0 offset:360
	buffer_load_dword v117, off, s[0:3], 0 offset:372
	buffer_load_dword v116, off, s[0:3], 0 offset:368
	;; [unrolled: 9-line block ×3, first 2 shown]
	s_waitcnt vmcnt(2)
	v_fmac_f64_e32 v[108:109], v[112:113], v[114:115]
	ds_read_b128 v[112:115], v110 offset:800
	s_waitcnt vmcnt(0) lgkmcnt(0)
	v_fmac_f64_e32 v[108:109], v[116:117], v[112:113]
	buffer_load_dword v113, off, s[0:3], 0 offset:396
	buffer_load_dword v112, off, s[0:3], 0 offset:392
	s_waitcnt vmcnt(0)
	v_fmac_f64_e32 v[108:109], v[112:113], v[114:115]
	buffer_load_dword v115, off, s[0:3], 0 offset:404
	buffer_load_dword v114, off, s[0:3], 0 offset:400
	ds_read_b128 v[110:113], v110 offset:816
	s_waitcnt vmcnt(0) lgkmcnt(0)
	v_fmac_f64_e32 v[108:109], v[114:115], v[110:111]
	buffer_load_dword v111, off, s[0:3], 0 offset:412
	buffer_load_dword v110, off, s[0:3], 0 offset:408
	s_waitcnt vmcnt(0)
	v_fmac_f64_e32 v[108:109], v[110:111], v[112:113]
	v_add_f64 v[106:107], v[106:107], -v[108:109]
	buffer_store_dword v107, off, s[0:3], 0 offset:268
	buffer_store_dword v106, off, s[0:3], 0 offset:264
	s_and_saveexec_b64 s[4:5], vcc
	s_cbranch_execz .LBB115_255
; %bb.254:
	buffer_load_dword v106, off, s[0:3], 0 offset:256
	buffer_load_dword v107, off, s[0:3], 0 offset:260
	v_mov_b32_e32 v108, 0
	buffer_store_dword v108, off, s[0:3], 0 offset:256
	buffer_store_dword v108, off, s[0:3], 0 offset:260
	s_waitcnt vmcnt(2)
	ds_write_b64 v1, v[106:107]
.LBB115_255:
	s_or_b64 exec, exec, s[4:5]
	s_waitcnt lgkmcnt(0)
	; wave barrier
	s_waitcnt lgkmcnt(0)
	buffer_load_dword v106, off, s[0:3], 0 offset:256
	buffer_load_dword v107, off, s[0:3], 0 offset:260
	;; [unrolled: 1-line block ×16, first 2 shown]
	v_mov_b32_e32 v110, 0
	ds_read2_b64 v[112:115], v110 offset0:85 offset1:86
	v_cmp_lt_u32_e32 vcc, 31, v0
	s_waitcnt vmcnt(12) lgkmcnt(0)
	v_fma_f64 v[108:109], v[108:109], v[112:113], 0
	s_waitcnt vmcnt(10)
	v_fmac_f64_e32 v[108:109], v[116:117], v[114:115]
	ds_read2_b64 v[112:115], v110 offset0:87 offset1:88
	s_waitcnt vmcnt(8) lgkmcnt(0)
	v_fmac_f64_e32 v[108:109], v[118:119], v[112:113]
	s_waitcnt vmcnt(6)
	v_fmac_f64_e32 v[108:109], v[120:121], v[114:115]
	ds_read2_b64 v[112:115], v110 offset0:89 offset1:90
	s_waitcnt vmcnt(4) lgkmcnt(0)
	v_fmac_f64_e32 v[108:109], v[122:123], v[112:113]
	s_waitcnt vmcnt(2)
	v_fmac_f64_e32 v[108:109], v[124:125], v[114:115]
	ds_read2_b64 v[112:115], v110 offset0:91 offset1:92
	s_waitcnt vmcnt(0) lgkmcnt(0)
	v_fmac_f64_e32 v[108:109], v[126:127], v[112:113]
	buffer_load_dword v113, off, s[0:3], 0 offset:324
	buffer_load_dword v112, off, s[0:3], 0 offset:320
	buffer_load_dword v117, off, s[0:3], 0 offset:332
	buffer_load_dword v116, off, s[0:3], 0 offset:328
	s_waitcnt vmcnt(2)
	v_fmac_f64_e32 v[108:109], v[112:113], v[114:115]
	ds_read2_b64 v[112:115], v110 offset0:93 offset1:94
	s_waitcnt vmcnt(0) lgkmcnt(0)
	v_fmac_f64_e32 v[108:109], v[116:117], v[112:113]
	buffer_load_dword v113, off, s[0:3], 0 offset:340
	buffer_load_dword v112, off, s[0:3], 0 offset:336
	buffer_load_dword v117, off, s[0:3], 0 offset:348
	buffer_load_dword v116, off, s[0:3], 0 offset:344
	s_waitcnt vmcnt(2)
	v_fmac_f64_e32 v[108:109], v[112:113], v[114:115]
	ds_read2_b64 v[112:115], v110 offset0:95 offset1:96
	s_waitcnt vmcnt(0) lgkmcnt(0)
	v_fmac_f64_e32 v[108:109], v[116:117], v[112:113]
	buffer_load_dword v113, off, s[0:3], 0 offset:356
	buffer_load_dword v112, off, s[0:3], 0 offset:352
	buffer_load_dword v117, off, s[0:3], 0 offset:364
	buffer_load_dword v116, off, s[0:3], 0 offset:360
	s_waitcnt vmcnt(2)
	v_fmac_f64_e32 v[108:109], v[112:113], v[114:115]
	ds_read2_b64 v[112:115], v110 offset0:97 offset1:98
	s_waitcnt vmcnt(0) lgkmcnt(0)
	v_fmac_f64_e32 v[108:109], v[116:117], v[112:113]
	buffer_load_dword v113, off, s[0:3], 0 offset:372
	buffer_load_dword v112, off, s[0:3], 0 offset:368
	buffer_load_dword v117, off, s[0:3], 0 offset:380
	buffer_load_dword v116, off, s[0:3], 0 offset:376
	s_waitcnt vmcnt(2)
	v_fmac_f64_e32 v[108:109], v[112:113], v[114:115]
	ds_read2_b64 v[112:115], v110 offset0:99 offset1:100
	s_waitcnt vmcnt(0) lgkmcnt(0)
	v_fmac_f64_e32 v[108:109], v[116:117], v[112:113]
	buffer_load_dword v113, off, s[0:3], 0 offset:388
	buffer_load_dword v112, off, s[0:3], 0 offset:384
	buffer_load_dword v117, off, s[0:3], 0 offset:396
	buffer_load_dword v116, off, s[0:3], 0 offset:392
	s_waitcnt vmcnt(2)
	v_fmac_f64_e32 v[108:109], v[112:113], v[114:115]
	ds_read2_b64 v[112:115], v110 offset0:101 offset1:102
	s_waitcnt vmcnt(0) lgkmcnt(0)
	v_fmac_f64_e32 v[108:109], v[116:117], v[112:113]
	buffer_load_dword v113, off, s[0:3], 0 offset:404
	buffer_load_dword v112, off, s[0:3], 0 offset:400
	s_waitcnt vmcnt(0)
	v_fmac_f64_e32 v[108:109], v[112:113], v[114:115]
	buffer_load_dword v113, off, s[0:3], 0 offset:412
	buffer_load_dword v112, off, s[0:3], 0 offset:408
	ds_read_b64 v[114:115], v110 offset:824
	s_waitcnt vmcnt(0) lgkmcnt(0)
	v_fmac_f64_e32 v[108:109], v[112:113], v[114:115]
	v_add_f64 v[106:107], v[106:107], -v[108:109]
	buffer_store_dword v107, off, s[0:3], 0 offset:260
	buffer_store_dword v106, off, s[0:3], 0 offset:256
	s_and_saveexec_b64 s[4:5], vcc
	s_cbranch_execz .LBB115_257
; %bb.256:
	buffer_load_dword v106, off, s[0:3], 0 offset:248
	buffer_load_dword v107, off, s[0:3], 0 offset:252
	s_waitcnt vmcnt(0)
	ds_write_b64 v1, v[106:107]
	buffer_store_dword v110, off, s[0:3], 0 offset:248
	buffer_store_dword v110, off, s[0:3], 0 offset:252
.LBB115_257:
	s_or_b64 exec, exec, s[4:5]
	s_waitcnt lgkmcnt(0)
	; wave barrier
	s_waitcnt lgkmcnt(0)
	buffer_load_dword v106, off, s[0:3], 0 offset:248
	buffer_load_dword v107, off, s[0:3], 0 offset:252
	;; [unrolled: 1-line block ×16, first 2 shown]
	ds_read_b128 v[112:115], v110 offset:672
	ds_read_b128 v[116:119], v110 offset:688
	;; [unrolled: 1-line block ×4, first 2 shown]
	v_cmp_lt_u32_e32 vcc, 30, v0
	s_waitcnt vmcnt(12) lgkmcnt(3)
	v_fma_f64 v[108:109], v[108:109], v[112:113], 0
	buffer_load_dword v113, off, s[0:3], 0 offset:316
	buffer_load_dword v112, off, s[0:3], 0 offset:312
	s_waitcnt vmcnt(12)
	v_fmac_f64_e32 v[108:109], v[128:129], v[114:115]
	s_waitcnt vmcnt(10) lgkmcnt(2)
	v_fmac_f64_e32 v[108:109], v[130:131], v[116:117]
	buffer_load_dword v117, off, s[0:3], 0 offset:324
	buffer_load_dword v116, off, s[0:3], 0 offset:320
	s_waitcnt vmcnt(10)
	v_fmac_f64_e32 v[108:109], v[132:133], v[118:119]
	s_waitcnt vmcnt(8) lgkmcnt(1)
	v_fmac_f64_e32 v[108:109], v[134:135], v[120:121]
	s_waitcnt vmcnt(6)
	v_fmac_f64_e32 v[108:109], v[136:137], v[122:123]
	s_waitcnt vmcnt(4) lgkmcnt(0)
	v_fmac_f64_e32 v[108:109], v[138:139], v[124:125]
	s_waitcnt vmcnt(2)
	v_fmac_f64_e32 v[108:109], v[112:113], v[126:127]
	ds_read_b128 v[112:115], v110 offset:736
	s_waitcnt vmcnt(0) lgkmcnt(0)
	v_fmac_f64_e32 v[108:109], v[116:117], v[112:113]
	buffer_load_dword v113, off, s[0:3], 0 offset:332
	buffer_load_dword v112, off, s[0:3], 0 offset:328
	buffer_load_dword v117, off, s[0:3], 0 offset:340
	buffer_load_dword v116, off, s[0:3], 0 offset:336
	s_waitcnt vmcnt(2)
	v_fmac_f64_e32 v[108:109], v[112:113], v[114:115]
	ds_read_b128 v[112:115], v110 offset:752
	s_waitcnt vmcnt(0) lgkmcnt(0)
	v_fmac_f64_e32 v[108:109], v[116:117], v[112:113]
	buffer_load_dword v113, off, s[0:3], 0 offset:348
	buffer_load_dword v112, off, s[0:3], 0 offset:344
	buffer_load_dword v117, off, s[0:3], 0 offset:356
	buffer_load_dword v116, off, s[0:3], 0 offset:352
	;; [unrolled: 9-line block ×4, first 2 shown]
	s_waitcnt vmcnt(2)
	v_fmac_f64_e32 v[108:109], v[112:113], v[114:115]
	ds_read_b128 v[112:115], v110 offset:800
	s_waitcnt vmcnt(0) lgkmcnt(0)
	v_fmac_f64_e32 v[108:109], v[116:117], v[112:113]
	buffer_load_dword v113, off, s[0:3], 0 offset:396
	buffer_load_dword v112, off, s[0:3], 0 offset:392
	s_waitcnt vmcnt(0)
	v_fmac_f64_e32 v[108:109], v[112:113], v[114:115]
	buffer_load_dword v115, off, s[0:3], 0 offset:404
	buffer_load_dword v114, off, s[0:3], 0 offset:400
	ds_read_b128 v[110:113], v110 offset:816
	s_waitcnt vmcnt(0) lgkmcnt(0)
	v_fmac_f64_e32 v[108:109], v[114:115], v[110:111]
	buffer_load_dword v111, off, s[0:3], 0 offset:412
	buffer_load_dword v110, off, s[0:3], 0 offset:408
	s_waitcnt vmcnt(0)
	v_fmac_f64_e32 v[108:109], v[110:111], v[112:113]
	v_add_f64 v[106:107], v[106:107], -v[108:109]
	buffer_store_dword v107, off, s[0:3], 0 offset:252
	buffer_store_dword v106, off, s[0:3], 0 offset:248
	s_and_saveexec_b64 s[4:5], vcc
	s_cbranch_execz .LBB115_259
; %bb.258:
	buffer_load_dword v106, off, s[0:3], 0 offset:240
	buffer_load_dword v107, off, s[0:3], 0 offset:244
	v_mov_b32_e32 v108, 0
	buffer_store_dword v108, off, s[0:3], 0 offset:240
	buffer_store_dword v108, off, s[0:3], 0 offset:244
	s_waitcnt vmcnt(2)
	ds_write_b64 v1, v[106:107]
.LBB115_259:
	s_or_b64 exec, exec, s[4:5]
	s_waitcnt lgkmcnt(0)
	; wave barrier
	s_waitcnt lgkmcnt(0)
	buffer_load_dword v106, off, s[0:3], 0 offset:240
	buffer_load_dword v107, off, s[0:3], 0 offset:244
	;; [unrolled: 1-line block ×16, first 2 shown]
	v_mov_b32_e32 v110, 0
	ds_read2_b64 v[112:115], v110 offset0:83 offset1:84
	v_cmp_lt_u32_e32 vcc, 29, v0
	s_waitcnt vmcnt(12) lgkmcnt(0)
	v_fma_f64 v[108:109], v[108:109], v[112:113], 0
	s_waitcnt vmcnt(10)
	v_fmac_f64_e32 v[108:109], v[116:117], v[114:115]
	ds_read2_b64 v[112:115], v110 offset0:85 offset1:86
	s_waitcnt vmcnt(8) lgkmcnt(0)
	v_fmac_f64_e32 v[108:109], v[118:119], v[112:113]
	s_waitcnt vmcnt(6)
	v_fmac_f64_e32 v[108:109], v[120:121], v[114:115]
	ds_read2_b64 v[112:115], v110 offset0:87 offset1:88
	s_waitcnt vmcnt(4) lgkmcnt(0)
	v_fmac_f64_e32 v[108:109], v[122:123], v[112:113]
	;; [unrolled: 5-line block ×3, first 2 shown]
	buffer_load_dword v113, off, s[0:3], 0 offset:308
	buffer_load_dword v112, off, s[0:3], 0 offset:304
	buffer_load_dword v117, off, s[0:3], 0 offset:316
	buffer_load_dword v116, off, s[0:3], 0 offset:312
	s_waitcnt vmcnt(2)
	v_fmac_f64_e32 v[108:109], v[112:113], v[114:115]
	ds_read2_b64 v[112:115], v110 offset0:91 offset1:92
	s_waitcnt vmcnt(0) lgkmcnt(0)
	v_fmac_f64_e32 v[108:109], v[116:117], v[112:113]
	buffer_load_dword v113, off, s[0:3], 0 offset:324
	buffer_load_dword v112, off, s[0:3], 0 offset:320
	buffer_load_dword v117, off, s[0:3], 0 offset:332
	buffer_load_dword v116, off, s[0:3], 0 offset:328
	s_waitcnt vmcnt(2)
	v_fmac_f64_e32 v[108:109], v[112:113], v[114:115]
	ds_read2_b64 v[112:115], v110 offset0:93 offset1:94
	s_waitcnt vmcnt(0) lgkmcnt(0)
	v_fmac_f64_e32 v[108:109], v[116:117], v[112:113]
	buffer_load_dword v113, off, s[0:3], 0 offset:340
	buffer_load_dword v112, off, s[0:3], 0 offset:336
	buffer_load_dword v117, off, s[0:3], 0 offset:348
	buffer_load_dword v116, off, s[0:3], 0 offset:344
	s_waitcnt vmcnt(2)
	v_fmac_f64_e32 v[108:109], v[112:113], v[114:115]
	ds_read2_b64 v[112:115], v110 offset0:95 offset1:96
	s_waitcnt vmcnt(0) lgkmcnt(0)
	v_fmac_f64_e32 v[108:109], v[116:117], v[112:113]
	buffer_load_dword v113, off, s[0:3], 0 offset:356
	buffer_load_dword v112, off, s[0:3], 0 offset:352
	buffer_load_dword v117, off, s[0:3], 0 offset:364
	buffer_load_dword v116, off, s[0:3], 0 offset:360
	s_waitcnt vmcnt(2)
	v_fmac_f64_e32 v[108:109], v[112:113], v[114:115]
	ds_read2_b64 v[112:115], v110 offset0:97 offset1:98
	s_waitcnt vmcnt(0) lgkmcnt(0)
	v_fmac_f64_e32 v[108:109], v[116:117], v[112:113]
	buffer_load_dword v113, off, s[0:3], 0 offset:372
	buffer_load_dword v112, off, s[0:3], 0 offset:368
	buffer_load_dword v117, off, s[0:3], 0 offset:380
	buffer_load_dword v116, off, s[0:3], 0 offset:376
	s_waitcnt vmcnt(2)
	v_fmac_f64_e32 v[108:109], v[112:113], v[114:115]
	ds_read2_b64 v[112:115], v110 offset0:99 offset1:100
	s_waitcnt vmcnt(0) lgkmcnt(0)
	v_fmac_f64_e32 v[108:109], v[116:117], v[112:113]
	buffer_load_dword v113, off, s[0:3], 0 offset:388
	buffer_load_dword v112, off, s[0:3], 0 offset:384
	buffer_load_dword v117, off, s[0:3], 0 offset:396
	buffer_load_dword v116, off, s[0:3], 0 offset:392
	s_waitcnt vmcnt(2)
	v_fmac_f64_e32 v[108:109], v[112:113], v[114:115]
	ds_read2_b64 v[112:115], v110 offset0:101 offset1:102
	s_waitcnt vmcnt(0) lgkmcnt(0)
	v_fmac_f64_e32 v[108:109], v[116:117], v[112:113]
	buffer_load_dword v113, off, s[0:3], 0 offset:404
	buffer_load_dword v112, off, s[0:3], 0 offset:400
	s_waitcnt vmcnt(0)
	v_fmac_f64_e32 v[108:109], v[112:113], v[114:115]
	buffer_load_dword v113, off, s[0:3], 0 offset:412
	buffer_load_dword v112, off, s[0:3], 0 offset:408
	ds_read_b64 v[114:115], v110 offset:824
	s_waitcnt vmcnt(0) lgkmcnt(0)
	v_fmac_f64_e32 v[108:109], v[112:113], v[114:115]
	v_add_f64 v[106:107], v[106:107], -v[108:109]
	buffer_store_dword v107, off, s[0:3], 0 offset:244
	buffer_store_dword v106, off, s[0:3], 0 offset:240
	s_and_saveexec_b64 s[4:5], vcc
	s_cbranch_execz .LBB115_261
; %bb.260:
	buffer_load_dword v106, off, s[0:3], 0 offset:232
	buffer_load_dword v107, off, s[0:3], 0 offset:236
	s_waitcnt vmcnt(0)
	ds_write_b64 v1, v[106:107]
	buffer_store_dword v110, off, s[0:3], 0 offset:232
	buffer_store_dword v110, off, s[0:3], 0 offset:236
.LBB115_261:
	s_or_b64 exec, exec, s[4:5]
	s_waitcnt lgkmcnt(0)
	; wave barrier
	s_waitcnt lgkmcnt(0)
	buffer_load_dword v106, off, s[0:3], 0 offset:232
	buffer_load_dword v107, off, s[0:3], 0 offset:236
	;; [unrolled: 1-line block ×16, first 2 shown]
	ds_read_b128 v[112:115], v110 offset:656
	ds_read_b128 v[116:119], v110 offset:672
	ds_read_b128 v[120:123], v110 offset:688
	ds_read_b128 v[124:127], v110 offset:704
	v_cmp_lt_u32_e32 vcc, 28, v0
	s_waitcnt vmcnt(12) lgkmcnt(3)
	v_fma_f64 v[108:109], v[108:109], v[112:113], 0
	buffer_load_dword v113, off, s[0:3], 0 offset:300
	buffer_load_dword v112, off, s[0:3], 0 offset:296
	s_waitcnt vmcnt(12)
	v_fmac_f64_e32 v[108:109], v[128:129], v[114:115]
	s_waitcnt vmcnt(10) lgkmcnt(2)
	v_fmac_f64_e32 v[108:109], v[130:131], v[116:117]
	buffer_load_dword v117, off, s[0:3], 0 offset:308
	buffer_load_dword v116, off, s[0:3], 0 offset:304
	s_waitcnt vmcnt(10)
	v_fmac_f64_e32 v[108:109], v[132:133], v[118:119]
	s_waitcnt vmcnt(8) lgkmcnt(1)
	v_fmac_f64_e32 v[108:109], v[134:135], v[120:121]
	s_waitcnt vmcnt(6)
	v_fmac_f64_e32 v[108:109], v[136:137], v[122:123]
	s_waitcnt vmcnt(4) lgkmcnt(0)
	v_fmac_f64_e32 v[108:109], v[138:139], v[124:125]
	s_waitcnt vmcnt(2)
	v_fmac_f64_e32 v[108:109], v[112:113], v[126:127]
	ds_read_b128 v[112:115], v110 offset:720
	s_waitcnt vmcnt(0) lgkmcnt(0)
	v_fmac_f64_e32 v[108:109], v[116:117], v[112:113]
	buffer_load_dword v113, off, s[0:3], 0 offset:316
	buffer_load_dword v112, off, s[0:3], 0 offset:312
	buffer_load_dword v117, off, s[0:3], 0 offset:324
	buffer_load_dword v116, off, s[0:3], 0 offset:320
	s_waitcnt vmcnt(2)
	v_fmac_f64_e32 v[108:109], v[112:113], v[114:115]
	ds_read_b128 v[112:115], v110 offset:736
	s_waitcnt vmcnt(0) lgkmcnt(0)
	v_fmac_f64_e32 v[108:109], v[116:117], v[112:113]
	buffer_load_dword v113, off, s[0:3], 0 offset:332
	buffer_load_dword v112, off, s[0:3], 0 offset:328
	buffer_load_dword v117, off, s[0:3], 0 offset:340
	buffer_load_dword v116, off, s[0:3], 0 offset:336
	;; [unrolled: 9-line block ×5, first 2 shown]
	s_waitcnt vmcnt(2)
	v_fmac_f64_e32 v[108:109], v[112:113], v[114:115]
	ds_read_b128 v[112:115], v110 offset:800
	s_waitcnt vmcnt(0) lgkmcnt(0)
	v_fmac_f64_e32 v[108:109], v[116:117], v[112:113]
	buffer_load_dword v113, off, s[0:3], 0 offset:396
	buffer_load_dword v112, off, s[0:3], 0 offset:392
	s_waitcnt vmcnt(0)
	v_fmac_f64_e32 v[108:109], v[112:113], v[114:115]
	buffer_load_dword v115, off, s[0:3], 0 offset:404
	buffer_load_dword v114, off, s[0:3], 0 offset:400
	ds_read_b128 v[110:113], v110 offset:816
	s_waitcnt vmcnt(0) lgkmcnt(0)
	v_fmac_f64_e32 v[108:109], v[114:115], v[110:111]
	buffer_load_dword v111, off, s[0:3], 0 offset:412
	buffer_load_dword v110, off, s[0:3], 0 offset:408
	s_waitcnt vmcnt(0)
	v_fmac_f64_e32 v[108:109], v[110:111], v[112:113]
	v_add_f64 v[106:107], v[106:107], -v[108:109]
	buffer_store_dword v107, off, s[0:3], 0 offset:236
	buffer_store_dword v106, off, s[0:3], 0 offset:232
	s_and_saveexec_b64 s[4:5], vcc
	s_cbranch_execz .LBB115_263
; %bb.262:
	buffer_load_dword v106, off, s[0:3], 0 offset:224
	buffer_load_dword v107, off, s[0:3], 0 offset:228
	v_mov_b32_e32 v108, 0
	buffer_store_dword v108, off, s[0:3], 0 offset:224
	buffer_store_dword v108, off, s[0:3], 0 offset:228
	s_waitcnt vmcnt(2)
	ds_write_b64 v1, v[106:107]
.LBB115_263:
	s_or_b64 exec, exec, s[4:5]
	s_waitcnt lgkmcnt(0)
	; wave barrier
	s_waitcnt lgkmcnt(0)
	buffer_load_dword v106, off, s[0:3], 0 offset:224
	buffer_load_dword v107, off, s[0:3], 0 offset:228
	;; [unrolled: 1-line block ×16, first 2 shown]
	v_mov_b32_e32 v110, 0
	ds_read2_b64 v[112:115], v110 offset0:81 offset1:82
	v_cmp_lt_u32_e32 vcc, 27, v0
	s_waitcnt vmcnt(12) lgkmcnt(0)
	v_fma_f64 v[108:109], v[108:109], v[112:113], 0
	s_waitcnt vmcnt(10)
	v_fmac_f64_e32 v[108:109], v[116:117], v[114:115]
	ds_read2_b64 v[112:115], v110 offset0:83 offset1:84
	s_waitcnt vmcnt(8) lgkmcnt(0)
	v_fmac_f64_e32 v[108:109], v[118:119], v[112:113]
	s_waitcnt vmcnt(6)
	v_fmac_f64_e32 v[108:109], v[120:121], v[114:115]
	ds_read2_b64 v[112:115], v110 offset0:85 offset1:86
	s_waitcnt vmcnt(4) lgkmcnt(0)
	v_fmac_f64_e32 v[108:109], v[122:123], v[112:113]
	;; [unrolled: 5-line block ×3, first 2 shown]
	buffer_load_dword v113, off, s[0:3], 0 offset:292
	buffer_load_dword v112, off, s[0:3], 0 offset:288
	buffer_load_dword v117, off, s[0:3], 0 offset:300
	buffer_load_dword v116, off, s[0:3], 0 offset:296
	s_waitcnt vmcnt(2)
	v_fmac_f64_e32 v[108:109], v[112:113], v[114:115]
	ds_read2_b64 v[112:115], v110 offset0:89 offset1:90
	s_waitcnt vmcnt(0) lgkmcnt(0)
	v_fmac_f64_e32 v[108:109], v[116:117], v[112:113]
	buffer_load_dword v113, off, s[0:3], 0 offset:308
	buffer_load_dword v112, off, s[0:3], 0 offset:304
	buffer_load_dword v117, off, s[0:3], 0 offset:316
	buffer_load_dword v116, off, s[0:3], 0 offset:312
	s_waitcnt vmcnt(2)
	v_fmac_f64_e32 v[108:109], v[112:113], v[114:115]
	ds_read2_b64 v[112:115], v110 offset0:91 offset1:92
	s_waitcnt vmcnt(0) lgkmcnt(0)
	v_fmac_f64_e32 v[108:109], v[116:117], v[112:113]
	;; [unrolled: 9-line block ×7, first 2 shown]
	buffer_load_dword v113, off, s[0:3], 0 offset:404
	buffer_load_dword v112, off, s[0:3], 0 offset:400
	s_waitcnt vmcnt(0)
	v_fmac_f64_e32 v[108:109], v[112:113], v[114:115]
	buffer_load_dword v113, off, s[0:3], 0 offset:412
	buffer_load_dword v112, off, s[0:3], 0 offset:408
	ds_read_b64 v[114:115], v110 offset:824
	s_waitcnt vmcnt(0) lgkmcnt(0)
	v_fmac_f64_e32 v[108:109], v[112:113], v[114:115]
	v_add_f64 v[106:107], v[106:107], -v[108:109]
	buffer_store_dword v107, off, s[0:3], 0 offset:228
	buffer_store_dword v106, off, s[0:3], 0 offset:224
	s_and_saveexec_b64 s[4:5], vcc
	s_cbranch_execz .LBB115_265
; %bb.264:
	buffer_load_dword v106, off, s[0:3], 0 offset:216
	buffer_load_dword v107, off, s[0:3], 0 offset:220
	s_waitcnt vmcnt(0)
	ds_write_b64 v1, v[106:107]
	buffer_store_dword v110, off, s[0:3], 0 offset:216
	buffer_store_dword v110, off, s[0:3], 0 offset:220
.LBB115_265:
	s_or_b64 exec, exec, s[4:5]
	s_waitcnt lgkmcnt(0)
	; wave barrier
	s_waitcnt lgkmcnt(0)
	buffer_load_dword v106, off, s[0:3], 0 offset:216
	buffer_load_dword v107, off, s[0:3], 0 offset:220
	buffer_load_dword v108, off, s[0:3], 0 offset:224
	buffer_load_dword v109, off, s[0:3], 0 offset:228
	buffer_load_dword v128, off, s[0:3], 0 offset:232
	buffer_load_dword v129, off, s[0:3], 0 offset:236
	buffer_load_dword v130, off, s[0:3], 0 offset:240
	buffer_load_dword v131, off, s[0:3], 0 offset:244
	buffer_load_dword v132, off, s[0:3], 0 offset:248
	buffer_load_dword v133, off, s[0:3], 0 offset:252
	buffer_load_dword v134, off, s[0:3], 0 offset:256
	buffer_load_dword v135, off, s[0:3], 0 offset:260
	buffer_load_dword v136, off, s[0:3], 0 offset:264
	buffer_load_dword v137, off, s[0:3], 0 offset:268
	buffer_load_dword v138, off, s[0:3], 0 offset:272
	buffer_load_dword v139, off, s[0:3], 0 offset:276
	ds_read_b128 v[112:115], v110 offset:640
	ds_read_b128 v[116:119], v110 offset:656
	;; [unrolled: 1-line block ×4, first 2 shown]
	v_cmp_lt_u32_e32 vcc, 26, v0
	s_waitcnt vmcnt(12) lgkmcnt(3)
	v_fma_f64 v[108:109], v[108:109], v[112:113], 0
	buffer_load_dword v113, off, s[0:3], 0 offset:284
	buffer_load_dword v112, off, s[0:3], 0 offset:280
	s_waitcnt vmcnt(12)
	v_fmac_f64_e32 v[108:109], v[128:129], v[114:115]
	s_waitcnt vmcnt(10) lgkmcnt(2)
	v_fmac_f64_e32 v[108:109], v[130:131], v[116:117]
	buffer_load_dword v117, off, s[0:3], 0 offset:292
	buffer_load_dword v116, off, s[0:3], 0 offset:288
	s_waitcnt vmcnt(10)
	v_fmac_f64_e32 v[108:109], v[132:133], v[118:119]
	s_waitcnt vmcnt(8) lgkmcnt(1)
	v_fmac_f64_e32 v[108:109], v[134:135], v[120:121]
	s_waitcnt vmcnt(6)
	v_fmac_f64_e32 v[108:109], v[136:137], v[122:123]
	s_waitcnt vmcnt(4) lgkmcnt(0)
	v_fmac_f64_e32 v[108:109], v[138:139], v[124:125]
	s_waitcnt vmcnt(2)
	v_fmac_f64_e32 v[108:109], v[112:113], v[126:127]
	ds_read_b128 v[112:115], v110 offset:704
	s_waitcnt vmcnt(0) lgkmcnt(0)
	v_fmac_f64_e32 v[108:109], v[116:117], v[112:113]
	buffer_load_dword v113, off, s[0:3], 0 offset:300
	buffer_load_dword v112, off, s[0:3], 0 offset:296
	buffer_load_dword v117, off, s[0:3], 0 offset:308
	buffer_load_dword v116, off, s[0:3], 0 offset:304
	s_waitcnt vmcnt(2)
	v_fmac_f64_e32 v[108:109], v[112:113], v[114:115]
	ds_read_b128 v[112:115], v110 offset:720
	s_waitcnt vmcnt(0) lgkmcnt(0)
	v_fmac_f64_e32 v[108:109], v[116:117], v[112:113]
	buffer_load_dword v113, off, s[0:3], 0 offset:316
	buffer_load_dword v112, off, s[0:3], 0 offset:312
	buffer_load_dword v117, off, s[0:3], 0 offset:324
	buffer_load_dword v116, off, s[0:3], 0 offset:320
	;; [unrolled: 9-line block ×6, first 2 shown]
	s_waitcnt vmcnt(2)
	v_fmac_f64_e32 v[108:109], v[112:113], v[114:115]
	ds_read_b128 v[112:115], v110 offset:800
	s_waitcnt vmcnt(0) lgkmcnt(0)
	v_fmac_f64_e32 v[108:109], v[116:117], v[112:113]
	buffer_load_dword v113, off, s[0:3], 0 offset:396
	buffer_load_dword v112, off, s[0:3], 0 offset:392
	s_waitcnt vmcnt(0)
	v_fmac_f64_e32 v[108:109], v[112:113], v[114:115]
	buffer_load_dword v115, off, s[0:3], 0 offset:404
	buffer_load_dword v114, off, s[0:3], 0 offset:400
	ds_read_b128 v[110:113], v110 offset:816
	s_waitcnt vmcnt(0) lgkmcnt(0)
	v_fmac_f64_e32 v[108:109], v[114:115], v[110:111]
	buffer_load_dword v111, off, s[0:3], 0 offset:412
	buffer_load_dword v110, off, s[0:3], 0 offset:408
	s_waitcnt vmcnt(0)
	v_fmac_f64_e32 v[108:109], v[110:111], v[112:113]
	v_add_f64 v[106:107], v[106:107], -v[108:109]
	buffer_store_dword v107, off, s[0:3], 0 offset:220
	buffer_store_dword v106, off, s[0:3], 0 offset:216
	s_and_saveexec_b64 s[4:5], vcc
	s_cbranch_execz .LBB115_267
; %bb.266:
	buffer_load_dword v106, off, s[0:3], 0 offset:208
	buffer_load_dword v107, off, s[0:3], 0 offset:212
	v_mov_b32_e32 v108, 0
	buffer_store_dword v108, off, s[0:3], 0 offset:208
	buffer_store_dword v108, off, s[0:3], 0 offset:212
	s_waitcnt vmcnt(2)
	ds_write_b64 v1, v[106:107]
.LBB115_267:
	s_or_b64 exec, exec, s[4:5]
	s_waitcnt lgkmcnt(0)
	; wave barrier
	s_waitcnt lgkmcnt(0)
	buffer_load_dword v106, off, s[0:3], 0 offset:208
	buffer_load_dword v107, off, s[0:3], 0 offset:212
	;; [unrolled: 1-line block ×16, first 2 shown]
	v_mov_b32_e32 v110, 0
	ds_read2_b64 v[112:115], v110 offset0:79 offset1:80
	v_cmp_lt_u32_e32 vcc, 25, v0
	s_waitcnt vmcnt(12) lgkmcnt(0)
	v_fma_f64 v[108:109], v[108:109], v[112:113], 0
	s_waitcnt vmcnt(10)
	v_fmac_f64_e32 v[108:109], v[116:117], v[114:115]
	ds_read2_b64 v[112:115], v110 offset0:81 offset1:82
	s_waitcnt vmcnt(8) lgkmcnt(0)
	v_fmac_f64_e32 v[108:109], v[118:119], v[112:113]
	s_waitcnt vmcnt(6)
	v_fmac_f64_e32 v[108:109], v[120:121], v[114:115]
	ds_read2_b64 v[112:115], v110 offset0:83 offset1:84
	s_waitcnt vmcnt(4) lgkmcnt(0)
	v_fmac_f64_e32 v[108:109], v[122:123], v[112:113]
	;; [unrolled: 5-line block ×3, first 2 shown]
	buffer_load_dword v113, off, s[0:3], 0 offset:276
	buffer_load_dword v112, off, s[0:3], 0 offset:272
	buffer_load_dword v117, off, s[0:3], 0 offset:284
	buffer_load_dword v116, off, s[0:3], 0 offset:280
	s_waitcnt vmcnt(2)
	v_fmac_f64_e32 v[108:109], v[112:113], v[114:115]
	ds_read2_b64 v[112:115], v110 offset0:87 offset1:88
	s_waitcnt vmcnt(0) lgkmcnt(0)
	v_fmac_f64_e32 v[108:109], v[116:117], v[112:113]
	buffer_load_dword v113, off, s[0:3], 0 offset:292
	buffer_load_dword v112, off, s[0:3], 0 offset:288
	buffer_load_dword v117, off, s[0:3], 0 offset:300
	buffer_load_dword v116, off, s[0:3], 0 offset:296
	s_waitcnt vmcnt(2)
	v_fmac_f64_e32 v[108:109], v[112:113], v[114:115]
	ds_read2_b64 v[112:115], v110 offset0:89 offset1:90
	s_waitcnt vmcnt(0) lgkmcnt(0)
	v_fmac_f64_e32 v[108:109], v[116:117], v[112:113]
	;; [unrolled: 9-line block ×8, first 2 shown]
	buffer_load_dword v113, off, s[0:3], 0 offset:404
	buffer_load_dword v112, off, s[0:3], 0 offset:400
	s_waitcnt vmcnt(0)
	v_fmac_f64_e32 v[108:109], v[112:113], v[114:115]
	buffer_load_dword v113, off, s[0:3], 0 offset:412
	buffer_load_dword v112, off, s[0:3], 0 offset:408
	ds_read_b64 v[114:115], v110 offset:824
	s_waitcnt vmcnt(0) lgkmcnt(0)
	v_fmac_f64_e32 v[108:109], v[112:113], v[114:115]
	v_add_f64 v[106:107], v[106:107], -v[108:109]
	buffer_store_dword v107, off, s[0:3], 0 offset:212
	buffer_store_dword v106, off, s[0:3], 0 offset:208
	s_and_saveexec_b64 s[4:5], vcc
	s_cbranch_execz .LBB115_269
; %bb.268:
	buffer_load_dword v106, off, s[0:3], 0 offset:200
	buffer_load_dword v107, off, s[0:3], 0 offset:204
	s_waitcnt vmcnt(0)
	ds_write_b64 v1, v[106:107]
	buffer_store_dword v110, off, s[0:3], 0 offset:200
	buffer_store_dword v110, off, s[0:3], 0 offset:204
.LBB115_269:
	s_or_b64 exec, exec, s[4:5]
	s_waitcnt lgkmcnt(0)
	; wave barrier
	s_waitcnt lgkmcnt(0)
	buffer_load_dword v106, off, s[0:3], 0 offset:200
	buffer_load_dword v107, off, s[0:3], 0 offset:204
	;; [unrolled: 1-line block ×16, first 2 shown]
	ds_read_b128 v[112:115], v110 offset:624
	ds_read_b128 v[116:119], v110 offset:640
	;; [unrolled: 1-line block ×4, first 2 shown]
	v_cmp_lt_u32_e32 vcc, 24, v0
	s_waitcnt vmcnt(12) lgkmcnt(3)
	v_fma_f64 v[108:109], v[108:109], v[112:113], 0
	buffer_load_dword v113, off, s[0:3], 0 offset:268
	buffer_load_dword v112, off, s[0:3], 0 offset:264
	s_waitcnt vmcnt(12)
	v_fmac_f64_e32 v[108:109], v[128:129], v[114:115]
	s_waitcnt vmcnt(10) lgkmcnt(2)
	v_fmac_f64_e32 v[108:109], v[130:131], v[116:117]
	buffer_load_dword v117, off, s[0:3], 0 offset:276
	buffer_load_dword v116, off, s[0:3], 0 offset:272
	s_waitcnt vmcnt(10)
	v_fmac_f64_e32 v[108:109], v[132:133], v[118:119]
	s_waitcnt vmcnt(8) lgkmcnt(1)
	v_fmac_f64_e32 v[108:109], v[134:135], v[120:121]
	s_waitcnt vmcnt(6)
	v_fmac_f64_e32 v[108:109], v[136:137], v[122:123]
	s_waitcnt vmcnt(4) lgkmcnt(0)
	v_fmac_f64_e32 v[108:109], v[138:139], v[124:125]
	s_waitcnt vmcnt(2)
	v_fmac_f64_e32 v[108:109], v[112:113], v[126:127]
	ds_read_b128 v[112:115], v110 offset:688
	s_waitcnt vmcnt(0) lgkmcnt(0)
	v_fmac_f64_e32 v[108:109], v[116:117], v[112:113]
	buffer_load_dword v113, off, s[0:3], 0 offset:284
	buffer_load_dword v112, off, s[0:3], 0 offset:280
	buffer_load_dword v117, off, s[0:3], 0 offset:292
	buffer_load_dword v116, off, s[0:3], 0 offset:288
	s_waitcnt vmcnt(2)
	v_fmac_f64_e32 v[108:109], v[112:113], v[114:115]
	ds_read_b128 v[112:115], v110 offset:704
	s_waitcnt vmcnt(0) lgkmcnt(0)
	v_fmac_f64_e32 v[108:109], v[116:117], v[112:113]
	buffer_load_dword v113, off, s[0:3], 0 offset:300
	buffer_load_dword v112, off, s[0:3], 0 offset:296
	buffer_load_dword v117, off, s[0:3], 0 offset:308
	buffer_load_dword v116, off, s[0:3], 0 offset:304
	;; [unrolled: 9-line block ×7, first 2 shown]
	s_waitcnt vmcnt(2)
	v_fmac_f64_e32 v[108:109], v[112:113], v[114:115]
	ds_read_b128 v[112:115], v110 offset:800
	s_waitcnt vmcnt(0) lgkmcnt(0)
	v_fmac_f64_e32 v[108:109], v[116:117], v[112:113]
	buffer_load_dword v113, off, s[0:3], 0 offset:396
	buffer_load_dword v112, off, s[0:3], 0 offset:392
	s_waitcnt vmcnt(0)
	v_fmac_f64_e32 v[108:109], v[112:113], v[114:115]
	buffer_load_dword v115, off, s[0:3], 0 offset:404
	buffer_load_dword v114, off, s[0:3], 0 offset:400
	ds_read_b128 v[110:113], v110 offset:816
	s_waitcnt vmcnt(0) lgkmcnt(0)
	v_fmac_f64_e32 v[108:109], v[114:115], v[110:111]
	buffer_load_dword v111, off, s[0:3], 0 offset:412
	buffer_load_dword v110, off, s[0:3], 0 offset:408
	s_waitcnt vmcnt(0)
	v_fmac_f64_e32 v[108:109], v[110:111], v[112:113]
	v_add_f64 v[106:107], v[106:107], -v[108:109]
	buffer_store_dword v107, off, s[0:3], 0 offset:204
	buffer_store_dword v106, off, s[0:3], 0 offset:200
	s_and_saveexec_b64 s[4:5], vcc
	s_cbranch_execz .LBB115_271
; %bb.270:
	buffer_load_dword v106, off, s[0:3], 0 offset:192
	buffer_load_dword v107, off, s[0:3], 0 offset:196
	v_mov_b32_e32 v108, 0
	buffer_store_dword v108, off, s[0:3], 0 offset:192
	buffer_store_dword v108, off, s[0:3], 0 offset:196
	s_waitcnt vmcnt(2)
	ds_write_b64 v1, v[106:107]
.LBB115_271:
	s_or_b64 exec, exec, s[4:5]
	s_waitcnt lgkmcnt(0)
	; wave barrier
	s_waitcnt lgkmcnt(0)
	buffer_load_dword v106, off, s[0:3], 0 offset:192
	buffer_load_dword v107, off, s[0:3], 0 offset:196
	;; [unrolled: 1-line block ×16, first 2 shown]
	v_mov_b32_e32 v110, 0
	ds_read2_b64 v[112:115], v110 offset0:77 offset1:78
	v_cmp_lt_u32_e32 vcc, 23, v0
	s_waitcnt vmcnt(12) lgkmcnt(0)
	v_fma_f64 v[108:109], v[108:109], v[112:113], 0
	s_waitcnt vmcnt(10)
	v_fmac_f64_e32 v[108:109], v[116:117], v[114:115]
	ds_read2_b64 v[112:115], v110 offset0:79 offset1:80
	s_waitcnt vmcnt(8) lgkmcnt(0)
	v_fmac_f64_e32 v[108:109], v[118:119], v[112:113]
	s_waitcnt vmcnt(6)
	v_fmac_f64_e32 v[108:109], v[120:121], v[114:115]
	ds_read2_b64 v[112:115], v110 offset0:81 offset1:82
	s_waitcnt vmcnt(4) lgkmcnt(0)
	v_fmac_f64_e32 v[108:109], v[122:123], v[112:113]
	;; [unrolled: 5-line block ×3, first 2 shown]
	buffer_load_dword v113, off, s[0:3], 0 offset:260
	buffer_load_dword v112, off, s[0:3], 0 offset:256
	buffer_load_dword v117, off, s[0:3], 0 offset:268
	buffer_load_dword v116, off, s[0:3], 0 offset:264
	s_waitcnt vmcnt(2)
	v_fmac_f64_e32 v[108:109], v[112:113], v[114:115]
	ds_read2_b64 v[112:115], v110 offset0:85 offset1:86
	s_waitcnt vmcnt(0) lgkmcnt(0)
	v_fmac_f64_e32 v[108:109], v[116:117], v[112:113]
	buffer_load_dword v113, off, s[0:3], 0 offset:276
	buffer_load_dword v112, off, s[0:3], 0 offset:272
	buffer_load_dword v117, off, s[0:3], 0 offset:284
	buffer_load_dword v116, off, s[0:3], 0 offset:280
	s_waitcnt vmcnt(2)
	v_fmac_f64_e32 v[108:109], v[112:113], v[114:115]
	ds_read2_b64 v[112:115], v110 offset0:87 offset1:88
	s_waitcnt vmcnt(0) lgkmcnt(0)
	v_fmac_f64_e32 v[108:109], v[116:117], v[112:113]
	;; [unrolled: 9-line block ×9, first 2 shown]
	buffer_load_dword v113, off, s[0:3], 0 offset:404
	buffer_load_dword v112, off, s[0:3], 0 offset:400
	s_waitcnt vmcnt(0)
	v_fmac_f64_e32 v[108:109], v[112:113], v[114:115]
	buffer_load_dword v113, off, s[0:3], 0 offset:412
	buffer_load_dword v112, off, s[0:3], 0 offset:408
	ds_read_b64 v[114:115], v110 offset:824
	s_waitcnt vmcnt(0) lgkmcnt(0)
	v_fmac_f64_e32 v[108:109], v[112:113], v[114:115]
	v_add_f64 v[106:107], v[106:107], -v[108:109]
	buffer_store_dword v107, off, s[0:3], 0 offset:196
	buffer_store_dword v106, off, s[0:3], 0 offset:192
	s_and_saveexec_b64 s[4:5], vcc
	s_cbranch_execz .LBB115_273
; %bb.272:
	buffer_load_dword v106, off, s[0:3], 0 offset:184
	buffer_load_dword v107, off, s[0:3], 0 offset:188
	s_waitcnt vmcnt(0)
	ds_write_b64 v1, v[106:107]
	buffer_store_dword v110, off, s[0:3], 0 offset:184
	buffer_store_dword v110, off, s[0:3], 0 offset:188
.LBB115_273:
	s_or_b64 exec, exec, s[4:5]
	s_waitcnt lgkmcnt(0)
	; wave barrier
	s_waitcnt lgkmcnt(0)
	buffer_load_dword v106, off, s[0:3], 0 offset:184
	buffer_load_dword v107, off, s[0:3], 0 offset:188
	;; [unrolled: 1-line block ×16, first 2 shown]
	ds_read_b128 v[112:115], v110 offset:608
	ds_read_b128 v[116:119], v110 offset:624
	;; [unrolled: 1-line block ×4, first 2 shown]
	v_cmp_lt_u32_e32 vcc, 22, v0
	s_waitcnt vmcnt(12) lgkmcnt(3)
	v_fma_f64 v[108:109], v[108:109], v[112:113], 0
	buffer_load_dword v113, off, s[0:3], 0 offset:252
	buffer_load_dword v112, off, s[0:3], 0 offset:248
	s_waitcnt vmcnt(12)
	v_fmac_f64_e32 v[108:109], v[128:129], v[114:115]
	s_waitcnt vmcnt(10) lgkmcnt(2)
	v_fmac_f64_e32 v[108:109], v[130:131], v[116:117]
	buffer_load_dword v117, off, s[0:3], 0 offset:260
	buffer_load_dword v116, off, s[0:3], 0 offset:256
	s_waitcnt vmcnt(10)
	v_fmac_f64_e32 v[108:109], v[132:133], v[118:119]
	s_waitcnt vmcnt(8) lgkmcnt(1)
	v_fmac_f64_e32 v[108:109], v[134:135], v[120:121]
	s_waitcnt vmcnt(6)
	v_fmac_f64_e32 v[108:109], v[136:137], v[122:123]
	s_waitcnt vmcnt(4) lgkmcnt(0)
	v_fmac_f64_e32 v[108:109], v[138:139], v[124:125]
	s_waitcnt vmcnt(2)
	v_fmac_f64_e32 v[108:109], v[112:113], v[126:127]
	ds_read_b128 v[112:115], v110 offset:672
	s_waitcnt vmcnt(0) lgkmcnt(0)
	v_fmac_f64_e32 v[108:109], v[116:117], v[112:113]
	buffer_load_dword v113, off, s[0:3], 0 offset:268
	buffer_load_dword v112, off, s[0:3], 0 offset:264
	buffer_load_dword v117, off, s[0:3], 0 offset:276
	buffer_load_dword v116, off, s[0:3], 0 offset:272
	s_waitcnt vmcnt(2)
	v_fmac_f64_e32 v[108:109], v[112:113], v[114:115]
	ds_read_b128 v[112:115], v110 offset:688
	s_waitcnt vmcnt(0) lgkmcnt(0)
	v_fmac_f64_e32 v[108:109], v[116:117], v[112:113]
	buffer_load_dword v113, off, s[0:3], 0 offset:284
	buffer_load_dword v112, off, s[0:3], 0 offset:280
	buffer_load_dword v117, off, s[0:3], 0 offset:292
	buffer_load_dword v116, off, s[0:3], 0 offset:288
	s_waitcnt vmcnt(2)
	v_fmac_f64_e32 v[108:109], v[112:113], v[114:115]
	ds_read_b128 v[112:115], v110 offset:704
	s_waitcnt vmcnt(0) lgkmcnt(0)
	v_fmac_f64_e32 v[108:109], v[116:117], v[112:113]
	buffer_load_dword v113, off, s[0:3], 0 offset:300
	buffer_load_dword v112, off, s[0:3], 0 offset:296
	buffer_load_dword v117, off, s[0:3], 0 offset:308
	buffer_load_dword v116, off, s[0:3], 0 offset:304
	s_waitcnt vmcnt(2)
	v_fmac_f64_e32 v[108:109], v[112:113], v[114:115]
	ds_read_b128 v[112:115], v110 offset:720
	s_waitcnt vmcnt(0) lgkmcnt(0)
	v_fmac_f64_e32 v[108:109], v[116:117], v[112:113]
	buffer_load_dword v113, off, s[0:3], 0 offset:316
	buffer_load_dword v112, off, s[0:3], 0 offset:312
	buffer_load_dword v117, off, s[0:3], 0 offset:324
	buffer_load_dword v116, off, s[0:3], 0 offset:320
	s_waitcnt vmcnt(2)
	v_fmac_f64_e32 v[108:109], v[112:113], v[114:115]
	ds_read_b128 v[112:115], v110 offset:736
	s_waitcnt vmcnt(0) lgkmcnt(0)
	v_fmac_f64_e32 v[108:109], v[116:117], v[112:113]
	buffer_load_dword v113, off, s[0:3], 0 offset:332
	buffer_load_dword v112, off, s[0:3], 0 offset:328
	buffer_load_dword v117, off, s[0:3], 0 offset:340
	buffer_load_dword v116, off, s[0:3], 0 offset:336
	s_waitcnt vmcnt(2)
	v_fmac_f64_e32 v[108:109], v[112:113], v[114:115]
	ds_read_b128 v[112:115], v110 offset:752
	s_waitcnt vmcnt(0) lgkmcnt(0)
	v_fmac_f64_e32 v[108:109], v[116:117], v[112:113]
	buffer_load_dword v113, off, s[0:3], 0 offset:348
	buffer_load_dword v112, off, s[0:3], 0 offset:344
	buffer_load_dword v117, off, s[0:3], 0 offset:356
	buffer_load_dword v116, off, s[0:3], 0 offset:352
	s_waitcnt vmcnt(2)
	v_fmac_f64_e32 v[108:109], v[112:113], v[114:115]
	ds_read_b128 v[112:115], v110 offset:768
	s_waitcnt vmcnt(0) lgkmcnt(0)
	v_fmac_f64_e32 v[108:109], v[116:117], v[112:113]
	buffer_load_dword v113, off, s[0:3], 0 offset:364
	buffer_load_dword v112, off, s[0:3], 0 offset:360
	buffer_load_dword v117, off, s[0:3], 0 offset:372
	buffer_load_dword v116, off, s[0:3], 0 offset:368
	s_waitcnt vmcnt(2)
	v_fmac_f64_e32 v[108:109], v[112:113], v[114:115]
	ds_read_b128 v[112:115], v110 offset:784
	s_waitcnt vmcnt(0) lgkmcnt(0)
	v_fmac_f64_e32 v[108:109], v[116:117], v[112:113]
	buffer_load_dword v113, off, s[0:3], 0 offset:380
	buffer_load_dword v112, off, s[0:3], 0 offset:376
	buffer_load_dword v117, off, s[0:3], 0 offset:388
	buffer_load_dword v116, off, s[0:3], 0 offset:384
	s_waitcnt vmcnt(2)
	v_fmac_f64_e32 v[108:109], v[112:113], v[114:115]
	ds_read_b128 v[112:115], v110 offset:800
	s_waitcnt vmcnt(0) lgkmcnt(0)
	v_fmac_f64_e32 v[108:109], v[116:117], v[112:113]
	buffer_load_dword v113, off, s[0:3], 0 offset:396
	buffer_load_dword v112, off, s[0:3], 0 offset:392
	s_waitcnt vmcnt(0)
	v_fmac_f64_e32 v[108:109], v[112:113], v[114:115]
	buffer_load_dword v115, off, s[0:3], 0 offset:404
	buffer_load_dword v114, off, s[0:3], 0 offset:400
	ds_read_b128 v[110:113], v110 offset:816
	s_waitcnt vmcnt(0) lgkmcnt(0)
	v_fmac_f64_e32 v[108:109], v[114:115], v[110:111]
	buffer_load_dword v111, off, s[0:3], 0 offset:412
	buffer_load_dword v110, off, s[0:3], 0 offset:408
	s_waitcnt vmcnt(0)
	v_fmac_f64_e32 v[108:109], v[110:111], v[112:113]
	v_add_f64 v[106:107], v[106:107], -v[108:109]
	buffer_store_dword v107, off, s[0:3], 0 offset:188
	buffer_store_dword v106, off, s[0:3], 0 offset:184
	s_and_saveexec_b64 s[4:5], vcc
	s_cbranch_execz .LBB115_275
; %bb.274:
	buffer_load_dword v106, off, s[0:3], 0 offset:176
	buffer_load_dword v107, off, s[0:3], 0 offset:180
	v_mov_b32_e32 v108, 0
	buffer_store_dword v108, off, s[0:3], 0 offset:176
	buffer_store_dword v108, off, s[0:3], 0 offset:180
	s_waitcnt vmcnt(2)
	ds_write_b64 v1, v[106:107]
.LBB115_275:
	s_or_b64 exec, exec, s[4:5]
	s_waitcnt lgkmcnt(0)
	; wave barrier
	s_waitcnt lgkmcnt(0)
	buffer_load_dword v106, off, s[0:3], 0 offset:176
	buffer_load_dword v107, off, s[0:3], 0 offset:180
	;; [unrolled: 1-line block ×16, first 2 shown]
	v_mov_b32_e32 v110, 0
	ds_read2_b64 v[112:115], v110 offset0:75 offset1:76
	v_cmp_lt_u32_e32 vcc, 21, v0
	s_waitcnt vmcnt(12) lgkmcnt(0)
	v_fma_f64 v[108:109], v[108:109], v[112:113], 0
	s_waitcnt vmcnt(10)
	v_fmac_f64_e32 v[108:109], v[116:117], v[114:115]
	ds_read2_b64 v[112:115], v110 offset0:77 offset1:78
	s_waitcnt vmcnt(8) lgkmcnt(0)
	v_fmac_f64_e32 v[108:109], v[118:119], v[112:113]
	s_waitcnt vmcnt(6)
	v_fmac_f64_e32 v[108:109], v[120:121], v[114:115]
	ds_read2_b64 v[112:115], v110 offset0:79 offset1:80
	s_waitcnt vmcnt(4) lgkmcnt(0)
	v_fmac_f64_e32 v[108:109], v[122:123], v[112:113]
	;; [unrolled: 5-line block ×3, first 2 shown]
	buffer_load_dword v113, off, s[0:3], 0 offset:244
	buffer_load_dword v112, off, s[0:3], 0 offset:240
	buffer_load_dword v117, off, s[0:3], 0 offset:252
	buffer_load_dword v116, off, s[0:3], 0 offset:248
	s_waitcnt vmcnt(2)
	v_fmac_f64_e32 v[108:109], v[112:113], v[114:115]
	ds_read2_b64 v[112:115], v110 offset0:83 offset1:84
	s_waitcnt vmcnt(0) lgkmcnt(0)
	v_fmac_f64_e32 v[108:109], v[116:117], v[112:113]
	buffer_load_dword v113, off, s[0:3], 0 offset:260
	buffer_load_dword v112, off, s[0:3], 0 offset:256
	buffer_load_dword v117, off, s[0:3], 0 offset:268
	buffer_load_dword v116, off, s[0:3], 0 offset:264
	s_waitcnt vmcnt(2)
	v_fmac_f64_e32 v[108:109], v[112:113], v[114:115]
	ds_read2_b64 v[112:115], v110 offset0:85 offset1:86
	s_waitcnt vmcnt(0) lgkmcnt(0)
	v_fmac_f64_e32 v[108:109], v[116:117], v[112:113]
	;; [unrolled: 9-line block ×10, first 2 shown]
	buffer_load_dword v113, off, s[0:3], 0 offset:404
	buffer_load_dword v112, off, s[0:3], 0 offset:400
	s_waitcnt vmcnt(0)
	v_fmac_f64_e32 v[108:109], v[112:113], v[114:115]
	buffer_load_dword v113, off, s[0:3], 0 offset:412
	buffer_load_dword v112, off, s[0:3], 0 offset:408
	ds_read_b64 v[114:115], v110 offset:824
	s_waitcnt vmcnt(0) lgkmcnt(0)
	v_fmac_f64_e32 v[108:109], v[112:113], v[114:115]
	v_add_f64 v[106:107], v[106:107], -v[108:109]
	buffer_store_dword v107, off, s[0:3], 0 offset:180
	buffer_store_dword v106, off, s[0:3], 0 offset:176
	s_and_saveexec_b64 s[4:5], vcc
	s_cbranch_execz .LBB115_277
; %bb.276:
	buffer_load_dword v106, off, s[0:3], 0 offset:168
	buffer_load_dword v107, off, s[0:3], 0 offset:172
	s_waitcnt vmcnt(0)
	ds_write_b64 v1, v[106:107]
	buffer_store_dword v110, off, s[0:3], 0 offset:168
	buffer_store_dword v110, off, s[0:3], 0 offset:172
.LBB115_277:
	s_or_b64 exec, exec, s[4:5]
	s_waitcnt lgkmcnt(0)
	; wave barrier
	s_waitcnt lgkmcnt(0)
	buffer_load_dword v106, off, s[0:3], 0 offset:168
	buffer_load_dword v107, off, s[0:3], 0 offset:172
	;; [unrolled: 1-line block ×16, first 2 shown]
	ds_read_b128 v[112:115], v110 offset:592
	ds_read_b128 v[116:119], v110 offset:608
	;; [unrolled: 1-line block ×4, first 2 shown]
	v_cmp_lt_u32_e32 vcc, 20, v0
	s_waitcnt vmcnt(12) lgkmcnt(3)
	v_fma_f64 v[108:109], v[108:109], v[112:113], 0
	buffer_load_dword v113, off, s[0:3], 0 offset:236
	buffer_load_dword v112, off, s[0:3], 0 offset:232
	s_waitcnt vmcnt(12)
	v_fmac_f64_e32 v[108:109], v[128:129], v[114:115]
	s_waitcnt vmcnt(10) lgkmcnt(2)
	v_fmac_f64_e32 v[108:109], v[130:131], v[116:117]
	buffer_load_dword v117, off, s[0:3], 0 offset:244
	buffer_load_dword v116, off, s[0:3], 0 offset:240
	s_waitcnt vmcnt(10)
	v_fmac_f64_e32 v[108:109], v[132:133], v[118:119]
	s_waitcnt vmcnt(8) lgkmcnt(1)
	v_fmac_f64_e32 v[108:109], v[134:135], v[120:121]
	s_waitcnt vmcnt(6)
	v_fmac_f64_e32 v[108:109], v[136:137], v[122:123]
	s_waitcnt vmcnt(4) lgkmcnt(0)
	v_fmac_f64_e32 v[108:109], v[138:139], v[124:125]
	s_waitcnt vmcnt(2)
	v_fmac_f64_e32 v[108:109], v[112:113], v[126:127]
	ds_read_b128 v[112:115], v110 offset:656
	s_waitcnt vmcnt(0) lgkmcnt(0)
	v_fmac_f64_e32 v[108:109], v[116:117], v[112:113]
	buffer_load_dword v113, off, s[0:3], 0 offset:252
	buffer_load_dword v112, off, s[0:3], 0 offset:248
	buffer_load_dword v117, off, s[0:3], 0 offset:260
	buffer_load_dword v116, off, s[0:3], 0 offset:256
	s_waitcnt vmcnt(2)
	v_fmac_f64_e32 v[108:109], v[112:113], v[114:115]
	ds_read_b128 v[112:115], v110 offset:672
	s_waitcnt vmcnt(0) lgkmcnt(0)
	v_fmac_f64_e32 v[108:109], v[116:117], v[112:113]
	buffer_load_dword v113, off, s[0:3], 0 offset:268
	buffer_load_dword v112, off, s[0:3], 0 offset:264
	buffer_load_dword v117, off, s[0:3], 0 offset:276
	buffer_load_dword v116, off, s[0:3], 0 offset:272
	;; [unrolled: 9-line block ×9, first 2 shown]
	s_waitcnt vmcnt(2)
	v_fmac_f64_e32 v[108:109], v[112:113], v[114:115]
	ds_read_b128 v[112:115], v110 offset:800
	s_waitcnt vmcnt(0) lgkmcnt(0)
	v_fmac_f64_e32 v[108:109], v[116:117], v[112:113]
	buffer_load_dword v113, off, s[0:3], 0 offset:396
	buffer_load_dword v112, off, s[0:3], 0 offset:392
	s_waitcnt vmcnt(0)
	v_fmac_f64_e32 v[108:109], v[112:113], v[114:115]
	buffer_load_dword v115, off, s[0:3], 0 offset:404
	buffer_load_dword v114, off, s[0:3], 0 offset:400
	ds_read_b128 v[110:113], v110 offset:816
	s_waitcnt vmcnt(0) lgkmcnt(0)
	v_fmac_f64_e32 v[108:109], v[114:115], v[110:111]
	buffer_load_dword v111, off, s[0:3], 0 offset:412
	buffer_load_dword v110, off, s[0:3], 0 offset:408
	s_waitcnt vmcnt(0)
	v_fmac_f64_e32 v[108:109], v[110:111], v[112:113]
	v_add_f64 v[106:107], v[106:107], -v[108:109]
	buffer_store_dword v107, off, s[0:3], 0 offset:172
	buffer_store_dword v106, off, s[0:3], 0 offset:168
	s_and_saveexec_b64 s[4:5], vcc
	s_cbranch_execz .LBB115_279
; %bb.278:
	buffer_load_dword v106, off, s[0:3], 0 offset:160
	buffer_load_dword v107, off, s[0:3], 0 offset:164
	v_mov_b32_e32 v108, 0
	buffer_store_dword v108, off, s[0:3], 0 offset:160
	buffer_store_dword v108, off, s[0:3], 0 offset:164
	s_waitcnt vmcnt(2)
	ds_write_b64 v1, v[106:107]
.LBB115_279:
	s_or_b64 exec, exec, s[4:5]
	s_waitcnt lgkmcnt(0)
	; wave barrier
	s_waitcnt lgkmcnt(0)
	buffer_load_dword v106, off, s[0:3], 0 offset:160
	buffer_load_dword v107, off, s[0:3], 0 offset:164
	;; [unrolled: 1-line block ×16, first 2 shown]
	v_mov_b32_e32 v110, 0
	ds_read2_b64 v[112:115], v110 offset0:73 offset1:74
	v_cmp_lt_u32_e32 vcc, 19, v0
	s_waitcnt vmcnt(12) lgkmcnt(0)
	v_fma_f64 v[108:109], v[108:109], v[112:113], 0
	s_waitcnt vmcnt(10)
	v_fmac_f64_e32 v[108:109], v[116:117], v[114:115]
	ds_read2_b64 v[112:115], v110 offset0:75 offset1:76
	s_waitcnt vmcnt(8) lgkmcnt(0)
	v_fmac_f64_e32 v[108:109], v[118:119], v[112:113]
	s_waitcnt vmcnt(6)
	v_fmac_f64_e32 v[108:109], v[120:121], v[114:115]
	ds_read2_b64 v[112:115], v110 offset0:77 offset1:78
	s_waitcnt vmcnt(4) lgkmcnt(0)
	v_fmac_f64_e32 v[108:109], v[122:123], v[112:113]
	;; [unrolled: 5-line block ×3, first 2 shown]
	buffer_load_dword v113, off, s[0:3], 0 offset:228
	buffer_load_dword v112, off, s[0:3], 0 offset:224
	buffer_load_dword v117, off, s[0:3], 0 offset:236
	buffer_load_dword v116, off, s[0:3], 0 offset:232
	s_waitcnt vmcnt(2)
	v_fmac_f64_e32 v[108:109], v[112:113], v[114:115]
	ds_read2_b64 v[112:115], v110 offset0:81 offset1:82
	s_waitcnt vmcnt(0) lgkmcnt(0)
	v_fmac_f64_e32 v[108:109], v[116:117], v[112:113]
	buffer_load_dword v113, off, s[0:3], 0 offset:244
	buffer_load_dword v112, off, s[0:3], 0 offset:240
	buffer_load_dword v117, off, s[0:3], 0 offset:252
	buffer_load_dword v116, off, s[0:3], 0 offset:248
	s_waitcnt vmcnt(2)
	v_fmac_f64_e32 v[108:109], v[112:113], v[114:115]
	ds_read2_b64 v[112:115], v110 offset0:83 offset1:84
	s_waitcnt vmcnt(0) lgkmcnt(0)
	v_fmac_f64_e32 v[108:109], v[116:117], v[112:113]
	;; [unrolled: 9-line block ×11, first 2 shown]
	buffer_load_dword v113, off, s[0:3], 0 offset:404
	buffer_load_dword v112, off, s[0:3], 0 offset:400
	s_waitcnt vmcnt(0)
	v_fmac_f64_e32 v[108:109], v[112:113], v[114:115]
	buffer_load_dword v113, off, s[0:3], 0 offset:412
	buffer_load_dword v112, off, s[0:3], 0 offset:408
	ds_read_b64 v[114:115], v110 offset:824
	s_waitcnt vmcnt(0) lgkmcnt(0)
	v_fmac_f64_e32 v[108:109], v[112:113], v[114:115]
	v_add_f64 v[106:107], v[106:107], -v[108:109]
	buffer_store_dword v107, off, s[0:3], 0 offset:164
	buffer_store_dword v106, off, s[0:3], 0 offset:160
	s_and_saveexec_b64 s[4:5], vcc
	s_cbranch_execz .LBB115_281
; %bb.280:
	buffer_load_dword v106, off, s[0:3], 0 offset:152
	buffer_load_dword v107, off, s[0:3], 0 offset:156
	s_waitcnt vmcnt(0)
	ds_write_b64 v1, v[106:107]
	buffer_store_dword v110, off, s[0:3], 0 offset:152
	buffer_store_dword v110, off, s[0:3], 0 offset:156
.LBB115_281:
	s_or_b64 exec, exec, s[4:5]
	s_waitcnt lgkmcnt(0)
	; wave barrier
	s_waitcnt lgkmcnt(0)
	buffer_load_dword v106, off, s[0:3], 0 offset:152
	buffer_load_dword v107, off, s[0:3], 0 offset:156
	;; [unrolled: 1-line block ×16, first 2 shown]
	ds_read_b128 v[112:115], v110 offset:576
	ds_read_b128 v[116:119], v110 offset:592
	;; [unrolled: 1-line block ×4, first 2 shown]
	v_cmp_lt_u32_e32 vcc, 18, v0
	s_waitcnt vmcnt(12) lgkmcnt(3)
	v_fma_f64 v[108:109], v[108:109], v[112:113], 0
	buffer_load_dword v113, off, s[0:3], 0 offset:220
	buffer_load_dword v112, off, s[0:3], 0 offset:216
	s_waitcnt vmcnt(12)
	v_fmac_f64_e32 v[108:109], v[128:129], v[114:115]
	s_waitcnt vmcnt(10) lgkmcnt(2)
	v_fmac_f64_e32 v[108:109], v[130:131], v[116:117]
	buffer_load_dword v117, off, s[0:3], 0 offset:228
	buffer_load_dword v116, off, s[0:3], 0 offset:224
	s_waitcnt vmcnt(10)
	v_fmac_f64_e32 v[108:109], v[132:133], v[118:119]
	s_waitcnt vmcnt(8) lgkmcnt(1)
	v_fmac_f64_e32 v[108:109], v[134:135], v[120:121]
	s_waitcnt vmcnt(6)
	v_fmac_f64_e32 v[108:109], v[136:137], v[122:123]
	s_waitcnt vmcnt(4) lgkmcnt(0)
	v_fmac_f64_e32 v[108:109], v[138:139], v[124:125]
	s_waitcnt vmcnt(2)
	v_fmac_f64_e32 v[108:109], v[112:113], v[126:127]
	ds_read_b128 v[112:115], v110 offset:640
	s_waitcnt vmcnt(0) lgkmcnt(0)
	v_fmac_f64_e32 v[108:109], v[116:117], v[112:113]
	buffer_load_dword v113, off, s[0:3], 0 offset:236
	buffer_load_dword v112, off, s[0:3], 0 offset:232
	buffer_load_dword v117, off, s[0:3], 0 offset:244
	buffer_load_dword v116, off, s[0:3], 0 offset:240
	s_waitcnt vmcnt(2)
	v_fmac_f64_e32 v[108:109], v[112:113], v[114:115]
	ds_read_b128 v[112:115], v110 offset:656
	s_waitcnt vmcnt(0) lgkmcnt(0)
	v_fmac_f64_e32 v[108:109], v[116:117], v[112:113]
	buffer_load_dword v113, off, s[0:3], 0 offset:252
	buffer_load_dword v112, off, s[0:3], 0 offset:248
	buffer_load_dword v117, off, s[0:3], 0 offset:260
	buffer_load_dword v116, off, s[0:3], 0 offset:256
	;; [unrolled: 9-line block ×10, first 2 shown]
	s_waitcnt vmcnt(2)
	v_fmac_f64_e32 v[108:109], v[112:113], v[114:115]
	ds_read_b128 v[112:115], v110 offset:800
	s_waitcnt vmcnt(0) lgkmcnt(0)
	v_fmac_f64_e32 v[108:109], v[116:117], v[112:113]
	buffer_load_dword v113, off, s[0:3], 0 offset:396
	buffer_load_dword v112, off, s[0:3], 0 offset:392
	s_waitcnt vmcnt(0)
	v_fmac_f64_e32 v[108:109], v[112:113], v[114:115]
	buffer_load_dword v115, off, s[0:3], 0 offset:404
	buffer_load_dword v114, off, s[0:3], 0 offset:400
	ds_read_b128 v[110:113], v110 offset:816
	s_waitcnt vmcnt(0) lgkmcnt(0)
	v_fmac_f64_e32 v[108:109], v[114:115], v[110:111]
	buffer_load_dword v111, off, s[0:3], 0 offset:412
	buffer_load_dword v110, off, s[0:3], 0 offset:408
	s_waitcnt vmcnt(0)
	v_fmac_f64_e32 v[108:109], v[110:111], v[112:113]
	v_add_f64 v[106:107], v[106:107], -v[108:109]
	buffer_store_dword v107, off, s[0:3], 0 offset:156
	buffer_store_dword v106, off, s[0:3], 0 offset:152
	s_and_saveexec_b64 s[4:5], vcc
	s_cbranch_execz .LBB115_283
; %bb.282:
	buffer_load_dword v106, off, s[0:3], 0 offset:144
	buffer_load_dword v107, off, s[0:3], 0 offset:148
	v_mov_b32_e32 v108, 0
	buffer_store_dword v108, off, s[0:3], 0 offset:144
	buffer_store_dword v108, off, s[0:3], 0 offset:148
	s_waitcnt vmcnt(2)
	ds_write_b64 v1, v[106:107]
.LBB115_283:
	s_or_b64 exec, exec, s[4:5]
	s_waitcnt lgkmcnt(0)
	; wave barrier
	s_waitcnt lgkmcnt(0)
	buffer_load_dword v106, off, s[0:3], 0 offset:144
	buffer_load_dword v107, off, s[0:3], 0 offset:148
	;; [unrolled: 1-line block ×16, first 2 shown]
	v_mov_b32_e32 v110, 0
	ds_read2_b64 v[112:115], v110 offset0:71 offset1:72
	v_cmp_lt_u32_e32 vcc, 17, v0
	s_waitcnt vmcnt(12) lgkmcnt(0)
	v_fma_f64 v[108:109], v[108:109], v[112:113], 0
	s_waitcnt vmcnt(10)
	v_fmac_f64_e32 v[108:109], v[116:117], v[114:115]
	ds_read2_b64 v[112:115], v110 offset0:73 offset1:74
	s_waitcnt vmcnt(8) lgkmcnt(0)
	v_fmac_f64_e32 v[108:109], v[118:119], v[112:113]
	s_waitcnt vmcnt(6)
	v_fmac_f64_e32 v[108:109], v[120:121], v[114:115]
	ds_read2_b64 v[112:115], v110 offset0:75 offset1:76
	s_waitcnt vmcnt(4) lgkmcnt(0)
	v_fmac_f64_e32 v[108:109], v[122:123], v[112:113]
	;; [unrolled: 5-line block ×3, first 2 shown]
	buffer_load_dword v113, off, s[0:3], 0 offset:212
	buffer_load_dword v112, off, s[0:3], 0 offset:208
	buffer_load_dword v117, off, s[0:3], 0 offset:220
	buffer_load_dword v116, off, s[0:3], 0 offset:216
	s_waitcnt vmcnt(2)
	v_fmac_f64_e32 v[108:109], v[112:113], v[114:115]
	ds_read2_b64 v[112:115], v110 offset0:79 offset1:80
	s_waitcnt vmcnt(0) lgkmcnt(0)
	v_fmac_f64_e32 v[108:109], v[116:117], v[112:113]
	buffer_load_dword v113, off, s[0:3], 0 offset:228
	buffer_load_dword v112, off, s[0:3], 0 offset:224
	buffer_load_dword v117, off, s[0:3], 0 offset:236
	buffer_load_dword v116, off, s[0:3], 0 offset:232
	s_waitcnt vmcnt(2)
	v_fmac_f64_e32 v[108:109], v[112:113], v[114:115]
	ds_read2_b64 v[112:115], v110 offset0:81 offset1:82
	s_waitcnt vmcnt(0) lgkmcnt(0)
	v_fmac_f64_e32 v[108:109], v[116:117], v[112:113]
	;; [unrolled: 9-line block ×12, first 2 shown]
	buffer_load_dword v113, off, s[0:3], 0 offset:404
	buffer_load_dword v112, off, s[0:3], 0 offset:400
	s_waitcnt vmcnt(0)
	v_fmac_f64_e32 v[108:109], v[112:113], v[114:115]
	buffer_load_dword v113, off, s[0:3], 0 offset:412
	buffer_load_dword v112, off, s[0:3], 0 offset:408
	ds_read_b64 v[114:115], v110 offset:824
	s_waitcnt vmcnt(0) lgkmcnt(0)
	v_fmac_f64_e32 v[108:109], v[112:113], v[114:115]
	v_add_f64 v[106:107], v[106:107], -v[108:109]
	buffer_store_dword v107, off, s[0:3], 0 offset:148
	buffer_store_dword v106, off, s[0:3], 0 offset:144
	s_and_saveexec_b64 s[4:5], vcc
	s_cbranch_execz .LBB115_285
; %bb.284:
	buffer_load_dword v106, off, s[0:3], 0 offset:136
	buffer_load_dword v107, off, s[0:3], 0 offset:140
	s_waitcnt vmcnt(0)
	ds_write_b64 v1, v[106:107]
	buffer_store_dword v110, off, s[0:3], 0 offset:136
	buffer_store_dword v110, off, s[0:3], 0 offset:140
.LBB115_285:
	s_or_b64 exec, exec, s[4:5]
	s_waitcnt lgkmcnt(0)
	; wave barrier
	s_waitcnt lgkmcnt(0)
	buffer_load_dword v106, off, s[0:3], 0 offset:136
	buffer_load_dword v107, off, s[0:3], 0 offset:140
	;; [unrolled: 1-line block ×16, first 2 shown]
	ds_read_b128 v[112:115], v110 offset:560
	ds_read_b128 v[116:119], v110 offset:576
	;; [unrolled: 1-line block ×4, first 2 shown]
	v_cmp_lt_u32_e32 vcc, 16, v0
	s_waitcnt vmcnt(12) lgkmcnt(3)
	v_fma_f64 v[108:109], v[108:109], v[112:113], 0
	buffer_load_dword v113, off, s[0:3], 0 offset:204
	buffer_load_dword v112, off, s[0:3], 0 offset:200
	s_waitcnt vmcnt(12)
	v_fmac_f64_e32 v[108:109], v[128:129], v[114:115]
	s_waitcnt vmcnt(10) lgkmcnt(2)
	v_fmac_f64_e32 v[108:109], v[130:131], v[116:117]
	buffer_load_dword v117, off, s[0:3], 0 offset:212
	buffer_load_dword v116, off, s[0:3], 0 offset:208
	s_waitcnt vmcnt(10)
	v_fmac_f64_e32 v[108:109], v[132:133], v[118:119]
	s_waitcnt vmcnt(8) lgkmcnt(1)
	v_fmac_f64_e32 v[108:109], v[134:135], v[120:121]
	s_waitcnt vmcnt(6)
	v_fmac_f64_e32 v[108:109], v[136:137], v[122:123]
	s_waitcnt vmcnt(4) lgkmcnt(0)
	v_fmac_f64_e32 v[108:109], v[138:139], v[124:125]
	s_waitcnt vmcnt(2)
	v_fmac_f64_e32 v[108:109], v[112:113], v[126:127]
	ds_read_b128 v[112:115], v110 offset:624
	s_waitcnt vmcnt(0) lgkmcnt(0)
	v_fmac_f64_e32 v[108:109], v[116:117], v[112:113]
	buffer_load_dword v113, off, s[0:3], 0 offset:220
	buffer_load_dword v112, off, s[0:3], 0 offset:216
	buffer_load_dword v117, off, s[0:3], 0 offset:228
	buffer_load_dword v116, off, s[0:3], 0 offset:224
	s_waitcnt vmcnt(2)
	v_fmac_f64_e32 v[108:109], v[112:113], v[114:115]
	ds_read_b128 v[112:115], v110 offset:640
	s_waitcnt vmcnt(0) lgkmcnt(0)
	v_fmac_f64_e32 v[108:109], v[116:117], v[112:113]
	buffer_load_dword v113, off, s[0:3], 0 offset:236
	buffer_load_dword v112, off, s[0:3], 0 offset:232
	buffer_load_dword v117, off, s[0:3], 0 offset:244
	buffer_load_dword v116, off, s[0:3], 0 offset:240
	;; [unrolled: 9-line block ×11, first 2 shown]
	s_waitcnt vmcnt(2)
	v_fmac_f64_e32 v[108:109], v[112:113], v[114:115]
	ds_read_b128 v[112:115], v110 offset:800
	s_waitcnt vmcnt(0) lgkmcnt(0)
	v_fmac_f64_e32 v[108:109], v[116:117], v[112:113]
	buffer_load_dword v113, off, s[0:3], 0 offset:396
	buffer_load_dword v112, off, s[0:3], 0 offset:392
	s_waitcnt vmcnt(0)
	v_fmac_f64_e32 v[108:109], v[112:113], v[114:115]
	buffer_load_dword v115, off, s[0:3], 0 offset:404
	buffer_load_dword v114, off, s[0:3], 0 offset:400
	ds_read_b128 v[110:113], v110 offset:816
	s_waitcnt vmcnt(0) lgkmcnt(0)
	v_fmac_f64_e32 v[108:109], v[114:115], v[110:111]
	buffer_load_dword v111, off, s[0:3], 0 offset:412
	buffer_load_dword v110, off, s[0:3], 0 offset:408
	s_waitcnt vmcnt(0)
	v_fmac_f64_e32 v[108:109], v[110:111], v[112:113]
	v_add_f64 v[106:107], v[106:107], -v[108:109]
	buffer_store_dword v107, off, s[0:3], 0 offset:140
	buffer_store_dword v106, off, s[0:3], 0 offset:136
	s_and_saveexec_b64 s[4:5], vcc
	s_cbranch_execz .LBB115_287
; %bb.286:
	buffer_load_dword v106, off, s[0:3], 0 offset:128
	buffer_load_dword v107, off, s[0:3], 0 offset:132
	v_mov_b32_e32 v108, 0
	buffer_store_dword v108, off, s[0:3], 0 offset:128
	buffer_store_dword v108, off, s[0:3], 0 offset:132
	s_waitcnt vmcnt(2)
	ds_write_b64 v1, v[106:107]
.LBB115_287:
	s_or_b64 exec, exec, s[4:5]
	s_waitcnt lgkmcnt(0)
	; wave barrier
	s_waitcnt lgkmcnt(0)
	buffer_load_dword v106, off, s[0:3], 0 offset:128
	buffer_load_dword v107, off, s[0:3], 0 offset:132
	;; [unrolled: 1-line block ×16, first 2 shown]
	v_mov_b32_e32 v110, 0
	ds_read2_b64 v[112:115], v110 offset0:69 offset1:70
	v_cmp_lt_u32_e32 vcc, 15, v0
	s_waitcnt vmcnt(12) lgkmcnt(0)
	v_fma_f64 v[108:109], v[108:109], v[112:113], 0
	s_waitcnt vmcnt(10)
	v_fmac_f64_e32 v[108:109], v[116:117], v[114:115]
	ds_read2_b64 v[112:115], v110 offset0:71 offset1:72
	s_waitcnt vmcnt(8) lgkmcnt(0)
	v_fmac_f64_e32 v[108:109], v[118:119], v[112:113]
	s_waitcnt vmcnt(6)
	v_fmac_f64_e32 v[108:109], v[120:121], v[114:115]
	ds_read2_b64 v[112:115], v110 offset0:73 offset1:74
	s_waitcnt vmcnt(4) lgkmcnt(0)
	v_fmac_f64_e32 v[108:109], v[122:123], v[112:113]
	;; [unrolled: 5-line block ×3, first 2 shown]
	buffer_load_dword v113, off, s[0:3], 0 offset:196
	buffer_load_dword v112, off, s[0:3], 0 offset:192
	buffer_load_dword v117, off, s[0:3], 0 offset:204
	buffer_load_dword v116, off, s[0:3], 0 offset:200
	s_waitcnt vmcnt(2)
	v_fmac_f64_e32 v[108:109], v[112:113], v[114:115]
	ds_read2_b64 v[112:115], v110 offset0:77 offset1:78
	s_waitcnt vmcnt(0) lgkmcnt(0)
	v_fmac_f64_e32 v[108:109], v[116:117], v[112:113]
	buffer_load_dword v113, off, s[0:3], 0 offset:212
	buffer_load_dword v112, off, s[0:3], 0 offset:208
	buffer_load_dword v117, off, s[0:3], 0 offset:220
	buffer_load_dword v116, off, s[0:3], 0 offset:216
	s_waitcnt vmcnt(2)
	v_fmac_f64_e32 v[108:109], v[112:113], v[114:115]
	ds_read2_b64 v[112:115], v110 offset0:79 offset1:80
	s_waitcnt vmcnt(0) lgkmcnt(0)
	v_fmac_f64_e32 v[108:109], v[116:117], v[112:113]
	;; [unrolled: 9-line block ×13, first 2 shown]
	buffer_load_dword v113, off, s[0:3], 0 offset:404
	buffer_load_dword v112, off, s[0:3], 0 offset:400
	s_waitcnt vmcnt(0)
	v_fmac_f64_e32 v[108:109], v[112:113], v[114:115]
	buffer_load_dword v113, off, s[0:3], 0 offset:412
	buffer_load_dword v112, off, s[0:3], 0 offset:408
	ds_read_b64 v[114:115], v110 offset:824
	s_waitcnt vmcnt(0) lgkmcnt(0)
	v_fmac_f64_e32 v[108:109], v[112:113], v[114:115]
	v_add_f64 v[106:107], v[106:107], -v[108:109]
	buffer_store_dword v107, off, s[0:3], 0 offset:132
	buffer_store_dword v106, off, s[0:3], 0 offset:128
	s_and_saveexec_b64 s[4:5], vcc
	s_cbranch_execz .LBB115_289
; %bb.288:
	buffer_load_dword v106, off, s[0:3], 0 offset:120
	buffer_load_dword v107, off, s[0:3], 0 offset:124
	s_waitcnt vmcnt(0)
	ds_write_b64 v1, v[106:107]
	buffer_store_dword v110, off, s[0:3], 0 offset:120
	buffer_store_dword v110, off, s[0:3], 0 offset:124
.LBB115_289:
	s_or_b64 exec, exec, s[4:5]
	s_waitcnt lgkmcnt(0)
	; wave barrier
	s_waitcnt lgkmcnt(0)
	buffer_load_dword v106, off, s[0:3], 0 offset:120
	buffer_load_dword v107, off, s[0:3], 0 offset:124
	;; [unrolled: 1-line block ×16, first 2 shown]
	ds_read_b128 v[112:115], v110 offset:544
	ds_read_b128 v[116:119], v110 offset:560
	;; [unrolled: 1-line block ×4, first 2 shown]
	v_cmp_lt_u32_e32 vcc, 14, v0
	s_waitcnt vmcnt(12) lgkmcnt(3)
	v_fma_f64 v[108:109], v[108:109], v[112:113], 0
	buffer_load_dword v113, off, s[0:3], 0 offset:188
	buffer_load_dword v112, off, s[0:3], 0 offset:184
	s_waitcnt vmcnt(12)
	v_fmac_f64_e32 v[108:109], v[128:129], v[114:115]
	s_waitcnt vmcnt(10) lgkmcnt(2)
	v_fmac_f64_e32 v[108:109], v[130:131], v[116:117]
	buffer_load_dword v117, off, s[0:3], 0 offset:196
	buffer_load_dword v116, off, s[0:3], 0 offset:192
	s_waitcnt vmcnt(10)
	v_fmac_f64_e32 v[108:109], v[132:133], v[118:119]
	s_waitcnt vmcnt(8) lgkmcnt(1)
	v_fmac_f64_e32 v[108:109], v[134:135], v[120:121]
	s_waitcnt vmcnt(6)
	v_fmac_f64_e32 v[108:109], v[136:137], v[122:123]
	s_waitcnt vmcnt(4) lgkmcnt(0)
	v_fmac_f64_e32 v[108:109], v[138:139], v[124:125]
	s_waitcnt vmcnt(2)
	v_fmac_f64_e32 v[108:109], v[112:113], v[126:127]
	ds_read_b128 v[112:115], v110 offset:608
	s_waitcnt vmcnt(0) lgkmcnt(0)
	v_fmac_f64_e32 v[108:109], v[116:117], v[112:113]
	buffer_load_dword v113, off, s[0:3], 0 offset:204
	buffer_load_dword v112, off, s[0:3], 0 offset:200
	buffer_load_dword v117, off, s[0:3], 0 offset:212
	buffer_load_dword v116, off, s[0:3], 0 offset:208
	s_waitcnt vmcnt(2)
	v_fmac_f64_e32 v[108:109], v[112:113], v[114:115]
	ds_read_b128 v[112:115], v110 offset:624
	s_waitcnt vmcnt(0) lgkmcnt(0)
	v_fmac_f64_e32 v[108:109], v[116:117], v[112:113]
	buffer_load_dword v113, off, s[0:3], 0 offset:220
	buffer_load_dword v112, off, s[0:3], 0 offset:216
	buffer_load_dword v117, off, s[0:3], 0 offset:228
	buffer_load_dword v116, off, s[0:3], 0 offset:224
	;; [unrolled: 9-line block ×12, first 2 shown]
	s_waitcnt vmcnt(2)
	v_fmac_f64_e32 v[108:109], v[112:113], v[114:115]
	ds_read_b128 v[112:115], v110 offset:800
	s_waitcnt vmcnt(0) lgkmcnt(0)
	v_fmac_f64_e32 v[108:109], v[116:117], v[112:113]
	buffer_load_dword v113, off, s[0:3], 0 offset:396
	buffer_load_dword v112, off, s[0:3], 0 offset:392
	s_waitcnt vmcnt(0)
	v_fmac_f64_e32 v[108:109], v[112:113], v[114:115]
	buffer_load_dword v115, off, s[0:3], 0 offset:404
	buffer_load_dword v114, off, s[0:3], 0 offset:400
	ds_read_b128 v[110:113], v110 offset:816
	s_waitcnt vmcnt(0) lgkmcnt(0)
	v_fmac_f64_e32 v[108:109], v[114:115], v[110:111]
	buffer_load_dword v111, off, s[0:3], 0 offset:412
	buffer_load_dword v110, off, s[0:3], 0 offset:408
	s_waitcnt vmcnt(0)
	v_fmac_f64_e32 v[108:109], v[110:111], v[112:113]
	v_add_f64 v[106:107], v[106:107], -v[108:109]
	buffer_store_dword v107, off, s[0:3], 0 offset:124
	buffer_store_dword v106, off, s[0:3], 0 offset:120
	s_and_saveexec_b64 s[4:5], vcc
	s_cbranch_execz .LBB115_291
; %bb.290:
	buffer_load_dword v106, off, s[0:3], 0 offset:112
	buffer_load_dword v107, off, s[0:3], 0 offset:116
	v_mov_b32_e32 v108, 0
	buffer_store_dword v108, off, s[0:3], 0 offset:112
	buffer_store_dword v108, off, s[0:3], 0 offset:116
	s_waitcnt vmcnt(2)
	ds_write_b64 v1, v[106:107]
.LBB115_291:
	s_or_b64 exec, exec, s[4:5]
	s_waitcnt lgkmcnt(0)
	; wave barrier
	s_waitcnt lgkmcnt(0)
	buffer_load_dword v106, off, s[0:3], 0 offset:112
	buffer_load_dword v107, off, s[0:3], 0 offset:116
	;; [unrolled: 1-line block ×16, first 2 shown]
	v_mov_b32_e32 v110, 0
	ds_read2_b64 v[112:115], v110 offset0:67 offset1:68
	v_cmp_lt_u32_e32 vcc, 13, v0
	s_waitcnt vmcnt(12) lgkmcnt(0)
	v_fma_f64 v[108:109], v[108:109], v[112:113], 0
	s_waitcnt vmcnt(10)
	v_fmac_f64_e32 v[108:109], v[116:117], v[114:115]
	ds_read2_b64 v[112:115], v110 offset0:69 offset1:70
	s_waitcnt vmcnt(8) lgkmcnt(0)
	v_fmac_f64_e32 v[108:109], v[118:119], v[112:113]
	s_waitcnt vmcnt(6)
	v_fmac_f64_e32 v[108:109], v[120:121], v[114:115]
	ds_read2_b64 v[112:115], v110 offset0:71 offset1:72
	s_waitcnt vmcnt(4) lgkmcnt(0)
	v_fmac_f64_e32 v[108:109], v[122:123], v[112:113]
	;; [unrolled: 5-line block ×3, first 2 shown]
	buffer_load_dword v113, off, s[0:3], 0 offset:180
	buffer_load_dword v112, off, s[0:3], 0 offset:176
	buffer_load_dword v117, off, s[0:3], 0 offset:188
	buffer_load_dword v116, off, s[0:3], 0 offset:184
	s_waitcnt vmcnt(2)
	v_fmac_f64_e32 v[108:109], v[112:113], v[114:115]
	ds_read2_b64 v[112:115], v110 offset0:75 offset1:76
	s_waitcnt vmcnt(0) lgkmcnt(0)
	v_fmac_f64_e32 v[108:109], v[116:117], v[112:113]
	buffer_load_dword v113, off, s[0:3], 0 offset:196
	buffer_load_dword v112, off, s[0:3], 0 offset:192
	buffer_load_dword v117, off, s[0:3], 0 offset:204
	buffer_load_dword v116, off, s[0:3], 0 offset:200
	s_waitcnt vmcnt(2)
	v_fmac_f64_e32 v[108:109], v[112:113], v[114:115]
	ds_read2_b64 v[112:115], v110 offset0:77 offset1:78
	s_waitcnt vmcnt(0) lgkmcnt(0)
	v_fmac_f64_e32 v[108:109], v[116:117], v[112:113]
	buffer_load_dword v113, off, s[0:3], 0 offset:212
	buffer_load_dword v112, off, s[0:3], 0 offset:208
	buffer_load_dword v117, off, s[0:3], 0 offset:220
	buffer_load_dword v116, off, s[0:3], 0 offset:216
	s_waitcnt vmcnt(2)
	v_fmac_f64_e32 v[108:109], v[112:113], v[114:115]
	ds_read2_b64 v[112:115], v110 offset0:79 offset1:80
	s_waitcnt vmcnt(0) lgkmcnt(0)
	v_fmac_f64_e32 v[108:109], v[116:117], v[112:113]
	buffer_load_dword v113, off, s[0:3], 0 offset:228
	buffer_load_dword v112, off, s[0:3], 0 offset:224
	buffer_load_dword v117, off, s[0:3], 0 offset:236
	buffer_load_dword v116, off, s[0:3], 0 offset:232
	s_waitcnt vmcnt(2)
	v_fmac_f64_e32 v[108:109], v[112:113], v[114:115]
	ds_read2_b64 v[112:115], v110 offset0:81 offset1:82
	s_waitcnt vmcnt(0) lgkmcnt(0)
	v_fmac_f64_e32 v[108:109], v[116:117], v[112:113]
	buffer_load_dword v113, off, s[0:3], 0 offset:244
	buffer_load_dword v112, off, s[0:3], 0 offset:240
	buffer_load_dword v117, off, s[0:3], 0 offset:252
	buffer_load_dword v116, off, s[0:3], 0 offset:248
	s_waitcnt vmcnt(2)
	v_fmac_f64_e32 v[108:109], v[112:113], v[114:115]
	ds_read2_b64 v[112:115], v110 offset0:83 offset1:84
	s_waitcnt vmcnt(0) lgkmcnt(0)
	v_fmac_f64_e32 v[108:109], v[116:117], v[112:113]
	buffer_load_dword v113, off, s[0:3], 0 offset:260
	buffer_load_dword v112, off, s[0:3], 0 offset:256
	buffer_load_dword v117, off, s[0:3], 0 offset:268
	buffer_load_dword v116, off, s[0:3], 0 offset:264
	s_waitcnt vmcnt(2)
	v_fmac_f64_e32 v[108:109], v[112:113], v[114:115]
	ds_read2_b64 v[112:115], v110 offset0:85 offset1:86
	s_waitcnt vmcnt(0) lgkmcnt(0)
	v_fmac_f64_e32 v[108:109], v[116:117], v[112:113]
	buffer_load_dword v113, off, s[0:3], 0 offset:276
	buffer_load_dword v112, off, s[0:3], 0 offset:272
	buffer_load_dword v117, off, s[0:3], 0 offset:284
	buffer_load_dword v116, off, s[0:3], 0 offset:280
	s_waitcnt vmcnt(2)
	v_fmac_f64_e32 v[108:109], v[112:113], v[114:115]
	ds_read2_b64 v[112:115], v110 offset0:87 offset1:88
	s_waitcnt vmcnt(0) lgkmcnt(0)
	v_fmac_f64_e32 v[108:109], v[116:117], v[112:113]
	buffer_load_dword v113, off, s[0:3], 0 offset:292
	buffer_load_dword v112, off, s[0:3], 0 offset:288
	buffer_load_dword v117, off, s[0:3], 0 offset:300
	buffer_load_dword v116, off, s[0:3], 0 offset:296
	s_waitcnt vmcnt(2)
	v_fmac_f64_e32 v[108:109], v[112:113], v[114:115]
	ds_read2_b64 v[112:115], v110 offset0:89 offset1:90
	s_waitcnt vmcnt(0) lgkmcnt(0)
	v_fmac_f64_e32 v[108:109], v[116:117], v[112:113]
	buffer_load_dword v113, off, s[0:3], 0 offset:308
	buffer_load_dword v112, off, s[0:3], 0 offset:304
	buffer_load_dword v117, off, s[0:3], 0 offset:316
	buffer_load_dword v116, off, s[0:3], 0 offset:312
	s_waitcnt vmcnt(2)
	v_fmac_f64_e32 v[108:109], v[112:113], v[114:115]
	ds_read2_b64 v[112:115], v110 offset0:91 offset1:92
	s_waitcnt vmcnt(0) lgkmcnt(0)
	v_fmac_f64_e32 v[108:109], v[116:117], v[112:113]
	buffer_load_dword v113, off, s[0:3], 0 offset:324
	buffer_load_dword v112, off, s[0:3], 0 offset:320
	buffer_load_dword v117, off, s[0:3], 0 offset:332
	buffer_load_dword v116, off, s[0:3], 0 offset:328
	s_waitcnt vmcnt(2)
	v_fmac_f64_e32 v[108:109], v[112:113], v[114:115]
	ds_read2_b64 v[112:115], v110 offset0:93 offset1:94
	s_waitcnt vmcnt(0) lgkmcnt(0)
	v_fmac_f64_e32 v[108:109], v[116:117], v[112:113]
	buffer_load_dword v113, off, s[0:3], 0 offset:340
	buffer_load_dword v112, off, s[0:3], 0 offset:336
	buffer_load_dword v117, off, s[0:3], 0 offset:348
	buffer_load_dword v116, off, s[0:3], 0 offset:344
	s_waitcnt vmcnt(2)
	v_fmac_f64_e32 v[108:109], v[112:113], v[114:115]
	ds_read2_b64 v[112:115], v110 offset0:95 offset1:96
	s_waitcnt vmcnt(0) lgkmcnt(0)
	v_fmac_f64_e32 v[108:109], v[116:117], v[112:113]
	buffer_load_dword v113, off, s[0:3], 0 offset:356
	buffer_load_dword v112, off, s[0:3], 0 offset:352
	buffer_load_dword v117, off, s[0:3], 0 offset:364
	buffer_load_dword v116, off, s[0:3], 0 offset:360
	s_waitcnt vmcnt(2)
	v_fmac_f64_e32 v[108:109], v[112:113], v[114:115]
	ds_read2_b64 v[112:115], v110 offset0:97 offset1:98
	s_waitcnt vmcnt(0) lgkmcnt(0)
	v_fmac_f64_e32 v[108:109], v[116:117], v[112:113]
	buffer_load_dword v113, off, s[0:3], 0 offset:372
	buffer_load_dword v112, off, s[0:3], 0 offset:368
	buffer_load_dword v117, off, s[0:3], 0 offset:380
	buffer_load_dword v116, off, s[0:3], 0 offset:376
	s_waitcnt vmcnt(2)
	v_fmac_f64_e32 v[108:109], v[112:113], v[114:115]
	ds_read2_b64 v[112:115], v110 offset0:99 offset1:100
	s_waitcnt vmcnt(0) lgkmcnt(0)
	v_fmac_f64_e32 v[108:109], v[116:117], v[112:113]
	buffer_load_dword v113, off, s[0:3], 0 offset:388
	buffer_load_dword v112, off, s[0:3], 0 offset:384
	buffer_load_dword v117, off, s[0:3], 0 offset:396
	buffer_load_dword v116, off, s[0:3], 0 offset:392
	s_waitcnt vmcnt(2)
	v_fmac_f64_e32 v[108:109], v[112:113], v[114:115]
	ds_read2_b64 v[112:115], v110 offset0:101 offset1:102
	s_waitcnt vmcnt(0) lgkmcnt(0)
	v_fmac_f64_e32 v[108:109], v[116:117], v[112:113]
	buffer_load_dword v113, off, s[0:3], 0 offset:404
	buffer_load_dword v112, off, s[0:3], 0 offset:400
	s_waitcnt vmcnt(0)
	v_fmac_f64_e32 v[108:109], v[112:113], v[114:115]
	buffer_load_dword v113, off, s[0:3], 0 offset:412
	buffer_load_dword v112, off, s[0:3], 0 offset:408
	ds_read_b64 v[114:115], v110 offset:824
	s_waitcnt vmcnt(0) lgkmcnt(0)
	v_fmac_f64_e32 v[108:109], v[112:113], v[114:115]
	v_add_f64 v[106:107], v[106:107], -v[108:109]
	buffer_store_dword v107, off, s[0:3], 0 offset:116
	buffer_store_dword v106, off, s[0:3], 0 offset:112
	s_and_saveexec_b64 s[4:5], vcc
	s_cbranch_execz .LBB115_293
; %bb.292:
	buffer_load_dword v106, off, s[0:3], 0 offset:104
	buffer_load_dword v107, off, s[0:3], 0 offset:108
	s_waitcnt vmcnt(0)
	ds_write_b64 v1, v[106:107]
	buffer_store_dword v110, off, s[0:3], 0 offset:104
	buffer_store_dword v110, off, s[0:3], 0 offset:108
.LBB115_293:
	s_or_b64 exec, exec, s[4:5]
	s_waitcnt lgkmcnt(0)
	; wave barrier
	s_waitcnt lgkmcnt(0)
	buffer_load_dword v106, off, s[0:3], 0 offset:104
	buffer_load_dword v107, off, s[0:3], 0 offset:108
	;; [unrolled: 1-line block ×16, first 2 shown]
	ds_read_b128 v[112:115], v110 offset:528
	ds_read_b128 v[116:119], v110 offset:544
	;; [unrolled: 1-line block ×4, first 2 shown]
	v_cmp_lt_u32_e32 vcc, 12, v0
	s_waitcnt vmcnt(12) lgkmcnt(3)
	v_fma_f64 v[108:109], v[108:109], v[112:113], 0
	buffer_load_dword v113, off, s[0:3], 0 offset:172
	buffer_load_dword v112, off, s[0:3], 0 offset:168
	s_waitcnt vmcnt(12)
	v_fmac_f64_e32 v[108:109], v[128:129], v[114:115]
	s_waitcnt vmcnt(10) lgkmcnt(2)
	v_fmac_f64_e32 v[108:109], v[130:131], v[116:117]
	buffer_load_dword v117, off, s[0:3], 0 offset:180
	buffer_load_dword v116, off, s[0:3], 0 offset:176
	s_waitcnt vmcnt(10)
	v_fmac_f64_e32 v[108:109], v[132:133], v[118:119]
	s_waitcnt vmcnt(8) lgkmcnt(1)
	v_fmac_f64_e32 v[108:109], v[134:135], v[120:121]
	s_waitcnt vmcnt(6)
	v_fmac_f64_e32 v[108:109], v[136:137], v[122:123]
	s_waitcnt vmcnt(4) lgkmcnt(0)
	v_fmac_f64_e32 v[108:109], v[138:139], v[124:125]
	s_waitcnt vmcnt(2)
	v_fmac_f64_e32 v[108:109], v[112:113], v[126:127]
	ds_read_b128 v[112:115], v110 offset:592
	s_waitcnt vmcnt(0) lgkmcnt(0)
	v_fmac_f64_e32 v[108:109], v[116:117], v[112:113]
	buffer_load_dword v113, off, s[0:3], 0 offset:188
	buffer_load_dword v112, off, s[0:3], 0 offset:184
	buffer_load_dword v117, off, s[0:3], 0 offset:196
	buffer_load_dword v116, off, s[0:3], 0 offset:192
	s_waitcnt vmcnt(2)
	v_fmac_f64_e32 v[108:109], v[112:113], v[114:115]
	ds_read_b128 v[112:115], v110 offset:608
	s_waitcnt vmcnt(0) lgkmcnt(0)
	v_fmac_f64_e32 v[108:109], v[116:117], v[112:113]
	buffer_load_dword v113, off, s[0:3], 0 offset:204
	buffer_load_dword v112, off, s[0:3], 0 offset:200
	buffer_load_dword v117, off, s[0:3], 0 offset:212
	buffer_load_dword v116, off, s[0:3], 0 offset:208
	s_waitcnt vmcnt(2)
	v_fmac_f64_e32 v[108:109], v[112:113], v[114:115]
	ds_read_b128 v[112:115], v110 offset:624
	s_waitcnt vmcnt(0) lgkmcnt(0)
	v_fmac_f64_e32 v[108:109], v[116:117], v[112:113]
	buffer_load_dword v113, off, s[0:3], 0 offset:220
	buffer_load_dword v112, off, s[0:3], 0 offset:216
	buffer_load_dword v117, off, s[0:3], 0 offset:228
	buffer_load_dword v116, off, s[0:3], 0 offset:224
	s_waitcnt vmcnt(2)
	v_fmac_f64_e32 v[108:109], v[112:113], v[114:115]
	ds_read_b128 v[112:115], v110 offset:640
	s_waitcnt vmcnt(0) lgkmcnt(0)
	v_fmac_f64_e32 v[108:109], v[116:117], v[112:113]
	buffer_load_dword v113, off, s[0:3], 0 offset:236
	buffer_load_dword v112, off, s[0:3], 0 offset:232
	buffer_load_dword v117, off, s[0:3], 0 offset:244
	buffer_load_dword v116, off, s[0:3], 0 offset:240
	s_waitcnt vmcnt(2)
	v_fmac_f64_e32 v[108:109], v[112:113], v[114:115]
	ds_read_b128 v[112:115], v110 offset:656
	s_waitcnt vmcnt(0) lgkmcnt(0)
	v_fmac_f64_e32 v[108:109], v[116:117], v[112:113]
	buffer_load_dword v113, off, s[0:3], 0 offset:252
	buffer_load_dword v112, off, s[0:3], 0 offset:248
	buffer_load_dword v117, off, s[0:3], 0 offset:260
	buffer_load_dword v116, off, s[0:3], 0 offset:256
	s_waitcnt vmcnt(2)
	v_fmac_f64_e32 v[108:109], v[112:113], v[114:115]
	ds_read_b128 v[112:115], v110 offset:672
	s_waitcnt vmcnt(0) lgkmcnt(0)
	v_fmac_f64_e32 v[108:109], v[116:117], v[112:113]
	buffer_load_dword v113, off, s[0:3], 0 offset:268
	buffer_load_dword v112, off, s[0:3], 0 offset:264
	buffer_load_dword v117, off, s[0:3], 0 offset:276
	buffer_load_dword v116, off, s[0:3], 0 offset:272
	s_waitcnt vmcnt(2)
	v_fmac_f64_e32 v[108:109], v[112:113], v[114:115]
	ds_read_b128 v[112:115], v110 offset:688
	s_waitcnt vmcnt(0) lgkmcnt(0)
	v_fmac_f64_e32 v[108:109], v[116:117], v[112:113]
	buffer_load_dword v113, off, s[0:3], 0 offset:284
	buffer_load_dword v112, off, s[0:3], 0 offset:280
	buffer_load_dword v117, off, s[0:3], 0 offset:292
	buffer_load_dword v116, off, s[0:3], 0 offset:288
	s_waitcnt vmcnt(2)
	v_fmac_f64_e32 v[108:109], v[112:113], v[114:115]
	ds_read_b128 v[112:115], v110 offset:704
	s_waitcnt vmcnt(0) lgkmcnt(0)
	v_fmac_f64_e32 v[108:109], v[116:117], v[112:113]
	buffer_load_dword v113, off, s[0:3], 0 offset:300
	buffer_load_dword v112, off, s[0:3], 0 offset:296
	buffer_load_dword v117, off, s[0:3], 0 offset:308
	buffer_load_dword v116, off, s[0:3], 0 offset:304
	s_waitcnt vmcnt(2)
	v_fmac_f64_e32 v[108:109], v[112:113], v[114:115]
	ds_read_b128 v[112:115], v110 offset:720
	s_waitcnt vmcnt(0) lgkmcnt(0)
	v_fmac_f64_e32 v[108:109], v[116:117], v[112:113]
	buffer_load_dword v113, off, s[0:3], 0 offset:316
	buffer_load_dword v112, off, s[0:3], 0 offset:312
	buffer_load_dword v117, off, s[0:3], 0 offset:324
	buffer_load_dword v116, off, s[0:3], 0 offset:320
	s_waitcnt vmcnt(2)
	v_fmac_f64_e32 v[108:109], v[112:113], v[114:115]
	ds_read_b128 v[112:115], v110 offset:736
	s_waitcnt vmcnt(0) lgkmcnt(0)
	v_fmac_f64_e32 v[108:109], v[116:117], v[112:113]
	buffer_load_dword v113, off, s[0:3], 0 offset:332
	buffer_load_dword v112, off, s[0:3], 0 offset:328
	buffer_load_dword v117, off, s[0:3], 0 offset:340
	buffer_load_dword v116, off, s[0:3], 0 offset:336
	s_waitcnt vmcnt(2)
	v_fmac_f64_e32 v[108:109], v[112:113], v[114:115]
	ds_read_b128 v[112:115], v110 offset:752
	s_waitcnt vmcnt(0) lgkmcnt(0)
	v_fmac_f64_e32 v[108:109], v[116:117], v[112:113]
	buffer_load_dword v113, off, s[0:3], 0 offset:348
	buffer_load_dword v112, off, s[0:3], 0 offset:344
	buffer_load_dword v117, off, s[0:3], 0 offset:356
	buffer_load_dword v116, off, s[0:3], 0 offset:352
	s_waitcnt vmcnt(2)
	v_fmac_f64_e32 v[108:109], v[112:113], v[114:115]
	ds_read_b128 v[112:115], v110 offset:768
	s_waitcnt vmcnt(0) lgkmcnt(0)
	v_fmac_f64_e32 v[108:109], v[116:117], v[112:113]
	buffer_load_dword v113, off, s[0:3], 0 offset:364
	buffer_load_dword v112, off, s[0:3], 0 offset:360
	buffer_load_dword v117, off, s[0:3], 0 offset:372
	buffer_load_dword v116, off, s[0:3], 0 offset:368
	s_waitcnt vmcnt(2)
	v_fmac_f64_e32 v[108:109], v[112:113], v[114:115]
	ds_read_b128 v[112:115], v110 offset:784
	s_waitcnt vmcnt(0) lgkmcnt(0)
	v_fmac_f64_e32 v[108:109], v[116:117], v[112:113]
	buffer_load_dword v113, off, s[0:3], 0 offset:380
	buffer_load_dword v112, off, s[0:3], 0 offset:376
	buffer_load_dword v117, off, s[0:3], 0 offset:388
	buffer_load_dword v116, off, s[0:3], 0 offset:384
	s_waitcnt vmcnt(2)
	v_fmac_f64_e32 v[108:109], v[112:113], v[114:115]
	ds_read_b128 v[112:115], v110 offset:800
	s_waitcnt vmcnt(0) lgkmcnt(0)
	v_fmac_f64_e32 v[108:109], v[116:117], v[112:113]
	buffer_load_dword v113, off, s[0:3], 0 offset:396
	buffer_load_dword v112, off, s[0:3], 0 offset:392
	s_waitcnt vmcnt(0)
	v_fmac_f64_e32 v[108:109], v[112:113], v[114:115]
	buffer_load_dword v115, off, s[0:3], 0 offset:404
	buffer_load_dword v114, off, s[0:3], 0 offset:400
	ds_read_b128 v[110:113], v110 offset:816
	s_waitcnt vmcnt(0) lgkmcnt(0)
	v_fmac_f64_e32 v[108:109], v[114:115], v[110:111]
	buffer_load_dword v111, off, s[0:3], 0 offset:412
	buffer_load_dword v110, off, s[0:3], 0 offset:408
	s_waitcnt vmcnt(0)
	v_fmac_f64_e32 v[108:109], v[110:111], v[112:113]
	v_add_f64 v[106:107], v[106:107], -v[108:109]
	buffer_store_dword v107, off, s[0:3], 0 offset:108
	buffer_store_dword v106, off, s[0:3], 0 offset:104
	s_and_saveexec_b64 s[4:5], vcc
	s_cbranch_execz .LBB115_295
; %bb.294:
	buffer_load_dword v106, off, s[0:3], 0 offset:96
	buffer_load_dword v107, off, s[0:3], 0 offset:100
	v_mov_b32_e32 v108, 0
	buffer_store_dword v108, off, s[0:3], 0 offset:96
	buffer_store_dword v108, off, s[0:3], 0 offset:100
	s_waitcnt vmcnt(2)
	ds_write_b64 v1, v[106:107]
.LBB115_295:
	s_or_b64 exec, exec, s[4:5]
	s_waitcnt lgkmcnt(0)
	; wave barrier
	s_waitcnt lgkmcnt(0)
	buffer_load_dword v106, off, s[0:3], 0 offset:96
	buffer_load_dword v107, off, s[0:3], 0 offset:100
	;; [unrolled: 1-line block ×16, first 2 shown]
	v_mov_b32_e32 v110, 0
	ds_read2_b64 v[112:115], v110 offset0:65 offset1:66
	v_cmp_lt_u32_e32 vcc, 11, v0
	s_waitcnt vmcnt(12) lgkmcnt(0)
	v_fma_f64 v[108:109], v[108:109], v[112:113], 0
	s_waitcnt vmcnt(10)
	v_fmac_f64_e32 v[108:109], v[116:117], v[114:115]
	ds_read2_b64 v[112:115], v110 offset0:67 offset1:68
	s_waitcnt vmcnt(8) lgkmcnt(0)
	v_fmac_f64_e32 v[108:109], v[118:119], v[112:113]
	s_waitcnt vmcnt(6)
	v_fmac_f64_e32 v[108:109], v[120:121], v[114:115]
	ds_read2_b64 v[112:115], v110 offset0:69 offset1:70
	s_waitcnt vmcnt(4) lgkmcnt(0)
	v_fmac_f64_e32 v[108:109], v[122:123], v[112:113]
	;; [unrolled: 5-line block ×3, first 2 shown]
	buffer_load_dword v113, off, s[0:3], 0 offset:164
	buffer_load_dword v112, off, s[0:3], 0 offset:160
	buffer_load_dword v117, off, s[0:3], 0 offset:172
	buffer_load_dword v116, off, s[0:3], 0 offset:168
	s_waitcnt vmcnt(2)
	v_fmac_f64_e32 v[108:109], v[112:113], v[114:115]
	ds_read2_b64 v[112:115], v110 offset0:73 offset1:74
	s_waitcnt vmcnt(0) lgkmcnt(0)
	v_fmac_f64_e32 v[108:109], v[116:117], v[112:113]
	buffer_load_dword v113, off, s[0:3], 0 offset:180
	buffer_load_dword v112, off, s[0:3], 0 offset:176
	buffer_load_dword v117, off, s[0:3], 0 offset:188
	buffer_load_dword v116, off, s[0:3], 0 offset:184
	s_waitcnt vmcnt(2)
	v_fmac_f64_e32 v[108:109], v[112:113], v[114:115]
	ds_read2_b64 v[112:115], v110 offset0:75 offset1:76
	s_waitcnt vmcnt(0) lgkmcnt(0)
	v_fmac_f64_e32 v[108:109], v[116:117], v[112:113]
	;; [unrolled: 9-line block ×15, first 2 shown]
	buffer_load_dword v113, off, s[0:3], 0 offset:404
	buffer_load_dword v112, off, s[0:3], 0 offset:400
	s_waitcnt vmcnt(0)
	v_fmac_f64_e32 v[108:109], v[112:113], v[114:115]
	buffer_load_dword v113, off, s[0:3], 0 offset:412
	buffer_load_dword v112, off, s[0:3], 0 offset:408
	ds_read_b64 v[114:115], v110 offset:824
	s_waitcnt vmcnt(0) lgkmcnt(0)
	v_fmac_f64_e32 v[108:109], v[112:113], v[114:115]
	v_add_f64 v[106:107], v[106:107], -v[108:109]
	buffer_store_dword v107, off, s[0:3], 0 offset:100
	buffer_store_dword v106, off, s[0:3], 0 offset:96
	s_and_saveexec_b64 s[4:5], vcc
	s_cbranch_execz .LBB115_297
; %bb.296:
	buffer_load_dword v106, off, s[0:3], 0 offset:88
	buffer_load_dword v107, off, s[0:3], 0 offset:92
	s_waitcnt vmcnt(0)
	ds_write_b64 v1, v[106:107]
	buffer_store_dword v110, off, s[0:3], 0 offset:88
	buffer_store_dword v110, off, s[0:3], 0 offset:92
.LBB115_297:
	s_or_b64 exec, exec, s[4:5]
	s_waitcnt lgkmcnt(0)
	; wave barrier
	s_waitcnt lgkmcnt(0)
	buffer_load_dword v106, off, s[0:3], 0 offset:88
	buffer_load_dword v107, off, s[0:3], 0 offset:92
	;; [unrolled: 1-line block ×16, first 2 shown]
	ds_read_b128 v[112:115], v110 offset:512
	ds_read_b128 v[116:119], v110 offset:528
	;; [unrolled: 1-line block ×4, first 2 shown]
	v_cmp_lt_u32_e32 vcc, 10, v0
	s_waitcnt vmcnt(12) lgkmcnt(3)
	v_fma_f64 v[108:109], v[108:109], v[112:113], 0
	buffer_load_dword v113, off, s[0:3], 0 offset:156
	buffer_load_dword v112, off, s[0:3], 0 offset:152
	s_waitcnt vmcnt(12)
	v_fmac_f64_e32 v[108:109], v[128:129], v[114:115]
	s_waitcnt vmcnt(10) lgkmcnt(2)
	v_fmac_f64_e32 v[108:109], v[130:131], v[116:117]
	buffer_load_dword v117, off, s[0:3], 0 offset:164
	buffer_load_dword v116, off, s[0:3], 0 offset:160
	s_waitcnt vmcnt(10)
	v_fmac_f64_e32 v[108:109], v[132:133], v[118:119]
	s_waitcnt vmcnt(8) lgkmcnt(1)
	v_fmac_f64_e32 v[108:109], v[134:135], v[120:121]
	s_waitcnt vmcnt(6)
	v_fmac_f64_e32 v[108:109], v[136:137], v[122:123]
	s_waitcnt vmcnt(4) lgkmcnt(0)
	v_fmac_f64_e32 v[108:109], v[138:139], v[124:125]
	s_waitcnt vmcnt(2)
	v_fmac_f64_e32 v[108:109], v[112:113], v[126:127]
	ds_read_b128 v[112:115], v110 offset:576
	s_waitcnt vmcnt(0) lgkmcnt(0)
	v_fmac_f64_e32 v[108:109], v[116:117], v[112:113]
	buffer_load_dword v113, off, s[0:3], 0 offset:172
	buffer_load_dword v112, off, s[0:3], 0 offset:168
	buffer_load_dword v117, off, s[0:3], 0 offset:180
	buffer_load_dword v116, off, s[0:3], 0 offset:176
	s_waitcnt vmcnt(2)
	v_fmac_f64_e32 v[108:109], v[112:113], v[114:115]
	ds_read_b128 v[112:115], v110 offset:592
	s_waitcnt vmcnt(0) lgkmcnt(0)
	v_fmac_f64_e32 v[108:109], v[116:117], v[112:113]
	buffer_load_dword v113, off, s[0:3], 0 offset:188
	buffer_load_dword v112, off, s[0:3], 0 offset:184
	buffer_load_dword v117, off, s[0:3], 0 offset:196
	buffer_load_dword v116, off, s[0:3], 0 offset:192
	;; [unrolled: 9-line block ×14, first 2 shown]
	s_waitcnt vmcnt(2)
	v_fmac_f64_e32 v[108:109], v[112:113], v[114:115]
	ds_read_b128 v[112:115], v110 offset:800
	s_waitcnt vmcnt(0) lgkmcnt(0)
	v_fmac_f64_e32 v[108:109], v[116:117], v[112:113]
	buffer_load_dword v113, off, s[0:3], 0 offset:396
	buffer_load_dword v112, off, s[0:3], 0 offset:392
	s_waitcnt vmcnt(0)
	v_fmac_f64_e32 v[108:109], v[112:113], v[114:115]
	buffer_load_dword v115, off, s[0:3], 0 offset:404
	buffer_load_dword v114, off, s[0:3], 0 offset:400
	ds_read_b128 v[110:113], v110 offset:816
	s_waitcnt vmcnt(0) lgkmcnt(0)
	v_fmac_f64_e32 v[108:109], v[114:115], v[110:111]
	buffer_load_dword v111, off, s[0:3], 0 offset:412
	buffer_load_dword v110, off, s[0:3], 0 offset:408
	s_waitcnt vmcnt(0)
	v_fmac_f64_e32 v[108:109], v[110:111], v[112:113]
	v_add_f64 v[106:107], v[106:107], -v[108:109]
	buffer_store_dword v107, off, s[0:3], 0 offset:92
	buffer_store_dword v106, off, s[0:3], 0 offset:88
	s_and_saveexec_b64 s[4:5], vcc
	s_cbranch_execz .LBB115_299
; %bb.298:
	buffer_load_dword v106, off, s[0:3], 0 offset:80
	buffer_load_dword v107, off, s[0:3], 0 offset:84
	v_mov_b32_e32 v108, 0
	buffer_store_dword v108, off, s[0:3], 0 offset:80
	buffer_store_dword v108, off, s[0:3], 0 offset:84
	s_waitcnt vmcnt(2)
	ds_write_b64 v1, v[106:107]
.LBB115_299:
	s_or_b64 exec, exec, s[4:5]
	s_waitcnt lgkmcnt(0)
	; wave barrier
	s_waitcnt lgkmcnt(0)
	buffer_load_dword v106, off, s[0:3], 0 offset:80
	buffer_load_dword v107, off, s[0:3], 0 offset:84
	;; [unrolled: 1-line block ×16, first 2 shown]
	v_mov_b32_e32 v110, 0
	ds_read2_b64 v[112:115], v110 offset0:63 offset1:64
	v_cmp_lt_u32_e32 vcc, 9, v0
	s_waitcnt vmcnt(12) lgkmcnt(0)
	v_fma_f64 v[108:109], v[108:109], v[112:113], 0
	s_waitcnt vmcnt(10)
	v_fmac_f64_e32 v[108:109], v[116:117], v[114:115]
	ds_read2_b64 v[112:115], v110 offset0:65 offset1:66
	s_waitcnt vmcnt(8) lgkmcnt(0)
	v_fmac_f64_e32 v[108:109], v[118:119], v[112:113]
	s_waitcnt vmcnt(6)
	v_fmac_f64_e32 v[108:109], v[120:121], v[114:115]
	ds_read2_b64 v[112:115], v110 offset0:67 offset1:68
	s_waitcnt vmcnt(4) lgkmcnt(0)
	v_fmac_f64_e32 v[108:109], v[122:123], v[112:113]
	;; [unrolled: 5-line block ×3, first 2 shown]
	buffer_load_dword v113, off, s[0:3], 0 offset:148
	buffer_load_dword v112, off, s[0:3], 0 offset:144
	buffer_load_dword v117, off, s[0:3], 0 offset:156
	buffer_load_dword v116, off, s[0:3], 0 offset:152
	s_waitcnt vmcnt(2)
	v_fmac_f64_e32 v[108:109], v[112:113], v[114:115]
	ds_read2_b64 v[112:115], v110 offset0:71 offset1:72
	s_waitcnt vmcnt(0) lgkmcnt(0)
	v_fmac_f64_e32 v[108:109], v[116:117], v[112:113]
	buffer_load_dword v113, off, s[0:3], 0 offset:164
	buffer_load_dword v112, off, s[0:3], 0 offset:160
	buffer_load_dword v117, off, s[0:3], 0 offset:172
	buffer_load_dword v116, off, s[0:3], 0 offset:168
	s_waitcnt vmcnt(2)
	v_fmac_f64_e32 v[108:109], v[112:113], v[114:115]
	ds_read2_b64 v[112:115], v110 offset0:73 offset1:74
	s_waitcnt vmcnt(0) lgkmcnt(0)
	v_fmac_f64_e32 v[108:109], v[116:117], v[112:113]
	;; [unrolled: 9-line block ×16, first 2 shown]
	buffer_load_dword v113, off, s[0:3], 0 offset:404
	buffer_load_dword v112, off, s[0:3], 0 offset:400
	s_waitcnt vmcnt(0)
	v_fmac_f64_e32 v[108:109], v[112:113], v[114:115]
	buffer_load_dword v113, off, s[0:3], 0 offset:412
	buffer_load_dword v112, off, s[0:3], 0 offset:408
	ds_read_b64 v[114:115], v110 offset:824
	s_waitcnt vmcnt(0) lgkmcnt(0)
	v_fmac_f64_e32 v[108:109], v[112:113], v[114:115]
	v_add_f64 v[106:107], v[106:107], -v[108:109]
	buffer_store_dword v107, off, s[0:3], 0 offset:84
	buffer_store_dword v106, off, s[0:3], 0 offset:80
	s_and_saveexec_b64 s[4:5], vcc
	s_cbranch_execz .LBB115_301
; %bb.300:
	buffer_load_dword v106, off, s[0:3], 0 offset:72
	buffer_load_dword v107, off, s[0:3], 0 offset:76
	s_waitcnt vmcnt(0)
	ds_write_b64 v1, v[106:107]
	buffer_store_dword v110, off, s[0:3], 0 offset:72
	buffer_store_dword v110, off, s[0:3], 0 offset:76
.LBB115_301:
	s_or_b64 exec, exec, s[4:5]
	s_waitcnt lgkmcnt(0)
	; wave barrier
	s_waitcnt lgkmcnt(0)
	buffer_load_dword v106, off, s[0:3], 0 offset:72
	buffer_load_dword v107, off, s[0:3], 0 offset:76
	;; [unrolled: 1-line block ×16, first 2 shown]
	ds_read_b128 v[112:115], v110 offset:496
	ds_read_b128 v[116:119], v110 offset:512
	;; [unrolled: 1-line block ×4, first 2 shown]
	v_cmp_lt_u32_e32 vcc, 8, v0
	s_waitcnt vmcnt(12) lgkmcnt(3)
	v_fma_f64 v[108:109], v[108:109], v[112:113], 0
	buffer_load_dword v113, off, s[0:3], 0 offset:140
	buffer_load_dword v112, off, s[0:3], 0 offset:136
	s_waitcnt vmcnt(12)
	v_fmac_f64_e32 v[108:109], v[128:129], v[114:115]
	s_waitcnt vmcnt(10) lgkmcnt(2)
	v_fmac_f64_e32 v[108:109], v[130:131], v[116:117]
	buffer_load_dword v117, off, s[0:3], 0 offset:148
	buffer_load_dword v116, off, s[0:3], 0 offset:144
	s_waitcnt vmcnt(10)
	v_fmac_f64_e32 v[108:109], v[132:133], v[118:119]
	s_waitcnt vmcnt(8) lgkmcnt(1)
	v_fmac_f64_e32 v[108:109], v[134:135], v[120:121]
	s_waitcnt vmcnt(6)
	v_fmac_f64_e32 v[108:109], v[136:137], v[122:123]
	s_waitcnt vmcnt(4) lgkmcnt(0)
	v_fmac_f64_e32 v[108:109], v[138:139], v[124:125]
	s_waitcnt vmcnt(2)
	v_fmac_f64_e32 v[108:109], v[112:113], v[126:127]
	ds_read_b128 v[112:115], v110 offset:560
	s_waitcnt vmcnt(0) lgkmcnt(0)
	v_fmac_f64_e32 v[108:109], v[116:117], v[112:113]
	buffer_load_dword v113, off, s[0:3], 0 offset:156
	buffer_load_dword v112, off, s[0:3], 0 offset:152
	buffer_load_dword v117, off, s[0:3], 0 offset:164
	buffer_load_dword v116, off, s[0:3], 0 offset:160
	s_waitcnt vmcnt(2)
	v_fmac_f64_e32 v[108:109], v[112:113], v[114:115]
	ds_read_b128 v[112:115], v110 offset:576
	s_waitcnt vmcnt(0) lgkmcnt(0)
	v_fmac_f64_e32 v[108:109], v[116:117], v[112:113]
	buffer_load_dword v113, off, s[0:3], 0 offset:172
	buffer_load_dword v112, off, s[0:3], 0 offset:168
	buffer_load_dword v117, off, s[0:3], 0 offset:180
	buffer_load_dword v116, off, s[0:3], 0 offset:176
	s_waitcnt vmcnt(2)
	v_fmac_f64_e32 v[108:109], v[112:113], v[114:115]
	ds_read_b128 v[112:115], v110 offset:592
	s_waitcnt vmcnt(0) lgkmcnt(0)
	v_fmac_f64_e32 v[108:109], v[116:117], v[112:113]
	buffer_load_dword v113, off, s[0:3], 0 offset:188
	buffer_load_dword v112, off, s[0:3], 0 offset:184
	buffer_load_dword v117, off, s[0:3], 0 offset:196
	buffer_load_dword v116, off, s[0:3], 0 offset:192
	s_waitcnt vmcnt(2)
	v_fmac_f64_e32 v[108:109], v[112:113], v[114:115]
	ds_read_b128 v[112:115], v110 offset:608
	s_waitcnt vmcnt(0) lgkmcnt(0)
	v_fmac_f64_e32 v[108:109], v[116:117], v[112:113]
	buffer_load_dword v113, off, s[0:3], 0 offset:204
	buffer_load_dword v112, off, s[0:3], 0 offset:200
	buffer_load_dword v117, off, s[0:3], 0 offset:212
	buffer_load_dword v116, off, s[0:3], 0 offset:208
	s_waitcnt vmcnt(2)
	v_fmac_f64_e32 v[108:109], v[112:113], v[114:115]
	ds_read_b128 v[112:115], v110 offset:624
	s_waitcnt vmcnt(0) lgkmcnt(0)
	v_fmac_f64_e32 v[108:109], v[116:117], v[112:113]
	buffer_load_dword v113, off, s[0:3], 0 offset:220
	buffer_load_dword v112, off, s[0:3], 0 offset:216
	buffer_load_dword v117, off, s[0:3], 0 offset:228
	buffer_load_dword v116, off, s[0:3], 0 offset:224
	s_waitcnt vmcnt(2)
	v_fmac_f64_e32 v[108:109], v[112:113], v[114:115]
	ds_read_b128 v[112:115], v110 offset:640
	s_waitcnt vmcnt(0) lgkmcnt(0)
	v_fmac_f64_e32 v[108:109], v[116:117], v[112:113]
	buffer_load_dword v113, off, s[0:3], 0 offset:236
	buffer_load_dword v112, off, s[0:3], 0 offset:232
	buffer_load_dword v117, off, s[0:3], 0 offset:244
	buffer_load_dword v116, off, s[0:3], 0 offset:240
	s_waitcnt vmcnt(2)
	v_fmac_f64_e32 v[108:109], v[112:113], v[114:115]
	ds_read_b128 v[112:115], v110 offset:656
	s_waitcnt vmcnt(0) lgkmcnt(0)
	v_fmac_f64_e32 v[108:109], v[116:117], v[112:113]
	buffer_load_dword v113, off, s[0:3], 0 offset:252
	buffer_load_dword v112, off, s[0:3], 0 offset:248
	buffer_load_dword v117, off, s[0:3], 0 offset:260
	buffer_load_dword v116, off, s[0:3], 0 offset:256
	s_waitcnt vmcnt(2)
	v_fmac_f64_e32 v[108:109], v[112:113], v[114:115]
	ds_read_b128 v[112:115], v110 offset:672
	s_waitcnt vmcnt(0) lgkmcnt(0)
	v_fmac_f64_e32 v[108:109], v[116:117], v[112:113]
	buffer_load_dword v113, off, s[0:3], 0 offset:268
	buffer_load_dword v112, off, s[0:3], 0 offset:264
	buffer_load_dword v117, off, s[0:3], 0 offset:276
	buffer_load_dword v116, off, s[0:3], 0 offset:272
	s_waitcnt vmcnt(2)
	v_fmac_f64_e32 v[108:109], v[112:113], v[114:115]
	ds_read_b128 v[112:115], v110 offset:688
	s_waitcnt vmcnt(0) lgkmcnt(0)
	v_fmac_f64_e32 v[108:109], v[116:117], v[112:113]
	buffer_load_dword v113, off, s[0:3], 0 offset:284
	buffer_load_dword v112, off, s[0:3], 0 offset:280
	buffer_load_dword v117, off, s[0:3], 0 offset:292
	buffer_load_dword v116, off, s[0:3], 0 offset:288
	s_waitcnt vmcnt(2)
	v_fmac_f64_e32 v[108:109], v[112:113], v[114:115]
	ds_read_b128 v[112:115], v110 offset:704
	s_waitcnt vmcnt(0) lgkmcnt(0)
	v_fmac_f64_e32 v[108:109], v[116:117], v[112:113]
	buffer_load_dword v113, off, s[0:3], 0 offset:300
	buffer_load_dword v112, off, s[0:3], 0 offset:296
	buffer_load_dword v117, off, s[0:3], 0 offset:308
	buffer_load_dword v116, off, s[0:3], 0 offset:304
	s_waitcnt vmcnt(2)
	v_fmac_f64_e32 v[108:109], v[112:113], v[114:115]
	ds_read_b128 v[112:115], v110 offset:720
	s_waitcnt vmcnt(0) lgkmcnt(0)
	v_fmac_f64_e32 v[108:109], v[116:117], v[112:113]
	buffer_load_dword v113, off, s[0:3], 0 offset:316
	buffer_load_dword v112, off, s[0:3], 0 offset:312
	buffer_load_dword v117, off, s[0:3], 0 offset:324
	buffer_load_dword v116, off, s[0:3], 0 offset:320
	s_waitcnt vmcnt(2)
	v_fmac_f64_e32 v[108:109], v[112:113], v[114:115]
	ds_read_b128 v[112:115], v110 offset:736
	s_waitcnt vmcnt(0) lgkmcnt(0)
	v_fmac_f64_e32 v[108:109], v[116:117], v[112:113]
	buffer_load_dword v113, off, s[0:3], 0 offset:332
	buffer_load_dword v112, off, s[0:3], 0 offset:328
	buffer_load_dword v117, off, s[0:3], 0 offset:340
	buffer_load_dword v116, off, s[0:3], 0 offset:336
	s_waitcnt vmcnt(2)
	v_fmac_f64_e32 v[108:109], v[112:113], v[114:115]
	ds_read_b128 v[112:115], v110 offset:752
	s_waitcnt vmcnt(0) lgkmcnt(0)
	v_fmac_f64_e32 v[108:109], v[116:117], v[112:113]
	buffer_load_dword v113, off, s[0:3], 0 offset:348
	buffer_load_dword v112, off, s[0:3], 0 offset:344
	buffer_load_dword v117, off, s[0:3], 0 offset:356
	buffer_load_dword v116, off, s[0:3], 0 offset:352
	s_waitcnt vmcnt(2)
	v_fmac_f64_e32 v[108:109], v[112:113], v[114:115]
	ds_read_b128 v[112:115], v110 offset:768
	s_waitcnt vmcnt(0) lgkmcnt(0)
	v_fmac_f64_e32 v[108:109], v[116:117], v[112:113]
	buffer_load_dword v113, off, s[0:3], 0 offset:364
	buffer_load_dword v112, off, s[0:3], 0 offset:360
	buffer_load_dword v117, off, s[0:3], 0 offset:372
	buffer_load_dword v116, off, s[0:3], 0 offset:368
	s_waitcnt vmcnt(2)
	v_fmac_f64_e32 v[108:109], v[112:113], v[114:115]
	ds_read_b128 v[112:115], v110 offset:784
	s_waitcnt vmcnt(0) lgkmcnt(0)
	v_fmac_f64_e32 v[108:109], v[116:117], v[112:113]
	buffer_load_dword v113, off, s[0:3], 0 offset:380
	buffer_load_dword v112, off, s[0:3], 0 offset:376
	buffer_load_dword v117, off, s[0:3], 0 offset:388
	buffer_load_dword v116, off, s[0:3], 0 offset:384
	s_waitcnt vmcnt(2)
	v_fmac_f64_e32 v[108:109], v[112:113], v[114:115]
	ds_read_b128 v[112:115], v110 offset:800
	s_waitcnt vmcnt(0) lgkmcnt(0)
	v_fmac_f64_e32 v[108:109], v[116:117], v[112:113]
	buffer_load_dword v113, off, s[0:3], 0 offset:396
	buffer_load_dword v112, off, s[0:3], 0 offset:392
	s_waitcnt vmcnt(0)
	v_fmac_f64_e32 v[108:109], v[112:113], v[114:115]
	buffer_load_dword v115, off, s[0:3], 0 offset:404
	buffer_load_dword v114, off, s[0:3], 0 offset:400
	ds_read_b128 v[110:113], v110 offset:816
	s_waitcnt vmcnt(0) lgkmcnt(0)
	v_fmac_f64_e32 v[108:109], v[114:115], v[110:111]
	buffer_load_dword v111, off, s[0:3], 0 offset:412
	buffer_load_dword v110, off, s[0:3], 0 offset:408
	s_waitcnt vmcnt(0)
	v_fmac_f64_e32 v[108:109], v[110:111], v[112:113]
	v_add_f64 v[106:107], v[106:107], -v[108:109]
	buffer_store_dword v107, off, s[0:3], 0 offset:76
	buffer_store_dword v106, off, s[0:3], 0 offset:72
	s_and_saveexec_b64 s[4:5], vcc
	s_cbranch_execz .LBB115_303
; %bb.302:
	buffer_load_dword v106, off, s[0:3], 0 offset:64
	buffer_load_dword v107, off, s[0:3], 0 offset:68
	v_mov_b32_e32 v108, 0
	buffer_store_dword v108, off, s[0:3], 0 offset:64
	buffer_store_dword v108, off, s[0:3], 0 offset:68
	s_waitcnt vmcnt(2)
	ds_write_b64 v1, v[106:107]
.LBB115_303:
	s_or_b64 exec, exec, s[4:5]
	s_waitcnt lgkmcnt(0)
	; wave barrier
	s_waitcnt lgkmcnt(0)
	buffer_load_dword v106, off, s[0:3], 0 offset:64
	buffer_load_dword v107, off, s[0:3], 0 offset:68
	;; [unrolled: 1-line block ×16, first 2 shown]
	v_mov_b32_e32 v110, 0
	ds_read2_b64 v[112:115], v110 offset0:61 offset1:62
	v_cmp_lt_u32_e32 vcc, 7, v0
	s_waitcnt vmcnt(12) lgkmcnt(0)
	v_fma_f64 v[108:109], v[108:109], v[112:113], 0
	s_waitcnt vmcnt(10)
	v_fmac_f64_e32 v[108:109], v[116:117], v[114:115]
	ds_read2_b64 v[112:115], v110 offset0:63 offset1:64
	s_waitcnt vmcnt(8) lgkmcnt(0)
	v_fmac_f64_e32 v[108:109], v[118:119], v[112:113]
	s_waitcnt vmcnt(6)
	v_fmac_f64_e32 v[108:109], v[120:121], v[114:115]
	ds_read2_b64 v[112:115], v110 offset0:65 offset1:66
	s_waitcnt vmcnt(4) lgkmcnt(0)
	v_fmac_f64_e32 v[108:109], v[122:123], v[112:113]
	;; [unrolled: 5-line block ×3, first 2 shown]
	buffer_load_dword v113, off, s[0:3], 0 offset:132
	buffer_load_dword v112, off, s[0:3], 0 offset:128
	buffer_load_dword v117, off, s[0:3], 0 offset:140
	buffer_load_dword v116, off, s[0:3], 0 offset:136
	s_waitcnt vmcnt(2)
	v_fmac_f64_e32 v[108:109], v[112:113], v[114:115]
	ds_read2_b64 v[112:115], v110 offset0:69 offset1:70
	s_waitcnt vmcnt(0) lgkmcnt(0)
	v_fmac_f64_e32 v[108:109], v[116:117], v[112:113]
	buffer_load_dword v113, off, s[0:3], 0 offset:148
	buffer_load_dword v112, off, s[0:3], 0 offset:144
	buffer_load_dword v117, off, s[0:3], 0 offset:156
	buffer_load_dword v116, off, s[0:3], 0 offset:152
	s_waitcnt vmcnt(2)
	v_fmac_f64_e32 v[108:109], v[112:113], v[114:115]
	ds_read2_b64 v[112:115], v110 offset0:71 offset1:72
	s_waitcnt vmcnt(0) lgkmcnt(0)
	v_fmac_f64_e32 v[108:109], v[116:117], v[112:113]
	;; [unrolled: 9-line block ×17, first 2 shown]
	buffer_load_dword v113, off, s[0:3], 0 offset:404
	buffer_load_dword v112, off, s[0:3], 0 offset:400
	s_waitcnt vmcnt(0)
	v_fmac_f64_e32 v[108:109], v[112:113], v[114:115]
	buffer_load_dword v113, off, s[0:3], 0 offset:412
	buffer_load_dword v112, off, s[0:3], 0 offset:408
	ds_read_b64 v[114:115], v110 offset:824
	s_waitcnt vmcnt(0) lgkmcnt(0)
	v_fmac_f64_e32 v[108:109], v[112:113], v[114:115]
	v_add_f64 v[106:107], v[106:107], -v[108:109]
	buffer_store_dword v107, off, s[0:3], 0 offset:68
	buffer_store_dword v106, off, s[0:3], 0 offset:64
	s_and_saveexec_b64 s[4:5], vcc
	s_cbranch_execz .LBB115_305
; %bb.304:
	buffer_load_dword v106, off, s[0:3], 0 offset:56
	buffer_load_dword v107, off, s[0:3], 0 offset:60
	s_waitcnt vmcnt(0)
	ds_write_b64 v1, v[106:107]
	buffer_store_dword v110, off, s[0:3], 0 offset:56
	buffer_store_dword v110, off, s[0:3], 0 offset:60
.LBB115_305:
	s_or_b64 exec, exec, s[4:5]
	s_waitcnt lgkmcnt(0)
	; wave barrier
	s_waitcnt lgkmcnt(0)
	buffer_load_dword v106, off, s[0:3], 0 offset:56
	buffer_load_dword v107, off, s[0:3], 0 offset:60
	;; [unrolled: 1-line block ×16, first 2 shown]
	ds_read_b128 v[112:115], v110 offset:480
	ds_read_b128 v[116:119], v110 offset:496
	;; [unrolled: 1-line block ×4, first 2 shown]
	v_cmp_lt_u32_e32 vcc, 6, v0
	s_waitcnt vmcnt(12) lgkmcnt(3)
	v_fma_f64 v[108:109], v[108:109], v[112:113], 0
	buffer_load_dword v113, off, s[0:3], 0 offset:124
	buffer_load_dword v112, off, s[0:3], 0 offset:120
	s_waitcnt vmcnt(12)
	v_fmac_f64_e32 v[108:109], v[128:129], v[114:115]
	s_waitcnt vmcnt(10) lgkmcnt(2)
	v_fmac_f64_e32 v[108:109], v[130:131], v[116:117]
	buffer_load_dword v117, off, s[0:3], 0 offset:132
	buffer_load_dword v116, off, s[0:3], 0 offset:128
	s_waitcnt vmcnt(10)
	v_fmac_f64_e32 v[108:109], v[132:133], v[118:119]
	s_waitcnt vmcnt(8) lgkmcnt(1)
	v_fmac_f64_e32 v[108:109], v[134:135], v[120:121]
	s_waitcnt vmcnt(6)
	v_fmac_f64_e32 v[108:109], v[136:137], v[122:123]
	s_waitcnt vmcnt(4) lgkmcnt(0)
	v_fmac_f64_e32 v[108:109], v[138:139], v[124:125]
	s_waitcnt vmcnt(2)
	v_fmac_f64_e32 v[108:109], v[112:113], v[126:127]
	ds_read_b128 v[112:115], v110 offset:544
	s_waitcnt vmcnt(0) lgkmcnt(0)
	v_fmac_f64_e32 v[108:109], v[116:117], v[112:113]
	buffer_load_dword v113, off, s[0:3], 0 offset:140
	buffer_load_dword v112, off, s[0:3], 0 offset:136
	buffer_load_dword v117, off, s[0:3], 0 offset:148
	buffer_load_dword v116, off, s[0:3], 0 offset:144
	s_waitcnt vmcnt(2)
	v_fmac_f64_e32 v[108:109], v[112:113], v[114:115]
	ds_read_b128 v[112:115], v110 offset:560
	s_waitcnt vmcnt(0) lgkmcnt(0)
	v_fmac_f64_e32 v[108:109], v[116:117], v[112:113]
	buffer_load_dword v113, off, s[0:3], 0 offset:156
	buffer_load_dword v112, off, s[0:3], 0 offset:152
	buffer_load_dword v117, off, s[0:3], 0 offset:164
	buffer_load_dword v116, off, s[0:3], 0 offset:160
	;; [unrolled: 9-line block ×16, first 2 shown]
	s_waitcnt vmcnt(2)
	v_fmac_f64_e32 v[108:109], v[112:113], v[114:115]
	ds_read_b128 v[112:115], v110 offset:800
	s_waitcnt vmcnt(0) lgkmcnt(0)
	v_fmac_f64_e32 v[108:109], v[116:117], v[112:113]
	buffer_load_dword v113, off, s[0:3], 0 offset:396
	buffer_load_dword v112, off, s[0:3], 0 offset:392
	s_waitcnt vmcnt(0)
	v_fmac_f64_e32 v[108:109], v[112:113], v[114:115]
	buffer_load_dword v115, off, s[0:3], 0 offset:404
	buffer_load_dword v114, off, s[0:3], 0 offset:400
	ds_read_b128 v[110:113], v110 offset:816
	s_waitcnt vmcnt(0) lgkmcnt(0)
	v_fmac_f64_e32 v[108:109], v[114:115], v[110:111]
	buffer_load_dword v111, off, s[0:3], 0 offset:412
	buffer_load_dword v110, off, s[0:3], 0 offset:408
	s_waitcnt vmcnt(0)
	v_fmac_f64_e32 v[108:109], v[110:111], v[112:113]
	v_add_f64 v[106:107], v[106:107], -v[108:109]
	buffer_store_dword v107, off, s[0:3], 0 offset:60
	buffer_store_dword v106, off, s[0:3], 0 offset:56
	s_and_saveexec_b64 s[4:5], vcc
	s_cbranch_execz .LBB115_307
; %bb.306:
	buffer_load_dword v106, off, s[0:3], 0 offset:48
	buffer_load_dword v107, off, s[0:3], 0 offset:52
	v_mov_b32_e32 v108, 0
	buffer_store_dword v108, off, s[0:3], 0 offset:48
	buffer_store_dword v108, off, s[0:3], 0 offset:52
	s_waitcnt vmcnt(2)
	ds_write_b64 v1, v[106:107]
.LBB115_307:
	s_or_b64 exec, exec, s[4:5]
	s_waitcnt lgkmcnt(0)
	; wave barrier
	s_waitcnt lgkmcnt(0)
	buffer_load_dword v106, off, s[0:3], 0 offset:48
	buffer_load_dword v107, off, s[0:3], 0 offset:52
	;; [unrolled: 1-line block ×16, first 2 shown]
	v_mov_b32_e32 v110, 0
	ds_read2_b64 v[112:115], v110 offset0:59 offset1:60
	v_cmp_lt_u32_e32 vcc, 5, v0
	s_waitcnt vmcnt(12) lgkmcnt(0)
	v_fma_f64 v[108:109], v[108:109], v[112:113], 0
	s_waitcnt vmcnt(10)
	v_fmac_f64_e32 v[108:109], v[116:117], v[114:115]
	ds_read2_b64 v[112:115], v110 offset0:61 offset1:62
	s_waitcnt vmcnt(8) lgkmcnt(0)
	v_fmac_f64_e32 v[108:109], v[118:119], v[112:113]
	s_waitcnt vmcnt(6)
	v_fmac_f64_e32 v[108:109], v[120:121], v[114:115]
	ds_read2_b64 v[112:115], v110 offset0:63 offset1:64
	s_waitcnt vmcnt(4) lgkmcnt(0)
	v_fmac_f64_e32 v[108:109], v[122:123], v[112:113]
	;; [unrolled: 5-line block ×3, first 2 shown]
	buffer_load_dword v113, off, s[0:3], 0 offset:116
	buffer_load_dword v112, off, s[0:3], 0 offset:112
	buffer_load_dword v117, off, s[0:3], 0 offset:124
	buffer_load_dword v116, off, s[0:3], 0 offset:120
	s_waitcnt vmcnt(2)
	v_fmac_f64_e32 v[108:109], v[112:113], v[114:115]
	ds_read2_b64 v[112:115], v110 offset0:67 offset1:68
	s_waitcnt vmcnt(0) lgkmcnt(0)
	v_fmac_f64_e32 v[108:109], v[116:117], v[112:113]
	buffer_load_dword v113, off, s[0:3], 0 offset:132
	buffer_load_dword v112, off, s[0:3], 0 offset:128
	buffer_load_dword v117, off, s[0:3], 0 offset:140
	buffer_load_dword v116, off, s[0:3], 0 offset:136
	s_waitcnt vmcnt(2)
	v_fmac_f64_e32 v[108:109], v[112:113], v[114:115]
	ds_read2_b64 v[112:115], v110 offset0:69 offset1:70
	s_waitcnt vmcnt(0) lgkmcnt(0)
	v_fmac_f64_e32 v[108:109], v[116:117], v[112:113]
	;; [unrolled: 9-line block ×18, first 2 shown]
	buffer_load_dword v113, off, s[0:3], 0 offset:404
	buffer_load_dword v112, off, s[0:3], 0 offset:400
	s_waitcnt vmcnt(0)
	v_fmac_f64_e32 v[108:109], v[112:113], v[114:115]
	buffer_load_dword v113, off, s[0:3], 0 offset:412
	buffer_load_dword v112, off, s[0:3], 0 offset:408
	ds_read_b64 v[114:115], v110 offset:824
	s_waitcnt vmcnt(0) lgkmcnt(0)
	v_fmac_f64_e32 v[108:109], v[112:113], v[114:115]
	v_add_f64 v[106:107], v[106:107], -v[108:109]
	buffer_store_dword v107, off, s[0:3], 0 offset:52
	buffer_store_dword v106, off, s[0:3], 0 offset:48
	s_and_saveexec_b64 s[4:5], vcc
	s_cbranch_execz .LBB115_309
; %bb.308:
	buffer_load_dword v106, off, s[0:3], 0 offset:40
	buffer_load_dword v107, off, s[0:3], 0 offset:44
	s_waitcnt vmcnt(0)
	ds_write_b64 v1, v[106:107]
	buffer_store_dword v110, off, s[0:3], 0 offset:40
	buffer_store_dword v110, off, s[0:3], 0 offset:44
.LBB115_309:
	s_or_b64 exec, exec, s[4:5]
	s_waitcnt lgkmcnt(0)
	; wave barrier
	s_waitcnt lgkmcnt(0)
	buffer_load_dword v106, off, s[0:3], 0 offset:40
	buffer_load_dword v107, off, s[0:3], 0 offset:44
	;; [unrolled: 1-line block ×16, first 2 shown]
	ds_read_b128 v[112:115], v110 offset:464
	ds_read_b128 v[116:119], v110 offset:480
	;; [unrolled: 1-line block ×4, first 2 shown]
	v_cmp_lt_u32_e32 vcc, 4, v0
	s_waitcnt vmcnt(12) lgkmcnt(3)
	v_fma_f64 v[108:109], v[108:109], v[112:113], 0
	buffer_load_dword v113, off, s[0:3], 0 offset:108
	buffer_load_dword v112, off, s[0:3], 0 offset:104
	s_waitcnt vmcnt(12)
	v_fmac_f64_e32 v[108:109], v[128:129], v[114:115]
	s_waitcnt vmcnt(10) lgkmcnt(2)
	v_fmac_f64_e32 v[108:109], v[130:131], v[116:117]
	buffer_load_dword v117, off, s[0:3], 0 offset:116
	buffer_load_dword v116, off, s[0:3], 0 offset:112
	s_waitcnt vmcnt(10)
	v_fmac_f64_e32 v[108:109], v[132:133], v[118:119]
	s_waitcnt vmcnt(8) lgkmcnt(1)
	v_fmac_f64_e32 v[108:109], v[134:135], v[120:121]
	s_waitcnt vmcnt(6)
	v_fmac_f64_e32 v[108:109], v[136:137], v[122:123]
	s_waitcnt vmcnt(4) lgkmcnt(0)
	v_fmac_f64_e32 v[108:109], v[138:139], v[124:125]
	s_waitcnt vmcnt(2)
	v_fmac_f64_e32 v[108:109], v[112:113], v[126:127]
	ds_read_b128 v[112:115], v110 offset:528
	s_waitcnt vmcnt(0) lgkmcnt(0)
	v_fmac_f64_e32 v[108:109], v[116:117], v[112:113]
	buffer_load_dword v113, off, s[0:3], 0 offset:124
	buffer_load_dword v112, off, s[0:3], 0 offset:120
	buffer_load_dword v117, off, s[0:3], 0 offset:132
	buffer_load_dword v116, off, s[0:3], 0 offset:128
	s_waitcnt vmcnt(2)
	v_fmac_f64_e32 v[108:109], v[112:113], v[114:115]
	ds_read_b128 v[112:115], v110 offset:544
	s_waitcnt vmcnt(0) lgkmcnt(0)
	v_fmac_f64_e32 v[108:109], v[116:117], v[112:113]
	buffer_load_dword v113, off, s[0:3], 0 offset:140
	buffer_load_dword v112, off, s[0:3], 0 offset:136
	buffer_load_dword v117, off, s[0:3], 0 offset:148
	buffer_load_dword v116, off, s[0:3], 0 offset:144
	;; [unrolled: 9-line block ×17, first 2 shown]
	s_waitcnt vmcnt(2)
	v_fmac_f64_e32 v[108:109], v[112:113], v[114:115]
	ds_read_b128 v[112:115], v110 offset:800
	s_waitcnt vmcnt(0) lgkmcnt(0)
	v_fmac_f64_e32 v[108:109], v[116:117], v[112:113]
	buffer_load_dword v113, off, s[0:3], 0 offset:396
	buffer_load_dword v112, off, s[0:3], 0 offset:392
	s_waitcnt vmcnt(0)
	v_fmac_f64_e32 v[108:109], v[112:113], v[114:115]
	buffer_load_dword v115, off, s[0:3], 0 offset:404
	buffer_load_dword v114, off, s[0:3], 0 offset:400
	ds_read_b128 v[110:113], v110 offset:816
	s_waitcnt vmcnt(0) lgkmcnt(0)
	v_fmac_f64_e32 v[108:109], v[114:115], v[110:111]
	buffer_load_dword v111, off, s[0:3], 0 offset:412
	buffer_load_dword v110, off, s[0:3], 0 offset:408
	s_waitcnt vmcnt(0)
	v_fmac_f64_e32 v[108:109], v[110:111], v[112:113]
	v_add_f64 v[106:107], v[106:107], -v[108:109]
	buffer_store_dword v107, off, s[0:3], 0 offset:44
	buffer_store_dword v106, off, s[0:3], 0 offset:40
	s_and_saveexec_b64 s[4:5], vcc
	s_cbranch_execz .LBB115_311
; %bb.310:
	buffer_load_dword v106, off, s[0:3], 0 offset:32
	buffer_load_dword v107, off, s[0:3], 0 offset:36
	v_mov_b32_e32 v108, 0
	buffer_store_dword v108, off, s[0:3], 0 offset:32
	buffer_store_dword v108, off, s[0:3], 0 offset:36
	s_waitcnt vmcnt(2)
	ds_write_b64 v1, v[106:107]
.LBB115_311:
	s_or_b64 exec, exec, s[4:5]
	s_waitcnt lgkmcnt(0)
	; wave barrier
	s_waitcnt lgkmcnt(0)
	buffer_load_dword v106, off, s[0:3], 0 offset:32
	buffer_load_dword v107, off, s[0:3], 0 offset:36
	;; [unrolled: 1-line block ×16, first 2 shown]
	v_mov_b32_e32 v110, 0
	ds_read2_b64 v[112:115], v110 offset0:57 offset1:58
	v_cmp_lt_u32_e32 vcc, 3, v0
	s_waitcnt vmcnt(12) lgkmcnt(0)
	v_fma_f64 v[108:109], v[108:109], v[112:113], 0
	s_waitcnt vmcnt(10)
	v_fmac_f64_e32 v[108:109], v[116:117], v[114:115]
	ds_read2_b64 v[112:115], v110 offset0:59 offset1:60
	s_waitcnt vmcnt(8) lgkmcnt(0)
	v_fmac_f64_e32 v[108:109], v[118:119], v[112:113]
	s_waitcnt vmcnt(6)
	v_fmac_f64_e32 v[108:109], v[120:121], v[114:115]
	ds_read2_b64 v[112:115], v110 offset0:61 offset1:62
	s_waitcnt vmcnt(4) lgkmcnt(0)
	v_fmac_f64_e32 v[108:109], v[122:123], v[112:113]
	;; [unrolled: 5-line block ×3, first 2 shown]
	buffer_load_dword v113, off, s[0:3], 0 offset:100
	buffer_load_dword v112, off, s[0:3], 0 offset:96
	buffer_load_dword v117, off, s[0:3], 0 offset:108
	buffer_load_dword v116, off, s[0:3], 0 offset:104
	s_waitcnt vmcnt(2)
	v_fmac_f64_e32 v[108:109], v[112:113], v[114:115]
	ds_read2_b64 v[112:115], v110 offset0:65 offset1:66
	s_waitcnt vmcnt(0) lgkmcnt(0)
	v_fmac_f64_e32 v[108:109], v[116:117], v[112:113]
	buffer_load_dword v113, off, s[0:3], 0 offset:116
	buffer_load_dword v112, off, s[0:3], 0 offset:112
	buffer_load_dword v117, off, s[0:3], 0 offset:124
	buffer_load_dword v116, off, s[0:3], 0 offset:120
	s_waitcnt vmcnt(2)
	v_fmac_f64_e32 v[108:109], v[112:113], v[114:115]
	ds_read2_b64 v[112:115], v110 offset0:67 offset1:68
	s_waitcnt vmcnt(0) lgkmcnt(0)
	v_fmac_f64_e32 v[108:109], v[116:117], v[112:113]
	;; [unrolled: 9-line block ×19, first 2 shown]
	buffer_load_dword v113, off, s[0:3], 0 offset:404
	buffer_load_dword v112, off, s[0:3], 0 offset:400
	s_waitcnt vmcnt(0)
	v_fmac_f64_e32 v[108:109], v[112:113], v[114:115]
	buffer_load_dword v113, off, s[0:3], 0 offset:412
	buffer_load_dword v112, off, s[0:3], 0 offset:408
	ds_read_b64 v[114:115], v110 offset:824
	s_waitcnt vmcnt(0) lgkmcnt(0)
	v_fmac_f64_e32 v[108:109], v[112:113], v[114:115]
	v_add_f64 v[106:107], v[106:107], -v[108:109]
	buffer_store_dword v107, off, s[0:3], 0 offset:36
	buffer_store_dword v106, off, s[0:3], 0 offset:32
	s_and_saveexec_b64 s[4:5], vcc
	s_cbranch_execz .LBB115_313
; %bb.312:
	buffer_load_dword v106, off, s[0:3], 0 offset:24
	buffer_load_dword v107, off, s[0:3], 0 offset:28
	s_waitcnt vmcnt(0)
	ds_write_b64 v1, v[106:107]
	buffer_store_dword v110, off, s[0:3], 0 offset:24
	buffer_store_dword v110, off, s[0:3], 0 offset:28
.LBB115_313:
	s_or_b64 exec, exec, s[4:5]
	s_waitcnt lgkmcnt(0)
	; wave barrier
	s_waitcnt lgkmcnt(0)
	buffer_load_dword v106, off, s[0:3], 0 offset:24
	buffer_load_dword v107, off, s[0:3], 0 offset:28
	;; [unrolled: 1-line block ×16, first 2 shown]
	ds_read_b128 v[112:115], v110 offset:448
	ds_read_b128 v[116:119], v110 offset:464
	;; [unrolled: 1-line block ×4, first 2 shown]
	v_cmp_lt_u32_e32 vcc, 2, v0
	s_waitcnt vmcnt(12) lgkmcnt(3)
	v_fma_f64 v[108:109], v[108:109], v[112:113], 0
	buffer_load_dword v113, off, s[0:3], 0 offset:92
	buffer_load_dword v112, off, s[0:3], 0 offset:88
	s_waitcnt vmcnt(12)
	v_fmac_f64_e32 v[108:109], v[128:129], v[114:115]
	s_waitcnt vmcnt(10) lgkmcnt(2)
	v_fmac_f64_e32 v[108:109], v[130:131], v[116:117]
	buffer_load_dword v117, off, s[0:3], 0 offset:100
	buffer_load_dword v116, off, s[0:3], 0 offset:96
	s_waitcnt vmcnt(10)
	v_fmac_f64_e32 v[108:109], v[132:133], v[118:119]
	s_waitcnt vmcnt(8) lgkmcnt(1)
	v_fmac_f64_e32 v[108:109], v[134:135], v[120:121]
	s_waitcnt vmcnt(6)
	v_fmac_f64_e32 v[108:109], v[136:137], v[122:123]
	s_waitcnt vmcnt(4) lgkmcnt(0)
	v_fmac_f64_e32 v[108:109], v[138:139], v[124:125]
	s_waitcnt vmcnt(2)
	v_fmac_f64_e32 v[108:109], v[112:113], v[126:127]
	ds_read_b128 v[112:115], v110 offset:512
	s_waitcnt vmcnt(0) lgkmcnt(0)
	v_fmac_f64_e32 v[108:109], v[116:117], v[112:113]
	buffer_load_dword v113, off, s[0:3], 0 offset:108
	buffer_load_dword v112, off, s[0:3], 0 offset:104
	buffer_load_dword v117, off, s[0:3], 0 offset:116
	buffer_load_dword v116, off, s[0:3], 0 offset:112
	s_waitcnt vmcnt(2)
	v_fmac_f64_e32 v[108:109], v[112:113], v[114:115]
	ds_read_b128 v[112:115], v110 offset:528
	s_waitcnt vmcnt(0) lgkmcnt(0)
	v_fmac_f64_e32 v[108:109], v[116:117], v[112:113]
	buffer_load_dword v113, off, s[0:3], 0 offset:124
	buffer_load_dword v112, off, s[0:3], 0 offset:120
	buffer_load_dword v117, off, s[0:3], 0 offset:132
	buffer_load_dword v116, off, s[0:3], 0 offset:128
	;; [unrolled: 9-line block ×18, first 2 shown]
	s_waitcnt vmcnt(2)
	v_fmac_f64_e32 v[108:109], v[112:113], v[114:115]
	ds_read_b128 v[112:115], v110 offset:800
	s_waitcnt vmcnt(0) lgkmcnt(0)
	v_fmac_f64_e32 v[108:109], v[116:117], v[112:113]
	buffer_load_dword v113, off, s[0:3], 0 offset:396
	buffer_load_dword v112, off, s[0:3], 0 offset:392
	s_waitcnt vmcnt(0)
	v_fmac_f64_e32 v[108:109], v[112:113], v[114:115]
	buffer_load_dword v115, off, s[0:3], 0 offset:404
	buffer_load_dword v114, off, s[0:3], 0 offset:400
	ds_read_b128 v[110:113], v110 offset:816
	s_waitcnt vmcnt(0) lgkmcnt(0)
	v_fmac_f64_e32 v[108:109], v[114:115], v[110:111]
	buffer_load_dword v111, off, s[0:3], 0 offset:412
	buffer_load_dword v110, off, s[0:3], 0 offset:408
	s_waitcnt vmcnt(0)
	v_fmac_f64_e32 v[108:109], v[110:111], v[112:113]
	v_add_f64 v[106:107], v[106:107], -v[108:109]
	buffer_store_dword v107, off, s[0:3], 0 offset:28
	buffer_store_dword v106, off, s[0:3], 0 offset:24
	s_and_saveexec_b64 s[4:5], vcc
	s_cbranch_execz .LBB115_315
; %bb.314:
	buffer_load_dword v106, off, s[0:3], 0 offset:16
	buffer_load_dword v107, off, s[0:3], 0 offset:20
	v_mov_b32_e32 v108, 0
	buffer_store_dword v108, off, s[0:3], 0 offset:16
	buffer_store_dword v108, off, s[0:3], 0 offset:20
	s_waitcnt vmcnt(2)
	ds_write_b64 v1, v[106:107]
.LBB115_315:
	s_or_b64 exec, exec, s[4:5]
	s_waitcnt lgkmcnt(0)
	; wave barrier
	s_waitcnt lgkmcnt(0)
	buffer_load_dword v106, off, s[0:3], 0 offset:16
	buffer_load_dword v107, off, s[0:3], 0 offset:20
	;; [unrolled: 1-line block ×16, first 2 shown]
	v_mov_b32_e32 v110, 0
	ds_read2_b64 v[112:115], v110 offset0:55 offset1:56
	v_cmp_lt_u32_e32 vcc, 1, v0
	s_waitcnt vmcnt(12) lgkmcnt(0)
	v_fma_f64 v[108:109], v[108:109], v[112:113], 0
	s_waitcnt vmcnt(10)
	v_fmac_f64_e32 v[108:109], v[116:117], v[114:115]
	ds_read2_b64 v[112:115], v110 offset0:57 offset1:58
	s_waitcnt vmcnt(8) lgkmcnt(0)
	v_fmac_f64_e32 v[108:109], v[118:119], v[112:113]
	s_waitcnt vmcnt(6)
	v_fmac_f64_e32 v[108:109], v[120:121], v[114:115]
	ds_read2_b64 v[112:115], v110 offset0:59 offset1:60
	s_waitcnt vmcnt(4) lgkmcnt(0)
	v_fmac_f64_e32 v[108:109], v[122:123], v[112:113]
	;; [unrolled: 5-line block ×3, first 2 shown]
	buffer_load_dword v113, off, s[0:3], 0 offset:84
	buffer_load_dword v112, off, s[0:3], 0 offset:80
	buffer_load_dword v117, off, s[0:3], 0 offset:92
	buffer_load_dword v116, off, s[0:3], 0 offset:88
	s_waitcnt vmcnt(2)
	v_fmac_f64_e32 v[108:109], v[112:113], v[114:115]
	ds_read2_b64 v[112:115], v110 offset0:63 offset1:64
	s_waitcnt vmcnt(0) lgkmcnt(0)
	v_fmac_f64_e32 v[108:109], v[116:117], v[112:113]
	buffer_load_dword v113, off, s[0:3], 0 offset:100
	buffer_load_dword v112, off, s[0:3], 0 offset:96
	buffer_load_dword v117, off, s[0:3], 0 offset:108
	buffer_load_dword v116, off, s[0:3], 0 offset:104
	s_waitcnt vmcnt(2)
	v_fmac_f64_e32 v[108:109], v[112:113], v[114:115]
	ds_read2_b64 v[112:115], v110 offset0:65 offset1:66
	s_waitcnt vmcnt(0) lgkmcnt(0)
	v_fmac_f64_e32 v[108:109], v[116:117], v[112:113]
	;; [unrolled: 9-line block ×20, first 2 shown]
	buffer_load_dword v113, off, s[0:3], 0 offset:404
	buffer_load_dword v112, off, s[0:3], 0 offset:400
	s_waitcnt vmcnt(0)
	v_fmac_f64_e32 v[108:109], v[112:113], v[114:115]
	buffer_load_dword v113, off, s[0:3], 0 offset:412
	buffer_load_dword v112, off, s[0:3], 0 offset:408
	ds_read_b64 v[114:115], v110 offset:824
	s_waitcnt vmcnt(0) lgkmcnt(0)
	v_fmac_f64_e32 v[108:109], v[112:113], v[114:115]
	v_add_f64 v[106:107], v[106:107], -v[108:109]
	buffer_store_dword v107, off, s[0:3], 0 offset:20
	buffer_store_dword v106, off, s[0:3], 0 offset:16
	s_and_saveexec_b64 s[4:5], vcc
	s_cbranch_execz .LBB115_317
; %bb.316:
	buffer_load_dword v106, off, s[0:3], 0 offset:8
	buffer_load_dword v107, off, s[0:3], 0 offset:12
	s_waitcnt vmcnt(0)
	ds_write_b64 v1, v[106:107]
	buffer_store_dword v110, off, s[0:3], 0 offset:8
	buffer_store_dword v110, off, s[0:3], 0 offset:12
.LBB115_317:
	s_or_b64 exec, exec, s[4:5]
	s_waitcnt lgkmcnt(0)
	; wave barrier
	s_waitcnt lgkmcnt(0)
	buffer_load_dword v106, off, s[0:3], 0 offset:8
	buffer_load_dword v107, off, s[0:3], 0 offset:12
	;; [unrolled: 1-line block ×16, first 2 shown]
	ds_read_b128 v[112:115], v110 offset:432
	v_cmp_ne_u32_e32 vcc, 0, v0
	s_waitcnt vmcnt(12) lgkmcnt(0)
	v_fma_f64 v[108:109], v[108:109], v[112:113], 0
	s_waitcnt vmcnt(10)
	v_fmac_f64_e32 v[108:109], v[116:117], v[114:115]
	ds_read_b128 v[112:115], v110 offset:448
	s_waitcnt vmcnt(8) lgkmcnt(0)
	v_fmac_f64_e32 v[108:109], v[118:119], v[112:113]
	s_waitcnt vmcnt(6)
	v_fmac_f64_e32 v[108:109], v[120:121], v[114:115]
	ds_read_b128 v[112:115], v110 offset:464
	s_waitcnt vmcnt(4) lgkmcnt(0)
	v_fmac_f64_e32 v[108:109], v[122:123], v[112:113]
	;; [unrolled: 5-line block ×3, first 2 shown]
	buffer_load_dword v113, off, s[0:3], 0 offset:76
	buffer_load_dword v112, off, s[0:3], 0 offset:72
	buffer_load_dword v117, off, s[0:3], 0 offset:84
	buffer_load_dword v116, off, s[0:3], 0 offset:80
	s_waitcnt vmcnt(2)
	v_fmac_f64_e32 v[108:109], v[112:113], v[114:115]
	ds_read_b128 v[112:115], v110 offset:496
	s_waitcnt vmcnt(0) lgkmcnt(0)
	v_fmac_f64_e32 v[108:109], v[116:117], v[112:113]
	buffer_load_dword v113, off, s[0:3], 0 offset:92
	buffer_load_dword v112, off, s[0:3], 0 offset:88
	buffer_load_dword v117, off, s[0:3], 0 offset:100
	buffer_load_dword v116, off, s[0:3], 0 offset:96
	s_waitcnt vmcnt(2)
	v_fmac_f64_e32 v[108:109], v[112:113], v[114:115]
	ds_read_b128 v[112:115], v110 offset:512
	s_waitcnt vmcnt(0) lgkmcnt(0)
	v_fmac_f64_e32 v[108:109], v[116:117], v[112:113]
	;; [unrolled: 9-line block ×20, first 2 shown]
	buffer_load_dword v113, off, s[0:3], 0 offset:396
	buffer_load_dword v112, off, s[0:3], 0 offset:392
	s_waitcnt vmcnt(0)
	v_fmac_f64_e32 v[108:109], v[112:113], v[114:115]
	buffer_load_dword v115, off, s[0:3], 0 offset:404
	buffer_load_dword v114, off, s[0:3], 0 offset:400
	ds_read_b128 v[110:113], v110 offset:816
	s_waitcnt vmcnt(0) lgkmcnt(0)
	v_fmac_f64_e32 v[108:109], v[114:115], v[110:111]
	buffer_load_dword v111, off, s[0:3], 0 offset:412
	buffer_load_dword v110, off, s[0:3], 0 offset:408
	s_waitcnt vmcnt(0)
	v_fmac_f64_e32 v[108:109], v[110:111], v[112:113]
	v_add_f64 v[106:107], v[106:107], -v[108:109]
	buffer_store_dword v107, off, s[0:3], 0 offset:12
	buffer_store_dword v106, off, s[0:3], 0 offset:8
	s_and_saveexec_b64 s[4:5], vcc
	s_cbranch_execz .LBB115_319
; %bb.318:
	buffer_load_dword v106, off, s[0:3], 0
	buffer_load_dword v107, off, s[0:3], 0 offset:4
	v_mov_b32_e32 v0, 0
	buffer_store_dword v0, off, s[0:3], 0
	buffer_store_dword v0, off, s[0:3], 0 offset:4
	s_waitcnt vmcnt(2)
	ds_write_b64 v1, v[106:107]
.LBB115_319:
	s_or_b64 exec, exec, s[4:5]
	s_waitcnt lgkmcnt(0)
	; wave barrier
	s_waitcnt lgkmcnt(0)
	buffer_load_dword v0, off, s[0:3], 0
	buffer_load_dword v1, off, s[0:3], 0 offset:4
	buffer_load_dword v112, off, s[0:3], 0 offset:8
	buffer_load_dword v113, off, s[0:3], 0 offset:12
	buffer_load_dword v114, off, s[0:3], 0 offset:16
	buffer_load_dword v115, off, s[0:3], 0 offset:20
	buffer_load_dword v116, off, s[0:3], 0 offset:24
	buffer_load_dword v117, off, s[0:3], 0 offset:28
	buffer_load_dword v118, off, s[0:3], 0 offset:32
	buffer_load_dword v119, off, s[0:3], 0 offset:36
	buffer_load_dword v120, off, s[0:3], 0 offset:40
	buffer_load_dword v121, off, s[0:3], 0 offset:44
	buffer_load_dword v122, off, s[0:3], 0 offset:48
	buffer_load_dword v123, off, s[0:3], 0 offset:52
	buffer_load_dword v124, off, s[0:3], 0 offset:56
	buffer_load_dword v125, off, s[0:3], 0 offset:60
	v_mov_b32_e32 v110, 0
	ds_read2_b64 v[106:109], v110 offset0:53 offset1:54
	s_and_b64 vcc, exec, s[16:17]
	s_waitcnt vmcnt(12) lgkmcnt(0)
	v_fma_f64 v[106:107], v[112:113], v[106:107], 0
	s_waitcnt vmcnt(10)
	v_fmac_f64_e32 v[106:107], v[114:115], v[108:109]
	ds_read2_b64 v[112:115], v110 offset0:55 offset1:56
	s_waitcnt vmcnt(8) lgkmcnt(0)
	v_fmac_f64_e32 v[106:107], v[116:117], v[112:113]
	s_waitcnt vmcnt(6)
	v_fmac_f64_e32 v[106:107], v[118:119], v[114:115]
	ds_read2_b64 v[112:115], v110 offset0:57 offset1:58
	s_waitcnt vmcnt(4) lgkmcnt(0)
	v_fmac_f64_e32 v[106:107], v[120:121], v[112:113]
	s_waitcnt vmcnt(2)
	v_fmac_f64_e32 v[106:107], v[122:123], v[114:115]
	ds_read2_b64 v[112:115], v110 offset0:59 offset1:60
	buffer_load_dword v109, off, s[0:3], 0 offset:68
	buffer_load_dword v108, off, s[0:3], 0 offset:64
	s_waitcnt vmcnt(2) lgkmcnt(0)
	v_fmac_f64_e32 v[106:107], v[124:125], v[112:113]
	s_waitcnt vmcnt(0)
	v_fmac_f64_e32 v[106:107], v[108:109], v[114:115]
	buffer_load_dword v109, off, s[0:3], 0 offset:76
	buffer_load_dword v108, off, s[0:3], 0 offset:72
	ds_read2_b64 v[112:115], v110 offset0:61 offset1:62
	s_waitcnt vmcnt(0) lgkmcnt(0)
	v_fmac_f64_e32 v[106:107], v[108:109], v[112:113]
	buffer_load_dword v109, off, s[0:3], 0 offset:84
	buffer_load_dword v108, off, s[0:3], 0 offset:80
	s_waitcnt vmcnt(0)
	v_fmac_f64_e32 v[106:107], v[108:109], v[114:115]
	buffer_load_dword v109, off, s[0:3], 0 offset:92
	buffer_load_dword v108, off, s[0:3], 0 offset:88
	ds_read2_b64 v[112:115], v110 offset0:63 offset1:64
	s_waitcnt vmcnt(0) lgkmcnt(0)
	v_fmac_f64_e32 v[106:107], v[108:109], v[112:113]
	buffer_load_dword v109, off, s[0:3], 0 offset:100
	buffer_load_dword v108, off, s[0:3], 0 offset:96
	;; [unrolled: 9-line block ×21, first 2 shown]
	buffer_load_dword v113, off, s[0:3], 0 offset:412
	buffer_load_dword v112, off, s[0:3], 0 offset:408
	ds_read_b64 v[110:111], v110 offset:824
	s_waitcnt vmcnt(2)
	v_fmac_f64_e32 v[106:107], v[108:109], v[114:115]
	s_waitcnt vmcnt(0) lgkmcnt(0)
	v_fmac_f64_e32 v[106:107], v[112:113], v[110:111]
	v_add_f64 v[0:1], v[0:1], -v[106:107]
	buffer_store_dword v1, off, s[0:3], 0 offset:4
	buffer_store_dword v0, off, s[0:3], 0
	s_cbranch_vccz .LBB115_423
; %bb.320:
	v_pk_mov_b32 v[0:1], s[10:11], s[10:11] op_sel:[0,1]
	flat_load_dword v0, v[0:1] offset:200
	s_waitcnt vmcnt(0) lgkmcnt(0)
	v_add_u32_e32 v0, -1, v0
	v_cmp_ne_u32_e32 vcc, 50, v0
	s_and_saveexec_b64 s[4:5], vcc
	s_cbranch_execz .LBB115_322
; %bb.321:
	v_mov_b32_e32 v1, 0
	v_lshl_add_u32 v0, v0, 3, v1
	buffer_load_dword v1, v0, s[0:3], 0 offen offset:4
	buffer_load_dword v106, v0, s[0:3], 0 offen
	s_waitcnt vmcnt(1)
	buffer_store_dword v1, off, s[0:3], 0 offset:404
	s_waitcnt vmcnt(1)
	buffer_store_dword v106, off, s[0:3], 0 offset:400
	buffer_store_dword v109, v0, s[0:3], 0 offen offset:4
	buffer_store_dword v108, v0, s[0:3], 0 offen
.LBB115_322:
	s_or_b64 exec, exec, s[4:5]
	v_pk_mov_b32 v[0:1], s[10:11], s[10:11] op_sel:[0,1]
	flat_load_dword v0, v[0:1] offset:196
	s_waitcnt vmcnt(0) lgkmcnt(0)
	v_add_u32_e32 v0, -1, v0
	v_cmp_ne_u32_e32 vcc, 49, v0
	s_and_saveexec_b64 s[4:5], vcc
	s_cbranch_execz .LBB115_324
; %bb.323:
	v_mov_b32_e32 v1, 0
	v_lshl_add_u32 v0, v0, 3, v1
	buffer_load_dword v1, v0, s[0:3], 0 offen
	buffer_load_dword v106, v0, s[0:3], 0 offen offset:4
	buffer_load_dword v107, off, s[0:3], 0 offset:392
	buffer_load_dword v108, off, s[0:3], 0 offset:396
	s_waitcnt vmcnt(3)
	buffer_store_dword v1, off, s[0:3], 0 offset:392
	s_waitcnt vmcnt(3)
	buffer_store_dword v106, off, s[0:3], 0 offset:396
	s_waitcnt vmcnt(3)
	buffer_store_dword v107, v0, s[0:3], 0 offen
	s_waitcnt vmcnt(3)
	buffer_store_dword v108, v0, s[0:3], 0 offen offset:4
.LBB115_324:
	s_or_b64 exec, exec, s[4:5]
	v_pk_mov_b32 v[0:1], s[10:11], s[10:11] op_sel:[0,1]
	flat_load_dword v0, v[0:1] offset:192
	s_waitcnt vmcnt(0) lgkmcnt(0)
	v_add_u32_e32 v0, -1, v0
	v_cmp_ne_u32_e32 vcc, 48, v0
	s_and_saveexec_b64 s[4:5], vcc
	s_cbranch_execz .LBB115_326
; %bb.325:
	v_mov_b32_e32 v1, 0
	v_lshl_add_u32 v0, v0, 3, v1
	buffer_load_dword v1, v0, s[0:3], 0 offen
	buffer_load_dword v106, v0, s[0:3], 0 offen offset:4
	buffer_load_dword v107, off, s[0:3], 0 offset:388
	buffer_load_dword v108, off, s[0:3], 0 offset:384
	s_waitcnt vmcnt(3)
	buffer_store_dword v1, off, s[0:3], 0 offset:384
	s_waitcnt vmcnt(3)
	buffer_store_dword v106, off, s[0:3], 0 offset:388
	s_waitcnt vmcnt(3)
	buffer_store_dword v107, v0, s[0:3], 0 offen offset:4
	s_waitcnt vmcnt(3)
	buffer_store_dword v108, v0, s[0:3], 0 offen
.LBB115_326:
	s_or_b64 exec, exec, s[4:5]
	v_pk_mov_b32 v[0:1], s[10:11], s[10:11] op_sel:[0,1]
	flat_load_dword v0, v[0:1] offset:188
	s_waitcnt vmcnt(0) lgkmcnt(0)
	v_add_u32_e32 v0, -1, v0
	v_cmp_ne_u32_e32 vcc, 47, v0
	s_and_saveexec_b64 s[4:5], vcc
	s_cbranch_execz .LBB115_328
; %bb.327:
	v_mov_b32_e32 v1, 0
	v_lshl_add_u32 v0, v0, 3, v1
	buffer_load_dword v1, v0, s[0:3], 0 offen
	buffer_load_dword v106, v0, s[0:3], 0 offen offset:4
	buffer_load_dword v107, off, s[0:3], 0 offset:376
	buffer_load_dword v108, off, s[0:3], 0 offset:380
	s_waitcnt vmcnt(3)
	buffer_store_dword v1, off, s[0:3], 0 offset:376
	s_waitcnt vmcnt(3)
	buffer_store_dword v106, off, s[0:3], 0 offset:380
	s_waitcnt vmcnt(3)
	buffer_store_dword v107, v0, s[0:3], 0 offen
	s_waitcnt vmcnt(3)
	buffer_store_dword v108, v0, s[0:3], 0 offen offset:4
.LBB115_328:
	s_or_b64 exec, exec, s[4:5]
	v_pk_mov_b32 v[0:1], s[10:11], s[10:11] op_sel:[0,1]
	flat_load_dword v0, v[0:1] offset:184
	s_waitcnt vmcnt(0) lgkmcnt(0)
	v_add_u32_e32 v0, -1, v0
	v_cmp_ne_u32_e32 vcc, 46, v0
	s_and_saveexec_b64 s[4:5], vcc
	s_cbranch_execz .LBB115_330
; %bb.329:
	v_mov_b32_e32 v1, 0
	v_lshl_add_u32 v0, v0, 3, v1
	buffer_load_dword v1, v0, s[0:3], 0 offen
	buffer_load_dword v106, v0, s[0:3], 0 offen offset:4
	buffer_load_dword v107, off, s[0:3], 0 offset:372
	buffer_load_dword v108, off, s[0:3], 0 offset:368
	s_waitcnt vmcnt(3)
	buffer_store_dword v1, off, s[0:3], 0 offset:368
	s_waitcnt vmcnt(3)
	buffer_store_dword v106, off, s[0:3], 0 offset:372
	s_waitcnt vmcnt(3)
	buffer_store_dword v107, v0, s[0:3], 0 offen offset:4
	s_waitcnt vmcnt(3)
	buffer_store_dword v108, v0, s[0:3], 0 offen
.LBB115_330:
	;; [unrolled: 48-line block ×24, first 2 shown]
	s_or_b64 exec, exec, s[4:5]
	v_pk_mov_b32 v[0:1], s[10:11], s[10:11] op_sel:[0,1]
	flat_load_dword v0, v[0:1] offset:4
	s_waitcnt vmcnt(0) lgkmcnt(0)
	v_add_u32_e32 v0, -1, v0
	v_cmp_ne_u32_e32 vcc, 1, v0
	s_and_saveexec_b64 s[4:5], vcc
	s_cbranch_execz .LBB115_420
; %bb.419:
	v_mov_b32_e32 v1, 0
	v_lshl_add_u32 v0, v0, 3, v1
	buffer_load_dword v1, v0, s[0:3], 0 offen
	buffer_load_dword v106, v0, s[0:3], 0 offen offset:4
	buffer_load_dword v107, off, s[0:3], 0 offset:8
	buffer_load_dword v108, off, s[0:3], 0 offset:12
	s_waitcnt vmcnt(3)
	buffer_store_dword v1, off, s[0:3], 0 offset:8
	s_waitcnt vmcnt(3)
	buffer_store_dword v106, off, s[0:3], 0 offset:12
	s_waitcnt vmcnt(3)
	buffer_store_dword v107, v0, s[0:3], 0 offen
	s_waitcnt vmcnt(3)
	buffer_store_dword v108, v0, s[0:3], 0 offen offset:4
.LBB115_420:
	s_or_b64 exec, exec, s[4:5]
	v_pk_mov_b32 v[0:1], s[10:11], s[10:11] op_sel:[0,1]
	flat_load_dword v106, v[0:1]
	s_nop 0
	buffer_load_dword v0, off, s[0:3], 0
	buffer_load_dword v1, off, s[0:3], 0 offset:4
	s_waitcnt vmcnt(0) lgkmcnt(0)
	v_add_u32_e32 v106, -1, v106
	v_cmp_ne_u32_e32 vcc, 0, v106
	s_and_saveexec_b64 s[4:5], vcc
	s_cbranch_execz .LBB115_422
; %bb.421:
	v_mov_b32_e32 v107, 0
	v_lshl_add_u32 v106, v106, 3, v107
	buffer_load_dword v107, v106, s[0:3], 0 offen offset:4
	buffer_load_dword v108, v106, s[0:3], 0 offen
	s_waitcnt vmcnt(1)
	buffer_store_dword v107, off, s[0:3], 0 offset:4
	s_waitcnt vmcnt(1)
	buffer_store_dword v108, off, s[0:3], 0
	buffer_store_dword v1, v106, s[0:3], 0 offen offset:4
	buffer_store_dword v0, v106, s[0:3], 0 offen
	buffer_load_dword v0, off, s[0:3], 0
	s_nop 0
	buffer_load_dword v1, off, s[0:3], 0 offset:4
.LBB115_422:
	s_or_b64 exec, exec, s[4:5]
.LBB115_423:
	s_waitcnt vmcnt(0)
	global_store_dwordx2 v[104:105], v[0:1], off
	buffer_load_dword v0, off, s[0:3], 0 offset:8
	s_nop 0
	buffer_load_dword v1, off, s[0:3], 0 offset:12
	buffer_load_dword v104, off, s[0:3], 0 offset:16
	;; [unrolled: 1-line block ×15, first 2 shown]
	s_waitcnt vmcnt(14)
	global_store_dwordx2 v[102:103], v[0:1], off
	s_waitcnt vmcnt(13)
	global_store_dwordx2 v[2:3], v[104:105], off
	;; [unrolled: 2-line block ×8, first 2 shown]
	buffer_load_dword v0, off, s[0:3], 0 offset:72
	buffer_load_dword v1, off, s[0:3], 0 offset:76
	s_waitcnt vmcnt(0)
	global_store_dwordx2 v[14:15], v[0:1], off
	buffer_load_dword v0, off, s[0:3], 0 offset:80
	s_nop 0
	buffer_load_dword v1, off, s[0:3], 0 offset:84
	s_waitcnt vmcnt(0)
	global_store_dwordx2 v[16:17], v[0:1], off
	buffer_load_dword v0, off, s[0:3], 0 offset:88
	s_nop 0
	;; [unrolled: 5-line block ×42, first 2 shown]
	buffer_load_dword v1, off, s[0:3], 0 offset:412
	s_waitcnt vmcnt(0)
	global_store_dwordx2 v[88:89], v[0:1], off
	s_endpgm
	.section	.rodata,"a",@progbits
	.p2align	6, 0x0
	.amdhsa_kernel _ZN9rocsolver6v33100L18getri_kernel_smallILi52EdPKPdEEvT1_iilPiilS6_bb
		.amdhsa_group_segment_fixed_size 840
		.amdhsa_private_segment_fixed_size 432
		.amdhsa_kernarg_size 60
		.amdhsa_user_sgpr_count 8
		.amdhsa_user_sgpr_private_segment_buffer 1
		.amdhsa_user_sgpr_dispatch_ptr 0
		.amdhsa_user_sgpr_queue_ptr 0
		.amdhsa_user_sgpr_kernarg_segment_ptr 1
		.amdhsa_user_sgpr_dispatch_id 0
		.amdhsa_user_sgpr_flat_scratch_init 1
		.amdhsa_user_sgpr_kernarg_preload_length 0
		.amdhsa_user_sgpr_kernarg_preload_offset 0
		.amdhsa_user_sgpr_private_segment_size 0
		.amdhsa_uses_dynamic_stack 0
		.amdhsa_system_sgpr_private_segment_wavefront_offset 1
		.amdhsa_system_sgpr_workgroup_id_x 1
		.amdhsa_system_sgpr_workgroup_id_y 0
		.amdhsa_system_sgpr_workgroup_id_z 0
		.amdhsa_system_sgpr_workgroup_info 0
		.amdhsa_system_vgpr_workitem_id 0
		.amdhsa_next_free_vgpr 166
		.amdhsa_next_free_sgpr 22
		.amdhsa_accum_offset 168
		.amdhsa_reserve_vcc 1
		.amdhsa_reserve_flat_scratch 1
		.amdhsa_float_round_mode_32 0
		.amdhsa_float_round_mode_16_64 0
		.amdhsa_float_denorm_mode_32 3
		.amdhsa_float_denorm_mode_16_64 3
		.amdhsa_dx10_clamp 1
		.amdhsa_ieee_mode 1
		.amdhsa_fp16_overflow 0
		.amdhsa_tg_split 0
		.amdhsa_exception_fp_ieee_invalid_op 0
		.amdhsa_exception_fp_denorm_src 0
		.amdhsa_exception_fp_ieee_div_zero 0
		.amdhsa_exception_fp_ieee_overflow 0
		.amdhsa_exception_fp_ieee_underflow 0
		.amdhsa_exception_fp_ieee_inexact 0
		.amdhsa_exception_int_div_zero 0
	.end_amdhsa_kernel
	.section	.text._ZN9rocsolver6v33100L18getri_kernel_smallILi52EdPKPdEEvT1_iilPiilS6_bb,"axG",@progbits,_ZN9rocsolver6v33100L18getri_kernel_smallILi52EdPKPdEEvT1_iilPiilS6_bb,comdat
.Lfunc_end115:
	.size	_ZN9rocsolver6v33100L18getri_kernel_smallILi52EdPKPdEEvT1_iilPiilS6_bb, .Lfunc_end115-_ZN9rocsolver6v33100L18getri_kernel_smallILi52EdPKPdEEvT1_iilPiilS6_bb
                                        ; -- End function
	.section	.AMDGPU.csdata,"",@progbits
; Kernel info:
; codeLenInByte = 64432
; NumSgprs: 28
; NumVgprs: 166
; NumAgprs: 0
; TotalNumVgprs: 166
; ScratchSize: 432
; MemoryBound: 1
; FloatMode: 240
; IeeeMode: 1
; LDSByteSize: 840 bytes/workgroup (compile time only)
; SGPRBlocks: 3
; VGPRBlocks: 20
; NumSGPRsForWavesPerEU: 28
; NumVGPRsForWavesPerEU: 166
; AccumOffset: 168
; Occupancy: 3
; WaveLimiterHint : 1
; COMPUTE_PGM_RSRC2:SCRATCH_EN: 1
; COMPUTE_PGM_RSRC2:USER_SGPR: 8
; COMPUTE_PGM_RSRC2:TRAP_HANDLER: 0
; COMPUTE_PGM_RSRC2:TGID_X_EN: 1
; COMPUTE_PGM_RSRC2:TGID_Y_EN: 0
; COMPUTE_PGM_RSRC2:TGID_Z_EN: 0
; COMPUTE_PGM_RSRC2:TIDIG_COMP_CNT: 0
; COMPUTE_PGM_RSRC3_GFX90A:ACCUM_OFFSET: 41
; COMPUTE_PGM_RSRC3_GFX90A:TG_SPLIT: 0
	.section	.text._ZN9rocsolver6v33100L18getri_kernel_smallILi53EdPKPdEEvT1_iilPiilS6_bb,"axG",@progbits,_ZN9rocsolver6v33100L18getri_kernel_smallILi53EdPKPdEEvT1_iilPiilS6_bb,comdat
	.globl	_ZN9rocsolver6v33100L18getri_kernel_smallILi53EdPKPdEEvT1_iilPiilS6_bb ; -- Begin function _ZN9rocsolver6v33100L18getri_kernel_smallILi53EdPKPdEEvT1_iilPiilS6_bb
	.p2align	8
	.type	_ZN9rocsolver6v33100L18getri_kernel_smallILi53EdPKPdEEvT1_iilPiilS6_bb,@function
_ZN9rocsolver6v33100L18getri_kernel_smallILi53EdPKPdEEvT1_iilPiilS6_bb: ; @_ZN9rocsolver6v33100L18getri_kernel_smallILi53EdPKPdEEvT1_iilPiilS6_bb
; %bb.0:
	s_add_u32 flat_scratch_lo, s6, s9
	s_addc_u32 flat_scratch_hi, s7, 0
	s_add_u32 s0, s0, s9
	s_addc_u32 s1, s1, 0
	v_cmp_gt_u32_e32 vcc, 53, v0
	s_and_saveexec_b64 s[6:7], vcc
	s_cbranch_execz .LBB116_220
; %bb.1:
	s_load_dword s18, s[4:5], 0x38
	s_load_dwordx2 s[6:7], s[4:5], 0x0
	s_load_dwordx4 s[12:15], s[4:5], 0x28
	s_waitcnt lgkmcnt(0)
	s_bitcmp1_b32 s18, 8
	s_cselect_b64 s[16:17], -1, 0
	s_ashr_i32 s9, s8, 31
	s_lshl_b64 s[10:11], s[8:9], 3
	s_add_u32 s6, s6, s10
	s_addc_u32 s7, s7, s11
	s_load_dwordx2 s[6:7], s[6:7], 0x0
	s_bfe_u32 s10, s18, 0x10008
	s_cmp_eq_u32 s10, 0
                                        ; implicit-def: $sgpr10_sgpr11
	s_cbranch_scc1 .LBB116_3
; %bb.2:
	s_load_dword s10, s[4:5], 0x20
	s_load_dwordx2 s[20:21], s[4:5], 0x18
	s_mul_i32 s11, s8, s13
	s_mul_hi_u32 s13, s8, s12
	s_add_i32 s13, s13, s11
	s_mul_i32 s19, s9, s12
	s_add_i32 s13, s13, s19
	s_mul_i32 s12, s8, s12
	s_waitcnt lgkmcnt(0)
	s_ashr_i32 s11, s10, 31
	s_lshl_b64 s[12:13], s[12:13], 2
	s_add_u32 s12, s20, s12
	s_addc_u32 s13, s21, s13
	s_lshl_b64 s[10:11], s[10:11], 2
	s_add_u32 s10, s12, s10
	s_addc_u32 s11, s13, s11
.LBB116_3:
	s_load_dwordx2 s[4:5], s[4:5], 0x8
	s_waitcnt lgkmcnt(0)
	s_ashr_i32 s13, s4, 31
	s_mov_b32 s12, s4
	s_lshl_b64 s[12:13], s[12:13], 3
	s_add_u32 s6, s6, s12
	s_addc_u32 s7, s7, s13
	s_add_i32 s4, s5, s5
	v_add_u32_e32 v4, s4, v0
	v_ashrrev_i32_e32 v5, 31, v4
	v_lshlrev_b64 v[2:3], 3, v[4:5]
	v_add_u32_e32 v6, s5, v4
	v_mov_b32_e32 v1, s7
	v_add_co_u32_e32 v2, vcc, s6, v2
	v_ashrrev_i32_e32 v7, 31, v6
	v_addc_co_u32_e32 v3, vcc, v1, v3, vcc
	v_lshlrev_b64 v[4:5], 3, v[6:7]
	v_add_u32_e32 v8, s5, v6
	v_add_co_u32_e32 v4, vcc, s6, v4
	v_ashrrev_i32_e32 v9, 31, v8
	v_addc_co_u32_e32 v5, vcc, v1, v5, vcc
	v_lshlrev_b64 v[6:7], 3, v[8:9]
	v_add_u32_e32 v10, s5, v8
	;; [unrolled: 5-line block ×5, first 2 shown]
	v_add_co_u32_e32 v12, vcc, s6, v12
	v_ashrrev_i32_e32 v15, 31, v14
	v_addc_co_u32_e32 v13, vcc, v1, v13, vcc
	v_lshlrev_b64 v[16:17], 3, v[14:15]
	v_add_co_u32_e32 v18, vcc, s6, v16
	v_add_u32_e32 v16, s5, v14
	v_addc_co_u32_e32 v19, vcc, v1, v17, vcc
	v_ashrrev_i32_e32 v17, 31, v16
	v_lshlrev_b64 v[14:15], 3, v[16:17]
	v_add_u32_e32 v20, s5, v16
	v_add_co_u32_e32 v14, vcc, s6, v14
	v_ashrrev_i32_e32 v21, 31, v20
	v_addc_co_u32_e32 v15, vcc, v1, v15, vcc
	v_lshlrev_b64 v[16:17], 3, v[20:21]
	v_add_u32_e32 v22, s5, v20
	v_add_co_u32_e32 v16, vcc, s6, v16
	v_ashrrev_i32_e32 v23, 31, v22
	v_addc_co_u32_e32 v17, vcc, v1, v17, vcc
	;; [unrolled: 5-line block ×36, first 2 shown]
	v_lshlrev_b64 v[88:89], 3, v[90:91]
	v_add_co_u32_e32 v88, vcc, s6, v88
	v_addc_co_u32_e32 v89, vcc, v1, v89, vcc
	v_lshlrev_b32_e32 v1, 3, v0
	v_mov_b32_e32 v92, s7
	v_add_co_u32_e32 v106, vcc, s6, v1
	s_ashr_i32 s13, s5, 31
	s_mov_b32 s12, s5
	v_addc_co_u32_e32 v107, vcc, 0, v92, vcc
	s_lshl_b64 s[12:13], s[12:13], 3
	v_mov_b32_e32 v92, s13
	v_add_co_u32_e32 v104, vcc, s12, v106
	v_addc_co_u32_e32 v105, vcc, v107, v92, vcc
	global_load_dwordx2 v[108:109], v1, s[6:7]
	global_load_dwordx2 v[112:113], v[2:3], off
	global_load_dwordx2 v[110:111], v[104:105], off
	;; [unrolled: 1-line block ×18, first 2 shown]
	v_add_u32_e32 v90, s5, v90
	v_ashrrev_i32_e32 v91, 31, v90
	v_lshlrev_b64 v[92:93], 3, v[90:91]
	v_add_u32_e32 v90, s5, v90
	v_mov_b32_e32 v94, s7
	v_add_co_u32_e32 v92, vcc, s6, v92
	v_ashrrev_i32_e32 v91, 31, v90
	global_load_dwordx2 v[146:147], v[36:37], off
	global_load_dwordx2 v[148:149], v[38:39], off
	v_addc_co_u32_e32 v93, vcc, v94, v93, vcc
	v_lshlrev_b64 v[94:95], 3, v[90:91]
	v_add_u32_e32 v90, s5, v90
	v_mov_b32_e32 v96, s7
	v_add_co_u32_e32 v94, vcc, s6, v94
	v_ashrrev_i32_e32 v91, 31, v90
	v_addc_co_u32_e32 v95, vcc, v96, v95, vcc
	v_lshlrev_b64 v[96:97], 3, v[90:91]
	v_add_u32_e32 v90, s5, v90
	global_load_dwordx2 v[150:151], v[40:41], off
	global_load_dwordx2 v[152:153], v[42:43], off
	v_mov_b32_e32 v98, s7
	v_add_co_u32_e32 v96, vcc, s6, v96
	v_ashrrev_i32_e32 v91, 31, v90
	v_addc_co_u32_e32 v97, vcc, v98, v97, vcc
	v_lshlrev_b64 v[98:99], 3, v[90:91]
	v_add_u32_e32 v90, s5, v90
	v_mov_b32_e32 v100, s7
	v_add_co_u32_e32 v98, vcc, s6, v98
	v_ashrrev_i32_e32 v91, 31, v90
	v_addc_co_u32_e32 v99, vcc, v100, v99, vcc
	v_lshlrev_b64 v[100:101], 3, v[90:91]
	v_add_u32_e32 v90, s5, v90
	v_mov_b32_e32 v102, s7
	v_add_co_u32_e32 v100, vcc, s6, v100
	v_ashrrev_i32_e32 v91, 31, v90
	v_addc_co_u32_e32 v101, vcc, v102, v101, vcc
	v_lshlrev_b64 v[102:103], 3, v[90:91]
	v_mov_b32_e32 v154, s7
	v_add_co_u32_e32 v102, vcc, s6, v102
	v_addc_co_u32_e32 v103, vcc, v154, v103, vcc
	global_load_dwordx2 v[154:155], v[44:45], off
	global_load_dwordx2 v[156:157], v[46:47], off
	s_waitcnt vmcnt(24)
	buffer_store_dword v109, off, s[0:3], 0 offset:4
	buffer_store_dword v108, off, s[0:3], 0
	s_waitcnt vmcnt(24)
	buffer_store_dword v111, off, s[0:3], 0 offset:12
	buffer_store_dword v110, off, s[0:3], 0 offset:8
	;; [unrolled: 1-line block ×4, first 2 shown]
	s_waitcnt vmcnt(27)
	buffer_store_dword v115, off, s[0:3], 0 offset:28
	buffer_store_dword v114, off, s[0:3], 0 offset:24
	s_waitcnt vmcnt(28)
	buffer_store_dword v117, off, s[0:3], 0 offset:36
	buffer_store_dword v116, off, s[0:3], 0 offset:32
	;; [unrolled: 3-line block ×6, first 2 shown]
	buffer_store_dword v126, off, s[0:3], 0 offset:72
	buffer_store_dword v127, off, s[0:3], 0 offset:76
	;; [unrolled: 1-line block ×4, first 2 shown]
	s_waitcnt vmcnt(35)
	buffer_store_dword v130, off, s[0:3], 0 offset:88
	global_load_dwordx2 v[108:109], v[48:49], off
	global_load_dwordx2 v[110:111], v[50:51], off
	;; [unrolled: 1-line block ×11, first 2 shown]
	v_add_u32_e32 v90, s5, v90
	buffer_store_dword v131, off, s[0:3], 0 offset:92
	global_load_dwordx2 v[130:131], v[70:71], off
	v_ashrrev_i32_e32 v91, 31, v90
	s_waitcnt vmcnt(48)
	buffer_store_dword v132, off, s[0:3], 0 offset:96
	buffer_store_dword v133, off, s[0:3], 0 offset:100
	global_load_dwordx2 v[132:133], v[72:73], off
	v_lshlrev_b64 v[90:91], 3, v[90:91]
	s_waitcnt vmcnt(50)
	buffer_store_dword v134, off, s[0:3], 0 offset:104
	buffer_store_dword v135, off, s[0:3], 0 offset:108
	global_load_dwordx2 v[134:135], v[74:75], off
	v_mov_b32_e32 v158, s7
	s_waitcnt vmcnt(52)
	buffer_store_dword v137, off, s[0:3], 0 offset:116
	buffer_store_dword v136, off, s[0:3], 0 offset:112
	global_load_dwordx2 v[136:137], v[76:77], off
	v_add_co_u32_e32 v90, vcc, s6, v90
	s_waitcnt vmcnt(54)
	buffer_store_dword v138, off, s[0:3], 0 offset:120
	buffer_store_dword v139, off, s[0:3], 0 offset:124
	global_load_dwordx2 v[138:139], v[78:79], off
	v_addc_co_u32_e32 v91, vcc, v158, v91, vcc
	s_waitcnt vmcnt(56)
	buffer_store_dword v140, off, s[0:3], 0 offset:128
	buffer_store_dword v141, off, s[0:3], 0 offset:132
	global_load_dwordx2 v[140:141], v[80:81], off
	s_bitcmp0_b32 s18, 0
	s_waitcnt vmcnt(58)
	buffer_store_dword v142, off, s[0:3], 0 offset:136
	buffer_store_dword v143, off, s[0:3], 0 offset:140
	global_load_dwordx2 v[142:143], v[82:83], off
	s_mov_b64 s[6:7], -1
	s_waitcnt vmcnt(60)
	buffer_store_dword v144, off, s[0:3], 0 offset:144
	buffer_store_dword v145, off, s[0:3], 0 offset:148
	global_load_dwordx2 v[144:145], v[84:85], off
	s_waitcnt vmcnt(62)
	buffer_store_dword v147, off, s[0:3], 0 offset:156
	buffer_store_dword v146, off, s[0:3], 0 offset:152
	global_load_dwordx2 v[146:147], v[86:87], off
	;; [unrolled: 4-line block ×3, first 2 shown]
	s_nop 0
	buffer_store_dword v150, off, s[0:3], 0 offset:168
	buffer_store_dword v151, off, s[0:3], 0 offset:172
	global_load_dwordx2 v[150:151], v[92:93], off
	s_nop 0
	global_load_dwordx2 v[158:159], v[94:95], off
	global_load_dwordx2 v[160:161], v[98:99], off
	;; [unrolled: 1-line block ×3, first 2 shown]
	s_nop 0
	buffer_store_dword v152, off, s[0:3], 0 offset:176
	buffer_store_dword v153, off, s[0:3], 0 offset:180
	global_load_dwordx2 v[152:153], v[96:97], off
	s_waitcnt vmcnt(62)
	buffer_store_dword v154, off, s[0:3], 0 offset:184
	buffer_store_dword v155, off, s[0:3], 0 offset:188
	global_load_dwordx2 v[154:155], v[100:101], off
	s_nop 0
	buffer_store_dword v156, off, s[0:3], 0 offset:192
	buffer_store_dword v157, off, s[0:3], 0 offset:196
	global_load_dwordx2 v[156:157], v[90:91], off
	s_waitcnt vmcnt(54)
	buffer_store_dword v109, off, s[0:3], 0 offset:204
	buffer_store_dword v108, off, s[0:3], 0 offset:200
	s_waitcnt vmcnt(55)
	buffer_store_dword v111, off, s[0:3], 0 offset:212
	buffer_store_dword v110, off, s[0:3], 0 offset:208
	;; [unrolled: 3-line block ×10, first 2 shown]
	buffer_store_dword v128, off, s[0:3], 0 offset:280
	buffer_store_dword v129, off, s[0:3], 0 offset:284
	s_waitcnt vmcnt(62)
	buffer_store_dword v130, off, s[0:3], 0 offset:288
	buffer_store_dword v131, off, s[0:3], 0 offset:292
	s_waitcnt vmcnt(62)
	;; [unrolled: 3-line block ×13, first 2 shown]
	buffer_store_dword v152, off, s[0:3], 0 offset:384
	buffer_store_dword v153, off, s[0:3], 0 offset:388
	buffer_store_dword v161, off, s[0:3], 0 offset:396
	buffer_store_dword v160, off, s[0:3], 0 offset:392
	s_waitcnt vmcnt(53)
	buffer_store_dword v155, off, s[0:3], 0 offset:404
	buffer_store_dword v154, off, s[0:3], 0 offset:400
	;; [unrolled: 1-line block ×4, first 2 shown]
	s_waitcnt vmcnt(54)
	buffer_store_dword v156, off, s[0:3], 0 offset:416
	buffer_store_dword v157, off, s[0:3], 0 offset:420
	s_cbranch_scc1 .LBB116_218
; %bb.4:
	v_cmp_eq_u32_e64 s[4:5], 0, v0
	s_and_saveexec_b64 s[6:7], s[4:5]
	s_cbranch_execz .LBB116_6
; %bb.5:
	v_mov_b32_e32 v108, 0
	ds_write_b32 v108, v108 offset:424
.LBB116_6:
	s_or_b64 exec, exec, s[6:7]
	v_mov_b32_e32 v108, 0
	v_lshl_add_u32 v108, v0, 3, v108
	s_waitcnt lgkmcnt(0)
	; wave barrier
	s_waitcnt lgkmcnt(0)
	buffer_load_dword v110, v108, s[0:3], 0 offen
	buffer_load_dword v111, v108, s[0:3], 0 offen offset:4
	s_waitcnt vmcnt(0)
	v_cmp_eq_f64_e32 vcc, 0, v[110:111]
	s_and_saveexec_b64 s[12:13], vcc
	s_cbranch_execz .LBB116_10
; %bb.7:
	v_mov_b32_e32 v109, 0
	ds_read_b32 v111, v109 offset:424
	v_add_u32_e32 v110, 1, v0
	s_waitcnt lgkmcnt(0)
	v_readfirstlane_b32 s6, v111
	s_cmp_eq_u32 s6, 0
	s_cselect_b64 s[18:19], -1, 0
	v_cmp_gt_i32_e32 vcc, s6, v110
	s_or_b64 s[18:19], s[18:19], vcc
	s_and_b64 exec, exec, s[18:19]
	s_cbranch_execz .LBB116_10
; %bb.8:
	s_mov_b64 s[18:19], 0
	v_mov_b32_e32 v111, s6
.LBB116_9:                              ; =>This Inner Loop Header: Depth=1
	ds_cmpst_rtn_b32 v111, v109, v111, v110 offset:424
	s_waitcnt lgkmcnt(0)
	v_cmp_ne_u32_e32 vcc, 0, v111
	v_cmp_le_i32_e64 s[6:7], v111, v110
	s_and_b64 s[6:7], vcc, s[6:7]
	s_and_b64 s[6:7], exec, s[6:7]
	s_or_b64 s[18:19], s[6:7], s[18:19]
	s_andn2_b64 exec, exec, s[18:19]
	s_cbranch_execnz .LBB116_9
.LBB116_10:
	s_or_b64 exec, exec, s[12:13]
	v_mov_b32_e32 v110, 0
	s_waitcnt lgkmcnt(0)
	; wave barrier
	ds_read_b32 v109, v110 offset:424
	s_and_saveexec_b64 s[6:7], s[4:5]
	s_cbranch_execz .LBB116_12
; %bb.11:
	s_lshl_b64 s[12:13], s[8:9], 2
	s_add_u32 s12, s14, s12
	s_addc_u32 s13, s15, s13
	s_waitcnt lgkmcnt(0)
	global_store_dword v110, v109, s[12:13]
.LBB116_12:
	s_or_b64 exec, exec, s[6:7]
	s_waitcnt lgkmcnt(0)
	v_cmp_ne_u32_e32 vcc, 0, v109
	s_mov_b64 s[6:7], 0
	s_cbranch_vccnz .LBB116_218
; %bb.13:
	buffer_load_dword v110, v108, s[0:3], 0 offen
	buffer_load_dword v111, v108, s[0:3], 0 offen offset:4
	s_waitcnt vmcnt(0)
	v_div_scale_f64 v[112:113], s[6:7], v[110:111], v[110:111], 1.0
	v_rcp_f64_e32 v[114:115], v[112:113]
	v_div_scale_f64 v[116:117], vcc, 1.0, v[110:111], 1.0
	v_fma_f64 v[118:119], -v[112:113], v[114:115], 1.0
	v_fmac_f64_e32 v[114:115], v[114:115], v[118:119]
	v_fma_f64 v[118:119], -v[112:113], v[114:115], 1.0
	v_fmac_f64_e32 v[114:115], v[114:115], v[118:119]
	v_mul_f64 v[118:119], v[116:117], v[114:115]
	v_fma_f64 v[112:113], -v[112:113], v[118:119], v[116:117]
	v_div_fmas_f64 v[112:113], v[112:113], v[114:115], v[118:119]
	v_div_fixup_f64 v[112:113], v[112:113], v[110:111], 1.0
	buffer_store_dword v113, v108, s[0:3], 0 offen offset:4
	buffer_store_dword v112, v108, s[0:3], 0 offen
	buffer_load_dword v115, off, s[0:3], 0 offset:12
	buffer_load_dword v114, off, s[0:3], 0 offset:8
	v_add_u32_e32 v110, 0x1b0, v1
	v_xor_b32_e32 v113, 0x80000000, v113
	s_waitcnt vmcnt(0)
	ds_write2_b64 v1, v[112:113], v[114:115] offset1:54
	s_waitcnt lgkmcnt(0)
	; wave barrier
	s_waitcnt lgkmcnt(0)
	s_and_saveexec_b64 s[6:7], s[4:5]
	s_cbranch_execz .LBB116_15
; %bb.14:
	buffer_load_dword v112, v108, s[0:3], 0 offen
	buffer_load_dword v113, v108, s[0:3], 0 offen offset:4
	v_mov_b32_e32 v109, 0
	ds_read_b64 v[114:115], v110
	ds_read_b64 v[116:117], v109 offset:8
	s_waitcnt vmcnt(0) lgkmcnt(1)
	v_fma_f64 v[112:113], v[112:113], v[114:115], 0
	s_waitcnt lgkmcnt(0)
	v_mul_f64 v[112:113], v[112:113], v[116:117]
	buffer_store_dword v112, off, s[0:3], 0 offset:8
	buffer_store_dword v113, off, s[0:3], 0 offset:12
.LBB116_15:
	s_or_b64 exec, exec, s[6:7]
	s_waitcnt lgkmcnt(0)
	; wave barrier
	buffer_load_dword v112, off, s[0:3], 0 offset:16
	buffer_load_dword v113, off, s[0:3], 0 offset:20
	v_cmp_gt_u32_e32 vcc, 2, v0
	s_waitcnt vmcnt(0)
	ds_write_b64 v110, v[112:113]
	s_waitcnt lgkmcnt(0)
	; wave barrier
	s_waitcnt lgkmcnt(0)
	s_and_saveexec_b64 s[6:7], vcc
	s_cbranch_execz .LBB116_17
; %bb.16:
	buffer_load_dword v109, v108, s[0:3], 0 offen offset:4
	buffer_load_dword v116, off, s[0:3], 0 offset:8
	s_nop 0
	buffer_load_dword v108, v108, s[0:3], 0 offen
	s_nop 0
	buffer_load_dword v117, off, s[0:3], 0 offset:12
	ds_read_b64 v[118:119], v110
	v_mov_b32_e32 v111, 0
	ds_read2_b64 v[112:115], v111 offset0:2 offset1:55
	s_waitcnt vmcnt(1) lgkmcnt(1)
	v_fma_f64 v[108:109], v[108:109], v[118:119], 0
	s_waitcnt vmcnt(0) lgkmcnt(0)
	v_fma_f64 v[114:115], v[116:117], v[114:115], v[108:109]
	v_cndmask_b32_e64 v109, v109, v115, s[4:5]
	v_cndmask_b32_e64 v108, v108, v114, s[4:5]
	v_mul_f64 v[108:109], v[108:109], v[112:113]
	buffer_store_dword v109, off, s[0:3], 0 offset:20
	buffer_store_dword v108, off, s[0:3], 0 offset:16
.LBB116_17:
	s_or_b64 exec, exec, s[6:7]
	s_waitcnt lgkmcnt(0)
	; wave barrier
	buffer_load_dword v108, off, s[0:3], 0 offset:24
	buffer_load_dword v109, off, s[0:3], 0 offset:28
	v_cmp_gt_u32_e32 vcc, 3, v0
	v_add_u32_e32 v111, -1, v0
	s_waitcnt vmcnt(0)
	ds_write_b64 v110, v[108:109]
	s_waitcnt lgkmcnt(0)
	; wave barrier
	s_waitcnt lgkmcnt(0)
	s_and_saveexec_b64 s[4:5], vcc
	s_cbranch_execz .LBB116_21
; %bb.18:
	v_add_u32_e32 v112, -1, v0
	v_add_u32_e32 v113, 0x1b0, v1
	v_add_u32_e32 v114, 0, v1
	s_mov_b64 s[6:7], 0
	v_pk_mov_b32 v[108:109], 0, 0
.LBB116_19:                             ; =>This Inner Loop Header: Depth=1
	buffer_load_dword v116, v114, s[0:3], 0 offen
	buffer_load_dword v117, v114, s[0:3], 0 offen offset:4
	ds_read_b64 v[118:119], v113
	v_add_u32_e32 v112, 1, v112
	v_cmp_lt_u32_e32 vcc, 1, v112
	v_add_u32_e32 v113, 8, v113
	v_add_u32_e32 v114, 8, v114
	s_or_b64 s[6:7], vcc, s[6:7]
	s_waitcnt vmcnt(0) lgkmcnt(0)
	v_fmac_f64_e32 v[108:109], v[116:117], v[118:119]
	s_andn2_b64 exec, exec, s[6:7]
	s_cbranch_execnz .LBB116_19
; %bb.20:
	s_or_b64 exec, exec, s[6:7]
	v_mov_b32_e32 v112, 0
	ds_read_b64 v[112:113], v112 offset:24
	s_waitcnt lgkmcnt(0)
	v_mul_f64 v[108:109], v[108:109], v[112:113]
	buffer_store_dword v109, off, s[0:3], 0 offset:28
	buffer_store_dword v108, off, s[0:3], 0 offset:24
.LBB116_21:
	s_or_b64 exec, exec, s[4:5]
	s_waitcnt lgkmcnt(0)
	; wave barrier
	buffer_load_dword v108, off, s[0:3], 0 offset:32
	buffer_load_dword v109, off, s[0:3], 0 offset:36
	v_cmp_gt_u32_e32 vcc, 4, v0
	s_waitcnt vmcnt(0)
	ds_write_b64 v110, v[108:109]
	s_waitcnt lgkmcnt(0)
	; wave barrier
	s_waitcnt lgkmcnt(0)
	s_and_saveexec_b64 s[4:5], vcc
	s_cbranch_execz .LBB116_25
; %bb.22:
	v_add_u32_e32 v112, -1, v0
	v_add_u32_e32 v113, 0x1b0, v1
	v_add_u32_e32 v114, 0, v1
	s_mov_b64 s[6:7], 0
	v_pk_mov_b32 v[108:109], 0, 0
.LBB116_23:                             ; =>This Inner Loop Header: Depth=1
	buffer_load_dword v116, v114, s[0:3], 0 offen
	buffer_load_dword v117, v114, s[0:3], 0 offen offset:4
	ds_read_b64 v[118:119], v113
	v_add_u32_e32 v112, 1, v112
	v_cmp_lt_u32_e32 vcc, 2, v112
	v_add_u32_e32 v113, 8, v113
	v_add_u32_e32 v114, 8, v114
	s_or_b64 s[6:7], vcc, s[6:7]
	s_waitcnt vmcnt(0) lgkmcnt(0)
	v_fmac_f64_e32 v[108:109], v[116:117], v[118:119]
	s_andn2_b64 exec, exec, s[6:7]
	s_cbranch_execnz .LBB116_23
; %bb.24:
	s_or_b64 exec, exec, s[6:7]
	v_mov_b32_e32 v112, 0
	ds_read_b64 v[112:113], v112 offset:32
	s_waitcnt lgkmcnt(0)
	v_mul_f64 v[108:109], v[108:109], v[112:113]
	buffer_store_dword v109, off, s[0:3], 0 offset:36
	buffer_store_dword v108, off, s[0:3], 0 offset:32
.LBB116_25:
	s_or_b64 exec, exec, s[4:5]
	s_waitcnt lgkmcnt(0)
	; wave barrier
	buffer_load_dword v108, off, s[0:3], 0 offset:40
	buffer_load_dword v109, off, s[0:3], 0 offset:44
	v_cmp_gt_u32_e32 vcc, 5, v0
	;; [unrolled: 41-line block ×21, first 2 shown]
	s_waitcnt vmcnt(0)
	ds_write_b64 v110, v[108:109]
	s_waitcnt lgkmcnt(0)
	; wave barrier
	s_waitcnt lgkmcnt(0)
	s_and_saveexec_b64 s[4:5], vcc
	s_cbranch_execz .LBB116_105
; %bb.102:
	v_add_u32_e32 v112, -1, v0
	v_add_u32_e32 v113, 0x1b0, v1
	v_add_u32_e32 v114, 0, v1
	s_mov_b64 s[6:7], 0
	v_pk_mov_b32 v[108:109], 0, 0
.LBB116_103:                            ; =>This Inner Loop Header: Depth=1
	buffer_load_dword v116, v114, s[0:3], 0 offen
	buffer_load_dword v117, v114, s[0:3], 0 offen offset:4
	ds_read_b64 v[118:119], v113
	v_add_u32_e32 v112, 1, v112
	v_cmp_lt_u32_e32 vcc, 22, v112
	v_add_u32_e32 v113, 8, v113
	v_add_u32_e32 v114, 8, v114
	s_or_b64 s[6:7], vcc, s[6:7]
	s_waitcnt vmcnt(0) lgkmcnt(0)
	v_fmac_f64_e32 v[108:109], v[116:117], v[118:119]
	s_andn2_b64 exec, exec, s[6:7]
	s_cbranch_execnz .LBB116_103
; %bb.104:
	s_or_b64 exec, exec, s[6:7]
	v_mov_b32_e32 v112, 0
	ds_read_b64 v[112:113], v112 offset:192
	s_waitcnt lgkmcnt(0)
	v_mul_f64 v[108:109], v[108:109], v[112:113]
	buffer_store_dword v109, off, s[0:3], 0 offset:196
	buffer_store_dword v108, off, s[0:3], 0 offset:192
.LBB116_105:
	s_or_b64 exec, exec, s[4:5]
	s_waitcnt lgkmcnt(0)
	; wave barrier
	buffer_load_dword v108, off, s[0:3], 0 offset:200
	buffer_load_dword v109, off, s[0:3], 0 offset:204
	v_cmp_gt_u32_e32 vcc, 25, v0
	s_waitcnt vmcnt(0)
	ds_write_b64 v110, v[108:109]
	s_waitcnt lgkmcnt(0)
	; wave barrier
	s_waitcnt lgkmcnt(0)
	s_and_saveexec_b64 s[4:5], vcc
	s_cbranch_execz .LBB116_109
; %bb.106:
	v_add_u32_e32 v112, -1, v0
	v_add_u32_e32 v113, 0x1b0, v1
	v_add_u32_e32 v114, 0, v1
	s_mov_b64 s[6:7], 0
	v_pk_mov_b32 v[108:109], 0, 0
.LBB116_107:                            ; =>This Inner Loop Header: Depth=1
	buffer_load_dword v116, v114, s[0:3], 0 offen
	buffer_load_dword v117, v114, s[0:3], 0 offen offset:4
	ds_read_b64 v[118:119], v113
	v_add_u32_e32 v112, 1, v112
	v_cmp_lt_u32_e32 vcc, 23, v112
	v_add_u32_e32 v113, 8, v113
	v_add_u32_e32 v114, 8, v114
	s_or_b64 s[6:7], vcc, s[6:7]
	s_waitcnt vmcnt(0) lgkmcnt(0)
	v_fmac_f64_e32 v[108:109], v[116:117], v[118:119]
	s_andn2_b64 exec, exec, s[6:7]
	s_cbranch_execnz .LBB116_107
; %bb.108:
	s_or_b64 exec, exec, s[6:7]
	v_mov_b32_e32 v112, 0
	ds_read_b64 v[112:113], v112 offset:200
	s_waitcnt lgkmcnt(0)
	v_mul_f64 v[108:109], v[108:109], v[112:113]
	buffer_store_dword v109, off, s[0:3], 0 offset:204
	buffer_store_dword v108, off, s[0:3], 0 offset:200
.LBB116_109:
	s_or_b64 exec, exec, s[4:5]
	s_waitcnt lgkmcnt(0)
	; wave barrier
	buffer_load_dword v108, off, s[0:3], 0 offset:208
	buffer_load_dword v109, off, s[0:3], 0 offset:212
	v_cmp_gt_u32_e32 vcc, 26, v0
	;; [unrolled: 41-line block ×27, first 2 shown]
	s_waitcnt vmcnt(0)
	ds_write_b64 v110, v[108:109]
	s_waitcnt lgkmcnt(0)
	; wave barrier
	s_waitcnt lgkmcnt(0)
	s_and_saveexec_b64 s[4:5], vcc
	s_cbranch_execz .LBB116_213
; %bb.210:
	v_add_u32_e32 v112, -1, v0
	v_add_u32_e32 v113, 0x1b0, v1
	v_add_u32_e32 v114, 0, v1
	s_mov_b64 s[6:7], 0
	v_pk_mov_b32 v[108:109], 0, 0
.LBB116_211:                            ; =>This Inner Loop Header: Depth=1
	buffer_load_dword v116, v114, s[0:3], 0 offen
	buffer_load_dword v117, v114, s[0:3], 0 offen offset:4
	ds_read_b64 v[118:119], v113
	v_add_u32_e32 v112, 1, v112
	v_cmp_lt_u32_e32 vcc, 49, v112
	v_add_u32_e32 v113, 8, v113
	v_add_u32_e32 v114, 8, v114
	s_or_b64 s[6:7], vcc, s[6:7]
	s_waitcnt vmcnt(0) lgkmcnt(0)
	v_fmac_f64_e32 v[108:109], v[116:117], v[118:119]
	s_andn2_b64 exec, exec, s[6:7]
	s_cbranch_execnz .LBB116_211
; %bb.212:
	s_or_b64 exec, exec, s[6:7]
	v_mov_b32_e32 v112, 0
	ds_read_b64 v[112:113], v112 offset:408
	s_waitcnt lgkmcnt(0)
	v_mul_f64 v[108:109], v[108:109], v[112:113]
	buffer_store_dword v109, off, s[0:3], 0 offset:412
	buffer_store_dword v108, off, s[0:3], 0 offset:408
.LBB116_213:
	s_or_b64 exec, exec, s[4:5]
	s_waitcnt lgkmcnt(0)
	; wave barrier
	buffer_load_dword v108, off, s[0:3], 0 offset:416
	buffer_load_dword v109, off, s[0:3], 0 offset:420
	v_cmp_ne_u32_e32 vcc, 52, v0
	s_waitcnt vmcnt(0)
	ds_write_b64 v110, v[108:109]
	s_waitcnt lgkmcnt(0)
	; wave barrier
	s_waitcnt lgkmcnt(0)
	s_and_saveexec_b64 s[4:5], vcc
	s_cbranch_execz .LBB116_217
; %bb.214:
	v_add_u32_e32 v110, 0x1b0, v1
	v_add_u32_e32 v1, 0, v1
	s_mov_b64 s[6:7], 0
	v_pk_mov_b32 v[108:109], 0, 0
.LBB116_215:                            ; =>This Inner Loop Header: Depth=1
	buffer_load_dword v112, v1, s[0:3], 0 offen
	buffer_load_dword v113, v1, s[0:3], 0 offen offset:4
	ds_read_b64 v[114:115], v110
	v_add_u32_e32 v111, 1, v111
	v_cmp_lt_u32_e32 vcc, 50, v111
	v_add_u32_e32 v110, 8, v110
	v_add_u32_e32 v1, 8, v1
	s_or_b64 s[6:7], vcc, s[6:7]
	s_waitcnt vmcnt(0) lgkmcnt(0)
	v_fmac_f64_e32 v[108:109], v[112:113], v[114:115]
	s_andn2_b64 exec, exec, s[6:7]
	s_cbranch_execnz .LBB116_215
; %bb.216:
	s_or_b64 exec, exec, s[6:7]
	v_mov_b32_e32 v1, 0
	ds_read_b64 v[110:111], v1 offset:416
	s_waitcnt lgkmcnt(0)
	v_mul_f64 v[108:109], v[108:109], v[110:111]
	buffer_store_dword v109, off, s[0:3], 0 offset:420
	buffer_store_dword v108, off, s[0:3], 0 offset:416
.LBB116_217:
	s_or_b64 exec, exec, s[4:5]
	s_mov_b64 s[6:7], -1
	s_waitcnt lgkmcnt(0)
	; wave barrier
.LBB116_218:
	s_and_b64 vcc, exec, s[6:7]
	s_cbranch_vccz .LBB116_220
; %bb.219:
	s_lshl_b64 s[4:5], s[8:9], 2
	s_add_u32 s4, s14, s4
	s_addc_u32 s5, s15, s5
	v_mov_b32_e32 v1, 0
	global_load_dword v1, v1, s[4:5]
	s_waitcnt vmcnt(0)
	v_cmp_ne_u32_e32 vcc, 0, v1
	s_cbranch_vccz .LBB116_221
.LBB116_220:
	s_endpgm
.LBB116_221:
	v_mov_b32_e32 v1, 0x1b0
	v_lshl_add_u32 v1, v0, 3, v1
	v_cmp_eq_u32_e32 vcc, 52, v0
	s_and_saveexec_b64 s[4:5], vcc
	s_cbranch_execz .LBB116_223
; %bb.222:
	buffer_load_dword v108, off, s[0:3], 0 offset:408
	buffer_load_dword v109, off, s[0:3], 0 offset:412
	v_mov_b32_e32 v110, 0
	buffer_store_dword v110, off, s[0:3], 0 offset:408
	buffer_store_dword v110, off, s[0:3], 0 offset:412
	s_waitcnt vmcnt(2)
	ds_write_b64 v1, v[108:109]
.LBB116_223:
	s_or_b64 exec, exec, s[4:5]
	s_waitcnt lgkmcnt(0)
	; wave barrier
	s_waitcnt lgkmcnt(0)
	buffer_load_dword v110, off, s[0:3], 0 offset:416
	buffer_load_dword v111, off, s[0:3], 0 offset:420
	;; [unrolled: 1-line block ×4, first 2 shown]
	v_mov_b32_e32 v108, 0
	ds_read_b64 v[114:115], v108 offset:848
	v_cmp_lt_u32_e32 vcc, 50, v0
	s_waitcnt vmcnt(2) lgkmcnt(0)
	v_fma_f64 v[110:111], v[110:111], v[114:115], 0
	s_waitcnt vmcnt(0)
	v_add_f64 v[110:111], v[112:113], -v[110:111]
	buffer_store_dword v110, off, s[0:3], 0 offset:408
	buffer_store_dword v111, off, s[0:3], 0 offset:412
	s_and_saveexec_b64 s[4:5], vcc
	s_cbranch_execz .LBB116_225
; %bb.224:
	buffer_load_dword v110, off, s[0:3], 0 offset:400
	buffer_load_dword v111, off, s[0:3], 0 offset:404
	s_waitcnt vmcnt(0)
	ds_write_b64 v1, v[110:111]
	buffer_store_dword v108, off, s[0:3], 0 offset:400
	buffer_store_dword v108, off, s[0:3], 0 offset:404
.LBB116_225:
	s_or_b64 exec, exec, s[4:5]
	s_waitcnt lgkmcnt(0)
	; wave barrier
	s_waitcnt lgkmcnt(0)
	buffer_load_dword v112, off, s[0:3], 0 offset:408
	buffer_load_dword v113, off, s[0:3], 0 offset:412
	;; [unrolled: 1-line block ×6, first 2 shown]
	ds_read2_b64 v[108:111], v108 offset0:105 offset1:106
	v_cmp_lt_u32_e32 vcc, 49, v0
	s_waitcnt vmcnt(4) lgkmcnt(0)
	v_fma_f64 v[108:109], v[112:113], v[108:109], 0
	s_waitcnt vmcnt(2)
	v_fmac_f64_e32 v[108:109], v[114:115], v[110:111]
	s_waitcnt vmcnt(0)
	v_add_f64 v[108:109], v[116:117], -v[108:109]
	buffer_store_dword v108, off, s[0:3], 0 offset:400
	buffer_store_dword v109, off, s[0:3], 0 offset:404
	s_and_saveexec_b64 s[4:5], vcc
	s_cbranch_execz .LBB116_227
; %bb.226:
	buffer_load_dword v108, off, s[0:3], 0 offset:392
	buffer_load_dword v109, off, s[0:3], 0 offset:396
	v_mov_b32_e32 v110, 0
	buffer_store_dword v110, off, s[0:3], 0 offset:392
	buffer_store_dword v110, off, s[0:3], 0 offset:396
	s_waitcnt vmcnt(2)
	ds_write_b64 v1, v[108:109]
.LBB116_227:
	s_or_b64 exec, exec, s[4:5]
	s_waitcnt lgkmcnt(0)
	; wave barrier
	s_waitcnt lgkmcnt(0)
	buffer_load_dword v114, off, s[0:3], 0 offset:400
	buffer_load_dword v115, off, s[0:3], 0 offset:404
	;; [unrolled: 1-line block ×8, first 2 shown]
	v_mov_b32_e32 v108, 0
	ds_read_b128 v[110:113], v108 offset:832
	ds_read_b64 v[122:123], v108 offset:848
	v_cmp_lt_u32_e32 vcc, 48, v0
	s_waitcnt vmcnt(6) lgkmcnt(1)
	v_fma_f64 v[110:111], v[114:115], v[110:111], 0
	s_waitcnt vmcnt(4)
	v_fmac_f64_e32 v[110:111], v[116:117], v[112:113]
	s_waitcnt vmcnt(2) lgkmcnt(0)
	v_fmac_f64_e32 v[110:111], v[118:119], v[122:123]
	s_waitcnt vmcnt(0)
	v_add_f64 v[110:111], v[120:121], -v[110:111]
	buffer_store_dword v110, off, s[0:3], 0 offset:392
	buffer_store_dword v111, off, s[0:3], 0 offset:396
	s_and_saveexec_b64 s[4:5], vcc
	s_cbranch_execz .LBB116_229
; %bb.228:
	buffer_load_dword v110, off, s[0:3], 0 offset:384
	buffer_load_dword v111, off, s[0:3], 0 offset:388
	s_waitcnt vmcnt(0)
	ds_write_b64 v1, v[110:111]
	buffer_store_dword v108, off, s[0:3], 0 offset:384
	buffer_store_dword v108, off, s[0:3], 0 offset:388
.LBB116_229:
	s_or_b64 exec, exec, s[4:5]
	s_waitcnt lgkmcnt(0)
	; wave barrier
	s_waitcnt lgkmcnt(0)
	buffer_load_dword v118, off, s[0:3], 0 offset:392
	buffer_load_dword v119, off, s[0:3], 0 offset:396
	;; [unrolled: 1-line block ×10, first 2 shown]
	ds_read2_b64 v[110:113], v108 offset0:103 offset1:104
	ds_read2_b64 v[114:117], v108 offset0:105 offset1:106
	v_cmp_lt_u32_e32 vcc, 47, v0
	s_waitcnt vmcnt(8) lgkmcnt(1)
	v_fma_f64 v[108:109], v[118:119], v[110:111], 0
	s_waitcnt vmcnt(6)
	v_fmac_f64_e32 v[108:109], v[120:121], v[112:113]
	s_waitcnt vmcnt(4) lgkmcnt(0)
	v_fmac_f64_e32 v[108:109], v[122:123], v[114:115]
	s_waitcnt vmcnt(2)
	v_fmac_f64_e32 v[108:109], v[124:125], v[116:117]
	s_waitcnt vmcnt(0)
	v_add_f64 v[108:109], v[126:127], -v[108:109]
	buffer_store_dword v108, off, s[0:3], 0 offset:384
	buffer_store_dword v109, off, s[0:3], 0 offset:388
	s_and_saveexec_b64 s[4:5], vcc
	s_cbranch_execz .LBB116_231
; %bb.230:
	buffer_load_dword v108, off, s[0:3], 0 offset:376
	buffer_load_dword v109, off, s[0:3], 0 offset:380
	v_mov_b32_e32 v110, 0
	buffer_store_dword v110, off, s[0:3], 0 offset:376
	buffer_store_dword v110, off, s[0:3], 0 offset:380
	s_waitcnt vmcnt(2)
	ds_write_b64 v1, v[108:109]
.LBB116_231:
	s_or_b64 exec, exec, s[4:5]
	s_waitcnt lgkmcnt(0)
	; wave barrier
	s_waitcnt lgkmcnt(0)
	buffer_load_dword v118, off, s[0:3], 0 offset:384
	buffer_load_dword v119, off, s[0:3], 0 offset:388
	;; [unrolled: 1-line block ×12, first 2 shown]
	v_mov_b32_e32 v108, 0
	ds_read_b128 v[110:113], v108 offset:816
	ds_read_b128 v[114:117], v108 offset:832
	ds_read_b64 v[130:131], v108 offset:848
	v_cmp_lt_u32_e32 vcc, 46, v0
	s_waitcnt vmcnt(10) lgkmcnt(2)
	v_fma_f64 v[110:111], v[118:119], v[110:111], 0
	s_waitcnt vmcnt(8)
	v_fmac_f64_e32 v[110:111], v[120:121], v[112:113]
	s_waitcnt vmcnt(6) lgkmcnt(1)
	v_fmac_f64_e32 v[110:111], v[122:123], v[114:115]
	s_waitcnt vmcnt(4)
	v_fmac_f64_e32 v[110:111], v[124:125], v[116:117]
	s_waitcnt vmcnt(2) lgkmcnt(0)
	v_fmac_f64_e32 v[110:111], v[126:127], v[130:131]
	s_waitcnt vmcnt(0)
	v_add_f64 v[110:111], v[128:129], -v[110:111]
	buffer_store_dword v110, off, s[0:3], 0 offset:376
	buffer_store_dword v111, off, s[0:3], 0 offset:380
	s_and_saveexec_b64 s[4:5], vcc
	s_cbranch_execz .LBB116_233
; %bb.232:
	buffer_load_dword v110, off, s[0:3], 0 offset:368
	buffer_load_dword v111, off, s[0:3], 0 offset:372
	s_waitcnt vmcnt(0)
	ds_write_b64 v1, v[110:111]
	buffer_store_dword v108, off, s[0:3], 0 offset:368
	buffer_store_dword v108, off, s[0:3], 0 offset:372
.LBB116_233:
	s_or_b64 exec, exec, s[4:5]
	s_waitcnt lgkmcnt(0)
	; wave barrier
	s_waitcnt lgkmcnt(0)
	buffer_load_dword v122, off, s[0:3], 0 offset:376
	buffer_load_dword v123, off, s[0:3], 0 offset:380
	;; [unrolled: 1-line block ×14, first 2 shown]
	ds_read2_b64 v[110:113], v108 offset0:101 offset1:102
	ds_read2_b64 v[114:117], v108 offset0:103 offset1:104
	;; [unrolled: 1-line block ×3, first 2 shown]
	v_cmp_lt_u32_e32 vcc, 45, v0
	s_waitcnt vmcnt(12) lgkmcnt(2)
	v_fma_f64 v[108:109], v[122:123], v[110:111], 0
	s_waitcnt vmcnt(10)
	v_fmac_f64_e32 v[108:109], v[124:125], v[112:113]
	s_waitcnt vmcnt(8) lgkmcnt(1)
	v_fmac_f64_e32 v[108:109], v[126:127], v[114:115]
	s_waitcnt vmcnt(6)
	v_fmac_f64_e32 v[108:109], v[128:129], v[116:117]
	s_waitcnt vmcnt(4) lgkmcnt(0)
	v_fmac_f64_e32 v[108:109], v[130:131], v[118:119]
	s_waitcnt vmcnt(2)
	v_fmac_f64_e32 v[108:109], v[132:133], v[120:121]
	s_waitcnt vmcnt(0)
	v_add_f64 v[108:109], v[134:135], -v[108:109]
	buffer_store_dword v108, off, s[0:3], 0 offset:368
	buffer_store_dword v109, off, s[0:3], 0 offset:372
	s_and_saveexec_b64 s[4:5], vcc
	s_cbranch_execz .LBB116_235
; %bb.234:
	buffer_load_dword v108, off, s[0:3], 0 offset:360
	buffer_load_dword v109, off, s[0:3], 0 offset:364
	v_mov_b32_e32 v110, 0
	buffer_store_dword v110, off, s[0:3], 0 offset:360
	buffer_store_dword v110, off, s[0:3], 0 offset:364
	s_waitcnt vmcnt(2)
	ds_write_b64 v1, v[108:109]
.LBB116_235:
	s_or_b64 exec, exec, s[4:5]
	s_waitcnt lgkmcnt(0)
	; wave barrier
	s_waitcnt lgkmcnt(0)
	buffer_load_dword v122, off, s[0:3], 0 offset:368
	buffer_load_dword v123, off, s[0:3], 0 offset:372
	;; [unrolled: 1-line block ×16, first 2 shown]
	v_mov_b32_e32 v108, 0
	ds_read_b128 v[110:113], v108 offset:800
	ds_read_b128 v[114:117], v108 offset:816
	;; [unrolled: 1-line block ×3, first 2 shown]
	ds_read_b64 v[138:139], v108 offset:848
	v_cmp_lt_u32_e32 vcc, 44, v0
	s_waitcnt vmcnt(14) lgkmcnt(3)
	v_fma_f64 v[110:111], v[122:123], v[110:111], 0
	s_waitcnt vmcnt(12)
	v_fmac_f64_e32 v[110:111], v[124:125], v[112:113]
	s_waitcnt vmcnt(10) lgkmcnt(2)
	v_fmac_f64_e32 v[110:111], v[126:127], v[114:115]
	s_waitcnt vmcnt(8)
	v_fmac_f64_e32 v[110:111], v[128:129], v[116:117]
	s_waitcnt vmcnt(6) lgkmcnt(1)
	v_fmac_f64_e32 v[110:111], v[130:131], v[118:119]
	;; [unrolled: 4-line block ×3, first 2 shown]
	s_waitcnt vmcnt(0)
	v_add_f64 v[110:111], v[136:137], -v[110:111]
	buffer_store_dword v110, off, s[0:3], 0 offset:360
	buffer_store_dword v111, off, s[0:3], 0 offset:364
	s_and_saveexec_b64 s[4:5], vcc
	s_cbranch_execz .LBB116_237
; %bb.236:
	buffer_load_dword v110, off, s[0:3], 0 offset:352
	buffer_load_dword v111, off, s[0:3], 0 offset:356
	s_waitcnt vmcnt(0)
	ds_write_b64 v1, v[110:111]
	buffer_store_dword v108, off, s[0:3], 0 offset:352
	buffer_store_dword v108, off, s[0:3], 0 offset:356
.LBB116_237:
	s_or_b64 exec, exec, s[4:5]
	s_waitcnt lgkmcnt(0)
	; wave barrier
	s_waitcnt lgkmcnt(0)
	buffer_load_dword v126, off, s[0:3], 0 offset:360
	buffer_load_dword v127, off, s[0:3], 0 offset:364
	;; [unrolled: 1-line block ×18, first 2 shown]
	ds_read2_b64 v[110:113], v108 offset0:99 offset1:100
	ds_read2_b64 v[114:117], v108 offset0:101 offset1:102
	;; [unrolled: 1-line block ×4, first 2 shown]
	v_cmp_lt_u32_e32 vcc, 43, v0
	s_waitcnt vmcnt(16) lgkmcnt(3)
	v_fma_f64 v[108:109], v[126:127], v[110:111], 0
	s_waitcnt vmcnt(14)
	v_fmac_f64_e32 v[108:109], v[128:129], v[112:113]
	s_waitcnt vmcnt(12) lgkmcnt(2)
	v_fmac_f64_e32 v[108:109], v[130:131], v[114:115]
	s_waitcnt vmcnt(10)
	v_fmac_f64_e32 v[108:109], v[132:133], v[116:117]
	s_waitcnt vmcnt(8) lgkmcnt(1)
	v_fmac_f64_e32 v[108:109], v[134:135], v[118:119]
	;; [unrolled: 4-line block ×3, first 2 shown]
	s_waitcnt vmcnt(2)
	v_fmac_f64_e32 v[108:109], v[140:141], v[124:125]
	s_waitcnt vmcnt(0)
	v_add_f64 v[108:109], v[142:143], -v[108:109]
	buffer_store_dword v108, off, s[0:3], 0 offset:352
	buffer_store_dword v109, off, s[0:3], 0 offset:356
	s_and_saveexec_b64 s[4:5], vcc
	s_cbranch_execz .LBB116_239
; %bb.238:
	buffer_load_dword v108, off, s[0:3], 0 offset:344
	buffer_load_dword v109, off, s[0:3], 0 offset:348
	v_mov_b32_e32 v110, 0
	buffer_store_dword v110, off, s[0:3], 0 offset:344
	buffer_store_dword v110, off, s[0:3], 0 offset:348
	s_waitcnt vmcnt(2)
	ds_write_b64 v1, v[108:109]
.LBB116_239:
	s_or_b64 exec, exec, s[4:5]
	s_waitcnt lgkmcnt(0)
	; wave barrier
	s_waitcnt lgkmcnt(0)
	buffer_load_dword v126, off, s[0:3], 0 offset:352
	buffer_load_dword v127, off, s[0:3], 0 offset:356
	;; [unrolled: 1-line block ×20, first 2 shown]
	v_mov_b32_e32 v108, 0
	ds_read_b128 v[110:113], v108 offset:784
	ds_read_b128 v[114:117], v108 offset:800
	;; [unrolled: 1-line block ×4, first 2 shown]
	ds_read_b64 v[146:147], v108 offset:848
	v_cmp_lt_u32_e32 vcc, 42, v0
	s_waitcnt vmcnt(18) lgkmcnt(4)
	v_fma_f64 v[110:111], v[126:127], v[110:111], 0
	s_waitcnt vmcnt(16)
	v_fmac_f64_e32 v[110:111], v[128:129], v[112:113]
	s_waitcnt vmcnt(14) lgkmcnt(3)
	v_fmac_f64_e32 v[110:111], v[130:131], v[114:115]
	s_waitcnt vmcnt(12)
	v_fmac_f64_e32 v[110:111], v[132:133], v[116:117]
	s_waitcnt vmcnt(10) lgkmcnt(2)
	v_fmac_f64_e32 v[110:111], v[134:135], v[118:119]
	;; [unrolled: 4-line block ×3, first 2 shown]
	s_waitcnt vmcnt(2)
	v_fmac_f64_e32 v[110:111], v[142:143], v[124:125]
	s_waitcnt lgkmcnt(0)
	v_fmac_f64_e32 v[110:111], v[140:141], v[146:147]
	s_waitcnt vmcnt(0)
	v_add_f64 v[110:111], v[144:145], -v[110:111]
	buffer_store_dword v110, off, s[0:3], 0 offset:344
	buffer_store_dword v111, off, s[0:3], 0 offset:348
	s_and_saveexec_b64 s[4:5], vcc
	s_cbranch_execz .LBB116_241
; %bb.240:
	buffer_load_dword v110, off, s[0:3], 0 offset:336
	buffer_load_dword v111, off, s[0:3], 0 offset:340
	s_waitcnt vmcnt(0)
	ds_write_b64 v1, v[110:111]
	buffer_store_dword v108, off, s[0:3], 0 offset:336
	buffer_store_dword v108, off, s[0:3], 0 offset:340
.LBB116_241:
	s_or_b64 exec, exec, s[4:5]
	s_waitcnt lgkmcnt(0)
	; wave barrier
	s_waitcnt lgkmcnt(0)
	buffer_load_dword v130, off, s[0:3], 0 offset:344
	buffer_load_dword v131, off, s[0:3], 0 offset:348
	;; [unrolled: 1-line block ×22, first 2 shown]
	ds_read2_b64 v[110:113], v108 offset0:97 offset1:98
	ds_read2_b64 v[114:117], v108 offset0:99 offset1:100
	;; [unrolled: 1-line block ×5, first 2 shown]
	v_cmp_lt_u32_e32 vcc, 41, v0
	s_waitcnt vmcnt(20) lgkmcnt(4)
	v_fma_f64 v[108:109], v[130:131], v[110:111], 0
	s_waitcnt vmcnt(18)
	v_fmac_f64_e32 v[108:109], v[132:133], v[112:113]
	s_waitcnt vmcnt(16) lgkmcnt(3)
	v_fmac_f64_e32 v[108:109], v[134:135], v[114:115]
	s_waitcnt vmcnt(14)
	v_fmac_f64_e32 v[108:109], v[136:137], v[116:117]
	s_waitcnt vmcnt(12) lgkmcnt(2)
	v_fmac_f64_e32 v[108:109], v[138:139], v[118:119]
	;; [unrolled: 4-line block ×3, first 2 shown]
	s_waitcnt vmcnt(3)
	v_fmac_f64_e32 v[108:109], v[148:149], v[124:125]
	s_waitcnt lgkmcnt(0)
	v_fmac_f64_e32 v[108:109], v[146:147], v[126:127]
	s_waitcnt vmcnt(2)
	v_fmac_f64_e32 v[108:109], v[144:145], v[128:129]
	s_waitcnt vmcnt(0)
	v_add_f64 v[108:109], v[150:151], -v[108:109]
	buffer_store_dword v108, off, s[0:3], 0 offset:336
	buffer_store_dword v109, off, s[0:3], 0 offset:340
	s_and_saveexec_b64 s[4:5], vcc
	s_cbranch_execz .LBB116_243
; %bb.242:
	buffer_load_dword v108, off, s[0:3], 0 offset:328
	buffer_load_dword v109, off, s[0:3], 0 offset:332
	v_mov_b32_e32 v110, 0
	buffer_store_dword v110, off, s[0:3], 0 offset:328
	buffer_store_dword v110, off, s[0:3], 0 offset:332
	s_waitcnt vmcnt(2)
	ds_write_b64 v1, v[108:109]
.LBB116_243:
	s_or_b64 exec, exec, s[4:5]
	s_waitcnt lgkmcnt(0)
	; wave barrier
	s_waitcnt lgkmcnt(0)
	buffer_load_dword v130, off, s[0:3], 0 offset:336
	buffer_load_dword v131, off, s[0:3], 0 offset:340
	;; [unrolled: 1-line block ×24, first 2 shown]
	v_mov_b32_e32 v108, 0
	ds_read_b128 v[110:113], v108 offset:768
	ds_read_b128 v[114:117], v108 offset:784
	;; [unrolled: 1-line block ×5, first 2 shown]
	ds_read_b64 v[154:155], v108 offset:848
	v_cmp_lt_u32_e32 vcc, 40, v0
	s_waitcnt vmcnt(22) lgkmcnt(5)
	v_fma_f64 v[110:111], v[130:131], v[110:111], 0
	s_waitcnt vmcnt(20)
	v_fmac_f64_e32 v[110:111], v[132:133], v[112:113]
	s_waitcnt vmcnt(18) lgkmcnt(4)
	v_fmac_f64_e32 v[110:111], v[134:135], v[114:115]
	s_waitcnt vmcnt(16)
	v_fmac_f64_e32 v[110:111], v[136:137], v[116:117]
	s_waitcnt vmcnt(14) lgkmcnt(3)
	v_fmac_f64_e32 v[110:111], v[138:139], v[118:119]
	;; [unrolled: 4-line block ×3, first 2 shown]
	s_waitcnt vmcnt(4)
	v_fmac_f64_e32 v[110:111], v[150:151], v[124:125]
	s_waitcnt lgkmcnt(1)
	v_fmac_f64_e32 v[110:111], v[148:149], v[126:127]
	s_waitcnt vmcnt(3)
	v_fmac_f64_e32 v[110:111], v[146:147], v[128:129]
	s_waitcnt vmcnt(2) lgkmcnt(0)
	v_fmac_f64_e32 v[110:111], v[144:145], v[154:155]
	s_waitcnt vmcnt(0)
	v_add_f64 v[110:111], v[152:153], -v[110:111]
	buffer_store_dword v111, off, s[0:3], 0 offset:332
	buffer_store_dword v110, off, s[0:3], 0 offset:328
	s_and_saveexec_b64 s[4:5], vcc
	s_cbranch_execz .LBB116_245
; %bb.244:
	buffer_load_dword v110, off, s[0:3], 0 offset:320
	buffer_load_dword v111, off, s[0:3], 0 offset:324
	s_waitcnt vmcnt(0)
	ds_write_b64 v1, v[110:111]
	buffer_store_dword v108, off, s[0:3], 0 offset:320
	buffer_store_dword v108, off, s[0:3], 0 offset:324
.LBB116_245:
	s_or_b64 exec, exec, s[4:5]
	s_waitcnt lgkmcnt(0)
	; wave barrier
	s_waitcnt lgkmcnt(0)
	buffer_load_dword v134, off, s[0:3], 0 offset:328
	buffer_load_dword v135, off, s[0:3], 0 offset:332
	;; [unrolled: 1-line block ×26, first 2 shown]
	ds_read2_b64 v[110:113], v108 offset0:95 offset1:96
	ds_read2_b64 v[114:117], v108 offset0:97 offset1:98
	;; [unrolled: 1-line block ×6, first 2 shown]
	v_cmp_lt_u32_e32 vcc, 39, v0
	s_waitcnt vmcnt(24) lgkmcnt(5)
	v_fma_f64 v[108:109], v[134:135], v[110:111], 0
	s_waitcnt vmcnt(22)
	v_fmac_f64_e32 v[108:109], v[136:137], v[112:113]
	s_waitcnt vmcnt(20) lgkmcnt(4)
	v_fmac_f64_e32 v[108:109], v[138:139], v[114:115]
	s_waitcnt vmcnt(18)
	v_fmac_f64_e32 v[108:109], v[140:141], v[116:117]
	s_waitcnt vmcnt(16) lgkmcnt(3)
	v_fmac_f64_e32 v[108:109], v[142:143], v[118:119]
	;; [unrolled: 4-line block ×3, first 2 shown]
	s_waitcnt vmcnt(5)
	v_fmac_f64_e32 v[108:109], v[154:155], v[124:125]
	s_waitcnt lgkmcnt(1)
	v_fmac_f64_e32 v[108:109], v[152:153], v[126:127]
	v_fmac_f64_e32 v[108:109], v[150:151], v[128:129]
	s_waitcnt vmcnt(4) lgkmcnt(0)
	v_fmac_f64_e32 v[108:109], v[148:149], v[130:131]
	s_waitcnt vmcnt(2)
	v_fmac_f64_e32 v[108:109], v[156:157], v[132:133]
	s_waitcnt vmcnt(0)
	v_add_f64 v[108:109], v[158:159], -v[108:109]
	buffer_store_dword v109, off, s[0:3], 0 offset:324
	buffer_store_dword v108, off, s[0:3], 0 offset:320
	s_and_saveexec_b64 s[4:5], vcc
	s_cbranch_execz .LBB116_247
; %bb.246:
	buffer_load_dword v108, off, s[0:3], 0 offset:312
	buffer_load_dword v109, off, s[0:3], 0 offset:316
	v_mov_b32_e32 v110, 0
	buffer_store_dword v110, off, s[0:3], 0 offset:312
	buffer_store_dword v110, off, s[0:3], 0 offset:316
	s_waitcnt vmcnt(2)
	ds_write_b64 v1, v[108:109]
.LBB116_247:
	s_or_b64 exec, exec, s[4:5]
	s_waitcnt lgkmcnt(0)
	; wave barrier
	s_waitcnt lgkmcnt(0)
	buffer_load_dword v134, off, s[0:3], 0 offset:320
	buffer_load_dword v135, off, s[0:3], 0 offset:324
	;; [unrolled: 1-line block ×28, first 2 shown]
	v_mov_b32_e32 v108, 0
	ds_read_b128 v[110:113], v108 offset:752
	ds_read_b128 v[114:117], v108 offset:768
	;; [unrolled: 1-line block ×6, first 2 shown]
	ds_read_b64 v[162:163], v108 offset:848
	v_cmp_lt_u32_e32 vcc, 38, v0
	s_waitcnt vmcnt(26) lgkmcnt(6)
	v_fma_f64 v[110:111], v[134:135], v[110:111], 0
	s_waitcnt vmcnt(24)
	v_fmac_f64_e32 v[110:111], v[136:137], v[112:113]
	s_waitcnt vmcnt(22) lgkmcnt(5)
	v_fmac_f64_e32 v[110:111], v[138:139], v[114:115]
	s_waitcnt vmcnt(20)
	v_fmac_f64_e32 v[110:111], v[140:141], v[116:117]
	s_waitcnt vmcnt(18) lgkmcnt(4)
	v_fmac_f64_e32 v[110:111], v[142:143], v[118:119]
	;; [unrolled: 4-line block ×3, first 2 shown]
	s_waitcnt vmcnt(6)
	v_fmac_f64_e32 v[110:111], v[154:155], v[124:125]
	s_waitcnt lgkmcnt(2)
	v_fmac_f64_e32 v[110:111], v[152:153], v[126:127]
	v_fmac_f64_e32 v[110:111], v[150:151], v[128:129]
	s_waitcnt lgkmcnt(1)
	v_fmac_f64_e32 v[110:111], v[148:149], v[130:131]
	s_waitcnt vmcnt(2)
	v_fmac_f64_e32 v[110:111], v[158:159], v[132:133]
	s_waitcnt lgkmcnt(0)
	v_fmac_f64_e32 v[110:111], v[156:157], v[162:163]
	s_waitcnt vmcnt(0)
	v_add_f64 v[110:111], v[160:161], -v[110:111]
	buffer_store_dword v111, off, s[0:3], 0 offset:316
	buffer_store_dword v110, off, s[0:3], 0 offset:312
	s_and_saveexec_b64 s[4:5], vcc
	s_cbranch_execz .LBB116_249
; %bb.248:
	buffer_load_dword v110, off, s[0:3], 0 offset:304
	buffer_load_dword v111, off, s[0:3], 0 offset:308
	s_waitcnt vmcnt(0)
	ds_write_b64 v1, v[110:111]
	buffer_store_dword v108, off, s[0:3], 0 offset:304
	buffer_store_dword v108, off, s[0:3], 0 offset:308
.LBB116_249:
	s_or_b64 exec, exec, s[4:5]
	s_waitcnt lgkmcnt(0)
	; wave barrier
	s_waitcnt lgkmcnt(0)
	buffer_load_dword v138, off, s[0:3], 0 offset:312
	buffer_load_dword v139, off, s[0:3], 0 offset:316
	;; [unrolled: 1-line block ×30, first 2 shown]
	ds_read2_b64 v[110:113], v108 offset0:93 offset1:94
	ds_read2_b64 v[114:117], v108 offset0:95 offset1:96
	;; [unrolled: 1-line block ×7, first 2 shown]
	v_cmp_lt_u32_e32 vcc, 37, v0
	s_waitcnt vmcnt(28) lgkmcnt(6)
	v_fma_f64 v[108:109], v[138:139], v[110:111], 0
	s_waitcnt vmcnt(26)
	v_fmac_f64_e32 v[108:109], v[140:141], v[112:113]
	s_waitcnt vmcnt(24) lgkmcnt(5)
	v_fmac_f64_e32 v[108:109], v[142:143], v[114:115]
	s_waitcnt vmcnt(22)
	v_fmac_f64_e32 v[108:109], v[144:145], v[116:117]
	s_waitcnt vmcnt(20) lgkmcnt(4)
	v_fmac_f64_e32 v[108:109], v[146:147], v[118:119]
	;; [unrolled: 4-line block ×3, first 2 shown]
	s_waitcnt vmcnt(8)
	v_fmac_f64_e32 v[108:109], v[158:159], v[124:125]
	s_waitcnt lgkmcnt(2)
	v_fmac_f64_e32 v[108:109], v[156:157], v[126:127]
	v_fmac_f64_e32 v[108:109], v[154:155], v[128:129]
	s_waitcnt lgkmcnt(1)
	v_fmac_f64_e32 v[108:109], v[152:153], v[130:131]
	s_waitcnt vmcnt(3)
	v_fmac_f64_e32 v[108:109], v[164:165], v[132:133]
	s_waitcnt lgkmcnt(0)
	v_fmac_f64_e32 v[108:109], v[162:163], v[134:135]
	s_waitcnt vmcnt(2)
	v_fmac_f64_e32 v[108:109], v[160:161], v[136:137]
	s_waitcnt vmcnt(0)
	v_add_f64 v[108:109], v[166:167], -v[108:109]
	buffer_store_dword v109, off, s[0:3], 0 offset:308
	buffer_store_dword v108, off, s[0:3], 0 offset:304
	s_and_saveexec_b64 s[4:5], vcc
	s_cbranch_execz .LBB116_251
; %bb.250:
	buffer_load_dword v108, off, s[0:3], 0 offset:296
	buffer_load_dword v109, off, s[0:3], 0 offset:300
	v_mov_b32_e32 v110, 0
	buffer_store_dword v110, off, s[0:3], 0 offset:296
	buffer_store_dword v110, off, s[0:3], 0 offset:300
	s_waitcnt vmcnt(2)
	ds_write_b64 v1, v[108:109]
.LBB116_251:
	s_or_b64 exec, exec, s[4:5]
	s_waitcnt lgkmcnt(0)
	; wave barrier
	s_waitcnt lgkmcnt(0)
	buffer_load_dword v126, off, s[0:3], 0 offset:296
	buffer_load_dword v127, off, s[0:3], 0 offset:300
	buffer_load_dword v128, off, s[0:3], 0 offset:304
	buffer_load_dword v129, off, s[0:3], 0 offset:308
	buffer_load_dword v130, off, s[0:3], 0 offset:312
	buffer_load_dword v131, off, s[0:3], 0 offset:316
	buffer_load_dword v132, off, s[0:3], 0 offset:320
	buffer_load_dword v133, off, s[0:3], 0 offset:324
	buffer_load_dword v134, off, s[0:3], 0 offset:328
	buffer_load_dword v135, off, s[0:3], 0 offset:332
	buffer_load_dword v136, off, s[0:3], 0 offset:336
	buffer_load_dword v137, off, s[0:3], 0 offset:340
	buffer_load_dword v138, off, s[0:3], 0 offset:344
	buffer_load_dword v139, off, s[0:3], 0 offset:348
	buffer_load_dword v140, off, s[0:3], 0 offset:352
	buffer_load_dword v141, off, s[0:3], 0 offset:356
	v_mov_b32_e32 v108, 0
	ds_read_b128 v[110:113], v108 offset:736
	ds_read_b128 v[114:117], v108 offset:752
	;; [unrolled: 1-line block ×4, first 2 shown]
	v_cmp_lt_u32_e32 vcc, 36, v0
	s_waitcnt vmcnt(12) lgkmcnt(3)
	v_fma_f64 v[128:129], v[128:129], v[110:111], 0
	buffer_load_dword v111, off, s[0:3], 0 offset:364
	buffer_load_dword v110, off, s[0:3], 0 offset:360
	s_waitcnt vmcnt(12)
	v_fmac_f64_e32 v[128:129], v[130:131], v[112:113]
	s_waitcnt vmcnt(10) lgkmcnt(2)
	v_fmac_f64_e32 v[128:129], v[132:133], v[114:115]
	buffer_load_dword v115, off, s[0:3], 0 offset:372
	buffer_load_dword v114, off, s[0:3], 0 offset:368
	s_waitcnt vmcnt(10)
	v_fmac_f64_e32 v[128:129], v[134:135], v[116:117]
	s_waitcnt vmcnt(8) lgkmcnt(1)
	v_fmac_f64_e32 v[128:129], v[136:137], v[118:119]
	s_waitcnt vmcnt(6)
	v_fmac_f64_e32 v[128:129], v[138:139], v[120:121]
	s_waitcnt vmcnt(4) lgkmcnt(0)
	v_fmac_f64_e32 v[128:129], v[140:141], v[122:123]
	s_waitcnt vmcnt(2)
	v_fmac_f64_e32 v[128:129], v[110:111], v[124:125]
	ds_read_b128 v[110:113], v108 offset:800
	s_waitcnt vmcnt(0) lgkmcnt(0)
	v_fmac_f64_e32 v[128:129], v[114:115], v[110:111]
	buffer_load_dword v111, off, s[0:3], 0 offset:380
	buffer_load_dword v110, off, s[0:3], 0 offset:376
	;; [unrolled: 1-line block ×4, first 2 shown]
	s_waitcnt vmcnt(2)
	v_fmac_f64_e32 v[128:129], v[110:111], v[112:113]
	ds_read_b128 v[110:113], v108 offset:816
	s_waitcnt vmcnt(0) lgkmcnt(0)
	v_fmac_f64_e32 v[128:129], v[114:115], v[110:111]
	buffer_load_dword v111, off, s[0:3], 0 offset:396
	buffer_load_dword v110, off, s[0:3], 0 offset:392
	;; [unrolled: 1-line block ×4, first 2 shown]
	s_waitcnt vmcnt(2)
	v_fmac_f64_e32 v[128:129], v[110:111], v[112:113]
	ds_read_b128 v[110:113], v108 offset:832
	s_waitcnt vmcnt(0) lgkmcnt(0)
	v_fmac_f64_e32 v[128:129], v[114:115], v[110:111]
	buffer_load_dword v111, off, s[0:3], 0 offset:412
	buffer_load_dword v110, off, s[0:3], 0 offset:408
	s_waitcnt vmcnt(0)
	v_fmac_f64_e32 v[128:129], v[110:111], v[112:113]
	buffer_load_dword v111, off, s[0:3], 0 offset:420
	buffer_load_dword v110, off, s[0:3], 0 offset:416
	ds_read_b64 v[112:113], v108 offset:848
	s_waitcnt vmcnt(0) lgkmcnt(0)
	v_fmac_f64_e32 v[128:129], v[110:111], v[112:113]
	v_add_f64 v[110:111], v[126:127], -v[128:129]
	buffer_store_dword v111, off, s[0:3], 0 offset:300
	buffer_store_dword v110, off, s[0:3], 0 offset:296
	s_and_saveexec_b64 s[4:5], vcc
	s_cbranch_execz .LBB116_253
; %bb.252:
	buffer_load_dword v110, off, s[0:3], 0 offset:288
	buffer_load_dword v111, off, s[0:3], 0 offset:292
	s_waitcnt vmcnt(0)
	ds_write_b64 v1, v[110:111]
	buffer_store_dword v108, off, s[0:3], 0 offset:288
	buffer_store_dword v108, off, s[0:3], 0 offset:292
.LBB116_253:
	s_or_b64 exec, exec, s[4:5]
	s_waitcnt lgkmcnt(0)
	; wave barrier
	s_waitcnt lgkmcnt(0)
	buffer_load_dword v114, off, s[0:3], 0 offset:288
	buffer_load_dword v115, off, s[0:3], 0 offset:292
	;; [unrolled: 1-line block ×16, first 2 shown]
	ds_read2_b64 v[110:113], v108 offset0:91 offset1:92
	v_cmp_lt_u32_e32 vcc, 35, v0
	s_waitcnt vmcnt(12) lgkmcnt(0)
	v_fma_f64 v[116:117], v[116:117], v[110:111], 0
	s_waitcnt vmcnt(10)
	v_fmac_f64_e32 v[116:117], v[118:119], v[112:113]
	ds_read2_b64 v[110:113], v108 offset0:93 offset1:94
	s_waitcnt vmcnt(8) lgkmcnt(0)
	v_fmac_f64_e32 v[116:117], v[120:121], v[110:111]
	s_waitcnt vmcnt(6)
	v_fmac_f64_e32 v[116:117], v[122:123], v[112:113]
	ds_read2_b64 v[110:113], v108 offset0:95 offset1:96
	s_waitcnt vmcnt(4) lgkmcnt(0)
	v_fmac_f64_e32 v[116:117], v[124:125], v[110:111]
	;; [unrolled: 5-line block ×3, first 2 shown]
	buffer_load_dword v111, off, s[0:3], 0 offset:356
	buffer_load_dword v110, off, s[0:3], 0 offset:352
	buffer_load_dword v119, off, s[0:3], 0 offset:364
	buffer_load_dword v118, off, s[0:3], 0 offset:360
	s_waitcnt vmcnt(2)
	v_fmac_f64_e32 v[116:117], v[110:111], v[112:113]
	ds_read2_b64 v[110:113], v108 offset0:99 offset1:100
	s_waitcnt vmcnt(0) lgkmcnt(0)
	v_fmac_f64_e32 v[116:117], v[118:119], v[110:111]
	buffer_load_dword v111, off, s[0:3], 0 offset:372
	buffer_load_dword v110, off, s[0:3], 0 offset:368
	buffer_load_dword v119, off, s[0:3], 0 offset:380
	buffer_load_dword v118, off, s[0:3], 0 offset:376
	s_waitcnt vmcnt(2)
	v_fmac_f64_e32 v[116:117], v[110:111], v[112:113]
	ds_read2_b64 v[110:113], v108 offset0:101 offset1:102
	s_waitcnt vmcnt(0) lgkmcnt(0)
	v_fmac_f64_e32 v[116:117], v[118:119], v[110:111]
	;; [unrolled: 9-line block ×3, first 2 shown]
	buffer_load_dword v111, off, s[0:3], 0 offset:404
	buffer_load_dword v110, off, s[0:3], 0 offset:400
	s_waitcnt vmcnt(0)
	v_fmac_f64_e32 v[116:117], v[110:111], v[112:113]
	buffer_load_dword v113, off, s[0:3], 0 offset:412
	buffer_load_dword v112, off, s[0:3], 0 offset:408
	ds_read2_b64 v[108:111], v108 offset0:105 offset1:106
	s_waitcnt vmcnt(0) lgkmcnt(0)
	v_fmac_f64_e32 v[116:117], v[112:113], v[108:109]
	buffer_load_dword v109, off, s[0:3], 0 offset:420
	buffer_load_dword v108, off, s[0:3], 0 offset:416
	s_waitcnt vmcnt(0)
	v_fmac_f64_e32 v[116:117], v[108:109], v[110:111]
	v_add_f64 v[108:109], v[114:115], -v[116:117]
	buffer_store_dword v109, off, s[0:3], 0 offset:292
	buffer_store_dword v108, off, s[0:3], 0 offset:288
	s_and_saveexec_b64 s[4:5], vcc
	s_cbranch_execz .LBB116_255
; %bb.254:
	buffer_load_dword v108, off, s[0:3], 0 offset:280
	buffer_load_dword v109, off, s[0:3], 0 offset:284
	v_mov_b32_e32 v110, 0
	buffer_store_dword v110, off, s[0:3], 0 offset:280
	buffer_store_dword v110, off, s[0:3], 0 offset:284
	s_waitcnt vmcnt(2)
	ds_write_b64 v1, v[108:109]
.LBB116_255:
	s_or_b64 exec, exec, s[4:5]
	s_waitcnt lgkmcnt(0)
	; wave barrier
	s_waitcnt lgkmcnt(0)
	buffer_load_dword v108, off, s[0:3], 0 offset:280
	buffer_load_dword v109, off, s[0:3], 0 offset:284
	;; [unrolled: 1-line block ×16, first 2 shown]
	v_mov_b32_e32 v112, 0
	ds_read_b128 v[114:117], v112 offset:720
	ds_read_b128 v[118:121], v112 offset:736
	;; [unrolled: 1-line block ×4, first 2 shown]
	v_cmp_lt_u32_e32 vcc, 34, v0
	s_waitcnt vmcnt(12) lgkmcnt(3)
	v_fma_f64 v[110:111], v[110:111], v[114:115], 0
	buffer_load_dword v115, off, s[0:3], 0 offset:348
	buffer_load_dword v114, off, s[0:3], 0 offset:344
	s_waitcnt vmcnt(12)
	v_fmac_f64_e32 v[110:111], v[130:131], v[116:117]
	s_waitcnt vmcnt(10) lgkmcnt(2)
	v_fmac_f64_e32 v[110:111], v[132:133], v[118:119]
	buffer_load_dword v119, off, s[0:3], 0 offset:356
	buffer_load_dword v118, off, s[0:3], 0 offset:352
	s_waitcnt vmcnt(10)
	v_fmac_f64_e32 v[110:111], v[134:135], v[120:121]
	s_waitcnt vmcnt(8) lgkmcnt(1)
	v_fmac_f64_e32 v[110:111], v[136:137], v[122:123]
	s_waitcnt vmcnt(6)
	v_fmac_f64_e32 v[110:111], v[138:139], v[124:125]
	s_waitcnt vmcnt(4) lgkmcnt(0)
	v_fmac_f64_e32 v[110:111], v[140:141], v[126:127]
	s_waitcnt vmcnt(2)
	v_fmac_f64_e32 v[110:111], v[114:115], v[128:129]
	ds_read_b128 v[114:117], v112 offset:784
	s_waitcnt vmcnt(0) lgkmcnt(0)
	v_fmac_f64_e32 v[110:111], v[118:119], v[114:115]
	buffer_load_dword v115, off, s[0:3], 0 offset:364
	buffer_load_dword v114, off, s[0:3], 0 offset:360
	buffer_load_dword v119, off, s[0:3], 0 offset:372
	buffer_load_dword v118, off, s[0:3], 0 offset:368
	s_waitcnt vmcnt(2)
	v_fmac_f64_e32 v[110:111], v[114:115], v[116:117]
	ds_read_b128 v[114:117], v112 offset:800
	s_waitcnt vmcnt(0) lgkmcnt(0)
	v_fmac_f64_e32 v[110:111], v[118:119], v[114:115]
	buffer_load_dword v115, off, s[0:3], 0 offset:380
	buffer_load_dword v114, off, s[0:3], 0 offset:376
	buffer_load_dword v119, off, s[0:3], 0 offset:388
	buffer_load_dword v118, off, s[0:3], 0 offset:384
	;; [unrolled: 9-line block ×3, first 2 shown]
	s_waitcnt vmcnt(2)
	v_fmac_f64_e32 v[110:111], v[114:115], v[116:117]
	ds_read_b128 v[114:117], v112 offset:832
	s_waitcnt vmcnt(0) lgkmcnt(0)
	v_fmac_f64_e32 v[110:111], v[118:119], v[114:115]
	buffer_load_dword v115, off, s[0:3], 0 offset:412
	buffer_load_dword v114, off, s[0:3], 0 offset:408
	s_waitcnt vmcnt(0)
	v_fmac_f64_e32 v[110:111], v[114:115], v[116:117]
	buffer_load_dword v115, off, s[0:3], 0 offset:420
	buffer_load_dword v114, off, s[0:3], 0 offset:416
	ds_read_b64 v[116:117], v112 offset:848
	s_waitcnt vmcnt(0) lgkmcnt(0)
	v_fmac_f64_e32 v[110:111], v[114:115], v[116:117]
	v_add_f64 v[108:109], v[108:109], -v[110:111]
	buffer_store_dword v109, off, s[0:3], 0 offset:284
	buffer_store_dword v108, off, s[0:3], 0 offset:280
	s_and_saveexec_b64 s[4:5], vcc
	s_cbranch_execz .LBB116_257
; %bb.256:
	buffer_load_dword v108, off, s[0:3], 0 offset:272
	buffer_load_dword v109, off, s[0:3], 0 offset:276
	s_waitcnt vmcnt(0)
	ds_write_b64 v1, v[108:109]
	buffer_store_dword v112, off, s[0:3], 0 offset:272
	buffer_store_dword v112, off, s[0:3], 0 offset:276
.LBB116_257:
	s_or_b64 exec, exec, s[4:5]
	s_waitcnt lgkmcnt(0)
	; wave barrier
	s_waitcnt lgkmcnt(0)
	buffer_load_dword v108, off, s[0:3], 0 offset:272
	buffer_load_dword v109, off, s[0:3], 0 offset:276
	;; [unrolled: 1-line block ×16, first 2 shown]
	ds_read2_b64 v[114:117], v112 offset0:89 offset1:90
	v_cmp_lt_u32_e32 vcc, 33, v0
	s_waitcnt vmcnt(12) lgkmcnt(0)
	v_fma_f64 v[110:111], v[110:111], v[114:115], 0
	s_waitcnt vmcnt(10)
	v_fmac_f64_e32 v[110:111], v[118:119], v[116:117]
	ds_read2_b64 v[114:117], v112 offset0:91 offset1:92
	s_waitcnt vmcnt(8) lgkmcnt(0)
	v_fmac_f64_e32 v[110:111], v[120:121], v[114:115]
	s_waitcnt vmcnt(6)
	v_fmac_f64_e32 v[110:111], v[122:123], v[116:117]
	ds_read2_b64 v[114:117], v112 offset0:93 offset1:94
	s_waitcnt vmcnt(4) lgkmcnt(0)
	v_fmac_f64_e32 v[110:111], v[124:125], v[114:115]
	;; [unrolled: 5-line block ×3, first 2 shown]
	buffer_load_dword v115, off, s[0:3], 0 offset:340
	buffer_load_dword v114, off, s[0:3], 0 offset:336
	buffer_load_dword v119, off, s[0:3], 0 offset:348
	buffer_load_dword v118, off, s[0:3], 0 offset:344
	s_waitcnt vmcnt(2)
	v_fmac_f64_e32 v[110:111], v[114:115], v[116:117]
	ds_read2_b64 v[114:117], v112 offset0:97 offset1:98
	s_waitcnt vmcnt(0) lgkmcnt(0)
	v_fmac_f64_e32 v[110:111], v[118:119], v[114:115]
	buffer_load_dword v115, off, s[0:3], 0 offset:356
	buffer_load_dword v114, off, s[0:3], 0 offset:352
	buffer_load_dword v119, off, s[0:3], 0 offset:364
	buffer_load_dword v118, off, s[0:3], 0 offset:360
	s_waitcnt vmcnt(2)
	v_fmac_f64_e32 v[110:111], v[114:115], v[116:117]
	ds_read2_b64 v[114:117], v112 offset0:99 offset1:100
	s_waitcnt vmcnt(0) lgkmcnt(0)
	v_fmac_f64_e32 v[110:111], v[118:119], v[114:115]
	buffer_load_dword v115, off, s[0:3], 0 offset:372
	buffer_load_dword v114, off, s[0:3], 0 offset:368
	buffer_load_dword v119, off, s[0:3], 0 offset:380
	buffer_load_dword v118, off, s[0:3], 0 offset:376
	s_waitcnt vmcnt(2)
	v_fmac_f64_e32 v[110:111], v[114:115], v[116:117]
	ds_read2_b64 v[114:117], v112 offset0:101 offset1:102
	s_waitcnt vmcnt(0) lgkmcnt(0)
	v_fmac_f64_e32 v[110:111], v[118:119], v[114:115]
	buffer_load_dword v115, off, s[0:3], 0 offset:388
	buffer_load_dword v114, off, s[0:3], 0 offset:384
	buffer_load_dword v119, off, s[0:3], 0 offset:396
	buffer_load_dword v118, off, s[0:3], 0 offset:392
	s_waitcnt vmcnt(2)
	v_fmac_f64_e32 v[110:111], v[114:115], v[116:117]
	ds_read2_b64 v[114:117], v112 offset0:103 offset1:104
	s_waitcnt vmcnt(0) lgkmcnt(0)
	v_fmac_f64_e32 v[110:111], v[118:119], v[114:115]
	buffer_load_dword v115, off, s[0:3], 0 offset:404
	buffer_load_dword v114, off, s[0:3], 0 offset:400
	s_waitcnt vmcnt(0)
	v_fmac_f64_e32 v[110:111], v[114:115], v[116:117]
	buffer_load_dword v117, off, s[0:3], 0 offset:412
	buffer_load_dword v116, off, s[0:3], 0 offset:408
	ds_read2_b64 v[112:115], v112 offset0:105 offset1:106
	s_waitcnt vmcnt(0) lgkmcnt(0)
	v_fmac_f64_e32 v[110:111], v[116:117], v[112:113]
	buffer_load_dword v113, off, s[0:3], 0 offset:420
	buffer_load_dword v112, off, s[0:3], 0 offset:416
	s_waitcnt vmcnt(0)
	v_fmac_f64_e32 v[110:111], v[112:113], v[114:115]
	v_add_f64 v[108:109], v[108:109], -v[110:111]
	buffer_store_dword v109, off, s[0:3], 0 offset:276
	buffer_store_dword v108, off, s[0:3], 0 offset:272
	s_and_saveexec_b64 s[4:5], vcc
	s_cbranch_execz .LBB116_259
; %bb.258:
	buffer_load_dword v108, off, s[0:3], 0 offset:264
	buffer_load_dword v109, off, s[0:3], 0 offset:268
	v_mov_b32_e32 v110, 0
	buffer_store_dword v110, off, s[0:3], 0 offset:264
	buffer_store_dword v110, off, s[0:3], 0 offset:268
	s_waitcnt vmcnt(2)
	ds_write_b64 v1, v[108:109]
.LBB116_259:
	s_or_b64 exec, exec, s[4:5]
	s_waitcnt lgkmcnt(0)
	; wave barrier
	s_waitcnt lgkmcnt(0)
	buffer_load_dword v108, off, s[0:3], 0 offset:264
	buffer_load_dword v109, off, s[0:3], 0 offset:268
	;; [unrolled: 1-line block ×16, first 2 shown]
	v_mov_b32_e32 v112, 0
	ds_read_b128 v[114:117], v112 offset:704
	ds_read_b128 v[118:121], v112 offset:720
	;; [unrolled: 1-line block ×4, first 2 shown]
	v_cmp_lt_u32_e32 vcc, 32, v0
	s_waitcnt vmcnt(12) lgkmcnt(3)
	v_fma_f64 v[110:111], v[110:111], v[114:115], 0
	buffer_load_dword v115, off, s[0:3], 0 offset:332
	buffer_load_dword v114, off, s[0:3], 0 offset:328
	s_waitcnt vmcnt(12)
	v_fmac_f64_e32 v[110:111], v[130:131], v[116:117]
	s_waitcnt vmcnt(10) lgkmcnt(2)
	v_fmac_f64_e32 v[110:111], v[132:133], v[118:119]
	buffer_load_dword v119, off, s[0:3], 0 offset:340
	buffer_load_dword v118, off, s[0:3], 0 offset:336
	s_waitcnt vmcnt(10)
	v_fmac_f64_e32 v[110:111], v[134:135], v[120:121]
	s_waitcnt vmcnt(8) lgkmcnt(1)
	v_fmac_f64_e32 v[110:111], v[136:137], v[122:123]
	s_waitcnt vmcnt(6)
	v_fmac_f64_e32 v[110:111], v[138:139], v[124:125]
	s_waitcnt vmcnt(4) lgkmcnt(0)
	v_fmac_f64_e32 v[110:111], v[140:141], v[126:127]
	s_waitcnt vmcnt(2)
	v_fmac_f64_e32 v[110:111], v[114:115], v[128:129]
	ds_read_b128 v[114:117], v112 offset:768
	s_waitcnt vmcnt(0) lgkmcnt(0)
	v_fmac_f64_e32 v[110:111], v[118:119], v[114:115]
	buffer_load_dword v115, off, s[0:3], 0 offset:348
	buffer_load_dword v114, off, s[0:3], 0 offset:344
	buffer_load_dword v119, off, s[0:3], 0 offset:356
	buffer_load_dword v118, off, s[0:3], 0 offset:352
	s_waitcnt vmcnt(2)
	v_fmac_f64_e32 v[110:111], v[114:115], v[116:117]
	ds_read_b128 v[114:117], v112 offset:784
	s_waitcnt vmcnt(0) lgkmcnt(0)
	v_fmac_f64_e32 v[110:111], v[118:119], v[114:115]
	buffer_load_dword v115, off, s[0:3], 0 offset:364
	buffer_load_dword v114, off, s[0:3], 0 offset:360
	buffer_load_dword v119, off, s[0:3], 0 offset:372
	buffer_load_dword v118, off, s[0:3], 0 offset:368
	;; [unrolled: 9-line block ×4, first 2 shown]
	s_waitcnt vmcnt(2)
	v_fmac_f64_e32 v[110:111], v[114:115], v[116:117]
	ds_read_b128 v[114:117], v112 offset:832
	s_waitcnt vmcnt(0) lgkmcnt(0)
	v_fmac_f64_e32 v[110:111], v[118:119], v[114:115]
	buffer_load_dword v115, off, s[0:3], 0 offset:412
	buffer_load_dword v114, off, s[0:3], 0 offset:408
	s_waitcnt vmcnt(0)
	v_fmac_f64_e32 v[110:111], v[114:115], v[116:117]
	buffer_load_dword v115, off, s[0:3], 0 offset:420
	buffer_load_dword v114, off, s[0:3], 0 offset:416
	ds_read_b64 v[116:117], v112 offset:848
	s_waitcnt vmcnt(0) lgkmcnt(0)
	v_fmac_f64_e32 v[110:111], v[114:115], v[116:117]
	v_add_f64 v[108:109], v[108:109], -v[110:111]
	buffer_store_dword v109, off, s[0:3], 0 offset:268
	buffer_store_dword v108, off, s[0:3], 0 offset:264
	s_and_saveexec_b64 s[4:5], vcc
	s_cbranch_execz .LBB116_261
; %bb.260:
	buffer_load_dword v108, off, s[0:3], 0 offset:256
	buffer_load_dword v109, off, s[0:3], 0 offset:260
	s_waitcnt vmcnt(0)
	ds_write_b64 v1, v[108:109]
	buffer_store_dword v112, off, s[0:3], 0 offset:256
	buffer_store_dword v112, off, s[0:3], 0 offset:260
.LBB116_261:
	s_or_b64 exec, exec, s[4:5]
	s_waitcnt lgkmcnt(0)
	; wave barrier
	s_waitcnt lgkmcnt(0)
	buffer_load_dword v108, off, s[0:3], 0 offset:256
	buffer_load_dword v109, off, s[0:3], 0 offset:260
	;; [unrolled: 1-line block ×16, first 2 shown]
	ds_read2_b64 v[114:117], v112 offset0:87 offset1:88
	v_cmp_lt_u32_e32 vcc, 31, v0
	s_waitcnt vmcnt(12) lgkmcnt(0)
	v_fma_f64 v[110:111], v[110:111], v[114:115], 0
	s_waitcnt vmcnt(10)
	v_fmac_f64_e32 v[110:111], v[118:119], v[116:117]
	ds_read2_b64 v[114:117], v112 offset0:89 offset1:90
	s_waitcnt vmcnt(8) lgkmcnt(0)
	v_fmac_f64_e32 v[110:111], v[120:121], v[114:115]
	s_waitcnt vmcnt(6)
	v_fmac_f64_e32 v[110:111], v[122:123], v[116:117]
	ds_read2_b64 v[114:117], v112 offset0:91 offset1:92
	s_waitcnt vmcnt(4) lgkmcnt(0)
	v_fmac_f64_e32 v[110:111], v[124:125], v[114:115]
	;; [unrolled: 5-line block ×3, first 2 shown]
	buffer_load_dword v115, off, s[0:3], 0 offset:324
	buffer_load_dword v114, off, s[0:3], 0 offset:320
	buffer_load_dword v119, off, s[0:3], 0 offset:332
	buffer_load_dword v118, off, s[0:3], 0 offset:328
	s_waitcnt vmcnt(2)
	v_fmac_f64_e32 v[110:111], v[114:115], v[116:117]
	ds_read2_b64 v[114:117], v112 offset0:95 offset1:96
	s_waitcnt vmcnt(0) lgkmcnt(0)
	v_fmac_f64_e32 v[110:111], v[118:119], v[114:115]
	buffer_load_dword v115, off, s[0:3], 0 offset:340
	buffer_load_dword v114, off, s[0:3], 0 offset:336
	buffer_load_dword v119, off, s[0:3], 0 offset:348
	buffer_load_dword v118, off, s[0:3], 0 offset:344
	s_waitcnt vmcnt(2)
	v_fmac_f64_e32 v[110:111], v[114:115], v[116:117]
	ds_read2_b64 v[114:117], v112 offset0:97 offset1:98
	s_waitcnt vmcnt(0) lgkmcnt(0)
	v_fmac_f64_e32 v[110:111], v[118:119], v[114:115]
	;; [unrolled: 9-line block ×5, first 2 shown]
	buffer_load_dword v115, off, s[0:3], 0 offset:404
	buffer_load_dword v114, off, s[0:3], 0 offset:400
	s_waitcnt vmcnt(0)
	v_fmac_f64_e32 v[110:111], v[114:115], v[116:117]
	buffer_load_dword v117, off, s[0:3], 0 offset:412
	buffer_load_dword v116, off, s[0:3], 0 offset:408
	ds_read2_b64 v[112:115], v112 offset0:105 offset1:106
	s_waitcnt vmcnt(0) lgkmcnt(0)
	v_fmac_f64_e32 v[110:111], v[116:117], v[112:113]
	buffer_load_dword v113, off, s[0:3], 0 offset:420
	buffer_load_dword v112, off, s[0:3], 0 offset:416
	s_waitcnt vmcnt(0)
	v_fmac_f64_e32 v[110:111], v[112:113], v[114:115]
	v_add_f64 v[108:109], v[108:109], -v[110:111]
	buffer_store_dword v109, off, s[0:3], 0 offset:260
	buffer_store_dword v108, off, s[0:3], 0 offset:256
	s_and_saveexec_b64 s[4:5], vcc
	s_cbranch_execz .LBB116_263
; %bb.262:
	buffer_load_dword v108, off, s[0:3], 0 offset:248
	buffer_load_dword v109, off, s[0:3], 0 offset:252
	v_mov_b32_e32 v110, 0
	buffer_store_dword v110, off, s[0:3], 0 offset:248
	buffer_store_dword v110, off, s[0:3], 0 offset:252
	s_waitcnt vmcnt(2)
	ds_write_b64 v1, v[108:109]
.LBB116_263:
	s_or_b64 exec, exec, s[4:5]
	s_waitcnt lgkmcnt(0)
	; wave barrier
	s_waitcnt lgkmcnt(0)
	buffer_load_dword v108, off, s[0:3], 0 offset:248
	buffer_load_dword v109, off, s[0:3], 0 offset:252
	;; [unrolled: 1-line block ×16, first 2 shown]
	v_mov_b32_e32 v112, 0
	ds_read_b128 v[114:117], v112 offset:688
	ds_read_b128 v[118:121], v112 offset:704
	;; [unrolled: 1-line block ×4, first 2 shown]
	v_cmp_lt_u32_e32 vcc, 30, v0
	s_waitcnt vmcnt(12) lgkmcnt(3)
	v_fma_f64 v[110:111], v[110:111], v[114:115], 0
	buffer_load_dword v115, off, s[0:3], 0 offset:316
	buffer_load_dword v114, off, s[0:3], 0 offset:312
	s_waitcnt vmcnt(12)
	v_fmac_f64_e32 v[110:111], v[130:131], v[116:117]
	s_waitcnt vmcnt(10) lgkmcnt(2)
	v_fmac_f64_e32 v[110:111], v[132:133], v[118:119]
	buffer_load_dword v119, off, s[0:3], 0 offset:324
	buffer_load_dword v118, off, s[0:3], 0 offset:320
	s_waitcnt vmcnt(10)
	v_fmac_f64_e32 v[110:111], v[134:135], v[120:121]
	s_waitcnt vmcnt(8) lgkmcnt(1)
	v_fmac_f64_e32 v[110:111], v[136:137], v[122:123]
	s_waitcnt vmcnt(6)
	v_fmac_f64_e32 v[110:111], v[138:139], v[124:125]
	s_waitcnt vmcnt(4) lgkmcnt(0)
	v_fmac_f64_e32 v[110:111], v[140:141], v[126:127]
	s_waitcnt vmcnt(2)
	v_fmac_f64_e32 v[110:111], v[114:115], v[128:129]
	ds_read_b128 v[114:117], v112 offset:752
	s_waitcnt vmcnt(0) lgkmcnt(0)
	v_fmac_f64_e32 v[110:111], v[118:119], v[114:115]
	buffer_load_dword v115, off, s[0:3], 0 offset:332
	buffer_load_dword v114, off, s[0:3], 0 offset:328
	buffer_load_dword v119, off, s[0:3], 0 offset:340
	buffer_load_dword v118, off, s[0:3], 0 offset:336
	s_waitcnt vmcnt(2)
	v_fmac_f64_e32 v[110:111], v[114:115], v[116:117]
	ds_read_b128 v[114:117], v112 offset:768
	s_waitcnt vmcnt(0) lgkmcnt(0)
	v_fmac_f64_e32 v[110:111], v[118:119], v[114:115]
	buffer_load_dword v115, off, s[0:3], 0 offset:348
	buffer_load_dword v114, off, s[0:3], 0 offset:344
	buffer_load_dword v119, off, s[0:3], 0 offset:356
	buffer_load_dword v118, off, s[0:3], 0 offset:352
	;; [unrolled: 9-line block ×5, first 2 shown]
	s_waitcnt vmcnt(2)
	v_fmac_f64_e32 v[110:111], v[114:115], v[116:117]
	ds_read_b128 v[114:117], v112 offset:832
	s_waitcnt vmcnt(0) lgkmcnt(0)
	v_fmac_f64_e32 v[110:111], v[118:119], v[114:115]
	buffer_load_dword v115, off, s[0:3], 0 offset:412
	buffer_load_dword v114, off, s[0:3], 0 offset:408
	s_waitcnt vmcnt(0)
	v_fmac_f64_e32 v[110:111], v[114:115], v[116:117]
	buffer_load_dword v115, off, s[0:3], 0 offset:420
	buffer_load_dword v114, off, s[0:3], 0 offset:416
	ds_read_b64 v[116:117], v112 offset:848
	s_waitcnt vmcnt(0) lgkmcnt(0)
	v_fmac_f64_e32 v[110:111], v[114:115], v[116:117]
	v_add_f64 v[108:109], v[108:109], -v[110:111]
	buffer_store_dword v109, off, s[0:3], 0 offset:252
	buffer_store_dword v108, off, s[0:3], 0 offset:248
	s_and_saveexec_b64 s[4:5], vcc
	s_cbranch_execz .LBB116_265
; %bb.264:
	buffer_load_dword v108, off, s[0:3], 0 offset:240
	buffer_load_dword v109, off, s[0:3], 0 offset:244
	s_waitcnt vmcnt(0)
	ds_write_b64 v1, v[108:109]
	buffer_store_dword v112, off, s[0:3], 0 offset:240
	buffer_store_dword v112, off, s[0:3], 0 offset:244
.LBB116_265:
	s_or_b64 exec, exec, s[4:5]
	s_waitcnt lgkmcnt(0)
	; wave barrier
	s_waitcnt lgkmcnt(0)
	buffer_load_dword v108, off, s[0:3], 0 offset:240
	buffer_load_dword v109, off, s[0:3], 0 offset:244
	;; [unrolled: 1-line block ×16, first 2 shown]
	ds_read2_b64 v[114:117], v112 offset0:85 offset1:86
	v_cmp_lt_u32_e32 vcc, 29, v0
	s_waitcnt vmcnt(12) lgkmcnt(0)
	v_fma_f64 v[110:111], v[110:111], v[114:115], 0
	s_waitcnt vmcnt(10)
	v_fmac_f64_e32 v[110:111], v[118:119], v[116:117]
	ds_read2_b64 v[114:117], v112 offset0:87 offset1:88
	s_waitcnt vmcnt(8) lgkmcnt(0)
	v_fmac_f64_e32 v[110:111], v[120:121], v[114:115]
	s_waitcnt vmcnt(6)
	v_fmac_f64_e32 v[110:111], v[122:123], v[116:117]
	ds_read2_b64 v[114:117], v112 offset0:89 offset1:90
	s_waitcnt vmcnt(4) lgkmcnt(0)
	v_fmac_f64_e32 v[110:111], v[124:125], v[114:115]
	;; [unrolled: 5-line block ×3, first 2 shown]
	buffer_load_dword v115, off, s[0:3], 0 offset:308
	buffer_load_dword v114, off, s[0:3], 0 offset:304
	buffer_load_dword v119, off, s[0:3], 0 offset:316
	buffer_load_dword v118, off, s[0:3], 0 offset:312
	s_waitcnt vmcnt(2)
	v_fmac_f64_e32 v[110:111], v[114:115], v[116:117]
	ds_read2_b64 v[114:117], v112 offset0:93 offset1:94
	s_waitcnt vmcnt(0) lgkmcnt(0)
	v_fmac_f64_e32 v[110:111], v[118:119], v[114:115]
	buffer_load_dword v115, off, s[0:3], 0 offset:324
	buffer_load_dword v114, off, s[0:3], 0 offset:320
	buffer_load_dword v119, off, s[0:3], 0 offset:332
	buffer_load_dword v118, off, s[0:3], 0 offset:328
	s_waitcnt vmcnt(2)
	v_fmac_f64_e32 v[110:111], v[114:115], v[116:117]
	ds_read2_b64 v[114:117], v112 offset0:95 offset1:96
	s_waitcnt vmcnt(0) lgkmcnt(0)
	v_fmac_f64_e32 v[110:111], v[118:119], v[114:115]
	;; [unrolled: 9-line block ×6, first 2 shown]
	buffer_load_dword v115, off, s[0:3], 0 offset:404
	buffer_load_dword v114, off, s[0:3], 0 offset:400
	s_waitcnt vmcnt(0)
	v_fmac_f64_e32 v[110:111], v[114:115], v[116:117]
	buffer_load_dword v117, off, s[0:3], 0 offset:412
	buffer_load_dword v116, off, s[0:3], 0 offset:408
	ds_read2_b64 v[112:115], v112 offset0:105 offset1:106
	s_waitcnt vmcnt(0) lgkmcnt(0)
	v_fmac_f64_e32 v[110:111], v[116:117], v[112:113]
	buffer_load_dword v113, off, s[0:3], 0 offset:420
	buffer_load_dword v112, off, s[0:3], 0 offset:416
	s_waitcnt vmcnt(0)
	v_fmac_f64_e32 v[110:111], v[112:113], v[114:115]
	v_add_f64 v[108:109], v[108:109], -v[110:111]
	buffer_store_dword v109, off, s[0:3], 0 offset:244
	buffer_store_dword v108, off, s[0:3], 0 offset:240
	s_and_saveexec_b64 s[4:5], vcc
	s_cbranch_execz .LBB116_267
; %bb.266:
	buffer_load_dword v108, off, s[0:3], 0 offset:232
	buffer_load_dword v109, off, s[0:3], 0 offset:236
	v_mov_b32_e32 v110, 0
	buffer_store_dword v110, off, s[0:3], 0 offset:232
	buffer_store_dword v110, off, s[0:3], 0 offset:236
	s_waitcnt vmcnt(2)
	ds_write_b64 v1, v[108:109]
.LBB116_267:
	s_or_b64 exec, exec, s[4:5]
	s_waitcnt lgkmcnt(0)
	; wave barrier
	s_waitcnt lgkmcnt(0)
	buffer_load_dword v108, off, s[0:3], 0 offset:232
	buffer_load_dword v109, off, s[0:3], 0 offset:236
	;; [unrolled: 1-line block ×16, first 2 shown]
	v_mov_b32_e32 v112, 0
	ds_read_b128 v[114:117], v112 offset:672
	ds_read_b128 v[118:121], v112 offset:688
	;; [unrolled: 1-line block ×4, first 2 shown]
	v_cmp_lt_u32_e32 vcc, 28, v0
	s_waitcnt vmcnt(12) lgkmcnt(3)
	v_fma_f64 v[110:111], v[110:111], v[114:115], 0
	buffer_load_dword v115, off, s[0:3], 0 offset:300
	buffer_load_dword v114, off, s[0:3], 0 offset:296
	s_waitcnt vmcnt(12)
	v_fmac_f64_e32 v[110:111], v[130:131], v[116:117]
	s_waitcnt vmcnt(10) lgkmcnt(2)
	v_fmac_f64_e32 v[110:111], v[132:133], v[118:119]
	buffer_load_dword v119, off, s[0:3], 0 offset:308
	buffer_load_dword v118, off, s[0:3], 0 offset:304
	s_waitcnt vmcnt(10)
	v_fmac_f64_e32 v[110:111], v[134:135], v[120:121]
	s_waitcnt vmcnt(8) lgkmcnt(1)
	v_fmac_f64_e32 v[110:111], v[136:137], v[122:123]
	s_waitcnt vmcnt(6)
	v_fmac_f64_e32 v[110:111], v[138:139], v[124:125]
	s_waitcnt vmcnt(4) lgkmcnt(0)
	v_fmac_f64_e32 v[110:111], v[140:141], v[126:127]
	s_waitcnt vmcnt(2)
	v_fmac_f64_e32 v[110:111], v[114:115], v[128:129]
	ds_read_b128 v[114:117], v112 offset:736
	s_waitcnt vmcnt(0) lgkmcnt(0)
	v_fmac_f64_e32 v[110:111], v[118:119], v[114:115]
	buffer_load_dword v115, off, s[0:3], 0 offset:316
	buffer_load_dword v114, off, s[0:3], 0 offset:312
	buffer_load_dword v119, off, s[0:3], 0 offset:324
	buffer_load_dword v118, off, s[0:3], 0 offset:320
	s_waitcnt vmcnt(2)
	v_fmac_f64_e32 v[110:111], v[114:115], v[116:117]
	ds_read_b128 v[114:117], v112 offset:752
	s_waitcnt vmcnt(0) lgkmcnt(0)
	v_fmac_f64_e32 v[110:111], v[118:119], v[114:115]
	buffer_load_dword v115, off, s[0:3], 0 offset:332
	buffer_load_dword v114, off, s[0:3], 0 offset:328
	buffer_load_dword v119, off, s[0:3], 0 offset:340
	buffer_load_dword v118, off, s[0:3], 0 offset:336
	;; [unrolled: 9-line block ×6, first 2 shown]
	s_waitcnt vmcnt(2)
	v_fmac_f64_e32 v[110:111], v[114:115], v[116:117]
	ds_read_b128 v[114:117], v112 offset:832
	s_waitcnt vmcnt(0) lgkmcnt(0)
	v_fmac_f64_e32 v[110:111], v[118:119], v[114:115]
	buffer_load_dword v115, off, s[0:3], 0 offset:412
	buffer_load_dword v114, off, s[0:3], 0 offset:408
	s_waitcnt vmcnt(0)
	v_fmac_f64_e32 v[110:111], v[114:115], v[116:117]
	buffer_load_dword v115, off, s[0:3], 0 offset:420
	buffer_load_dword v114, off, s[0:3], 0 offset:416
	ds_read_b64 v[116:117], v112 offset:848
	s_waitcnt vmcnt(0) lgkmcnt(0)
	v_fmac_f64_e32 v[110:111], v[114:115], v[116:117]
	v_add_f64 v[108:109], v[108:109], -v[110:111]
	buffer_store_dword v109, off, s[0:3], 0 offset:236
	buffer_store_dword v108, off, s[0:3], 0 offset:232
	s_and_saveexec_b64 s[4:5], vcc
	s_cbranch_execz .LBB116_269
; %bb.268:
	buffer_load_dword v108, off, s[0:3], 0 offset:224
	buffer_load_dword v109, off, s[0:3], 0 offset:228
	s_waitcnt vmcnt(0)
	ds_write_b64 v1, v[108:109]
	buffer_store_dword v112, off, s[0:3], 0 offset:224
	buffer_store_dword v112, off, s[0:3], 0 offset:228
.LBB116_269:
	s_or_b64 exec, exec, s[4:5]
	s_waitcnt lgkmcnt(0)
	; wave barrier
	s_waitcnt lgkmcnt(0)
	buffer_load_dword v108, off, s[0:3], 0 offset:224
	buffer_load_dword v109, off, s[0:3], 0 offset:228
	;; [unrolled: 1-line block ×16, first 2 shown]
	ds_read2_b64 v[114:117], v112 offset0:83 offset1:84
	v_cmp_lt_u32_e32 vcc, 27, v0
	s_waitcnt vmcnt(12) lgkmcnt(0)
	v_fma_f64 v[110:111], v[110:111], v[114:115], 0
	s_waitcnt vmcnt(10)
	v_fmac_f64_e32 v[110:111], v[118:119], v[116:117]
	ds_read2_b64 v[114:117], v112 offset0:85 offset1:86
	s_waitcnt vmcnt(8) lgkmcnt(0)
	v_fmac_f64_e32 v[110:111], v[120:121], v[114:115]
	s_waitcnt vmcnt(6)
	v_fmac_f64_e32 v[110:111], v[122:123], v[116:117]
	ds_read2_b64 v[114:117], v112 offset0:87 offset1:88
	s_waitcnt vmcnt(4) lgkmcnt(0)
	v_fmac_f64_e32 v[110:111], v[124:125], v[114:115]
	;; [unrolled: 5-line block ×3, first 2 shown]
	buffer_load_dword v115, off, s[0:3], 0 offset:292
	buffer_load_dword v114, off, s[0:3], 0 offset:288
	buffer_load_dword v119, off, s[0:3], 0 offset:300
	buffer_load_dword v118, off, s[0:3], 0 offset:296
	s_waitcnt vmcnt(2)
	v_fmac_f64_e32 v[110:111], v[114:115], v[116:117]
	ds_read2_b64 v[114:117], v112 offset0:91 offset1:92
	s_waitcnt vmcnt(0) lgkmcnt(0)
	v_fmac_f64_e32 v[110:111], v[118:119], v[114:115]
	buffer_load_dword v115, off, s[0:3], 0 offset:308
	buffer_load_dword v114, off, s[0:3], 0 offset:304
	buffer_load_dword v119, off, s[0:3], 0 offset:316
	buffer_load_dword v118, off, s[0:3], 0 offset:312
	s_waitcnt vmcnt(2)
	v_fmac_f64_e32 v[110:111], v[114:115], v[116:117]
	ds_read2_b64 v[114:117], v112 offset0:93 offset1:94
	s_waitcnt vmcnt(0) lgkmcnt(0)
	v_fmac_f64_e32 v[110:111], v[118:119], v[114:115]
	;; [unrolled: 9-line block ×7, first 2 shown]
	buffer_load_dword v115, off, s[0:3], 0 offset:404
	buffer_load_dword v114, off, s[0:3], 0 offset:400
	s_waitcnt vmcnt(0)
	v_fmac_f64_e32 v[110:111], v[114:115], v[116:117]
	buffer_load_dword v117, off, s[0:3], 0 offset:412
	buffer_load_dword v116, off, s[0:3], 0 offset:408
	ds_read2_b64 v[112:115], v112 offset0:105 offset1:106
	s_waitcnt vmcnt(0) lgkmcnt(0)
	v_fmac_f64_e32 v[110:111], v[116:117], v[112:113]
	buffer_load_dword v113, off, s[0:3], 0 offset:420
	buffer_load_dword v112, off, s[0:3], 0 offset:416
	s_waitcnt vmcnt(0)
	v_fmac_f64_e32 v[110:111], v[112:113], v[114:115]
	v_add_f64 v[108:109], v[108:109], -v[110:111]
	buffer_store_dword v109, off, s[0:3], 0 offset:228
	buffer_store_dword v108, off, s[0:3], 0 offset:224
	s_and_saveexec_b64 s[4:5], vcc
	s_cbranch_execz .LBB116_271
; %bb.270:
	buffer_load_dword v108, off, s[0:3], 0 offset:216
	buffer_load_dword v109, off, s[0:3], 0 offset:220
	v_mov_b32_e32 v110, 0
	buffer_store_dword v110, off, s[0:3], 0 offset:216
	buffer_store_dword v110, off, s[0:3], 0 offset:220
	s_waitcnt vmcnt(2)
	ds_write_b64 v1, v[108:109]
.LBB116_271:
	s_or_b64 exec, exec, s[4:5]
	s_waitcnt lgkmcnt(0)
	; wave barrier
	s_waitcnt lgkmcnt(0)
	buffer_load_dword v108, off, s[0:3], 0 offset:216
	buffer_load_dword v109, off, s[0:3], 0 offset:220
	;; [unrolled: 1-line block ×16, first 2 shown]
	v_mov_b32_e32 v112, 0
	ds_read_b128 v[114:117], v112 offset:656
	ds_read_b128 v[118:121], v112 offset:672
	;; [unrolled: 1-line block ×4, first 2 shown]
	v_cmp_lt_u32_e32 vcc, 26, v0
	s_waitcnt vmcnt(12) lgkmcnt(3)
	v_fma_f64 v[110:111], v[110:111], v[114:115], 0
	buffer_load_dword v115, off, s[0:3], 0 offset:284
	buffer_load_dword v114, off, s[0:3], 0 offset:280
	s_waitcnt vmcnt(12)
	v_fmac_f64_e32 v[110:111], v[130:131], v[116:117]
	s_waitcnt vmcnt(10) lgkmcnt(2)
	v_fmac_f64_e32 v[110:111], v[132:133], v[118:119]
	buffer_load_dword v119, off, s[0:3], 0 offset:292
	buffer_load_dword v118, off, s[0:3], 0 offset:288
	s_waitcnt vmcnt(10)
	v_fmac_f64_e32 v[110:111], v[134:135], v[120:121]
	s_waitcnt vmcnt(8) lgkmcnt(1)
	v_fmac_f64_e32 v[110:111], v[136:137], v[122:123]
	s_waitcnt vmcnt(6)
	v_fmac_f64_e32 v[110:111], v[138:139], v[124:125]
	s_waitcnt vmcnt(4) lgkmcnt(0)
	v_fmac_f64_e32 v[110:111], v[140:141], v[126:127]
	s_waitcnt vmcnt(2)
	v_fmac_f64_e32 v[110:111], v[114:115], v[128:129]
	ds_read_b128 v[114:117], v112 offset:720
	s_waitcnt vmcnt(0) lgkmcnt(0)
	v_fmac_f64_e32 v[110:111], v[118:119], v[114:115]
	buffer_load_dword v115, off, s[0:3], 0 offset:300
	buffer_load_dword v114, off, s[0:3], 0 offset:296
	buffer_load_dword v119, off, s[0:3], 0 offset:308
	buffer_load_dword v118, off, s[0:3], 0 offset:304
	s_waitcnt vmcnt(2)
	v_fmac_f64_e32 v[110:111], v[114:115], v[116:117]
	ds_read_b128 v[114:117], v112 offset:736
	s_waitcnt vmcnt(0) lgkmcnt(0)
	v_fmac_f64_e32 v[110:111], v[118:119], v[114:115]
	buffer_load_dword v115, off, s[0:3], 0 offset:316
	buffer_load_dword v114, off, s[0:3], 0 offset:312
	buffer_load_dword v119, off, s[0:3], 0 offset:324
	buffer_load_dword v118, off, s[0:3], 0 offset:320
	;; [unrolled: 9-line block ×7, first 2 shown]
	s_waitcnt vmcnt(2)
	v_fmac_f64_e32 v[110:111], v[114:115], v[116:117]
	ds_read_b128 v[114:117], v112 offset:832
	s_waitcnt vmcnt(0) lgkmcnt(0)
	v_fmac_f64_e32 v[110:111], v[118:119], v[114:115]
	buffer_load_dword v115, off, s[0:3], 0 offset:412
	buffer_load_dword v114, off, s[0:3], 0 offset:408
	s_waitcnt vmcnt(0)
	v_fmac_f64_e32 v[110:111], v[114:115], v[116:117]
	buffer_load_dword v115, off, s[0:3], 0 offset:420
	buffer_load_dword v114, off, s[0:3], 0 offset:416
	ds_read_b64 v[116:117], v112 offset:848
	s_waitcnt vmcnt(0) lgkmcnt(0)
	v_fmac_f64_e32 v[110:111], v[114:115], v[116:117]
	v_add_f64 v[108:109], v[108:109], -v[110:111]
	buffer_store_dword v109, off, s[0:3], 0 offset:220
	buffer_store_dword v108, off, s[0:3], 0 offset:216
	s_and_saveexec_b64 s[4:5], vcc
	s_cbranch_execz .LBB116_273
; %bb.272:
	buffer_load_dword v108, off, s[0:3], 0 offset:208
	buffer_load_dword v109, off, s[0:3], 0 offset:212
	s_waitcnt vmcnt(0)
	ds_write_b64 v1, v[108:109]
	buffer_store_dword v112, off, s[0:3], 0 offset:208
	buffer_store_dword v112, off, s[0:3], 0 offset:212
.LBB116_273:
	s_or_b64 exec, exec, s[4:5]
	s_waitcnt lgkmcnt(0)
	; wave barrier
	s_waitcnt lgkmcnt(0)
	buffer_load_dword v108, off, s[0:3], 0 offset:208
	buffer_load_dword v109, off, s[0:3], 0 offset:212
	;; [unrolled: 1-line block ×16, first 2 shown]
	ds_read2_b64 v[114:117], v112 offset0:81 offset1:82
	v_cmp_lt_u32_e32 vcc, 25, v0
	s_waitcnt vmcnt(12) lgkmcnt(0)
	v_fma_f64 v[110:111], v[110:111], v[114:115], 0
	s_waitcnt vmcnt(10)
	v_fmac_f64_e32 v[110:111], v[118:119], v[116:117]
	ds_read2_b64 v[114:117], v112 offset0:83 offset1:84
	s_waitcnt vmcnt(8) lgkmcnt(0)
	v_fmac_f64_e32 v[110:111], v[120:121], v[114:115]
	s_waitcnt vmcnt(6)
	v_fmac_f64_e32 v[110:111], v[122:123], v[116:117]
	ds_read2_b64 v[114:117], v112 offset0:85 offset1:86
	s_waitcnt vmcnt(4) lgkmcnt(0)
	v_fmac_f64_e32 v[110:111], v[124:125], v[114:115]
	;; [unrolled: 5-line block ×3, first 2 shown]
	buffer_load_dword v115, off, s[0:3], 0 offset:276
	buffer_load_dword v114, off, s[0:3], 0 offset:272
	buffer_load_dword v119, off, s[0:3], 0 offset:284
	buffer_load_dword v118, off, s[0:3], 0 offset:280
	s_waitcnt vmcnt(2)
	v_fmac_f64_e32 v[110:111], v[114:115], v[116:117]
	ds_read2_b64 v[114:117], v112 offset0:89 offset1:90
	s_waitcnt vmcnt(0) lgkmcnt(0)
	v_fmac_f64_e32 v[110:111], v[118:119], v[114:115]
	buffer_load_dword v115, off, s[0:3], 0 offset:292
	buffer_load_dword v114, off, s[0:3], 0 offset:288
	buffer_load_dword v119, off, s[0:3], 0 offset:300
	buffer_load_dword v118, off, s[0:3], 0 offset:296
	s_waitcnt vmcnt(2)
	v_fmac_f64_e32 v[110:111], v[114:115], v[116:117]
	ds_read2_b64 v[114:117], v112 offset0:91 offset1:92
	s_waitcnt vmcnt(0) lgkmcnt(0)
	v_fmac_f64_e32 v[110:111], v[118:119], v[114:115]
	buffer_load_dword v115, off, s[0:3], 0 offset:308
	buffer_load_dword v114, off, s[0:3], 0 offset:304
	buffer_load_dword v119, off, s[0:3], 0 offset:316
	buffer_load_dword v118, off, s[0:3], 0 offset:312
	s_waitcnt vmcnt(2)
	v_fmac_f64_e32 v[110:111], v[114:115], v[116:117]
	ds_read2_b64 v[114:117], v112 offset0:93 offset1:94
	s_waitcnt vmcnt(0) lgkmcnt(0)
	v_fmac_f64_e32 v[110:111], v[118:119], v[114:115]
	buffer_load_dword v115, off, s[0:3], 0 offset:324
	buffer_load_dword v114, off, s[0:3], 0 offset:320
	buffer_load_dword v119, off, s[0:3], 0 offset:332
	buffer_load_dword v118, off, s[0:3], 0 offset:328
	s_waitcnt vmcnt(2)
	v_fmac_f64_e32 v[110:111], v[114:115], v[116:117]
	ds_read2_b64 v[114:117], v112 offset0:95 offset1:96
	s_waitcnt vmcnt(0) lgkmcnt(0)
	v_fmac_f64_e32 v[110:111], v[118:119], v[114:115]
	buffer_load_dword v115, off, s[0:3], 0 offset:340
	buffer_load_dword v114, off, s[0:3], 0 offset:336
	buffer_load_dword v119, off, s[0:3], 0 offset:348
	buffer_load_dword v118, off, s[0:3], 0 offset:344
	s_waitcnt vmcnt(2)
	v_fmac_f64_e32 v[110:111], v[114:115], v[116:117]
	ds_read2_b64 v[114:117], v112 offset0:97 offset1:98
	s_waitcnt vmcnt(0) lgkmcnt(0)
	v_fmac_f64_e32 v[110:111], v[118:119], v[114:115]
	buffer_load_dword v115, off, s[0:3], 0 offset:356
	buffer_load_dword v114, off, s[0:3], 0 offset:352
	buffer_load_dword v119, off, s[0:3], 0 offset:364
	buffer_load_dword v118, off, s[0:3], 0 offset:360
	s_waitcnt vmcnt(2)
	v_fmac_f64_e32 v[110:111], v[114:115], v[116:117]
	ds_read2_b64 v[114:117], v112 offset0:99 offset1:100
	s_waitcnt vmcnt(0) lgkmcnt(0)
	v_fmac_f64_e32 v[110:111], v[118:119], v[114:115]
	buffer_load_dword v115, off, s[0:3], 0 offset:372
	buffer_load_dword v114, off, s[0:3], 0 offset:368
	buffer_load_dword v119, off, s[0:3], 0 offset:380
	buffer_load_dword v118, off, s[0:3], 0 offset:376
	s_waitcnt vmcnt(2)
	v_fmac_f64_e32 v[110:111], v[114:115], v[116:117]
	ds_read2_b64 v[114:117], v112 offset0:101 offset1:102
	s_waitcnt vmcnt(0) lgkmcnt(0)
	v_fmac_f64_e32 v[110:111], v[118:119], v[114:115]
	buffer_load_dword v115, off, s[0:3], 0 offset:388
	buffer_load_dword v114, off, s[0:3], 0 offset:384
	buffer_load_dword v119, off, s[0:3], 0 offset:396
	buffer_load_dword v118, off, s[0:3], 0 offset:392
	s_waitcnt vmcnt(2)
	v_fmac_f64_e32 v[110:111], v[114:115], v[116:117]
	ds_read2_b64 v[114:117], v112 offset0:103 offset1:104
	s_waitcnt vmcnt(0) lgkmcnt(0)
	v_fmac_f64_e32 v[110:111], v[118:119], v[114:115]
	buffer_load_dword v115, off, s[0:3], 0 offset:404
	buffer_load_dword v114, off, s[0:3], 0 offset:400
	s_waitcnt vmcnt(0)
	v_fmac_f64_e32 v[110:111], v[114:115], v[116:117]
	buffer_load_dword v117, off, s[0:3], 0 offset:412
	buffer_load_dword v116, off, s[0:3], 0 offset:408
	ds_read2_b64 v[112:115], v112 offset0:105 offset1:106
	s_waitcnt vmcnt(0) lgkmcnt(0)
	v_fmac_f64_e32 v[110:111], v[116:117], v[112:113]
	buffer_load_dword v113, off, s[0:3], 0 offset:420
	buffer_load_dword v112, off, s[0:3], 0 offset:416
	s_waitcnt vmcnt(0)
	v_fmac_f64_e32 v[110:111], v[112:113], v[114:115]
	v_add_f64 v[108:109], v[108:109], -v[110:111]
	buffer_store_dword v109, off, s[0:3], 0 offset:212
	buffer_store_dword v108, off, s[0:3], 0 offset:208
	s_and_saveexec_b64 s[4:5], vcc
	s_cbranch_execz .LBB116_275
; %bb.274:
	buffer_load_dword v108, off, s[0:3], 0 offset:200
	buffer_load_dword v109, off, s[0:3], 0 offset:204
	v_mov_b32_e32 v110, 0
	buffer_store_dword v110, off, s[0:3], 0 offset:200
	buffer_store_dword v110, off, s[0:3], 0 offset:204
	s_waitcnt vmcnt(2)
	ds_write_b64 v1, v[108:109]
.LBB116_275:
	s_or_b64 exec, exec, s[4:5]
	s_waitcnt lgkmcnt(0)
	; wave barrier
	s_waitcnt lgkmcnt(0)
	buffer_load_dword v108, off, s[0:3], 0 offset:200
	buffer_load_dword v109, off, s[0:3], 0 offset:204
	;; [unrolled: 1-line block ×16, first 2 shown]
	v_mov_b32_e32 v112, 0
	ds_read_b128 v[114:117], v112 offset:640
	ds_read_b128 v[118:121], v112 offset:656
	;; [unrolled: 1-line block ×4, first 2 shown]
	v_cmp_lt_u32_e32 vcc, 24, v0
	s_waitcnt vmcnt(12) lgkmcnt(3)
	v_fma_f64 v[110:111], v[110:111], v[114:115], 0
	buffer_load_dword v115, off, s[0:3], 0 offset:268
	buffer_load_dword v114, off, s[0:3], 0 offset:264
	s_waitcnt vmcnt(12)
	v_fmac_f64_e32 v[110:111], v[130:131], v[116:117]
	s_waitcnt vmcnt(10) lgkmcnt(2)
	v_fmac_f64_e32 v[110:111], v[132:133], v[118:119]
	buffer_load_dword v119, off, s[0:3], 0 offset:276
	buffer_load_dword v118, off, s[0:3], 0 offset:272
	s_waitcnt vmcnt(10)
	v_fmac_f64_e32 v[110:111], v[134:135], v[120:121]
	s_waitcnt vmcnt(8) lgkmcnt(1)
	v_fmac_f64_e32 v[110:111], v[136:137], v[122:123]
	s_waitcnt vmcnt(6)
	v_fmac_f64_e32 v[110:111], v[138:139], v[124:125]
	s_waitcnt vmcnt(4) lgkmcnt(0)
	v_fmac_f64_e32 v[110:111], v[140:141], v[126:127]
	s_waitcnt vmcnt(2)
	v_fmac_f64_e32 v[110:111], v[114:115], v[128:129]
	ds_read_b128 v[114:117], v112 offset:704
	s_waitcnt vmcnt(0) lgkmcnt(0)
	v_fmac_f64_e32 v[110:111], v[118:119], v[114:115]
	buffer_load_dword v115, off, s[0:3], 0 offset:284
	buffer_load_dword v114, off, s[0:3], 0 offset:280
	buffer_load_dword v119, off, s[0:3], 0 offset:292
	buffer_load_dword v118, off, s[0:3], 0 offset:288
	s_waitcnt vmcnt(2)
	v_fmac_f64_e32 v[110:111], v[114:115], v[116:117]
	ds_read_b128 v[114:117], v112 offset:720
	s_waitcnt vmcnt(0) lgkmcnt(0)
	v_fmac_f64_e32 v[110:111], v[118:119], v[114:115]
	buffer_load_dword v115, off, s[0:3], 0 offset:300
	buffer_load_dword v114, off, s[0:3], 0 offset:296
	buffer_load_dword v119, off, s[0:3], 0 offset:308
	buffer_load_dword v118, off, s[0:3], 0 offset:304
	;; [unrolled: 9-line block ×8, first 2 shown]
	s_waitcnt vmcnt(2)
	v_fmac_f64_e32 v[110:111], v[114:115], v[116:117]
	ds_read_b128 v[114:117], v112 offset:832
	s_waitcnt vmcnt(0) lgkmcnt(0)
	v_fmac_f64_e32 v[110:111], v[118:119], v[114:115]
	buffer_load_dword v115, off, s[0:3], 0 offset:412
	buffer_load_dword v114, off, s[0:3], 0 offset:408
	s_waitcnt vmcnt(0)
	v_fmac_f64_e32 v[110:111], v[114:115], v[116:117]
	buffer_load_dword v115, off, s[0:3], 0 offset:420
	buffer_load_dword v114, off, s[0:3], 0 offset:416
	ds_read_b64 v[116:117], v112 offset:848
	s_waitcnt vmcnt(0) lgkmcnt(0)
	v_fmac_f64_e32 v[110:111], v[114:115], v[116:117]
	v_add_f64 v[108:109], v[108:109], -v[110:111]
	buffer_store_dword v109, off, s[0:3], 0 offset:204
	buffer_store_dword v108, off, s[0:3], 0 offset:200
	s_and_saveexec_b64 s[4:5], vcc
	s_cbranch_execz .LBB116_277
; %bb.276:
	buffer_load_dword v108, off, s[0:3], 0 offset:192
	buffer_load_dword v109, off, s[0:3], 0 offset:196
	s_waitcnt vmcnt(0)
	ds_write_b64 v1, v[108:109]
	buffer_store_dword v112, off, s[0:3], 0 offset:192
	buffer_store_dword v112, off, s[0:3], 0 offset:196
.LBB116_277:
	s_or_b64 exec, exec, s[4:5]
	s_waitcnt lgkmcnt(0)
	; wave barrier
	s_waitcnt lgkmcnt(0)
	buffer_load_dword v108, off, s[0:3], 0 offset:192
	buffer_load_dword v109, off, s[0:3], 0 offset:196
	;; [unrolled: 1-line block ×16, first 2 shown]
	ds_read2_b64 v[114:117], v112 offset0:79 offset1:80
	v_cmp_lt_u32_e32 vcc, 23, v0
	s_waitcnt vmcnt(12) lgkmcnt(0)
	v_fma_f64 v[110:111], v[110:111], v[114:115], 0
	s_waitcnt vmcnt(10)
	v_fmac_f64_e32 v[110:111], v[118:119], v[116:117]
	ds_read2_b64 v[114:117], v112 offset0:81 offset1:82
	s_waitcnt vmcnt(8) lgkmcnt(0)
	v_fmac_f64_e32 v[110:111], v[120:121], v[114:115]
	s_waitcnt vmcnt(6)
	v_fmac_f64_e32 v[110:111], v[122:123], v[116:117]
	ds_read2_b64 v[114:117], v112 offset0:83 offset1:84
	s_waitcnt vmcnt(4) lgkmcnt(0)
	v_fmac_f64_e32 v[110:111], v[124:125], v[114:115]
	;; [unrolled: 5-line block ×3, first 2 shown]
	buffer_load_dword v115, off, s[0:3], 0 offset:260
	buffer_load_dword v114, off, s[0:3], 0 offset:256
	buffer_load_dword v119, off, s[0:3], 0 offset:268
	buffer_load_dword v118, off, s[0:3], 0 offset:264
	s_waitcnt vmcnt(2)
	v_fmac_f64_e32 v[110:111], v[114:115], v[116:117]
	ds_read2_b64 v[114:117], v112 offset0:87 offset1:88
	s_waitcnt vmcnt(0) lgkmcnt(0)
	v_fmac_f64_e32 v[110:111], v[118:119], v[114:115]
	buffer_load_dword v115, off, s[0:3], 0 offset:276
	buffer_load_dword v114, off, s[0:3], 0 offset:272
	buffer_load_dword v119, off, s[0:3], 0 offset:284
	buffer_load_dword v118, off, s[0:3], 0 offset:280
	s_waitcnt vmcnt(2)
	v_fmac_f64_e32 v[110:111], v[114:115], v[116:117]
	ds_read2_b64 v[114:117], v112 offset0:89 offset1:90
	s_waitcnt vmcnt(0) lgkmcnt(0)
	v_fmac_f64_e32 v[110:111], v[118:119], v[114:115]
	;; [unrolled: 9-line block ×9, first 2 shown]
	buffer_load_dword v115, off, s[0:3], 0 offset:404
	buffer_load_dword v114, off, s[0:3], 0 offset:400
	s_waitcnt vmcnt(0)
	v_fmac_f64_e32 v[110:111], v[114:115], v[116:117]
	buffer_load_dword v117, off, s[0:3], 0 offset:412
	buffer_load_dword v116, off, s[0:3], 0 offset:408
	ds_read2_b64 v[112:115], v112 offset0:105 offset1:106
	s_waitcnt vmcnt(0) lgkmcnt(0)
	v_fmac_f64_e32 v[110:111], v[116:117], v[112:113]
	buffer_load_dword v113, off, s[0:3], 0 offset:420
	buffer_load_dword v112, off, s[0:3], 0 offset:416
	s_waitcnt vmcnt(0)
	v_fmac_f64_e32 v[110:111], v[112:113], v[114:115]
	v_add_f64 v[108:109], v[108:109], -v[110:111]
	buffer_store_dword v109, off, s[0:3], 0 offset:196
	buffer_store_dword v108, off, s[0:3], 0 offset:192
	s_and_saveexec_b64 s[4:5], vcc
	s_cbranch_execz .LBB116_279
; %bb.278:
	buffer_load_dword v108, off, s[0:3], 0 offset:184
	buffer_load_dword v109, off, s[0:3], 0 offset:188
	v_mov_b32_e32 v110, 0
	buffer_store_dword v110, off, s[0:3], 0 offset:184
	buffer_store_dword v110, off, s[0:3], 0 offset:188
	s_waitcnt vmcnt(2)
	ds_write_b64 v1, v[108:109]
.LBB116_279:
	s_or_b64 exec, exec, s[4:5]
	s_waitcnt lgkmcnt(0)
	; wave barrier
	s_waitcnt lgkmcnt(0)
	buffer_load_dword v108, off, s[0:3], 0 offset:184
	buffer_load_dword v109, off, s[0:3], 0 offset:188
	;; [unrolled: 1-line block ×16, first 2 shown]
	v_mov_b32_e32 v112, 0
	ds_read_b128 v[114:117], v112 offset:624
	ds_read_b128 v[118:121], v112 offset:640
	;; [unrolled: 1-line block ×4, first 2 shown]
	v_cmp_lt_u32_e32 vcc, 22, v0
	s_waitcnt vmcnt(12) lgkmcnt(3)
	v_fma_f64 v[110:111], v[110:111], v[114:115], 0
	buffer_load_dword v115, off, s[0:3], 0 offset:252
	buffer_load_dword v114, off, s[0:3], 0 offset:248
	s_waitcnt vmcnt(12)
	v_fmac_f64_e32 v[110:111], v[130:131], v[116:117]
	s_waitcnt vmcnt(10) lgkmcnt(2)
	v_fmac_f64_e32 v[110:111], v[132:133], v[118:119]
	buffer_load_dword v119, off, s[0:3], 0 offset:260
	buffer_load_dword v118, off, s[0:3], 0 offset:256
	s_waitcnt vmcnt(10)
	v_fmac_f64_e32 v[110:111], v[134:135], v[120:121]
	s_waitcnt vmcnt(8) lgkmcnt(1)
	v_fmac_f64_e32 v[110:111], v[136:137], v[122:123]
	s_waitcnt vmcnt(6)
	v_fmac_f64_e32 v[110:111], v[138:139], v[124:125]
	s_waitcnt vmcnt(4) lgkmcnt(0)
	v_fmac_f64_e32 v[110:111], v[140:141], v[126:127]
	s_waitcnt vmcnt(2)
	v_fmac_f64_e32 v[110:111], v[114:115], v[128:129]
	ds_read_b128 v[114:117], v112 offset:688
	s_waitcnt vmcnt(0) lgkmcnt(0)
	v_fmac_f64_e32 v[110:111], v[118:119], v[114:115]
	buffer_load_dword v115, off, s[0:3], 0 offset:268
	buffer_load_dword v114, off, s[0:3], 0 offset:264
	buffer_load_dword v119, off, s[0:3], 0 offset:276
	buffer_load_dword v118, off, s[0:3], 0 offset:272
	s_waitcnt vmcnt(2)
	v_fmac_f64_e32 v[110:111], v[114:115], v[116:117]
	ds_read_b128 v[114:117], v112 offset:704
	s_waitcnt vmcnt(0) lgkmcnt(0)
	v_fmac_f64_e32 v[110:111], v[118:119], v[114:115]
	buffer_load_dword v115, off, s[0:3], 0 offset:284
	buffer_load_dword v114, off, s[0:3], 0 offset:280
	buffer_load_dword v119, off, s[0:3], 0 offset:292
	buffer_load_dword v118, off, s[0:3], 0 offset:288
	;; [unrolled: 9-line block ×9, first 2 shown]
	s_waitcnt vmcnt(2)
	v_fmac_f64_e32 v[110:111], v[114:115], v[116:117]
	ds_read_b128 v[114:117], v112 offset:832
	s_waitcnt vmcnt(0) lgkmcnt(0)
	v_fmac_f64_e32 v[110:111], v[118:119], v[114:115]
	buffer_load_dword v115, off, s[0:3], 0 offset:412
	buffer_load_dword v114, off, s[0:3], 0 offset:408
	s_waitcnt vmcnt(0)
	v_fmac_f64_e32 v[110:111], v[114:115], v[116:117]
	buffer_load_dword v115, off, s[0:3], 0 offset:420
	buffer_load_dword v114, off, s[0:3], 0 offset:416
	ds_read_b64 v[116:117], v112 offset:848
	s_waitcnt vmcnt(0) lgkmcnt(0)
	v_fmac_f64_e32 v[110:111], v[114:115], v[116:117]
	v_add_f64 v[108:109], v[108:109], -v[110:111]
	buffer_store_dword v109, off, s[0:3], 0 offset:188
	buffer_store_dword v108, off, s[0:3], 0 offset:184
	s_and_saveexec_b64 s[4:5], vcc
	s_cbranch_execz .LBB116_281
; %bb.280:
	buffer_load_dword v108, off, s[0:3], 0 offset:176
	buffer_load_dword v109, off, s[0:3], 0 offset:180
	s_waitcnt vmcnt(0)
	ds_write_b64 v1, v[108:109]
	buffer_store_dword v112, off, s[0:3], 0 offset:176
	buffer_store_dword v112, off, s[0:3], 0 offset:180
.LBB116_281:
	s_or_b64 exec, exec, s[4:5]
	s_waitcnt lgkmcnt(0)
	; wave barrier
	s_waitcnt lgkmcnt(0)
	buffer_load_dword v108, off, s[0:3], 0 offset:176
	buffer_load_dword v109, off, s[0:3], 0 offset:180
	;; [unrolled: 1-line block ×16, first 2 shown]
	ds_read2_b64 v[114:117], v112 offset0:77 offset1:78
	v_cmp_lt_u32_e32 vcc, 21, v0
	s_waitcnt vmcnt(12) lgkmcnt(0)
	v_fma_f64 v[110:111], v[110:111], v[114:115], 0
	s_waitcnt vmcnt(10)
	v_fmac_f64_e32 v[110:111], v[118:119], v[116:117]
	ds_read2_b64 v[114:117], v112 offset0:79 offset1:80
	s_waitcnt vmcnt(8) lgkmcnt(0)
	v_fmac_f64_e32 v[110:111], v[120:121], v[114:115]
	s_waitcnt vmcnt(6)
	v_fmac_f64_e32 v[110:111], v[122:123], v[116:117]
	ds_read2_b64 v[114:117], v112 offset0:81 offset1:82
	s_waitcnt vmcnt(4) lgkmcnt(0)
	v_fmac_f64_e32 v[110:111], v[124:125], v[114:115]
	;; [unrolled: 5-line block ×3, first 2 shown]
	buffer_load_dword v115, off, s[0:3], 0 offset:244
	buffer_load_dword v114, off, s[0:3], 0 offset:240
	buffer_load_dword v119, off, s[0:3], 0 offset:252
	buffer_load_dword v118, off, s[0:3], 0 offset:248
	s_waitcnt vmcnt(2)
	v_fmac_f64_e32 v[110:111], v[114:115], v[116:117]
	ds_read2_b64 v[114:117], v112 offset0:85 offset1:86
	s_waitcnt vmcnt(0) lgkmcnt(0)
	v_fmac_f64_e32 v[110:111], v[118:119], v[114:115]
	buffer_load_dword v115, off, s[0:3], 0 offset:260
	buffer_load_dword v114, off, s[0:3], 0 offset:256
	buffer_load_dword v119, off, s[0:3], 0 offset:268
	buffer_load_dword v118, off, s[0:3], 0 offset:264
	s_waitcnt vmcnt(2)
	v_fmac_f64_e32 v[110:111], v[114:115], v[116:117]
	ds_read2_b64 v[114:117], v112 offset0:87 offset1:88
	s_waitcnt vmcnt(0) lgkmcnt(0)
	v_fmac_f64_e32 v[110:111], v[118:119], v[114:115]
	;; [unrolled: 9-line block ×10, first 2 shown]
	buffer_load_dword v115, off, s[0:3], 0 offset:404
	buffer_load_dword v114, off, s[0:3], 0 offset:400
	s_waitcnt vmcnt(0)
	v_fmac_f64_e32 v[110:111], v[114:115], v[116:117]
	buffer_load_dword v117, off, s[0:3], 0 offset:412
	buffer_load_dword v116, off, s[0:3], 0 offset:408
	ds_read2_b64 v[112:115], v112 offset0:105 offset1:106
	s_waitcnt vmcnt(0) lgkmcnt(0)
	v_fmac_f64_e32 v[110:111], v[116:117], v[112:113]
	buffer_load_dword v113, off, s[0:3], 0 offset:420
	buffer_load_dword v112, off, s[0:3], 0 offset:416
	s_waitcnt vmcnt(0)
	v_fmac_f64_e32 v[110:111], v[112:113], v[114:115]
	v_add_f64 v[108:109], v[108:109], -v[110:111]
	buffer_store_dword v109, off, s[0:3], 0 offset:180
	buffer_store_dword v108, off, s[0:3], 0 offset:176
	s_and_saveexec_b64 s[4:5], vcc
	s_cbranch_execz .LBB116_283
; %bb.282:
	buffer_load_dword v108, off, s[0:3], 0 offset:168
	buffer_load_dword v109, off, s[0:3], 0 offset:172
	v_mov_b32_e32 v110, 0
	buffer_store_dword v110, off, s[0:3], 0 offset:168
	buffer_store_dword v110, off, s[0:3], 0 offset:172
	s_waitcnt vmcnt(2)
	ds_write_b64 v1, v[108:109]
.LBB116_283:
	s_or_b64 exec, exec, s[4:5]
	s_waitcnt lgkmcnt(0)
	; wave barrier
	s_waitcnt lgkmcnt(0)
	buffer_load_dword v108, off, s[0:3], 0 offset:168
	buffer_load_dword v109, off, s[0:3], 0 offset:172
	;; [unrolled: 1-line block ×16, first 2 shown]
	v_mov_b32_e32 v112, 0
	ds_read_b128 v[114:117], v112 offset:608
	ds_read_b128 v[118:121], v112 offset:624
	;; [unrolled: 1-line block ×4, first 2 shown]
	v_cmp_lt_u32_e32 vcc, 20, v0
	s_waitcnt vmcnt(12) lgkmcnt(3)
	v_fma_f64 v[110:111], v[110:111], v[114:115], 0
	buffer_load_dword v115, off, s[0:3], 0 offset:236
	buffer_load_dword v114, off, s[0:3], 0 offset:232
	s_waitcnt vmcnt(12)
	v_fmac_f64_e32 v[110:111], v[130:131], v[116:117]
	s_waitcnt vmcnt(10) lgkmcnt(2)
	v_fmac_f64_e32 v[110:111], v[132:133], v[118:119]
	buffer_load_dword v119, off, s[0:3], 0 offset:244
	buffer_load_dword v118, off, s[0:3], 0 offset:240
	s_waitcnt vmcnt(10)
	v_fmac_f64_e32 v[110:111], v[134:135], v[120:121]
	s_waitcnt vmcnt(8) lgkmcnt(1)
	v_fmac_f64_e32 v[110:111], v[136:137], v[122:123]
	s_waitcnt vmcnt(6)
	v_fmac_f64_e32 v[110:111], v[138:139], v[124:125]
	s_waitcnt vmcnt(4) lgkmcnt(0)
	v_fmac_f64_e32 v[110:111], v[140:141], v[126:127]
	s_waitcnt vmcnt(2)
	v_fmac_f64_e32 v[110:111], v[114:115], v[128:129]
	ds_read_b128 v[114:117], v112 offset:672
	s_waitcnt vmcnt(0) lgkmcnt(0)
	v_fmac_f64_e32 v[110:111], v[118:119], v[114:115]
	buffer_load_dword v115, off, s[0:3], 0 offset:252
	buffer_load_dword v114, off, s[0:3], 0 offset:248
	buffer_load_dword v119, off, s[0:3], 0 offset:260
	buffer_load_dword v118, off, s[0:3], 0 offset:256
	s_waitcnt vmcnt(2)
	v_fmac_f64_e32 v[110:111], v[114:115], v[116:117]
	ds_read_b128 v[114:117], v112 offset:688
	s_waitcnt vmcnt(0) lgkmcnt(0)
	v_fmac_f64_e32 v[110:111], v[118:119], v[114:115]
	buffer_load_dword v115, off, s[0:3], 0 offset:268
	buffer_load_dword v114, off, s[0:3], 0 offset:264
	buffer_load_dword v119, off, s[0:3], 0 offset:276
	buffer_load_dword v118, off, s[0:3], 0 offset:272
	;; [unrolled: 9-line block ×10, first 2 shown]
	s_waitcnt vmcnt(2)
	v_fmac_f64_e32 v[110:111], v[114:115], v[116:117]
	ds_read_b128 v[114:117], v112 offset:832
	s_waitcnt vmcnt(0) lgkmcnt(0)
	v_fmac_f64_e32 v[110:111], v[118:119], v[114:115]
	buffer_load_dword v115, off, s[0:3], 0 offset:412
	buffer_load_dword v114, off, s[0:3], 0 offset:408
	s_waitcnt vmcnt(0)
	v_fmac_f64_e32 v[110:111], v[114:115], v[116:117]
	buffer_load_dword v115, off, s[0:3], 0 offset:420
	buffer_load_dword v114, off, s[0:3], 0 offset:416
	ds_read_b64 v[116:117], v112 offset:848
	s_waitcnt vmcnt(0) lgkmcnt(0)
	v_fmac_f64_e32 v[110:111], v[114:115], v[116:117]
	v_add_f64 v[108:109], v[108:109], -v[110:111]
	buffer_store_dword v109, off, s[0:3], 0 offset:172
	buffer_store_dword v108, off, s[0:3], 0 offset:168
	s_and_saveexec_b64 s[4:5], vcc
	s_cbranch_execz .LBB116_285
; %bb.284:
	buffer_load_dword v108, off, s[0:3], 0 offset:160
	buffer_load_dword v109, off, s[0:3], 0 offset:164
	s_waitcnt vmcnt(0)
	ds_write_b64 v1, v[108:109]
	buffer_store_dword v112, off, s[0:3], 0 offset:160
	buffer_store_dword v112, off, s[0:3], 0 offset:164
.LBB116_285:
	s_or_b64 exec, exec, s[4:5]
	s_waitcnt lgkmcnt(0)
	; wave barrier
	s_waitcnt lgkmcnt(0)
	buffer_load_dword v108, off, s[0:3], 0 offset:160
	buffer_load_dword v109, off, s[0:3], 0 offset:164
	;; [unrolled: 1-line block ×16, first 2 shown]
	ds_read2_b64 v[114:117], v112 offset0:75 offset1:76
	v_cmp_lt_u32_e32 vcc, 19, v0
	s_waitcnt vmcnt(12) lgkmcnt(0)
	v_fma_f64 v[110:111], v[110:111], v[114:115], 0
	s_waitcnt vmcnt(10)
	v_fmac_f64_e32 v[110:111], v[118:119], v[116:117]
	ds_read2_b64 v[114:117], v112 offset0:77 offset1:78
	s_waitcnt vmcnt(8) lgkmcnt(0)
	v_fmac_f64_e32 v[110:111], v[120:121], v[114:115]
	s_waitcnt vmcnt(6)
	v_fmac_f64_e32 v[110:111], v[122:123], v[116:117]
	ds_read2_b64 v[114:117], v112 offset0:79 offset1:80
	s_waitcnt vmcnt(4) lgkmcnt(0)
	v_fmac_f64_e32 v[110:111], v[124:125], v[114:115]
	;; [unrolled: 5-line block ×3, first 2 shown]
	buffer_load_dword v115, off, s[0:3], 0 offset:228
	buffer_load_dword v114, off, s[0:3], 0 offset:224
	buffer_load_dword v119, off, s[0:3], 0 offset:236
	buffer_load_dword v118, off, s[0:3], 0 offset:232
	s_waitcnt vmcnt(2)
	v_fmac_f64_e32 v[110:111], v[114:115], v[116:117]
	ds_read2_b64 v[114:117], v112 offset0:83 offset1:84
	s_waitcnt vmcnt(0) lgkmcnt(0)
	v_fmac_f64_e32 v[110:111], v[118:119], v[114:115]
	buffer_load_dword v115, off, s[0:3], 0 offset:244
	buffer_load_dword v114, off, s[0:3], 0 offset:240
	buffer_load_dword v119, off, s[0:3], 0 offset:252
	buffer_load_dword v118, off, s[0:3], 0 offset:248
	s_waitcnt vmcnt(2)
	v_fmac_f64_e32 v[110:111], v[114:115], v[116:117]
	ds_read2_b64 v[114:117], v112 offset0:85 offset1:86
	s_waitcnt vmcnt(0) lgkmcnt(0)
	v_fmac_f64_e32 v[110:111], v[118:119], v[114:115]
	;; [unrolled: 9-line block ×11, first 2 shown]
	buffer_load_dword v115, off, s[0:3], 0 offset:404
	buffer_load_dword v114, off, s[0:3], 0 offset:400
	s_waitcnt vmcnt(0)
	v_fmac_f64_e32 v[110:111], v[114:115], v[116:117]
	buffer_load_dword v117, off, s[0:3], 0 offset:412
	buffer_load_dword v116, off, s[0:3], 0 offset:408
	ds_read2_b64 v[112:115], v112 offset0:105 offset1:106
	s_waitcnt vmcnt(0) lgkmcnt(0)
	v_fmac_f64_e32 v[110:111], v[116:117], v[112:113]
	buffer_load_dword v113, off, s[0:3], 0 offset:420
	buffer_load_dword v112, off, s[0:3], 0 offset:416
	s_waitcnt vmcnt(0)
	v_fmac_f64_e32 v[110:111], v[112:113], v[114:115]
	v_add_f64 v[108:109], v[108:109], -v[110:111]
	buffer_store_dword v109, off, s[0:3], 0 offset:164
	buffer_store_dword v108, off, s[0:3], 0 offset:160
	s_and_saveexec_b64 s[4:5], vcc
	s_cbranch_execz .LBB116_287
; %bb.286:
	buffer_load_dword v108, off, s[0:3], 0 offset:152
	buffer_load_dword v109, off, s[0:3], 0 offset:156
	v_mov_b32_e32 v110, 0
	buffer_store_dword v110, off, s[0:3], 0 offset:152
	buffer_store_dword v110, off, s[0:3], 0 offset:156
	s_waitcnt vmcnt(2)
	ds_write_b64 v1, v[108:109]
.LBB116_287:
	s_or_b64 exec, exec, s[4:5]
	s_waitcnt lgkmcnt(0)
	; wave barrier
	s_waitcnt lgkmcnt(0)
	buffer_load_dword v108, off, s[0:3], 0 offset:152
	buffer_load_dword v109, off, s[0:3], 0 offset:156
	;; [unrolled: 1-line block ×16, first 2 shown]
	v_mov_b32_e32 v112, 0
	ds_read_b128 v[114:117], v112 offset:592
	ds_read_b128 v[118:121], v112 offset:608
	ds_read_b128 v[122:125], v112 offset:624
	ds_read_b128 v[126:129], v112 offset:640
	v_cmp_lt_u32_e32 vcc, 18, v0
	s_waitcnt vmcnt(12) lgkmcnt(3)
	v_fma_f64 v[110:111], v[110:111], v[114:115], 0
	buffer_load_dword v115, off, s[0:3], 0 offset:220
	buffer_load_dword v114, off, s[0:3], 0 offset:216
	s_waitcnt vmcnt(12)
	v_fmac_f64_e32 v[110:111], v[130:131], v[116:117]
	s_waitcnt vmcnt(10) lgkmcnt(2)
	v_fmac_f64_e32 v[110:111], v[132:133], v[118:119]
	buffer_load_dword v119, off, s[0:3], 0 offset:228
	buffer_load_dword v118, off, s[0:3], 0 offset:224
	s_waitcnt vmcnt(10)
	v_fmac_f64_e32 v[110:111], v[134:135], v[120:121]
	s_waitcnt vmcnt(8) lgkmcnt(1)
	v_fmac_f64_e32 v[110:111], v[136:137], v[122:123]
	s_waitcnt vmcnt(6)
	v_fmac_f64_e32 v[110:111], v[138:139], v[124:125]
	s_waitcnt vmcnt(4) lgkmcnt(0)
	v_fmac_f64_e32 v[110:111], v[140:141], v[126:127]
	s_waitcnt vmcnt(2)
	v_fmac_f64_e32 v[110:111], v[114:115], v[128:129]
	ds_read_b128 v[114:117], v112 offset:656
	s_waitcnt vmcnt(0) lgkmcnt(0)
	v_fmac_f64_e32 v[110:111], v[118:119], v[114:115]
	buffer_load_dword v115, off, s[0:3], 0 offset:236
	buffer_load_dword v114, off, s[0:3], 0 offset:232
	buffer_load_dword v119, off, s[0:3], 0 offset:244
	buffer_load_dword v118, off, s[0:3], 0 offset:240
	s_waitcnt vmcnt(2)
	v_fmac_f64_e32 v[110:111], v[114:115], v[116:117]
	ds_read_b128 v[114:117], v112 offset:672
	s_waitcnt vmcnt(0) lgkmcnt(0)
	v_fmac_f64_e32 v[110:111], v[118:119], v[114:115]
	buffer_load_dword v115, off, s[0:3], 0 offset:252
	buffer_load_dword v114, off, s[0:3], 0 offset:248
	buffer_load_dword v119, off, s[0:3], 0 offset:260
	buffer_load_dword v118, off, s[0:3], 0 offset:256
	;; [unrolled: 9-line block ×11, first 2 shown]
	s_waitcnt vmcnt(2)
	v_fmac_f64_e32 v[110:111], v[114:115], v[116:117]
	ds_read_b128 v[114:117], v112 offset:832
	s_waitcnt vmcnt(0) lgkmcnt(0)
	v_fmac_f64_e32 v[110:111], v[118:119], v[114:115]
	buffer_load_dword v115, off, s[0:3], 0 offset:412
	buffer_load_dword v114, off, s[0:3], 0 offset:408
	s_waitcnt vmcnt(0)
	v_fmac_f64_e32 v[110:111], v[114:115], v[116:117]
	buffer_load_dword v115, off, s[0:3], 0 offset:420
	buffer_load_dword v114, off, s[0:3], 0 offset:416
	ds_read_b64 v[116:117], v112 offset:848
	s_waitcnt vmcnt(0) lgkmcnt(0)
	v_fmac_f64_e32 v[110:111], v[114:115], v[116:117]
	v_add_f64 v[108:109], v[108:109], -v[110:111]
	buffer_store_dword v109, off, s[0:3], 0 offset:156
	buffer_store_dword v108, off, s[0:3], 0 offset:152
	s_and_saveexec_b64 s[4:5], vcc
	s_cbranch_execz .LBB116_289
; %bb.288:
	buffer_load_dword v108, off, s[0:3], 0 offset:144
	buffer_load_dword v109, off, s[0:3], 0 offset:148
	s_waitcnt vmcnt(0)
	ds_write_b64 v1, v[108:109]
	buffer_store_dword v112, off, s[0:3], 0 offset:144
	buffer_store_dword v112, off, s[0:3], 0 offset:148
.LBB116_289:
	s_or_b64 exec, exec, s[4:5]
	s_waitcnt lgkmcnt(0)
	; wave barrier
	s_waitcnt lgkmcnt(0)
	buffer_load_dword v108, off, s[0:3], 0 offset:144
	buffer_load_dword v109, off, s[0:3], 0 offset:148
	;; [unrolled: 1-line block ×16, first 2 shown]
	ds_read2_b64 v[114:117], v112 offset0:73 offset1:74
	v_cmp_lt_u32_e32 vcc, 17, v0
	s_waitcnt vmcnt(12) lgkmcnt(0)
	v_fma_f64 v[110:111], v[110:111], v[114:115], 0
	s_waitcnt vmcnt(10)
	v_fmac_f64_e32 v[110:111], v[118:119], v[116:117]
	ds_read2_b64 v[114:117], v112 offset0:75 offset1:76
	s_waitcnt vmcnt(8) lgkmcnt(0)
	v_fmac_f64_e32 v[110:111], v[120:121], v[114:115]
	s_waitcnt vmcnt(6)
	v_fmac_f64_e32 v[110:111], v[122:123], v[116:117]
	ds_read2_b64 v[114:117], v112 offset0:77 offset1:78
	s_waitcnt vmcnt(4) lgkmcnt(0)
	v_fmac_f64_e32 v[110:111], v[124:125], v[114:115]
	;; [unrolled: 5-line block ×3, first 2 shown]
	buffer_load_dword v115, off, s[0:3], 0 offset:212
	buffer_load_dword v114, off, s[0:3], 0 offset:208
	buffer_load_dword v119, off, s[0:3], 0 offset:220
	buffer_load_dword v118, off, s[0:3], 0 offset:216
	s_waitcnt vmcnt(2)
	v_fmac_f64_e32 v[110:111], v[114:115], v[116:117]
	ds_read2_b64 v[114:117], v112 offset0:81 offset1:82
	s_waitcnt vmcnt(0) lgkmcnt(0)
	v_fmac_f64_e32 v[110:111], v[118:119], v[114:115]
	buffer_load_dword v115, off, s[0:3], 0 offset:228
	buffer_load_dword v114, off, s[0:3], 0 offset:224
	buffer_load_dword v119, off, s[0:3], 0 offset:236
	buffer_load_dword v118, off, s[0:3], 0 offset:232
	s_waitcnt vmcnt(2)
	v_fmac_f64_e32 v[110:111], v[114:115], v[116:117]
	ds_read2_b64 v[114:117], v112 offset0:83 offset1:84
	s_waitcnt vmcnt(0) lgkmcnt(0)
	v_fmac_f64_e32 v[110:111], v[118:119], v[114:115]
	buffer_load_dword v115, off, s[0:3], 0 offset:244
	buffer_load_dword v114, off, s[0:3], 0 offset:240
	buffer_load_dword v119, off, s[0:3], 0 offset:252
	buffer_load_dword v118, off, s[0:3], 0 offset:248
	s_waitcnt vmcnt(2)
	v_fmac_f64_e32 v[110:111], v[114:115], v[116:117]
	ds_read2_b64 v[114:117], v112 offset0:85 offset1:86
	s_waitcnt vmcnt(0) lgkmcnt(0)
	v_fmac_f64_e32 v[110:111], v[118:119], v[114:115]
	buffer_load_dword v115, off, s[0:3], 0 offset:260
	buffer_load_dword v114, off, s[0:3], 0 offset:256
	buffer_load_dword v119, off, s[0:3], 0 offset:268
	buffer_load_dword v118, off, s[0:3], 0 offset:264
	s_waitcnt vmcnt(2)
	v_fmac_f64_e32 v[110:111], v[114:115], v[116:117]
	ds_read2_b64 v[114:117], v112 offset0:87 offset1:88
	s_waitcnt vmcnt(0) lgkmcnt(0)
	v_fmac_f64_e32 v[110:111], v[118:119], v[114:115]
	buffer_load_dword v115, off, s[0:3], 0 offset:276
	buffer_load_dword v114, off, s[0:3], 0 offset:272
	buffer_load_dword v119, off, s[0:3], 0 offset:284
	buffer_load_dword v118, off, s[0:3], 0 offset:280
	s_waitcnt vmcnt(2)
	v_fmac_f64_e32 v[110:111], v[114:115], v[116:117]
	ds_read2_b64 v[114:117], v112 offset0:89 offset1:90
	s_waitcnt vmcnt(0) lgkmcnt(0)
	v_fmac_f64_e32 v[110:111], v[118:119], v[114:115]
	buffer_load_dword v115, off, s[0:3], 0 offset:292
	buffer_load_dword v114, off, s[0:3], 0 offset:288
	buffer_load_dword v119, off, s[0:3], 0 offset:300
	buffer_load_dword v118, off, s[0:3], 0 offset:296
	s_waitcnt vmcnt(2)
	v_fmac_f64_e32 v[110:111], v[114:115], v[116:117]
	ds_read2_b64 v[114:117], v112 offset0:91 offset1:92
	s_waitcnt vmcnt(0) lgkmcnt(0)
	v_fmac_f64_e32 v[110:111], v[118:119], v[114:115]
	buffer_load_dword v115, off, s[0:3], 0 offset:308
	buffer_load_dword v114, off, s[0:3], 0 offset:304
	buffer_load_dword v119, off, s[0:3], 0 offset:316
	buffer_load_dword v118, off, s[0:3], 0 offset:312
	s_waitcnt vmcnt(2)
	v_fmac_f64_e32 v[110:111], v[114:115], v[116:117]
	ds_read2_b64 v[114:117], v112 offset0:93 offset1:94
	s_waitcnt vmcnt(0) lgkmcnt(0)
	v_fmac_f64_e32 v[110:111], v[118:119], v[114:115]
	buffer_load_dword v115, off, s[0:3], 0 offset:324
	buffer_load_dword v114, off, s[0:3], 0 offset:320
	buffer_load_dword v119, off, s[0:3], 0 offset:332
	buffer_load_dword v118, off, s[0:3], 0 offset:328
	s_waitcnt vmcnt(2)
	v_fmac_f64_e32 v[110:111], v[114:115], v[116:117]
	ds_read2_b64 v[114:117], v112 offset0:95 offset1:96
	s_waitcnt vmcnt(0) lgkmcnt(0)
	v_fmac_f64_e32 v[110:111], v[118:119], v[114:115]
	buffer_load_dword v115, off, s[0:3], 0 offset:340
	buffer_load_dword v114, off, s[0:3], 0 offset:336
	buffer_load_dword v119, off, s[0:3], 0 offset:348
	buffer_load_dword v118, off, s[0:3], 0 offset:344
	s_waitcnt vmcnt(2)
	v_fmac_f64_e32 v[110:111], v[114:115], v[116:117]
	ds_read2_b64 v[114:117], v112 offset0:97 offset1:98
	s_waitcnt vmcnt(0) lgkmcnt(0)
	v_fmac_f64_e32 v[110:111], v[118:119], v[114:115]
	buffer_load_dword v115, off, s[0:3], 0 offset:356
	buffer_load_dword v114, off, s[0:3], 0 offset:352
	buffer_load_dword v119, off, s[0:3], 0 offset:364
	buffer_load_dword v118, off, s[0:3], 0 offset:360
	s_waitcnt vmcnt(2)
	v_fmac_f64_e32 v[110:111], v[114:115], v[116:117]
	ds_read2_b64 v[114:117], v112 offset0:99 offset1:100
	s_waitcnt vmcnt(0) lgkmcnt(0)
	v_fmac_f64_e32 v[110:111], v[118:119], v[114:115]
	buffer_load_dword v115, off, s[0:3], 0 offset:372
	buffer_load_dword v114, off, s[0:3], 0 offset:368
	buffer_load_dword v119, off, s[0:3], 0 offset:380
	buffer_load_dword v118, off, s[0:3], 0 offset:376
	s_waitcnt vmcnt(2)
	v_fmac_f64_e32 v[110:111], v[114:115], v[116:117]
	ds_read2_b64 v[114:117], v112 offset0:101 offset1:102
	s_waitcnt vmcnt(0) lgkmcnt(0)
	v_fmac_f64_e32 v[110:111], v[118:119], v[114:115]
	buffer_load_dword v115, off, s[0:3], 0 offset:388
	buffer_load_dword v114, off, s[0:3], 0 offset:384
	buffer_load_dword v119, off, s[0:3], 0 offset:396
	buffer_load_dword v118, off, s[0:3], 0 offset:392
	s_waitcnt vmcnt(2)
	v_fmac_f64_e32 v[110:111], v[114:115], v[116:117]
	ds_read2_b64 v[114:117], v112 offset0:103 offset1:104
	s_waitcnt vmcnt(0) lgkmcnt(0)
	v_fmac_f64_e32 v[110:111], v[118:119], v[114:115]
	buffer_load_dword v115, off, s[0:3], 0 offset:404
	buffer_load_dword v114, off, s[0:3], 0 offset:400
	s_waitcnt vmcnt(0)
	v_fmac_f64_e32 v[110:111], v[114:115], v[116:117]
	buffer_load_dword v117, off, s[0:3], 0 offset:412
	buffer_load_dword v116, off, s[0:3], 0 offset:408
	ds_read2_b64 v[112:115], v112 offset0:105 offset1:106
	s_waitcnt vmcnt(0) lgkmcnt(0)
	v_fmac_f64_e32 v[110:111], v[116:117], v[112:113]
	buffer_load_dword v113, off, s[0:3], 0 offset:420
	buffer_load_dword v112, off, s[0:3], 0 offset:416
	s_waitcnt vmcnt(0)
	v_fmac_f64_e32 v[110:111], v[112:113], v[114:115]
	v_add_f64 v[108:109], v[108:109], -v[110:111]
	buffer_store_dword v109, off, s[0:3], 0 offset:148
	buffer_store_dword v108, off, s[0:3], 0 offset:144
	s_and_saveexec_b64 s[4:5], vcc
	s_cbranch_execz .LBB116_291
; %bb.290:
	buffer_load_dword v108, off, s[0:3], 0 offset:136
	buffer_load_dword v109, off, s[0:3], 0 offset:140
	v_mov_b32_e32 v110, 0
	buffer_store_dword v110, off, s[0:3], 0 offset:136
	buffer_store_dword v110, off, s[0:3], 0 offset:140
	s_waitcnt vmcnt(2)
	ds_write_b64 v1, v[108:109]
.LBB116_291:
	s_or_b64 exec, exec, s[4:5]
	s_waitcnt lgkmcnt(0)
	; wave barrier
	s_waitcnt lgkmcnt(0)
	buffer_load_dword v108, off, s[0:3], 0 offset:136
	buffer_load_dword v109, off, s[0:3], 0 offset:140
	;; [unrolled: 1-line block ×16, first 2 shown]
	v_mov_b32_e32 v112, 0
	ds_read_b128 v[114:117], v112 offset:576
	ds_read_b128 v[118:121], v112 offset:592
	;; [unrolled: 1-line block ×4, first 2 shown]
	v_cmp_lt_u32_e32 vcc, 16, v0
	s_waitcnt vmcnt(12) lgkmcnt(3)
	v_fma_f64 v[110:111], v[110:111], v[114:115], 0
	buffer_load_dword v115, off, s[0:3], 0 offset:204
	buffer_load_dword v114, off, s[0:3], 0 offset:200
	s_waitcnt vmcnt(12)
	v_fmac_f64_e32 v[110:111], v[130:131], v[116:117]
	s_waitcnt vmcnt(10) lgkmcnt(2)
	v_fmac_f64_e32 v[110:111], v[132:133], v[118:119]
	buffer_load_dword v119, off, s[0:3], 0 offset:212
	buffer_load_dword v118, off, s[0:3], 0 offset:208
	s_waitcnt vmcnt(10)
	v_fmac_f64_e32 v[110:111], v[134:135], v[120:121]
	s_waitcnt vmcnt(8) lgkmcnt(1)
	v_fmac_f64_e32 v[110:111], v[136:137], v[122:123]
	s_waitcnt vmcnt(6)
	v_fmac_f64_e32 v[110:111], v[138:139], v[124:125]
	s_waitcnt vmcnt(4) lgkmcnt(0)
	v_fmac_f64_e32 v[110:111], v[140:141], v[126:127]
	s_waitcnt vmcnt(2)
	v_fmac_f64_e32 v[110:111], v[114:115], v[128:129]
	ds_read_b128 v[114:117], v112 offset:640
	s_waitcnt vmcnt(0) lgkmcnt(0)
	v_fmac_f64_e32 v[110:111], v[118:119], v[114:115]
	buffer_load_dword v115, off, s[0:3], 0 offset:220
	buffer_load_dword v114, off, s[0:3], 0 offset:216
	buffer_load_dword v119, off, s[0:3], 0 offset:228
	buffer_load_dword v118, off, s[0:3], 0 offset:224
	s_waitcnt vmcnt(2)
	v_fmac_f64_e32 v[110:111], v[114:115], v[116:117]
	ds_read_b128 v[114:117], v112 offset:656
	s_waitcnt vmcnt(0) lgkmcnt(0)
	v_fmac_f64_e32 v[110:111], v[118:119], v[114:115]
	buffer_load_dword v115, off, s[0:3], 0 offset:236
	buffer_load_dword v114, off, s[0:3], 0 offset:232
	buffer_load_dword v119, off, s[0:3], 0 offset:244
	buffer_load_dword v118, off, s[0:3], 0 offset:240
	;; [unrolled: 9-line block ×12, first 2 shown]
	s_waitcnt vmcnt(2)
	v_fmac_f64_e32 v[110:111], v[114:115], v[116:117]
	ds_read_b128 v[114:117], v112 offset:832
	s_waitcnt vmcnt(0) lgkmcnt(0)
	v_fmac_f64_e32 v[110:111], v[118:119], v[114:115]
	buffer_load_dword v115, off, s[0:3], 0 offset:412
	buffer_load_dword v114, off, s[0:3], 0 offset:408
	s_waitcnt vmcnt(0)
	v_fmac_f64_e32 v[110:111], v[114:115], v[116:117]
	buffer_load_dword v115, off, s[0:3], 0 offset:420
	buffer_load_dword v114, off, s[0:3], 0 offset:416
	ds_read_b64 v[116:117], v112 offset:848
	s_waitcnt vmcnt(0) lgkmcnt(0)
	v_fmac_f64_e32 v[110:111], v[114:115], v[116:117]
	v_add_f64 v[108:109], v[108:109], -v[110:111]
	buffer_store_dword v109, off, s[0:3], 0 offset:140
	buffer_store_dword v108, off, s[0:3], 0 offset:136
	s_and_saveexec_b64 s[4:5], vcc
	s_cbranch_execz .LBB116_293
; %bb.292:
	buffer_load_dword v108, off, s[0:3], 0 offset:128
	buffer_load_dword v109, off, s[0:3], 0 offset:132
	s_waitcnt vmcnt(0)
	ds_write_b64 v1, v[108:109]
	buffer_store_dword v112, off, s[0:3], 0 offset:128
	buffer_store_dword v112, off, s[0:3], 0 offset:132
.LBB116_293:
	s_or_b64 exec, exec, s[4:5]
	s_waitcnt lgkmcnt(0)
	; wave barrier
	s_waitcnt lgkmcnt(0)
	buffer_load_dword v108, off, s[0:3], 0 offset:128
	buffer_load_dword v109, off, s[0:3], 0 offset:132
	;; [unrolled: 1-line block ×16, first 2 shown]
	ds_read2_b64 v[114:117], v112 offset0:71 offset1:72
	v_cmp_lt_u32_e32 vcc, 15, v0
	s_waitcnt vmcnt(12) lgkmcnt(0)
	v_fma_f64 v[110:111], v[110:111], v[114:115], 0
	s_waitcnt vmcnt(10)
	v_fmac_f64_e32 v[110:111], v[118:119], v[116:117]
	ds_read2_b64 v[114:117], v112 offset0:73 offset1:74
	s_waitcnt vmcnt(8) lgkmcnt(0)
	v_fmac_f64_e32 v[110:111], v[120:121], v[114:115]
	s_waitcnt vmcnt(6)
	v_fmac_f64_e32 v[110:111], v[122:123], v[116:117]
	ds_read2_b64 v[114:117], v112 offset0:75 offset1:76
	s_waitcnt vmcnt(4) lgkmcnt(0)
	v_fmac_f64_e32 v[110:111], v[124:125], v[114:115]
	;; [unrolled: 5-line block ×3, first 2 shown]
	buffer_load_dword v115, off, s[0:3], 0 offset:196
	buffer_load_dword v114, off, s[0:3], 0 offset:192
	buffer_load_dword v119, off, s[0:3], 0 offset:204
	buffer_load_dword v118, off, s[0:3], 0 offset:200
	s_waitcnt vmcnt(2)
	v_fmac_f64_e32 v[110:111], v[114:115], v[116:117]
	ds_read2_b64 v[114:117], v112 offset0:79 offset1:80
	s_waitcnt vmcnt(0) lgkmcnt(0)
	v_fmac_f64_e32 v[110:111], v[118:119], v[114:115]
	buffer_load_dword v115, off, s[0:3], 0 offset:212
	buffer_load_dword v114, off, s[0:3], 0 offset:208
	buffer_load_dword v119, off, s[0:3], 0 offset:220
	buffer_load_dword v118, off, s[0:3], 0 offset:216
	s_waitcnt vmcnt(2)
	v_fmac_f64_e32 v[110:111], v[114:115], v[116:117]
	ds_read2_b64 v[114:117], v112 offset0:81 offset1:82
	s_waitcnt vmcnt(0) lgkmcnt(0)
	v_fmac_f64_e32 v[110:111], v[118:119], v[114:115]
	;; [unrolled: 9-line block ×13, first 2 shown]
	buffer_load_dword v115, off, s[0:3], 0 offset:404
	buffer_load_dword v114, off, s[0:3], 0 offset:400
	s_waitcnt vmcnt(0)
	v_fmac_f64_e32 v[110:111], v[114:115], v[116:117]
	buffer_load_dword v117, off, s[0:3], 0 offset:412
	buffer_load_dword v116, off, s[0:3], 0 offset:408
	ds_read2_b64 v[112:115], v112 offset0:105 offset1:106
	s_waitcnt vmcnt(0) lgkmcnt(0)
	v_fmac_f64_e32 v[110:111], v[116:117], v[112:113]
	buffer_load_dword v113, off, s[0:3], 0 offset:420
	buffer_load_dword v112, off, s[0:3], 0 offset:416
	s_waitcnt vmcnt(0)
	v_fmac_f64_e32 v[110:111], v[112:113], v[114:115]
	v_add_f64 v[108:109], v[108:109], -v[110:111]
	buffer_store_dword v109, off, s[0:3], 0 offset:132
	buffer_store_dword v108, off, s[0:3], 0 offset:128
	s_and_saveexec_b64 s[4:5], vcc
	s_cbranch_execz .LBB116_295
; %bb.294:
	buffer_load_dword v108, off, s[0:3], 0 offset:120
	buffer_load_dword v109, off, s[0:3], 0 offset:124
	v_mov_b32_e32 v110, 0
	buffer_store_dword v110, off, s[0:3], 0 offset:120
	buffer_store_dword v110, off, s[0:3], 0 offset:124
	s_waitcnt vmcnt(2)
	ds_write_b64 v1, v[108:109]
.LBB116_295:
	s_or_b64 exec, exec, s[4:5]
	s_waitcnt lgkmcnt(0)
	; wave barrier
	s_waitcnt lgkmcnt(0)
	buffer_load_dword v108, off, s[0:3], 0 offset:120
	buffer_load_dword v109, off, s[0:3], 0 offset:124
	;; [unrolled: 1-line block ×16, first 2 shown]
	v_mov_b32_e32 v112, 0
	ds_read_b128 v[114:117], v112 offset:560
	ds_read_b128 v[118:121], v112 offset:576
	;; [unrolled: 1-line block ×4, first 2 shown]
	v_cmp_lt_u32_e32 vcc, 14, v0
	s_waitcnt vmcnt(12) lgkmcnt(3)
	v_fma_f64 v[110:111], v[110:111], v[114:115], 0
	buffer_load_dword v115, off, s[0:3], 0 offset:188
	buffer_load_dword v114, off, s[0:3], 0 offset:184
	s_waitcnt vmcnt(12)
	v_fmac_f64_e32 v[110:111], v[130:131], v[116:117]
	s_waitcnt vmcnt(10) lgkmcnt(2)
	v_fmac_f64_e32 v[110:111], v[132:133], v[118:119]
	buffer_load_dword v119, off, s[0:3], 0 offset:196
	buffer_load_dword v118, off, s[0:3], 0 offset:192
	s_waitcnt vmcnt(10)
	v_fmac_f64_e32 v[110:111], v[134:135], v[120:121]
	s_waitcnt vmcnt(8) lgkmcnt(1)
	v_fmac_f64_e32 v[110:111], v[136:137], v[122:123]
	s_waitcnt vmcnt(6)
	v_fmac_f64_e32 v[110:111], v[138:139], v[124:125]
	s_waitcnt vmcnt(4) lgkmcnt(0)
	v_fmac_f64_e32 v[110:111], v[140:141], v[126:127]
	s_waitcnt vmcnt(2)
	v_fmac_f64_e32 v[110:111], v[114:115], v[128:129]
	ds_read_b128 v[114:117], v112 offset:624
	s_waitcnt vmcnt(0) lgkmcnt(0)
	v_fmac_f64_e32 v[110:111], v[118:119], v[114:115]
	buffer_load_dword v115, off, s[0:3], 0 offset:204
	buffer_load_dword v114, off, s[0:3], 0 offset:200
	buffer_load_dword v119, off, s[0:3], 0 offset:212
	buffer_load_dword v118, off, s[0:3], 0 offset:208
	s_waitcnt vmcnt(2)
	v_fmac_f64_e32 v[110:111], v[114:115], v[116:117]
	ds_read_b128 v[114:117], v112 offset:640
	s_waitcnt vmcnt(0) lgkmcnt(0)
	v_fmac_f64_e32 v[110:111], v[118:119], v[114:115]
	buffer_load_dword v115, off, s[0:3], 0 offset:220
	buffer_load_dword v114, off, s[0:3], 0 offset:216
	buffer_load_dword v119, off, s[0:3], 0 offset:228
	buffer_load_dword v118, off, s[0:3], 0 offset:224
	;; [unrolled: 9-line block ×13, first 2 shown]
	s_waitcnt vmcnt(2)
	v_fmac_f64_e32 v[110:111], v[114:115], v[116:117]
	ds_read_b128 v[114:117], v112 offset:832
	s_waitcnt vmcnt(0) lgkmcnt(0)
	v_fmac_f64_e32 v[110:111], v[118:119], v[114:115]
	buffer_load_dword v115, off, s[0:3], 0 offset:412
	buffer_load_dword v114, off, s[0:3], 0 offset:408
	s_waitcnt vmcnt(0)
	v_fmac_f64_e32 v[110:111], v[114:115], v[116:117]
	buffer_load_dword v115, off, s[0:3], 0 offset:420
	buffer_load_dword v114, off, s[0:3], 0 offset:416
	ds_read_b64 v[116:117], v112 offset:848
	s_waitcnt vmcnt(0) lgkmcnt(0)
	v_fmac_f64_e32 v[110:111], v[114:115], v[116:117]
	v_add_f64 v[108:109], v[108:109], -v[110:111]
	buffer_store_dword v109, off, s[0:3], 0 offset:124
	buffer_store_dword v108, off, s[0:3], 0 offset:120
	s_and_saveexec_b64 s[4:5], vcc
	s_cbranch_execz .LBB116_297
; %bb.296:
	buffer_load_dword v108, off, s[0:3], 0 offset:112
	buffer_load_dword v109, off, s[0:3], 0 offset:116
	s_waitcnt vmcnt(0)
	ds_write_b64 v1, v[108:109]
	buffer_store_dword v112, off, s[0:3], 0 offset:112
	buffer_store_dword v112, off, s[0:3], 0 offset:116
.LBB116_297:
	s_or_b64 exec, exec, s[4:5]
	s_waitcnt lgkmcnt(0)
	; wave barrier
	s_waitcnt lgkmcnt(0)
	buffer_load_dword v108, off, s[0:3], 0 offset:112
	buffer_load_dword v109, off, s[0:3], 0 offset:116
	;; [unrolled: 1-line block ×16, first 2 shown]
	ds_read2_b64 v[114:117], v112 offset0:69 offset1:70
	v_cmp_lt_u32_e32 vcc, 13, v0
	s_waitcnt vmcnt(12) lgkmcnt(0)
	v_fma_f64 v[110:111], v[110:111], v[114:115], 0
	s_waitcnt vmcnt(10)
	v_fmac_f64_e32 v[110:111], v[118:119], v[116:117]
	ds_read2_b64 v[114:117], v112 offset0:71 offset1:72
	s_waitcnt vmcnt(8) lgkmcnt(0)
	v_fmac_f64_e32 v[110:111], v[120:121], v[114:115]
	s_waitcnt vmcnt(6)
	v_fmac_f64_e32 v[110:111], v[122:123], v[116:117]
	ds_read2_b64 v[114:117], v112 offset0:73 offset1:74
	s_waitcnt vmcnt(4) lgkmcnt(0)
	v_fmac_f64_e32 v[110:111], v[124:125], v[114:115]
	;; [unrolled: 5-line block ×3, first 2 shown]
	buffer_load_dword v115, off, s[0:3], 0 offset:180
	buffer_load_dword v114, off, s[0:3], 0 offset:176
	buffer_load_dword v119, off, s[0:3], 0 offset:188
	buffer_load_dword v118, off, s[0:3], 0 offset:184
	s_waitcnt vmcnt(2)
	v_fmac_f64_e32 v[110:111], v[114:115], v[116:117]
	ds_read2_b64 v[114:117], v112 offset0:77 offset1:78
	s_waitcnt vmcnt(0) lgkmcnt(0)
	v_fmac_f64_e32 v[110:111], v[118:119], v[114:115]
	buffer_load_dword v115, off, s[0:3], 0 offset:196
	buffer_load_dword v114, off, s[0:3], 0 offset:192
	buffer_load_dword v119, off, s[0:3], 0 offset:204
	buffer_load_dword v118, off, s[0:3], 0 offset:200
	s_waitcnt vmcnt(2)
	v_fmac_f64_e32 v[110:111], v[114:115], v[116:117]
	ds_read2_b64 v[114:117], v112 offset0:79 offset1:80
	s_waitcnt vmcnt(0) lgkmcnt(0)
	v_fmac_f64_e32 v[110:111], v[118:119], v[114:115]
	;; [unrolled: 9-line block ×14, first 2 shown]
	buffer_load_dword v115, off, s[0:3], 0 offset:404
	buffer_load_dword v114, off, s[0:3], 0 offset:400
	s_waitcnt vmcnt(0)
	v_fmac_f64_e32 v[110:111], v[114:115], v[116:117]
	buffer_load_dword v117, off, s[0:3], 0 offset:412
	buffer_load_dword v116, off, s[0:3], 0 offset:408
	ds_read2_b64 v[112:115], v112 offset0:105 offset1:106
	s_waitcnt vmcnt(0) lgkmcnt(0)
	v_fmac_f64_e32 v[110:111], v[116:117], v[112:113]
	buffer_load_dword v113, off, s[0:3], 0 offset:420
	buffer_load_dword v112, off, s[0:3], 0 offset:416
	s_waitcnt vmcnt(0)
	v_fmac_f64_e32 v[110:111], v[112:113], v[114:115]
	v_add_f64 v[108:109], v[108:109], -v[110:111]
	buffer_store_dword v109, off, s[0:3], 0 offset:116
	buffer_store_dword v108, off, s[0:3], 0 offset:112
	s_and_saveexec_b64 s[4:5], vcc
	s_cbranch_execz .LBB116_299
; %bb.298:
	buffer_load_dword v108, off, s[0:3], 0 offset:104
	buffer_load_dword v109, off, s[0:3], 0 offset:108
	v_mov_b32_e32 v110, 0
	buffer_store_dword v110, off, s[0:3], 0 offset:104
	buffer_store_dword v110, off, s[0:3], 0 offset:108
	s_waitcnt vmcnt(2)
	ds_write_b64 v1, v[108:109]
.LBB116_299:
	s_or_b64 exec, exec, s[4:5]
	s_waitcnt lgkmcnt(0)
	; wave barrier
	s_waitcnt lgkmcnt(0)
	buffer_load_dword v108, off, s[0:3], 0 offset:104
	buffer_load_dword v109, off, s[0:3], 0 offset:108
	;; [unrolled: 1-line block ×16, first 2 shown]
	v_mov_b32_e32 v112, 0
	ds_read_b128 v[114:117], v112 offset:544
	ds_read_b128 v[118:121], v112 offset:560
	;; [unrolled: 1-line block ×4, first 2 shown]
	v_cmp_lt_u32_e32 vcc, 12, v0
	s_waitcnt vmcnt(12) lgkmcnt(3)
	v_fma_f64 v[110:111], v[110:111], v[114:115], 0
	buffer_load_dword v115, off, s[0:3], 0 offset:172
	buffer_load_dword v114, off, s[0:3], 0 offset:168
	s_waitcnt vmcnt(12)
	v_fmac_f64_e32 v[110:111], v[130:131], v[116:117]
	s_waitcnt vmcnt(10) lgkmcnt(2)
	v_fmac_f64_e32 v[110:111], v[132:133], v[118:119]
	buffer_load_dword v119, off, s[0:3], 0 offset:180
	buffer_load_dword v118, off, s[0:3], 0 offset:176
	s_waitcnt vmcnt(10)
	v_fmac_f64_e32 v[110:111], v[134:135], v[120:121]
	s_waitcnt vmcnt(8) lgkmcnt(1)
	v_fmac_f64_e32 v[110:111], v[136:137], v[122:123]
	s_waitcnt vmcnt(6)
	v_fmac_f64_e32 v[110:111], v[138:139], v[124:125]
	s_waitcnt vmcnt(4) lgkmcnt(0)
	v_fmac_f64_e32 v[110:111], v[140:141], v[126:127]
	s_waitcnt vmcnt(2)
	v_fmac_f64_e32 v[110:111], v[114:115], v[128:129]
	ds_read_b128 v[114:117], v112 offset:608
	s_waitcnt vmcnt(0) lgkmcnt(0)
	v_fmac_f64_e32 v[110:111], v[118:119], v[114:115]
	buffer_load_dword v115, off, s[0:3], 0 offset:188
	buffer_load_dword v114, off, s[0:3], 0 offset:184
	buffer_load_dword v119, off, s[0:3], 0 offset:196
	buffer_load_dword v118, off, s[0:3], 0 offset:192
	s_waitcnt vmcnt(2)
	v_fmac_f64_e32 v[110:111], v[114:115], v[116:117]
	ds_read_b128 v[114:117], v112 offset:624
	s_waitcnt vmcnt(0) lgkmcnt(0)
	v_fmac_f64_e32 v[110:111], v[118:119], v[114:115]
	buffer_load_dword v115, off, s[0:3], 0 offset:204
	buffer_load_dword v114, off, s[0:3], 0 offset:200
	buffer_load_dword v119, off, s[0:3], 0 offset:212
	buffer_load_dword v118, off, s[0:3], 0 offset:208
	;; [unrolled: 9-line block ×14, first 2 shown]
	s_waitcnt vmcnt(2)
	v_fmac_f64_e32 v[110:111], v[114:115], v[116:117]
	ds_read_b128 v[114:117], v112 offset:832
	s_waitcnt vmcnt(0) lgkmcnt(0)
	v_fmac_f64_e32 v[110:111], v[118:119], v[114:115]
	buffer_load_dword v115, off, s[0:3], 0 offset:412
	buffer_load_dword v114, off, s[0:3], 0 offset:408
	s_waitcnt vmcnt(0)
	v_fmac_f64_e32 v[110:111], v[114:115], v[116:117]
	buffer_load_dword v115, off, s[0:3], 0 offset:420
	buffer_load_dword v114, off, s[0:3], 0 offset:416
	ds_read_b64 v[116:117], v112 offset:848
	s_waitcnt vmcnt(0) lgkmcnt(0)
	v_fmac_f64_e32 v[110:111], v[114:115], v[116:117]
	v_add_f64 v[108:109], v[108:109], -v[110:111]
	buffer_store_dword v109, off, s[0:3], 0 offset:108
	buffer_store_dword v108, off, s[0:3], 0 offset:104
	s_and_saveexec_b64 s[4:5], vcc
	s_cbranch_execz .LBB116_301
; %bb.300:
	buffer_load_dword v108, off, s[0:3], 0 offset:96
	buffer_load_dword v109, off, s[0:3], 0 offset:100
	s_waitcnt vmcnt(0)
	ds_write_b64 v1, v[108:109]
	buffer_store_dword v112, off, s[0:3], 0 offset:96
	buffer_store_dword v112, off, s[0:3], 0 offset:100
.LBB116_301:
	s_or_b64 exec, exec, s[4:5]
	s_waitcnt lgkmcnt(0)
	; wave barrier
	s_waitcnt lgkmcnt(0)
	buffer_load_dword v108, off, s[0:3], 0 offset:96
	buffer_load_dword v109, off, s[0:3], 0 offset:100
	;; [unrolled: 1-line block ×16, first 2 shown]
	ds_read2_b64 v[114:117], v112 offset0:67 offset1:68
	v_cmp_lt_u32_e32 vcc, 11, v0
	s_waitcnt vmcnt(12) lgkmcnt(0)
	v_fma_f64 v[110:111], v[110:111], v[114:115], 0
	s_waitcnt vmcnt(10)
	v_fmac_f64_e32 v[110:111], v[118:119], v[116:117]
	ds_read2_b64 v[114:117], v112 offset0:69 offset1:70
	s_waitcnt vmcnt(8) lgkmcnt(0)
	v_fmac_f64_e32 v[110:111], v[120:121], v[114:115]
	s_waitcnt vmcnt(6)
	v_fmac_f64_e32 v[110:111], v[122:123], v[116:117]
	ds_read2_b64 v[114:117], v112 offset0:71 offset1:72
	s_waitcnt vmcnt(4) lgkmcnt(0)
	v_fmac_f64_e32 v[110:111], v[124:125], v[114:115]
	;; [unrolled: 5-line block ×3, first 2 shown]
	buffer_load_dword v115, off, s[0:3], 0 offset:164
	buffer_load_dword v114, off, s[0:3], 0 offset:160
	buffer_load_dword v119, off, s[0:3], 0 offset:172
	buffer_load_dword v118, off, s[0:3], 0 offset:168
	s_waitcnt vmcnt(2)
	v_fmac_f64_e32 v[110:111], v[114:115], v[116:117]
	ds_read2_b64 v[114:117], v112 offset0:75 offset1:76
	s_waitcnt vmcnt(0) lgkmcnt(0)
	v_fmac_f64_e32 v[110:111], v[118:119], v[114:115]
	buffer_load_dword v115, off, s[0:3], 0 offset:180
	buffer_load_dword v114, off, s[0:3], 0 offset:176
	buffer_load_dword v119, off, s[0:3], 0 offset:188
	buffer_load_dword v118, off, s[0:3], 0 offset:184
	s_waitcnt vmcnt(2)
	v_fmac_f64_e32 v[110:111], v[114:115], v[116:117]
	ds_read2_b64 v[114:117], v112 offset0:77 offset1:78
	s_waitcnt vmcnt(0) lgkmcnt(0)
	v_fmac_f64_e32 v[110:111], v[118:119], v[114:115]
	;; [unrolled: 9-line block ×15, first 2 shown]
	buffer_load_dword v115, off, s[0:3], 0 offset:404
	buffer_load_dword v114, off, s[0:3], 0 offset:400
	s_waitcnt vmcnt(0)
	v_fmac_f64_e32 v[110:111], v[114:115], v[116:117]
	buffer_load_dword v117, off, s[0:3], 0 offset:412
	buffer_load_dword v116, off, s[0:3], 0 offset:408
	ds_read2_b64 v[112:115], v112 offset0:105 offset1:106
	s_waitcnt vmcnt(0) lgkmcnt(0)
	v_fmac_f64_e32 v[110:111], v[116:117], v[112:113]
	buffer_load_dword v113, off, s[0:3], 0 offset:420
	buffer_load_dword v112, off, s[0:3], 0 offset:416
	s_waitcnt vmcnt(0)
	v_fmac_f64_e32 v[110:111], v[112:113], v[114:115]
	v_add_f64 v[108:109], v[108:109], -v[110:111]
	buffer_store_dword v109, off, s[0:3], 0 offset:100
	buffer_store_dword v108, off, s[0:3], 0 offset:96
	s_and_saveexec_b64 s[4:5], vcc
	s_cbranch_execz .LBB116_303
; %bb.302:
	buffer_load_dword v108, off, s[0:3], 0 offset:88
	buffer_load_dword v109, off, s[0:3], 0 offset:92
	v_mov_b32_e32 v110, 0
	buffer_store_dword v110, off, s[0:3], 0 offset:88
	buffer_store_dword v110, off, s[0:3], 0 offset:92
	s_waitcnt vmcnt(2)
	ds_write_b64 v1, v[108:109]
.LBB116_303:
	s_or_b64 exec, exec, s[4:5]
	s_waitcnt lgkmcnt(0)
	; wave barrier
	s_waitcnt lgkmcnt(0)
	buffer_load_dword v108, off, s[0:3], 0 offset:88
	buffer_load_dword v109, off, s[0:3], 0 offset:92
	;; [unrolled: 1-line block ×16, first 2 shown]
	v_mov_b32_e32 v112, 0
	ds_read_b128 v[114:117], v112 offset:528
	ds_read_b128 v[118:121], v112 offset:544
	;; [unrolled: 1-line block ×4, first 2 shown]
	v_cmp_lt_u32_e32 vcc, 10, v0
	s_waitcnt vmcnt(12) lgkmcnt(3)
	v_fma_f64 v[110:111], v[110:111], v[114:115], 0
	buffer_load_dword v115, off, s[0:3], 0 offset:156
	buffer_load_dword v114, off, s[0:3], 0 offset:152
	s_waitcnt vmcnt(12)
	v_fmac_f64_e32 v[110:111], v[130:131], v[116:117]
	s_waitcnt vmcnt(10) lgkmcnt(2)
	v_fmac_f64_e32 v[110:111], v[132:133], v[118:119]
	buffer_load_dword v119, off, s[0:3], 0 offset:164
	buffer_load_dword v118, off, s[0:3], 0 offset:160
	s_waitcnt vmcnt(10)
	v_fmac_f64_e32 v[110:111], v[134:135], v[120:121]
	s_waitcnt vmcnt(8) lgkmcnt(1)
	v_fmac_f64_e32 v[110:111], v[136:137], v[122:123]
	s_waitcnt vmcnt(6)
	v_fmac_f64_e32 v[110:111], v[138:139], v[124:125]
	s_waitcnt vmcnt(4) lgkmcnt(0)
	v_fmac_f64_e32 v[110:111], v[140:141], v[126:127]
	s_waitcnt vmcnt(2)
	v_fmac_f64_e32 v[110:111], v[114:115], v[128:129]
	ds_read_b128 v[114:117], v112 offset:592
	s_waitcnt vmcnt(0) lgkmcnt(0)
	v_fmac_f64_e32 v[110:111], v[118:119], v[114:115]
	buffer_load_dword v115, off, s[0:3], 0 offset:172
	buffer_load_dword v114, off, s[0:3], 0 offset:168
	buffer_load_dword v119, off, s[0:3], 0 offset:180
	buffer_load_dword v118, off, s[0:3], 0 offset:176
	s_waitcnt vmcnt(2)
	v_fmac_f64_e32 v[110:111], v[114:115], v[116:117]
	ds_read_b128 v[114:117], v112 offset:608
	s_waitcnt vmcnt(0) lgkmcnt(0)
	v_fmac_f64_e32 v[110:111], v[118:119], v[114:115]
	buffer_load_dword v115, off, s[0:3], 0 offset:188
	buffer_load_dword v114, off, s[0:3], 0 offset:184
	buffer_load_dword v119, off, s[0:3], 0 offset:196
	buffer_load_dword v118, off, s[0:3], 0 offset:192
	;; [unrolled: 9-line block ×15, first 2 shown]
	s_waitcnt vmcnt(2)
	v_fmac_f64_e32 v[110:111], v[114:115], v[116:117]
	ds_read_b128 v[114:117], v112 offset:832
	s_waitcnt vmcnt(0) lgkmcnt(0)
	v_fmac_f64_e32 v[110:111], v[118:119], v[114:115]
	buffer_load_dword v115, off, s[0:3], 0 offset:412
	buffer_load_dword v114, off, s[0:3], 0 offset:408
	s_waitcnt vmcnt(0)
	v_fmac_f64_e32 v[110:111], v[114:115], v[116:117]
	buffer_load_dword v115, off, s[0:3], 0 offset:420
	buffer_load_dword v114, off, s[0:3], 0 offset:416
	ds_read_b64 v[116:117], v112 offset:848
	s_waitcnt vmcnt(0) lgkmcnt(0)
	v_fmac_f64_e32 v[110:111], v[114:115], v[116:117]
	v_add_f64 v[108:109], v[108:109], -v[110:111]
	buffer_store_dword v109, off, s[0:3], 0 offset:92
	buffer_store_dword v108, off, s[0:3], 0 offset:88
	s_and_saveexec_b64 s[4:5], vcc
	s_cbranch_execz .LBB116_305
; %bb.304:
	buffer_load_dword v108, off, s[0:3], 0 offset:80
	buffer_load_dword v109, off, s[0:3], 0 offset:84
	s_waitcnt vmcnt(0)
	ds_write_b64 v1, v[108:109]
	buffer_store_dword v112, off, s[0:3], 0 offset:80
	buffer_store_dword v112, off, s[0:3], 0 offset:84
.LBB116_305:
	s_or_b64 exec, exec, s[4:5]
	s_waitcnt lgkmcnt(0)
	; wave barrier
	s_waitcnt lgkmcnt(0)
	buffer_load_dword v108, off, s[0:3], 0 offset:80
	buffer_load_dword v109, off, s[0:3], 0 offset:84
	;; [unrolled: 1-line block ×16, first 2 shown]
	ds_read2_b64 v[114:117], v112 offset0:65 offset1:66
	v_cmp_lt_u32_e32 vcc, 9, v0
	s_waitcnt vmcnt(12) lgkmcnt(0)
	v_fma_f64 v[110:111], v[110:111], v[114:115], 0
	s_waitcnt vmcnt(10)
	v_fmac_f64_e32 v[110:111], v[118:119], v[116:117]
	ds_read2_b64 v[114:117], v112 offset0:67 offset1:68
	s_waitcnt vmcnt(8) lgkmcnt(0)
	v_fmac_f64_e32 v[110:111], v[120:121], v[114:115]
	s_waitcnt vmcnt(6)
	v_fmac_f64_e32 v[110:111], v[122:123], v[116:117]
	ds_read2_b64 v[114:117], v112 offset0:69 offset1:70
	s_waitcnt vmcnt(4) lgkmcnt(0)
	v_fmac_f64_e32 v[110:111], v[124:125], v[114:115]
	;; [unrolled: 5-line block ×3, first 2 shown]
	buffer_load_dword v115, off, s[0:3], 0 offset:148
	buffer_load_dword v114, off, s[0:3], 0 offset:144
	buffer_load_dword v119, off, s[0:3], 0 offset:156
	buffer_load_dword v118, off, s[0:3], 0 offset:152
	s_waitcnt vmcnt(2)
	v_fmac_f64_e32 v[110:111], v[114:115], v[116:117]
	ds_read2_b64 v[114:117], v112 offset0:73 offset1:74
	s_waitcnt vmcnt(0) lgkmcnt(0)
	v_fmac_f64_e32 v[110:111], v[118:119], v[114:115]
	buffer_load_dword v115, off, s[0:3], 0 offset:164
	buffer_load_dword v114, off, s[0:3], 0 offset:160
	buffer_load_dword v119, off, s[0:3], 0 offset:172
	buffer_load_dword v118, off, s[0:3], 0 offset:168
	s_waitcnt vmcnt(2)
	v_fmac_f64_e32 v[110:111], v[114:115], v[116:117]
	ds_read2_b64 v[114:117], v112 offset0:75 offset1:76
	s_waitcnt vmcnt(0) lgkmcnt(0)
	v_fmac_f64_e32 v[110:111], v[118:119], v[114:115]
	;; [unrolled: 9-line block ×16, first 2 shown]
	buffer_load_dword v115, off, s[0:3], 0 offset:404
	buffer_load_dword v114, off, s[0:3], 0 offset:400
	s_waitcnt vmcnt(0)
	v_fmac_f64_e32 v[110:111], v[114:115], v[116:117]
	buffer_load_dword v117, off, s[0:3], 0 offset:412
	buffer_load_dword v116, off, s[0:3], 0 offset:408
	ds_read2_b64 v[112:115], v112 offset0:105 offset1:106
	s_waitcnt vmcnt(0) lgkmcnt(0)
	v_fmac_f64_e32 v[110:111], v[116:117], v[112:113]
	buffer_load_dword v113, off, s[0:3], 0 offset:420
	buffer_load_dword v112, off, s[0:3], 0 offset:416
	s_waitcnt vmcnt(0)
	v_fmac_f64_e32 v[110:111], v[112:113], v[114:115]
	v_add_f64 v[108:109], v[108:109], -v[110:111]
	buffer_store_dword v109, off, s[0:3], 0 offset:84
	buffer_store_dword v108, off, s[0:3], 0 offset:80
	s_and_saveexec_b64 s[4:5], vcc
	s_cbranch_execz .LBB116_307
; %bb.306:
	buffer_load_dword v108, off, s[0:3], 0 offset:72
	buffer_load_dword v109, off, s[0:3], 0 offset:76
	v_mov_b32_e32 v110, 0
	buffer_store_dword v110, off, s[0:3], 0 offset:72
	buffer_store_dword v110, off, s[0:3], 0 offset:76
	s_waitcnt vmcnt(2)
	ds_write_b64 v1, v[108:109]
.LBB116_307:
	s_or_b64 exec, exec, s[4:5]
	s_waitcnt lgkmcnt(0)
	; wave barrier
	s_waitcnt lgkmcnt(0)
	buffer_load_dword v108, off, s[0:3], 0 offset:72
	buffer_load_dword v109, off, s[0:3], 0 offset:76
	;; [unrolled: 1-line block ×16, first 2 shown]
	v_mov_b32_e32 v112, 0
	ds_read_b128 v[114:117], v112 offset:512
	ds_read_b128 v[118:121], v112 offset:528
	;; [unrolled: 1-line block ×4, first 2 shown]
	v_cmp_lt_u32_e32 vcc, 8, v0
	s_waitcnt vmcnt(12) lgkmcnt(3)
	v_fma_f64 v[110:111], v[110:111], v[114:115], 0
	buffer_load_dword v115, off, s[0:3], 0 offset:140
	buffer_load_dword v114, off, s[0:3], 0 offset:136
	s_waitcnt vmcnt(12)
	v_fmac_f64_e32 v[110:111], v[130:131], v[116:117]
	s_waitcnt vmcnt(10) lgkmcnt(2)
	v_fmac_f64_e32 v[110:111], v[132:133], v[118:119]
	buffer_load_dword v119, off, s[0:3], 0 offset:148
	buffer_load_dword v118, off, s[0:3], 0 offset:144
	s_waitcnt vmcnt(10)
	v_fmac_f64_e32 v[110:111], v[134:135], v[120:121]
	s_waitcnt vmcnt(8) lgkmcnt(1)
	v_fmac_f64_e32 v[110:111], v[136:137], v[122:123]
	s_waitcnt vmcnt(6)
	v_fmac_f64_e32 v[110:111], v[138:139], v[124:125]
	s_waitcnt vmcnt(4) lgkmcnt(0)
	v_fmac_f64_e32 v[110:111], v[140:141], v[126:127]
	s_waitcnt vmcnt(2)
	v_fmac_f64_e32 v[110:111], v[114:115], v[128:129]
	ds_read_b128 v[114:117], v112 offset:576
	s_waitcnt vmcnt(0) lgkmcnt(0)
	v_fmac_f64_e32 v[110:111], v[118:119], v[114:115]
	buffer_load_dword v115, off, s[0:3], 0 offset:156
	buffer_load_dword v114, off, s[0:3], 0 offset:152
	buffer_load_dword v119, off, s[0:3], 0 offset:164
	buffer_load_dword v118, off, s[0:3], 0 offset:160
	s_waitcnt vmcnt(2)
	v_fmac_f64_e32 v[110:111], v[114:115], v[116:117]
	ds_read_b128 v[114:117], v112 offset:592
	s_waitcnt vmcnt(0) lgkmcnt(0)
	v_fmac_f64_e32 v[110:111], v[118:119], v[114:115]
	buffer_load_dword v115, off, s[0:3], 0 offset:172
	buffer_load_dword v114, off, s[0:3], 0 offset:168
	buffer_load_dword v119, off, s[0:3], 0 offset:180
	buffer_load_dword v118, off, s[0:3], 0 offset:176
	;; [unrolled: 9-line block ×16, first 2 shown]
	s_waitcnt vmcnt(2)
	v_fmac_f64_e32 v[110:111], v[114:115], v[116:117]
	ds_read_b128 v[114:117], v112 offset:832
	s_waitcnt vmcnt(0) lgkmcnt(0)
	v_fmac_f64_e32 v[110:111], v[118:119], v[114:115]
	buffer_load_dword v115, off, s[0:3], 0 offset:412
	buffer_load_dword v114, off, s[0:3], 0 offset:408
	s_waitcnt vmcnt(0)
	v_fmac_f64_e32 v[110:111], v[114:115], v[116:117]
	buffer_load_dword v115, off, s[0:3], 0 offset:420
	buffer_load_dword v114, off, s[0:3], 0 offset:416
	ds_read_b64 v[116:117], v112 offset:848
	s_waitcnt vmcnt(0) lgkmcnt(0)
	v_fmac_f64_e32 v[110:111], v[114:115], v[116:117]
	v_add_f64 v[108:109], v[108:109], -v[110:111]
	buffer_store_dword v109, off, s[0:3], 0 offset:76
	buffer_store_dword v108, off, s[0:3], 0 offset:72
	s_and_saveexec_b64 s[4:5], vcc
	s_cbranch_execz .LBB116_309
; %bb.308:
	buffer_load_dword v108, off, s[0:3], 0 offset:64
	buffer_load_dword v109, off, s[0:3], 0 offset:68
	s_waitcnt vmcnt(0)
	ds_write_b64 v1, v[108:109]
	buffer_store_dword v112, off, s[0:3], 0 offset:64
	buffer_store_dword v112, off, s[0:3], 0 offset:68
.LBB116_309:
	s_or_b64 exec, exec, s[4:5]
	s_waitcnt lgkmcnt(0)
	; wave barrier
	s_waitcnt lgkmcnt(0)
	buffer_load_dword v108, off, s[0:3], 0 offset:64
	buffer_load_dword v109, off, s[0:3], 0 offset:68
	;; [unrolled: 1-line block ×16, first 2 shown]
	ds_read2_b64 v[114:117], v112 offset0:63 offset1:64
	v_cmp_lt_u32_e32 vcc, 7, v0
	s_waitcnt vmcnt(12) lgkmcnt(0)
	v_fma_f64 v[110:111], v[110:111], v[114:115], 0
	s_waitcnt vmcnt(10)
	v_fmac_f64_e32 v[110:111], v[118:119], v[116:117]
	ds_read2_b64 v[114:117], v112 offset0:65 offset1:66
	s_waitcnt vmcnt(8) lgkmcnt(0)
	v_fmac_f64_e32 v[110:111], v[120:121], v[114:115]
	s_waitcnt vmcnt(6)
	v_fmac_f64_e32 v[110:111], v[122:123], v[116:117]
	ds_read2_b64 v[114:117], v112 offset0:67 offset1:68
	s_waitcnt vmcnt(4) lgkmcnt(0)
	v_fmac_f64_e32 v[110:111], v[124:125], v[114:115]
	s_waitcnt vmcnt(2)
	v_fmac_f64_e32 v[110:111], v[126:127], v[116:117]
	ds_read2_b64 v[114:117], v112 offset0:69 offset1:70
	s_waitcnt vmcnt(0) lgkmcnt(0)
	v_fmac_f64_e32 v[110:111], v[128:129], v[114:115]
	buffer_load_dword v115, off, s[0:3], 0 offset:132
	buffer_load_dword v114, off, s[0:3], 0 offset:128
	buffer_load_dword v119, off, s[0:3], 0 offset:140
	buffer_load_dword v118, off, s[0:3], 0 offset:136
	s_waitcnt vmcnt(2)
	v_fmac_f64_e32 v[110:111], v[114:115], v[116:117]
	ds_read2_b64 v[114:117], v112 offset0:71 offset1:72
	s_waitcnt vmcnt(0) lgkmcnt(0)
	v_fmac_f64_e32 v[110:111], v[118:119], v[114:115]
	buffer_load_dword v115, off, s[0:3], 0 offset:148
	buffer_load_dword v114, off, s[0:3], 0 offset:144
	buffer_load_dword v119, off, s[0:3], 0 offset:156
	buffer_load_dword v118, off, s[0:3], 0 offset:152
	s_waitcnt vmcnt(2)
	v_fmac_f64_e32 v[110:111], v[114:115], v[116:117]
	ds_read2_b64 v[114:117], v112 offset0:73 offset1:74
	s_waitcnt vmcnt(0) lgkmcnt(0)
	v_fmac_f64_e32 v[110:111], v[118:119], v[114:115]
	;; [unrolled: 9-line block ×17, first 2 shown]
	buffer_load_dword v115, off, s[0:3], 0 offset:404
	buffer_load_dword v114, off, s[0:3], 0 offset:400
	s_waitcnt vmcnt(0)
	v_fmac_f64_e32 v[110:111], v[114:115], v[116:117]
	buffer_load_dword v117, off, s[0:3], 0 offset:412
	buffer_load_dword v116, off, s[0:3], 0 offset:408
	ds_read2_b64 v[112:115], v112 offset0:105 offset1:106
	s_waitcnt vmcnt(0) lgkmcnt(0)
	v_fmac_f64_e32 v[110:111], v[116:117], v[112:113]
	buffer_load_dword v113, off, s[0:3], 0 offset:420
	buffer_load_dword v112, off, s[0:3], 0 offset:416
	s_waitcnt vmcnt(0)
	v_fmac_f64_e32 v[110:111], v[112:113], v[114:115]
	v_add_f64 v[108:109], v[108:109], -v[110:111]
	buffer_store_dword v109, off, s[0:3], 0 offset:68
	buffer_store_dword v108, off, s[0:3], 0 offset:64
	s_and_saveexec_b64 s[4:5], vcc
	s_cbranch_execz .LBB116_311
; %bb.310:
	buffer_load_dword v108, off, s[0:3], 0 offset:56
	buffer_load_dword v109, off, s[0:3], 0 offset:60
	v_mov_b32_e32 v110, 0
	buffer_store_dword v110, off, s[0:3], 0 offset:56
	buffer_store_dword v110, off, s[0:3], 0 offset:60
	s_waitcnt vmcnt(2)
	ds_write_b64 v1, v[108:109]
.LBB116_311:
	s_or_b64 exec, exec, s[4:5]
	s_waitcnt lgkmcnt(0)
	; wave barrier
	s_waitcnt lgkmcnt(0)
	buffer_load_dword v108, off, s[0:3], 0 offset:56
	buffer_load_dword v109, off, s[0:3], 0 offset:60
	;; [unrolled: 1-line block ×16, first 2 shown]
	v_mov_b32_e32 v112, 0
	ds_read_b128 v[114:117], v112 offset:496
	ds_read_b128 v[118:121], v112 offset:512
	;; [unrolled: 1-line block ×4, first 2 shown]
	v_cmp_lt_u32_e32 vcc, 6, v0
	s_waitcnt vmcnt(12) lgkmcnt(3)
	v_fma_f64 v[110:111], v[110:111], v[114:115], 0
	buffer_load_dword v115, off, s[0:3], 0 offset:124
	buffer_load_dword v114, off, s[0:3], 0 offset:120
	s_waitcnt vmcnt(12)
	v_fmac_f64_e32 v[110:111], v[130:131], v[116:117]
	s_waitcnt vmcnt(10) lgkmcnt(2)
	v_fmac_f64_e32 v[110:111], v[132:133], v[118:119]
	buffer_load_dword v119, off, s[0:3], 0 offset:132
	buffer_load_dword v118, off, s[0:3], 0 offset:128
	s_waitcnt vmcnt(10)
	v_fmac_f64_e32 v[110:111], v[134:135], v[120:121]
	s_waitcnt vmcnt(8) lgkmcnt(1)
	v_fmac_f64_e32 v[110:111], v[136:137], v[122:123]
	s_waitcnt vmcnt(6)
	v_fmac_f64_e32 v[110:111], v[138:139], v[124:125]
	s_waitcnt vmcnt(4) lgkmcnt(0)
	v_fmac_f64_e32 v[110:111], v[140:141], v[126:127]
	s_waitcnt vmcnt(2)
	v_fmac_f64_e32 v[110:111], v[114:115], v[128:129]
	ds_read_b128 v[114:117], v112 offset:560
	s_waitcnt vmcnt(0) lgkmcnt(0)
	v_fmac_f64_e32 v[110:111], v[118:119], v[114:115]
	buffer_load_dword v115, off, s[0:3], 0 offset:140
	buffer_load_dword v114, off, s[0:3], 0 offset:136
	buffer_load_dword v119, off, s[0:3], 0 offset:148
	buffer_load_dword v118, off, s[0:3], 0 offset:144
	s_waitcnt vmcnt(2)
	v_fmac_f64_e32 v[110:111], v[114:115], v[116:117]
	ds_read_b128 v[114:117], v112 offset:576
	s_waitcnt vmcnt(0) lgkmcnt(0)
	v_fmac_f64_e32 v[110:111], v[118:119], v[114:115]
	buffer_load_dword v115, off, s[0:3], 0 offset:156
	buffer_load_dword v114, off, s[0:3], 0 offset:152
	buffer_load_dword v119, off, s[0:3], 0 offset:164
	buffer_load_dword v118, off, s[0:3], 0 offset:160
	s_waitcnt vmcnt(2)
	v_fmac_f64_e32 v[110:111], v[114:115], v[116:117]
	ds_read_b128 v[114:117], v112 offset:592
	s_waitcnt vmcnt(0) lgkmcnt(0)
	v_fmac_f64_e32 v[110:111], v[118:119], v[114:115]
	buffer_load_dword v115, off, s[0:3], 0 offset:172
	buffer_load_dword v114, off, s[0:3], 0 offset:168
	buffer_load_dword v119, off, s[0:3], 0 offset:180
	buffer_load_dword v118, off, s[0:3], 0 offset:176
	s_waitcnt vmcnt(2)
	v_fmac_f64_e32 v[110:111], v[114:115], v[116:117]
	ds_read_b128 v[114:117], v112 offset:608
	s_waitcnt vmcnt(0) lgkmcnt(0)
	v_fmac_f64_e32 v[110:111], v[118:119], v[114:115]
	buffer_load_dword v115, off, s[0:3], 0 offset:188
	buffer_load_dword v114, off, s[0:3], 0 offset:184
	buffer_load_dword v119, off, s[0:3], 0 offset:196
	buffer_load_dword v118, off, s[0:3], 0 offset:192
	s_waitcnt vmcnt(2)
	v_fmac_f64_e32 v[110:111], v[114:115], v[116:117]
	ds_read_b128 v[114:117], v112 offset:624
	s_waitcnt vmcnt(0) lgkmcnt(0)
	v_fmac_f64_e32 v[110:111], v[118:119], v[114:115]
	buffer_load_dword v115, off, s[0:3], 0 offset:204
	buffer_load_dword v114, off, s[0:3], 0 offset:200
	buffer_load_dword v119, off, s[0:3], 0 offset:212
	buffer_load_dword v118, off, s[0:3], 0 offset:208
	s_waitcnt vmcnt(2)
	v_fmac_f64_e32 v[110:111], v[114:115], v[116:117]
	ds_read_b128 v[114:117], v112 offset:640
	s_waitcnt vmcnt(0) lgkmcnt(0)
	v_fmac_f64_e32 v[110:111], v[118:119], v[114:115]
	buffer_load_dword v115, off, s[0:3], 0 offset:220
	buffer_load_dword v114, off, s[0:3], 0 offset:216
	buffer_load_dword v119, off, s[0:3], 0 offset:228
	buffer_load_dword v118, off, s[0:3], 0 offset:224
	s_waitcnt vmcnt(2)
	v_fmac_f64_e32 v[110:111], v[114:115], v[116:117]
	ds_read_b128 v[114:117], v112 offset:656
	s_waitcnt vmcnt(0) lgkmcnt(0)
	v_fmac_f64_e32 v[110:111], v[118:119], v[114:115]
	buffer_load_dword v115, off, s[0:3], 0 offset:236
	buffer_load_dword v114, off, s[0:3], 0 offset:232
	buffer_load_dword v119, off, s[0:3], 0 offset:244
	buffer_load_dword v118, off, s[0:3], 0 offset:240
	s_waitcnt vmcnt(2)
	v_fmac_f64_e32 v[110:111], v[114:115], v[116:117]
	ds_read_b128 v[114:117], v112 offset:672
	s_waitcnt vmcnt(0) lgkmcnt(0)
	v_fmac_f64_e32 v[110:111], v[118:119], v[114:115]
	buffer_load_dword v115, off, s[0:3], 0 offset:252
	buffer_load_dword v114, off, s[0:3], 0 offset:248
	buffer_load_dword v119, off, s[0:3], 0 offset:260
	buffer_load_dword v118, off, s[0:3], 0 offset:256
	s_waitcnt vmcnt(2)
	v_fmac_f64_e32 v[110:111], v[114:115], v[116:117]
	ds_read_b128 v[114:117], v112 offset:688
	s_waitcnt vmcnt(0) lgkmcnt(0)
	v_fmac_f64_e32 v[110:111], v[118:119], v[114:115]
	buffer_load_dword v115, off, s[0:3], 0 offset:268
	buffer_load_dword v114, off, s[0:3], 0 offset:264
	buffer_load_dword v119, off, s[0:3], 0 offset:276
	buffer_load_dword v118, off, s[0:3], 0 offset:272
	s_waitcnt vmcnt(2)
	v_fmac_f64_e32 v[110:111], v[114:115], v[116:117]
	ds_read_b128 v[114:117], v112 offset:704
	s_waitcnt vmcnt(0) lgkmcnt(0)
	v_fmac_f64_e32 v[110:111], v[118:119], v[114:115]
	buffer_load_dword v115, off, s[0:3], 0 offset:284
	buffer_load_dword v114, off, s[0:3], 0 offset:280
	buffer_load_dword v119, off, s[0:3], 0 offset:292
	buffer_load_dword v118, off, s[0:3], 0 offset:288
	s_waitcnt vmcnt(2)
	v_fmac_f64_e32 v[110:111], v[114:115], v[116:117]
	ds_read_b128 v[114:117], v112 offset:720
	s_waitcnt vmcnt(0) lgkmcnt(0)
	v_fmac_f64_e32 v[110:111], v[118:119], v[114:115]
	buffer_load_dword v115, off, s[0:3], 0 offset:300
	buffer_load_dword v114, off, s[0:3], 0 offset:296
	buffer_load_dword v119, off, s[0:3], 0 offset:308
	buffer_load_dword v118, off, s[0:3], 0 offset:304
	s_waitcnt vmcnt(2)
	v_fmac_f64_e32 v[110:111], v[114:115], v[116:117]
	ds_read_b128 v[114:117], v112 offset:736
	s_waitcnt vmcnt(0) lgkmcnt(0)
	v_fmac_f64_e32 v[110:111], v[118:119], v[114:115]
	buffer_load_dword v115, off, s[0:3], 0 offset:316
	buffer_load_dword v114, off, s[0:3], 0 offset:312
	buffer_load_dword v119, off, s[0:3], 0 offset:324
	buffer_load_dword v118, off, s[0:3], 0 offset:320
	s_waitcnt vmcnt(2)
	v_fmac_f64_e32 v[110:111], v[114:115], v[116:117]
	ds_read_b128 v[114:117], v112 offset:752
	s_waitcnt vmcnt(0) lgkmcnt(0)
	v_fmac_f64_e32 v[110:111], v[118:119], v[114:115]
	buffer_load_dword v115, off, s[0:3], 0 offset:332
	buffer_load_dword v114, off, s[0:3], 0 offset:328
	buffer_load_dword v119, off, s[0:3], 0 offset:340
	buffer_load_dword v118, off, s[0:3], 0 offset:336
	s_waitcnt vmcnt(2)
	v_fmac_f64_e32 v[110:111], v[114:115], v[116:117]
	ds_read_b128 v[114:117], v112 offset:768
	s_waitcnt vmcnt(0) lgkmcnt(0)
	v_fmac_f64_e32 v[110:111], v[118:119], v[114:115]
	buffer_load_dword v115, off, s[0:3], 0 offset:348
	buffer_load_dword v114, off, s[0:3], 0 offset:344
	buffer_load_dword v119, off, s[0:3], 0 offset:356
	buffer_load_dword v118, off, s[0:3], 0 offset:352
	s_waitcnt vmcnt(2)
	v_fmac_f64_e32 v[110:111], v[114:115], v[116:117]
	ds_read_b128 v[114:117], v112 offset:784
	s_waitcnt vmcnt(0) lgkmcnt(0)
	v_fmac_f64_e32 v[110:111], v[118:119], v[114:115]
	buffer_load_dword v115, off, s[0:3], 0 offset:364
	buffer_load_dword v114, off, s[0:3], 0 offset:360
	buffer_load_dword v119, off, s[0:3], 0 offset:372
	buffer_load_dword v118, off, s[0:3], 0 offset:368
	s_waitcnt vmcnt(2)
	v_fmac_f64_e32 v[110:111], v[114:115], v[116:117]
	ds_read_b128 v[114:117], v112 offset:800
	s_waitcnt vmcnt(0) lgkmcnt(0)
	v_fmac_f64_e32 v[110:111], v[118:119], v[114:115]
	buffer_load_dword v115, off, s[0:3], 0 offset:380
	buffer_load_dword v114, off, s[0:3], 0 offset:376
	buffer_load_dword v119, off, s[0:3], 0 offset:388
	buffer_load_dword v118, off, s[0:3], 0 offset:384
	s_waitcnt vmcnt(2)
	v_fmac_f64_e32 v[110:111], v[114:115], v[116:117]
	ds_read_b128 v[114:117], v112 offset:816
	s_waitcnt vmcnt(0) lgkmcnt(0)
	v_fmac_f64_e32 v[110:111], v[118:119], v[114:115]
	buffer_load_dword v115, off, s[0:3], 0 offset:396
	buffer_load_dword v114, off, s[0:3], 0 offset:392
	buffer_load_dword v119, off, s[0:3], 0 offset:404
	buffer_load_dword v118, off, s[0:3], 0 offset:400
	s_waitcnt vmcnt(2)
	v_fmac_f64_e32 v[110:111], v[114:115], v[116:117]
	ds_read_b128 v[114:117], v112 offset:832
	s_waitcnt vmcnt(0) lgkmcnt(0)
	v_fmac_f64_e32 v[110:111], v[118:119], v[114:115]
	buffer_load_dword v115, off, s[0:3], 0 offset:412
	buffer_load_dword v114, off, s[0:3], 0 offset:408
	s_waitcnt vmcnt(0)
	v_fmac_f64_e32 v[110:111], v[114:115], v[116:117]
	buffer_load_dword v115, off, s[0:3], 0 offset:420
	buffer_load_dword v114, off, s[0:3], 0 offset:416
	ds_read_b64 v[116:117], v112 offset:848
	s_waitcnt vmcnt(0) lgkmcnt(0)
	v_fmac_f64_e32 v[110:111], v[114:115], v[116:117]
	v_add_f64 v[108:109], v[108:109], -v[110:111]
	buffer_store_dword v109, off, s[0:3], 0 offset:60
	buffer_store_dword v108, off, s[0:3], 0 offset:56
	s_and_saveexec_b64 s[4:5], vcc
	s_cbranch_execz .LBB116_313
; %bb.312:
	buffer_load_dword v108, off, s[0:3], 0 offset:48
	buffer_load_dword v109, off, s[0:3], 0 offset:52
	s_waitcnt vmcnt(0)
	ds_write_b64 v1, v[108:109]
	buffer_store_dword v112, off, s[0:3], 0 offset:48
	buffer_store_dword v112, off, s[0:3], 0 offset:52
.LBB116_313:
	s_or_b64 exec, exec, s[4:5]
	s_waitcnt lgkmcnt(0)
	; wave barrier
	s_waitcnt lgkmcnt(0)
	buffer_load_dword v108, off, s[0:3], 0 offset:48
	buffer_load_dword v109, off, s[0:3], 0 offset:52
	;; [unrolled: 1-line block ×16, first 2 shown]
	ds_read2_b64 v[114:117], v112 offset0:61 offset1:62
	v_cmp_lt_u32_e32 vcc, 5, v0
	s_waitcnt vmcnt(12) lgkmcnt(0)
	v_fma_f64 v[110:111], v[110:111], v[114:115], 0
	s_waitcnt vmcnt(10)
	v_fmac_f64_e32 v[110:111], v[118:119], v[116:117]
	ds_read2_b64 v[114:117], v112 offset0:63 offset1:64
	s_waitcnt vmcnt(8) lgkmcnt(0)
	v_fmac_f64_e32 v[110:111], v[120:121], v[114:115]
	s_waitcnt vmcnt(6)
	v_fmac_f64_e32 v[110:111], v[122:123], v[116:117]
	ds_read2_b64 v[114:117], v112 offset0:65 offset1:66
	s_waitcnt vmcnt(4) lgkmcnt(0)
	v_fmac_f64_e32 v[110:111], v[124:125], v[114:115]
	;; [unrolled: 5-line block ×3, first 2 shown]
	buffer_load_dword v115, off, s[0:3], 0 offset:116
	buffer_load_dword v114, off, s[0:3], 0 offset:112
	buffer_load_dword v119, off, s[0:3], 0 offset:124
	buffer_load_dword v118, off, s[0:3], 0 offset:120
	s_waitcnt vmcnt(2)
	v_fmac_f64_e32 v[110:111], v[114:115], v[116:117]
	ds_read2_b64 v[114:117], v112 offset0:69 offset1:70
	s_waitcnt vmcnt(0) lgkmcnt(0)
	v_fmac_f64_e32 v[110:111], v[118:119], v[114:115]
	buffer_load_dword v115, off, s[0:3], 0 offset:132
	buffer_load_dword v114, off, s[0:3], 0 offset:128
	buffer_load_dword v119, off, s[0:3], 0 offset:140
	buffer_load_dword v118, off, s[0:3], 0 offset:136
	s_waitcnt vmcnt(2)
	v_fmac_f64_e32 v[110:111], v[114:115], v[116:117]
	ds_read2_b64 v[114:117], v112 offset0:71 offset1:72
	s_waitcnt vmcnt(0) lgkmcnt(0)
	v_fmac_f64_e32 v[110:111], v[118:119], v[114:115]
	;; [unrolled: 9-line block ×18, first 2 shown]
	buffer_load_dword v115, off, s[0:3], 0 offset:404
	buffer_load_dword v114, off, s[0:3], 0 offset:400
	s_waitcnt vmcnt(0)
	v_fmac_f64_e32 v[110:111], v[114:115], v[116:117]
	buffer_load_dword v117, off, s[0:3], 0 offset:412
	buffer_load_dword v116, off, s[0:3], 0 offset:408
	ds_read2_b64 v[112:115], v112 offset0:105 offset1:106
	s_waitcnt vmcnt(0) lgkmcnt(0)
	v_fmac_f64_e32 v[110:111], v[116:117], v[112:113]
	buffer_load_dword v113, off, s[0:3], 0 offset:420
	buffer_load_dword v112, off, s[0:3], 0 offset:416
	s_waitcnt vmcnt(0)
	v_fmac_f64_e32 v[110:111], v[112:113], v[114:115]
	v_add_f64 v[108:109], v[108:109], -v[110:111]
	buffer_store_dword v109, off, s[0:3], 0 offset:52
	buffer_store_dword v108, off, s[0:3], 0 offset:48
	s_and_saveexec_b64 s[4:5], vcc
	s_cbranch_execz .LBB116_315
; %bb.314:
	buffer_load_dword v108, off, s[0:3], 0 offset:40
	buffer_load_dword v109, off, s[0:3], 0 offset:44
	v_mov_b32_e32 v110, 0
	buffer_store_dword v110, off, s[0:3], 0 offset:40
	buffer_store_dword v110, off, s[0:3], 0 offset:44
	s_waitcnt vmcnt(2)
	ds_write_b64 v1, v[108:109]
.LBB116_315:
	s_or_b64 exec, exec, s[4:5]
	s_waitcnt lgkmcnt(0)
	; wave barrier
	s_waitcnt lgkmcnt(0)
	buffer_load_dword v108, off, s[0:3], 0 offset:40
	buffer_load_dword v109, off, s[0:3], 0 offset:44
	;; [unrolled: 1-line block ×16, first 2 shown]
	v_mov_b32_e32 v112, 0
	ds_read_b128 v[114:117], v112 offset:480
	ds_read_b128 v[118:121], v112 offset:496
	;; [unrolled: 1-line block ×4, first 2 shown]
	v_cmp_lt_u32_e32 vcc, 4, v0
	s_waitcnt vmcnt(12) lgkmcnt(3)
	v_fma_f64 v[110:111], v[110:111], v[114:115], 0
	buffer_load_dword v115, off, s[0:3], 0 offset:108
	buffer_load_dword v114, off, s[0:3], 0 offset:104
	s_waitcnt vmcnt(12)
	v_fmac_f64_e32 v[110:111], v[130:131], v[116:117]
	s_waitcnt vmcnt(10) lgkmcnt(2)
	v_fmac_f64_e32 v[110:111], v[132:133], v[118:119]
	buffer_load_dword v119, off, s[0:3], 0 offset:116
	buffer_load_dword v118, off, s[0:3], 0 offset:112
	s_waitcnt vmcnt(10)
	v_fmac_f64_e32 v[110:111], v[134:135], v[120:121]
	s_waitcnt vmcnt(8) lgkmcnt(1)
	v_fmac_f64_e32 v[110:111], v[136:137], v[122:123]
	s_waitcnt vmcnt(6)
	v_fmac_f64_e32 v[110:111], v[138:139], v[124:125]
	s_waitcnt vmcnt(4) lgkmcnt(0)
	v_fmac_f64_e32 v[110:111], v[140:141], v[126:127]
	s_waitcnt vmcnt(2)
	v_fmac_f64_e32 v[110:111], v[114:115], v[128:129]
	ds_read_b128 v[114:117], v112 offset:544
	s_waitcnt vmcnt(0) lgkmcnt(0)
	v_fmac_f64_e32 v[110:111], v[118:119], v[114:115]
	buffer_load_dword v115, off, s[0:3], 0 offset:124
	buffer_load_dword v114, off, s[0:3], 0 offset:120
	buffer_load_dword v119, off, s[0:3], 0 offset:132
	buffer_load_dword v118, off, s[0:3], 0 offset:128
	s_waitcnt vmcnt(2)
	v_fmac_f64_e32 v[110:111], v[114:115], v[116:117]
	ds_read_b128 v[114:117], v112 offset:560
	s_waitcnt vmcnt(0) lgkmcnt(0)
	v_fmac_f64_e32 v[110:111], v[118:119], v[114:115]
	buffer_load_dword v115, off, s[0:3], 0 offset:140
	buffer_load_dword v114, off, s[0:3], 0 offset:136
	buffer_load_dword v119, off, s[0:3], 0 offset:148
	buffer_load_dword v118, off, s[0:3], 0 offset:144
	;; [unrolled: 9-line block ×18, first 2 shown]
	s_waitcnt vmcnt(2)
	v_fmac_f64_e32 v[110:111], v[114:115], v[116:117]
	ds_read_b128 v[114:117], v112 offset:832
	s_waitcnt vmcnt(0) lgkmcnt(0)
	v_fmac_f64_e32 v[110:111], v[118:119], v[114:115]
	buffer_load_dword v115, off, s[0:3], 0 offset:412
	buffer_load_dword v114, off, s[0:3], 0 offset:408
	s_waitcnt vmcnt(0)
	v_fmac_f64_e32 v[110:111], v[114:115], v[116:117]
	buffer_load_dword v115, off, s[0:3], 0 offset:420
	buffer_load_dword v114, off, s[0:3], 0 offset:416
	ds_read_b64 v[116:117], v112 offset:848
	s_waitcnt vmcnt(0) lgkmcnt(0)
	v_fmac_f64_e32 v[110:111], v[114:115], v[116:117]
	v_add_f64 v[108:109], v[108:109], -v[110:111]
	buffer_store_dword v109, off, s[0:3], 0 offset:44
	buffer_store_dword v108, off, s[0:3], 0 offset:40
	s_and_saveexec_b64 s[4:5], vcc
	s_cbranch_execz .LBB116_317
; %bb.316:
	buffer_load_dword v108, off, s[0:3], 0 offset:32
	buffer_load_dword v109, off, s[0:3], 0 offset:36
	s_waitcnt vmcnt(0)
	ds_write_b64 v1, v[108:109]
	buffer_store_dword v112, off, s[0:3], 0 offset:32
	buffer_store_dword v112, off, s[0:3], 0 offset:36
.LBB116_317:
	s_or_b64 exec, exec, s[4:5]
	s_waitcnt lgkmcnt(0)
	; wave barrier
	s_waitcnt lgkmcnt(0)
	buffer_load_dword v108, off, s[0:3], 0 offset:32
	buffer_load_dword v109, off, s[0:3], 0 offset:36
	buffer_load_dword v110, off, s[0:3], 0 offset:40
	buffer_load_dword v111, off, s[0:3], 0 offset:44
	buffer_load_dword v118, off, s[0:3], 0 offset:48
	buffer_load_dword v119, off, s[0:3], 0 offset:52
	buffer_load_dword v120, off, s[0:3], 0 offset:56
	buffer_load_dword v121, off, s[0:3], 0 offset:60
	buffer_load_dword v122, off, s[0:3], 0 offset:64
	buffer_load_dword v123, off, s[0:3], 0 offset:68
	buffer_load_dword v124, off, s[0:3], 0 offset:72
	buffer_load_dword v125, off, s[0:3], 0 offset:76
	buffer_load_dword v126, off, s[0:3], 0 offset:80
	buffer_load_dword v127, off, s[0:3], 0 offset:84
	buffer_load_dword v128, off, s[0:3], 0 offset:88
	buffer_load_dword v129, off, s[0:3], 0 offset:92
	ds_read2_b64 v[114:117], v112 offset0:59 offset1:60
	v_cmp_lt_u32_e32 vcc, 3, v0
	s_waitcnt vmcnt(12) lgkmcnt(0)
	v_fma_f64 v[110:111], v[110:111], v[114:115], 0
	s_waitcnt vmcnt(10)
	v_fmac_f64_e32 v[110:111], v[118:119], v[116:117]
	ds_read2_b64 v[114:117], v112 offset0:61 offset1:62
	s_waitcnt vmcnt(8) lgkmcnt(0)
	v_fmac_f64_e32 v[110:111], v[120:121], v[114:115]
	s_waitcnt vmcnt(6)
	v_fmac_f64_e32 v[110:111], v[122:123], v[116:117]
	ds_read2_b64 v[114:117], v112 offset0:63 offset1:64
	s_waitcnt vmcnt(4) lgkmcnt(0)
	v_fmac_f64_e32 v[110:111], v[124:125], v[114:115]
	s_waitcnt vmcnt(2)
	v_fmac_f64_e32 v[110:111], v[126:127], v[116:117]
	ds_read2_b64 v[114:117], v112 offset0:65 offset1:66
	s_waitcnt vmcnt(0) lgkmcnt(0)
	v_fmac_f64_e32 v[110:111], v[128:129], v[114:115]
	buffer_load_dword v115, off, s[0:3], 0 offset:100
	buffer_load_dword v114, off, s[0:3], 0 offset:96
	buffer_load_dword v119, off, s[0:3], 0 offset:108
	buffer_load_dword v118, off, s[0:3], 0 offset:104
	s_waitcnt vmcnt(2)
	v_fmac_f64_e32 v[110:111], v[114:115], v[116:117]
	ds_read2_b64 v[114:117], v112 offset0:67 offset1:68
	s_waitcnt vmcnt(0) lgkmcnt(0)
	v_fmac_f64_e32 v[110:111], v[118:119], v[114:115]
	buffer_load_dword v115, off, s[0:3], 0 offset:116
	buffer_load_dword v114, off, s[0:3], 0 offset:112
	buffer_load_dword v119, off, s[0:3], 0 offset:124
	buffer_load_dword v118, off, s[0:3], 0 offset:120
	s_waitcnt vmcnt(2)
	v_fmac_f64_e32 v[110:111], v[114:115], v[116:117]
	ds_read2_b64 v[114:117], v112 offset0:69 offset1:70
	s_waitcnt vmcnt(0) lgkmcnt(0)
	v_fmac_f64_e32 v[110:111], v[118:119], v[114:115]
	;; [unrolled: 9-line block ×19, first 2 shown]
	buffer_load_dword v115, off, s[0:3], 0 offset:404
	buffer_load_dword v114, off, s[0:3], 0 offset:400
	s_waitcnt vmcnt(0)
	v_fmac_f64_e32 v[110:111], v[114:115], v[116:117]
	buffer_load_dword v117, off, s[0:3], 0 offset:412
	buffer_load_dword v116, off, s[0:3], 0 offset:408
	ds_read2_b64 v[112:115], v112 offset0:105 offset1:106
	s_waitcnt vmcnt(0) lgkmcnt(0)
	v_fmac_f64_e32 v[110:111], v[116:117], v[112:113]
	buffer_load_dword v113, off, s[0:3], 0 offset:420
	buffer_load_dword v112, off, s[0:3], 0 offset:416
	s_waitcnt vmcnt(0)
	v_fmac_f64_e32 v[110:111], v[112:113], v[114:115]
	v_add_f64 v[108:109], v[108:109], -v[110:111]
	buffer_store_dword v109, off, s[0:3], 0 offset:36
	buffer_store_dword v108, off, s[0:3], 0 offset:32
	s_and_saveexec_b64 s[4:5], vcc
	s_cbranch_execz .LBB116_319
; %bb.318:
	buffer_load_dword v108, off, s[0:3], 0 offset:24
	buffer_load_dword v109, off, s[0:3], 0 offset:28
	v_mov_b32_e32 v110, 0
	buffer_store_dword v110, off, s[0:3], 0 offset:24
	buffer_store_dword v110, off, s[0:3], 0 offset:28
	s_waitcnt vmcnt(2)
	ds_write_b64 v1, v[108:109]
.LBB116_319:
	s_or_b64 exec, exec, s[4:5]
	s_waitcnt lgkmcnt(0)
	; wave barrier
	s_waitcnt lgkmcnt(0)
	buffer_load_dword v108, off, s[0:3], 0 offset:24
	buffer_load_dword v109, off, s[0:3], 0 offset:28
	;; [unrolled: 1-line block ×16, first 2 shown]
	v_mov_b32_e32 v112, 0
	ds_read_b128 v[114:117], v112 offset:464
	v_cmp_lt_u32_e32 vcc, 2, v0
	s_waitcnt vmcnt(12) lgkmcnt(0)
	v_fma_f64 v[110:111], v[110:111], v[114:115], 0
	s_waitcnt vmcnt(10)
	v_fmac_f64_e32 v[110:111], v[118:119], v[116:117]
	ds_read_b128 v[114:117], v112 offset:480
	s_waitcnt vmcnt(8) lgkmcnt(0)
	v_fmac_f64_e32 v[110:111], v[120:121], v[114:115]
	s_waitcnt vmcnt(6)
	v_fmac_f64_e32 v[110:111], v[122:123], v[116:117]
	ds_read_b128 v[114:117], v112 offset:496
	s_waitcnt vmcnt(4) lgkmcnt(0)
	v_fmac_f64_e32 v[110:111], v[124:125], v[114:115]
	;; [unrolled: 5-line block ×3, first 2 shown]
	buffer_load_dword v115, off, s[0:3], 0 offset:92
	buffer_load_dword v114, off, s[0:3], 0 offset:88
	buffer_load_dword v119, off, s[0:3], 0 offset:100
	buffer_load_dword v118, off, s[0:3], 0 offset:96
	s_waitcnt vmcnt(2)
	v_fmac_f64_e32 v[110:111], v[114:115], v[116:117]
	ds_read_b128 v[114:117], v112 offset:528
	s_waitcnt vmcnt(0) lgkmcnt(0)
	v_fmac_f64_e32 v[110:111], v[118:119], v[114:115]
	buffer_load_dword v115, off, s[0:3], 0 offset:108
	buffer_load_dword v114, off, s[0:3], 0 offset:104
	buffer_load_dword v119, off, s[0:3], 0 offset:116
	buffer_load_dword v118, off, s[0:3], 0 offset:112
	s_waitcnt vmcnt(2)
	v_fmac_f64_e32 v[110:111], v[114:115], v[116:117]
	ds_read_b128 v[114:117], v112 offset:544
	s_waitcnt vmcnt(0) lgkmcnt(0)
	v_fmac_f64_e32 v[110:111], v[118:119], v[114:115]
	;; [unrolled: 9-line block ×20, first 2 shown]
	buffer_load_dword v115, off, s[0:3], 0 offset:412
	buffer_load_dword v114, off, s[0:3], 0 offset:408
	s_waitcnt vmcnt(0)
	v_fmac_f64_e32 v[110:111], v[114:115], v[116:117]
	buffer_load_dword v115, off, s[0:3], 0 offset:420
	buffer_load_dword v114, off, s[0:3], 0 offset:416
	ds_read_b64 v[116:117], v112 offset:848
	s_waitcnt vmcnt(0) lgkmcnt(0)
	v_fmac_f64_e32 v[110:111], v[114:115], v[116:117]
	v_add_f64 v[108:109], v[108:109], -v[110:111]
	buffer_store_dword v109, off, s[0:3], 0 offset:28
	buffer_store_dword v108, off, s[0:3], 0 offset:24
	s_and_saveexec_b64 s[4:5], vcc
	s_cbranch_execz .LBB116_321
; %bb.320:
	buffer_load_dword v108, off, s[0:3], 0 offset:16
	buffer_load_dword v109, off, s[0:3], 0 offset:20
	s_waitcnt vmcnt(0)
	ds_write_b64 v1, v[108:109]
	buffer_store_dword v112, off, s[0:3], 0 offset:16
	buffer_store_dword v112, off, s[0:3], 0 offset:20
.LBB116_321:
	s_or_b64 exec, exec, s[4:5]
	s_waitcnt lgkmcnt(0)
	; wave barrier
	s_waitcnt lgkmcnt(0)
	buffer_load_dword v108, off, s[0:3], 0 offset:16
	buffer_load_dword v109, off, s[0:3], 0 offset:20
	buffer_load_dword v110, off, s[0:3], 0 offset:24
	buffer_load_dword v111, off, s[0:3], 0 offset:28
	buffer_load_dword v118, off, s[0:3], 0 offset:32
	buffer_load_dword v119, off, s[0:3], 0 offset:36
	buffer_load_dword v120, off, s[0:3], 0 offset:40
	buffer_load_dword v121, off, s[0:3], 0 offset:44
	buffer_load_dword v122, off, s[0:3], 0 offset:48
	buffer_load_dword v123, off, s[0:3], 0 offset:52
	buffer_load_dword v124, off, s[0:3], 0 offset:56
	buffer_load_dword v125, off, s[0:3], 0 offset:60
	buffer_load_dword v126, off, s[0:3], 0 offset:64
	buffer_load_dword v127, off, s[0:3], 0 offset:68
	buffer_load_dword v128, off, s[0:3], 0 offset:72
	buffer_load_dword v129, off, s[0:3], 0 offset:76
	ds_read2_b64 v[114:117], v112 offset0:57 offset1:58
	v_cmp_lt_u32_e32 vcc, 1, v0
	s_waitcnt vmcnt(12) lgkmcnt(0)
	v_fma_f64 v[110:111], v[110:111], v[114:115], 0
	s_waitcnt vmcnt(10)
	v_fmac_f64_e32 v[110:111], v[118:119], v[116:117]
	ds_read2_b64 v[114:117], v112 offset0:59 offset1:60
	s_waitcnt vmcnt(8) lgkmcnt(0)
	v_fmac_f64_e32 v[110:111], v[120:121], v[114:115]
	s_waitcnt vmcnt(6)
	v_fmac_f64_e32 v[110:111], v[122:123], v[116:117]
	ds_read2_b64 v[114:117], v112 offset0:61 offset1:62
	s_waitcnt vmcnt(4) lgkmcnt(0)
	v_fmac_f64_e32 v[110:111], v[124:125], v[114:115]
	;; [unrolled: 5-line block ×3, first 2 shown]
	buffer_load_dword v115, off, s[0:3], 0 offset:84
	buffer_load_dword v114, off, s[0:3], 0 offset:80
	buffer_load_dword v119, off, s[0:3], 0 offset:92
	buffer_load_dword v118, off, s[0:3], 0 offset:88
	s_waitcnt vmcnt(2)
	v_fmac_f64_e32 v[110:111], v[114:115], v[116:117]
	ds_read2_b64 v[114:117], v112 offset0:65 offset1:66
	s_waitcnt vmcnt(0) lgkmcnt(0)
	v_fmac_f64_e32 v[110:111], v[118:119], v[114:115]
	buffer_load_dword v115, off, s[0:3], 0 offset:100
	buffer_load_dword v114, off, s[0:3], 0 offset:96
	buffer_load_dword v119, off, s[0:3], 0 offset:108
	buffer_load_dword v118, off, s[0:3], 0 offset:104
	s_waitcnt vmcnt(2)
	v_fmac_f64_e32 v[110:111], v[114:115], v[116:117]
	ds_read2_b64 v[114:117], v112 offset0:67 offset1:68
	s_waitcnt vmcnt(0) lgkmcnt(0)
	v_fmac_f64_e32 v[110:111], v[118:119], v[114:115]
	;; [unrolled: 9-line block ×20, first 2 shown]
	buffer_load_dword v115, off, s[0:3], 0 offset:404
	buffer_load_dword v114, off, s[0:3], 0 offset:400
	s_waitcnt vmcnt(0)
	v_fmac_f64_e32 v[110:111], v[114:115], v[116:117]
	buffer_load_dword v117, off, s[0:3], 0 offset:412
	buffer_load_dword v116, off, s[0:3], 0 offset:408
	ds_read2_b64 v[112:115], v112 offset0:105 offset1:106
	s_waitcnt vmcnt(0) lgkmcnt(0)
	v_fmac_f64_e32 v[110:111], v[116:117], v[112:113]
	buffer_load_dword v113, off, s[0:3], 0 offset:420
	buffer_load_dword v112, off, s[0:3], 0 offset:416
	s_waitcnt vmcnt(0)
	v_fmac_f64_e32 v[110:111], v[112:113], v[114:115]
	v_add_f64 v[108:109], v[108:109], -v[110:111]
	buffer_store_dword v109, off, s[0:3], 0 offset:20
	buffer_store_dword v108, off, s[0:3], 0 offset:16
	s_and_saveexec_b64 s[4:5], vcc
	s_cbranch_execz .LBB116_323
; %bb.322:
	buffer_load_dword v108, off, s[0:3], 0 offset:8
	buffer_load_dword v109, off, s[0:3], 0 offset:12
	v_mov_b32_e32 v110, 0
	buffer_store_dword v110, off, s[0:3], 0 offset:8
	buffer_store_dword v110, off, s[0:3], 0 offset:12
	s_waitcnt vmcnt(2)
	ds_write_b64 v1, v[108:109]
.LBB116_323:
	s_or_b64 exec, exec, s[4:5]
	s_waitcnt lgkmcnt(0)
	; wave barrier
	s_waitcnt lgkmcnt(0)
	buffer_load_dword v108, off, s[0:3], 0 offset:8
	buffer_load_dword v109, off, s[0:3], 0 offset:12
	;; [unrolled: 1-line block ×16, first 2 shown]
	v_mov_b32_e32 v112, 0
	ds_read_b128 v[114:117], v112 offset:448
	v_cmp_ne_u32_e32 vcc, 0, v0
	s_waitcnt vmcnt(12) lgkmcnt(0)
	v_fma_f64 v[110:111], v[110:111], v[114:115], 0
	s_waitcnt vmcnt(10)
	v_fmac_f64_e32 v[110:111], v[118:119], v[116:117]
	ds_read_b128 v[114:117], v112 offset:464
	s_waitcnt vmcnt(8) lgkmcnt(0)
	v_fmac_f64_e32 v[110:111], v[120:121], v[114:115]
	s_waitcnt vmcnt(6)
	v_fmac_f64_e32 v[110:111], v[122:123], v[116:117]
	ds_read_b128 v[114:117], v112 offset:480
	s_waitcnt vmcnt(4) lgkmcnt(0)
	v_fmac_f64_e32 v[110:111], v[124:125], v[114:115]
	;; [unrolled: 5-line block ×3, first 2 shown]
	buffer_load_dword v115, off, s[0:3], 0 offset:76
	buffer_load_dword v114, off, s[0:3], 0 offset:72
	buffer_load_dword v119, off, s[0:3], 0 offset:84
	buffer_load_dword v118, off, s[0:3], 0 offset:80
	s_waitcnt vmcnt(2)
	v_fmac_f64_e32 v[110:111], v[114:115], v[116:117]
	ds_read_b128 v[114:117], v112 offset:512
	s_waitcnt vmcnt(0) lgkmcnt(0)
	v_fmac_f64_e32 v[110:111], v[118:119], v[114:115]
	buffer_load_dword v115, off, s[0:3], 0 offset:92
	buffer_load_dword v114, off, s[0:3], 0 offset:88
	buffer_load_dword v119, off, s[0:3], 0 offset:100
	buffer_load_dword v118, off, s[0:3], 0 offset:96
	s_waitcnt vmcnt(2)
	v_fmac_f64_e32 v[110:111], v[114:115], v[116:117]
	ds_read_b128 v[114:117], v112 offset:528
	s_waitcnt vmcnt(0) lgkmcnt(0)
	v_fmac_f64_e32 v[110:111], v[118:119], v[114:115]
	;; [unrolled: 9-line block ×21, first 2 shown]
	buffer_load_dword v115, off, s[0:3], 0 offset:412
	buffer_load_dword v114, off, s[0:3], 0 offset:408
	s_waitcnt vmcnt(0)
	v_fmac_f64_e32 v[110:111], v[114:115], v[116:117]
	buffer_load_dword v115, off, s[0:3], 0 offset:420
	buffer_load_dword v114, off, s[0:3], 0 offset:416
	ds_read_b64 v[116:117], v112 offset:848
	s_waitcnt vmcnt(0) lgkmcnt(0)
	v_fmac_f64_e32 v[110:111], v[114:115], v[116:117]
	v_add_f64 v[108:109], v[108:109], -v[110:111]
	buffer_store_dword v109, off, s[0:3], 0 offset:12
	buffer_store_dword v108, off, s[0:3], 0 offset:8
	s_and_saveexec_b64 s[4:5], vcc
	s_cbranch_execz .LBB116_325
; %bb.324:
	buffer_load_dword v108, off, s[0:3], 0
	buffer_load_dword v109, off, s[0:3], 0 offset:4
	s_waitcnt vmcnt(0)
	ds_write_b64 v1, v[108:109]
	buffer_store_dword v112, off, s[0:3], 0
	buffer_store_dword v112, off, s[0:3], 0 offset:4
.LBB116_325:
	s_or_b64 exec, exec, s[4:5]
	s_waitcnt lgkmcnt(0)
	; wave barrier
	s_waitcnt lgkmcnt(0)
	buffer_load_dword v0, off, s[0:3], 0
	buffer_load_dword v1, off, s[0:3], 0 offset:4
	buffer_load_dword v114, off, s[0:3], 0 offset:8
	;; [unrolled: 1-line block ×15, first 2 shown]
	ds_read2_b64 v[108:111], v112 offset0:55 offset1:56
	s_and_b64 vcc, exec, s[16:17]
	s_waitcnt vmcnt(12) lgkmcnt(0)
	v_fma_f64 v[108:109], v[114:115], v[108:109], 0
	s_waitcnt vmcnt(10)
	v_fmac_f64_e32 v[108:109], v[116:117], v[110:111]
	ds_read2_b64 v[114:117], v112 offset0:57 offset1:58
	s_waitcnt vmcnt(8) lgkmcnt(0)
	v_fmac_f64_e32 v[108:109], v[118:119], v[114:115]
	s_waitcnt vmcnt(6)
	v_fmac_f64_e32 v[108:109], v[120:121], v[116:117]
	ds_read2_b64 v[114:117], v112 offset0:59 offset1:60
	s_waitcnt vmcnt(4) lgkmcnt(0)
	v_fmac_f64_e32 v[108:109], v[122:123], v[114:115]
	s_waitcnt vmcnt(2)
	v_fmac_f64_e32 v[108:109], v[124:125], v[116:117]
	ds_read2_b64 v[114:117], v112 offset0:61 offset1:62
	buffer_load_dword v111, off, s[0:3], 0 offset:68
	buffer_load_dword v110, off, s[0:3], 0 offset:64
	s_waitcnt vmcnt(2) lgkmcnt(0)
	v_fmac_f64_e32 v[108:109], v[126:127], v[114:115]
	s_waitcnt vmcnt(0)
	v_fmac_f64_e32 v[108:109], v[110:111], v[116:117]
	buffer_load_dword v111, off, s[0:3], 0 offset:76
	buffer_load_dword v110, off, s[0:3], 0 offset:72
	ds_read2_b64 v[114:117], v112 offset0:63 offset1:64
	s_waitcnt vmcnt(0) lgkmcnt(0)
	v_fmac_f64_e32 v[108:109], v[110:111], v[114:115]
	buffer_load_dword v111, off, s[0:3], 0 offset:84
	buffer_load_dword v110, off, s[0:3], 0 offset:80
	s_waitcnt vmcnt(0)
	v_fmac_f64_e32 v[108:109], v[110:111], v[116:117]
	buffer_load_dword v111, off, s[0:3], 0 offset:92
	buffer_load_dword v110, off, s[0:3], 0 offset:88
	ds_read2_b64 v[114:117], v112 offset0:65 offset1:66
	s_waitcnt vmcnt(0) lgkmcnt(0)
	v_fmac_f64_e32 v[108:109], v[110:111], v[114:115]
	buffer_load_dword v111, off, s[0:3], 0 offset:100
	buffer_load_dword v110, off, s[0:3], 0 offset:96
	;; [unrolled: 9-line block ×22, first 2 shown]
	s_waitcnt vmcnt(0)
	v_fmac_f64_e32 v[108:109], v[112:113], v[114:115]
	v_add_f64 v[0:1], v[0:1], -v[108:109]
	buffer_store_dword v1, off, s[0:3], 0 offset:4
	buffer_store_dword v0, off, s[0:3], 0
	s_cbranch_vccz .LBB116_431
; %bb.326:
	v_pk_mov_b32 v[0:1], s[10:11], s[10:11] op_sel:[0,1]
	flat_load_dword v0, v[0:1] offset:204
	s_waitcnt vmcnt(0) lgkmcnt(0)
	v_add_u32_e32 v0, -1, v0
	v_cmp_ne_u32_e32 vcc, 51, v0
	s_and_saveexec_b64 s[4:5], vcc
	s_cbranch_execz .LBB116_328
; %bb.327:
	v_mov_b32_e32 v1, 0
	v_lshl_add_u32 v0, v0, 3, v1
	buffer_load_dword v1, v0, s[0:3], 0 offen
	buffer_load_dword v108, v0, s[0:3], 0 offen offset:4
	s_waitcnt vmcnt(1)
	buffer_store_dword v1, off, s[0:3], 0 offset:408
	s_waitcnt vmcnt(1)
	buffer_store_dword v108, off, s[0:3], 0 offset:412
	buffer_store_dword v110, v0, s[0:3], 0 offen
	buffer_store_dword v111, v0, s[0:3], 0 offen offset:4
.LBB116_328:
	s_or_b64 exec, exec, s[4:5]
	v_pk_mov_b32 v[0:1], s[10:11], s[10:11] op_sel:[0,1]
	flat_load_dword v0, v[0:1] offset:200
	s_waitcnt vmcnt(0) lgkmcnt(0)
	v_add_u32_e32 v0, -1, v0
	v_cmp_ne_u32_e32 vcc, 50, v0
	s_and_saveexec_b64 s[4:5], vcc
	s_cbranch_execz .LBB116_330
; %bb.329:
	v_mov_b32_e32 v1, 0
	v_lshl_add_u32 v0, v0, 3, v1
	buffer_load_dword v1, v0, s[0:3], 0 offen
	buffer_load_dword v108, v0, s[0:3], 0 offen offset:4
	buffer_load_dword v109, off, s[0:3], 0 offset:404
	buffer_load_dword v110, off, s[0:3], 0 offset:400
	s_waitcnt vmcnt(3)
	buffer_store_dword v1, off, s[0:3], 0 offset:400
	s_waitcnt vmcnt(3)
	buffer_store_dword v108, off, s[0:3], 0 offset:404
	s_waitcnt vmcnt(3)
	buffer_store_dword v109, v0, s[0:3], 0 offen offset:4
	s_waitcnt vmcnt(3)
	buffer_store_dword v110, v0, s[0:3], 0 offen
.LBB116_330:
	s_or_b64 exec, exec, s[4:5]
	v_pk_mov_b32 v[0:1], s[10:11], s[10:11] op_sel:[0,1]
	flat_load_dword v0, v[0:1] offset:196
	s_waitcnt vmcnt(0) lgkmcnt(0)
	v_add_u32_e32 v0, -1, v0
	v_cmp_ne_u32_e32 vcc, 49, v0
	s_and_saveexec_b64 s[4:5], vcc
	s_cbranch_execz .LBB116_332
; %bb.331:
	v_mov_b32_e32 v1, 0
	v_lshl_add_u32 v0, v0, 3, v1
	buffer_load_dword v1, v0, s[0:3], 0 offen
	buffer_load_dword v108, v0, s[0:3], 0 offen offset:4
	buffer_load_dword v109, off, s[0:3], 0 offset:392
	buffer_load_dword v110, off, s[0:3], 0 offset:396
	s_waitcnt vmcnt(3)
	buffer_store_dword v1, off, s[0:3], 0 offset:392
	s_waitcnt vmcnt(3)
	buffer_store_dword v108, off, s[0:3], 0 offset:396
	s_waitcnt vmcnt(3)
	buffer_store_dword v109, v0, s[0:3], 0 offen
	s_waitcnt vmcnt(3)
	buffer_store_dword v110, v0, s[0:3], 0 offen offset:4
.LBB116_332:
	s_or_b64 exec, exec, s[4:5]
	v_pk_mov_b32 v[0:1], s[10:11], s[10:11] op_sel:[0,1]
	flat_load_dword v0, v[0:1] offset:192
	s_waitcnt vmcnt(0) lgkmcnt(0)
	v_add_u32_e32 v0, -1, v0
	v_cmp_ne_u32_e32 vcc, 48, v0
	s_and_saveexec_b64 s[4:5], vcc
	s_cbranch_execz .LBB116_334
; %bb.333:
	v_mov_b32_e32 v1, 0
	v_lshl_add_u32 v0, v0, 3, v1
	buffer_load_dword v1, v0, s[0:3], 0 offen
	buffer_load_dword v108, v0, s[0:3], 0 offen offset:4
	buffer_load_dword v109, off, s[0:3], 0 offset:388
	buffer_load_dword v110, off, s[0:3], 0 offset:384
	s_waitcnt vmcnt(3)
	buffer_store_dword v1, off, s[0:3], 0 offset:384
	s_waitcnt vmcnt(3)
	buffer_store_dword v108, off, s[0:3], 0 offset:388
	s_waitcnt vmcnt(3)
	buffer_store_dword v109, v0, s[0:3], 0 offen offset:4
	s_waitcnt vmcnt(3)
	buffer_store_dword v110, v0, s[0:3], 0 offen
.LBB116_334:
	s_or_b64 exec, exec, s[4:5]
	v_pk_mov_b32 v[0:1], s[10:11], s[10:11] op_sel:[0,1]
	flat_load_dword v0, v[0:1] offset:188
	s_waitcnt vmcnt(0) lgkmcnt(0)
	v_add_u32_e32 v0, -1, v0
	v_cmp_ne_u32_e32 vcc, 47, v0
	s_and_saveexec_b64 s[4:5], vcc
	s_cbranch_execz .LBB116_336
; %bb.335:
	v_mov_b32_e32 v1, 0
	v_lshl_add_u32 v0, v0, 3, v1
	buffer_load_dword v1, v0, s[0:3], 0 offen
	buffer_load_dword v108, v0, s[0:3], 0 offen offset:4
	buffer_load_dword v109, off, s[0:3], 0 offset:376
	buffer_load_dword v110, off, s[0:3], 0 offset:380
	s_waitcnt vmcnt(3)
	buffer_store_dword v1, off, s[0:3], 0 offset:376
	s_waitcnt vmcnt(3)
	buffer_store_dword v108, off, s[0:3], 0 offset:380
	s_waitcnt vmcnt(3)
	buffer_store_dword v109, v0, s[0:3], 0 offen
	s_waitcnt vmcnt(3)
	buffer_store_dword v110, v0, s[0:3], 0 offen offset:4
.LBB116_336:
	;; [unrolled: 48-line block ×25, first 2 shown]
	s_or_b64 exec, exec, s[4:5]
	v_pk_mov_b32 v[0:1], s[10:11], s[10:11] op_sel:[0,1]
	flat_load_dword v108, v[0:1]
	s_nop 0
	buffer_load_dword v0, off, s[0:3], 0
	buffer_load_dword v1, off, s[0:3], 0 offset:4
	s_waitcnt vmcnt(0) lgkmcnt(0)
	v_add_u32_e32 v108, -1, v108
	v_cmp_ne_u32_e32 vcc, 0, v108
	s_and_saveexec_b64 s[4:5], vcc
	s_cbranch_execz .LBB116_430
; %bb.429:
	v_mov_b32_e32 v109, 0
	v_lshl_add_u32 v108, v108, 3, v109
	buffer_load_dword v109, v108, s[0:3], 0 offen offset:4
	buffer_load_dword v110, v108, s[0:3], 0 offen
	s_waitcnt vmcnt(1)
	buffer_store_dword v109, off, s[0:3], 0 offset:4
	s_waitcnt vmcnt(1)
	buffer_store_dword v110, off, s[0:3], 0
	buffer_store_dword v1, v108, s[0:3], 0 offen offset:4
	buffer_store_dword v0, v108, s[0:3], 0 offen
	buffer_load_dword v0, off, s[0:3], 0
	s_nop 0
	buffer_load_dword v1, off, s[0:3], 0 offset:4
.LBB116_430:
	s_or_b64 exec, exec, s[4:5]
.LBB116_431:
	s_waitcnt vmcnt(0)
	global_store_dwordx2 v[106:107], v[0:1], off
	buffer_load_dword v0, off, s[0:3], 0 offset:8
	s_nop 0
	buffer_load_dword v1, off, s[0:3], 0 offset:12
	buffer_load_dword v106, off, s[0:3], 0 offset:16
	;; [unrolled: 1-line block ×15, first 2 shown]
	s_waitcnt vmcnt(14)
	global_store_dwordx2 v[104:105], v[0:1], off
	s_waitcnt vmcnt(13)
	global_store_dwordx2 v[2:3], v[106:107], off
	;; [unrolled: 2-line block ×8, first 2 shown]
	buffer_load_dword v0, off, s[0:3], 0 offset:72
	buffer_load_dword v1, off, s[0:3], 0 offset:76
	s_waitcnt vmcnt(0)
	global_store_dwordx2 v[14:15], v[0:1], off
	buffer_load_dword v0, off, s[0:3], 0 offset:80
	s_nop 0
	buffer_load_dword v1, off, s[0:3], 0 offset:84
	s_waitcnt vmcnt(0)
	global_store_dwordx2 v[16:17], v[0:1], off
	buffer_load_dword v0, off, s[0:3], 0 offset:88
	s_nop 0
	;; [unrolled: 5-line block ×43, first 2 shown]
	buffer_load_dword v1, off, s[0:3], 0 offset:420
	s_waitcnt vmcnt(0)
	global_store_dwordx2 v[90:91], v[0:1], off
	s_endpgm
	.section	.rodata,"a",@progbits
	.p2align	6, 0x0
	.amdhsa_kernel _ZN9rocsolver6v33100L18getri_kernel_smallILi53EdPKPdEEvT1_iilPiilS6_bb
		.amdhsa_group_segment_fixed_size 856
		.amdhsa_private_segment_fixed_size 432
		.amdhsa_kernarg_size 60
		.amdhsa_user_sgpr_count 8
		.amdhsa_user_sgpr_private_segment_buffer 1
		.amdhsa_user_sgpr_dispatch_ptr 0
		.amdhsa_user_sgpr_queue_ptr 0
		.amdhsa_user_sgpr_kernarg_segment_ptr 1
		.amdhsa_user_sgpr_dispatch_id 0
		.amdhsa_user_sgpr_flat_scratch_init 1
		.amdhsa_user_sgpr_kernarg_preload_length 0
		.amdhsa_user_sgpr_kernarg_preload_offset 0
		.amdhsa_user_sgpr_private_segment_size 0
		.amdhsa_uses_dynamic_stack 0
		.amdhsa_system_sgpr_private_segment_wavefront_offset 1
		.amdhsa_system_sgpr_workgroup_id_x 1
		.amdhsa_system_sgpr_workgroup_id_y 0
		.amdhsa_system_sgpr_workgroup_id_z 0
		.amdhsa_system_sgpr_workgroup_info 0
		.amdhsa_system_vgpr_workitem_id 0
		.amdhsa_next_free_vgpr 168
		.amdhsa_next_free_sgpr 22
		.amdhsa_accum_offset 168
		.amdhsa_reserve_vcc 1
		.amdhsa_reserve_flat_scratch 1
		.amdhsa_float_round_mode_32 0
		.amdhsa_float_round_mode_16_64 0
		.amdhsa_float_denorm_mode_32 3
		.amdhsa_float_denorm_mode_16_64 3
		.amdhsa_dx10_clamp 1
		.amdhsa_ieee_mode 1
		.amdhsa_fp16_overflow 0
		.amdhsa_tg_split 0
		.amdhsa_exception_fp_ieee_invalid_op 0
		.amdhsa_exception_fp_denorm_src 0
		.amdhsa_exception_fp_ieee_div_zero 0
		.amdhsa_exception_fp_ieee_overflow 0
		.amdhsa_exception_fp_ieee_underflow 0
		.amdhsa_exception_fp_ieee_inexact 0
		.amdhsa_exception_int_div_zero 0
	.end_amdhsa_kernel
	.section	.text._ZN9rocsolver6v33100L18getri_kernel_smallILi53EdPKPdEEvT1_iilPiilS6_bb,"axG",@progbits,_ZN9rocsolver6v33100L18getri_kernel_smallILi53EdPKPdEEvT1_iilPiilS6_bb,comdat
.Lfunc_end116:
	.size	_ZN9rocsolver6v33100L18getri_kernel_smallILi53EdPKPdEEvT1_iilPiilS6_bb, .Lfunc_end116-_ZN9rocsolver6v33100L18getri_kernel_smallILi53EdPKPdEEvT1_iilPiilS6_bb
                                        ; -- End function
	.section	.AMDGPU.csdata,"",@progbits
; Kernel info:
; codeLenInByte = 66420
; NumSgprs: 28
; NumVgprs: 168
; NumAgprs: 0
; TotalNumVgprs: 168
; ScratchSize: 432
; MemoryBound: 1
; FloatMode: 240
; IeeeMode: 1
; LDSByteSize: 856 bytes/workgroup (compile time only)
; SGPRBlocks: 3
; VGPRBlocks: 20
; NumSGPRsForWavesPerEU: 28
; NumVGPRsForWavesPerEU: 168
; AccumOffset: 168
; Occupancy: 3
; WaveLimiterHint : 1
; COMPUTE_PGM_RSRC2:SCRATCH_EN: 1
; COMPUTE_PGM_RSRC2:USER_SGPR: 8
; COMPUTE_PGM_RSRC2:TRAP_HANDLER: 0
; COMPUTE_PGM_RSRC2:TGID_X_EN: 1
; COMPUTE_PGM_RSRC2:TGID_Y_EN: 0
; COMPUTE_PGM_RSRC2:TGID_Z_EN: 0
; COMPUTE_PGM_RSRC2:TIDIG_COMP_CNT: 0
; COMPUTE_PGM_RSRC3_GFX90A:ACCUM_OFFSET: 41
; COMPUTE_PGM_RSRC3_GFX90A:TG_SPLIT: 0
	.section	.text._ZN9rocsolver6v33100L18getri_kernel_smallILi54EdPKPdEEvT1_iilPiilS6_bb,"axG",@progbits,_ZN9rocsolver6v33100L18getri_kernel_smallILi54EdPKPdEEvT1_iilPiilS6_bb,comdat
	.globl	_ZN9rocsolver6v33100L18getri_kernel_smallILi54EdPKPdEEvT1_iilPiilS6_bb ; -- Begin function _ZN9rocsolver6v33100L18getri_kernel_smallILi54EdPKPdEEvT1_iilPiilS6_bb
	.p2align	8
	.type	_ZN9rocsolver6v33100L18getri_kernel_smallILi54EdPKPdEEvT1_iilPiilS6_bb,@function
_ZN9rocsolver6v33100L18getri_kernel_smallILi54EdPKPdEEvT1_iilPiilS6_bb: ; @_ZN9rocsolver6v33100L18getri_kernel_smallILi54EdPKPdEEvT1_iilPiilS6_bb
; %bb.0:
	s_add_u32 flat_scratch_lo, s6, s9
	s_addc_u32 flat_scratch_hi, s7, 0
	s_add_u32 s0, s0, s9
	s_addc_u32 s1, s1, 0
	v_cmp_gt_u32_e32 vcc, 54, v0
	s_and_saveexec_b64 s[6:7], vcc
	s_cbranch_execz .LBB117_224
; %bb.1:
	s_load_dword s20, s[4:5], 0x38
	s_load_dwordx2 s[6:7], s[4:5], 0x0
	s_load_dwordx4 s[12:15], s[4:5], 0x28
	s_waitcnt lgkmcnt(0)
	s_bitcmp1_b32 s20, 8
	s_cselect_b64 s[16:17], -1, 0
	s_ashr_i32 s9, s8, 31
	s_lshl_b64 s[10:11], s[8:9], 3
	s_add_u32 s6, s6, s10
	s_addc_u32 s7, s7, s11
	s_load_dwordx2 s[18:19], s[6:7], 0x0
	s_bfe_u32 s6, s20, 0x10008
	s_cmp_eq_u32 s6, 0
                                        ; implicit-def: $sgpr10_sgpr11
	s_cbranch_scc1 .LBB117_3
; %bb.2:
	s_load_dword s6, s[4:5], 0x20
	s_load_dwordx2 s[10:11], s[4:5], 0x18
	s_mul_i32 s7, s8, s13
	s_mul_hi_u32 s13, s8, s12
	s_add_i32 s13, s13, s7
	s_mul_i32 s21, s9, s12
	s_add_i32 s13, s13, s21
	s_mul_i32 s12, s8, s12
	s_waitcnt lgkmcnt(0)
	s_ashr_i32 s7, s6, 31
	s_lshl_b64 s[12:13], s[12:13], 2
	s_add_u32 s10, s10, s12
	s_addc_u32 s11, s11, s13
	s_lshl_b64 s[6:7], s[6:7], 2
	s_add_u32 s10, s10, s6
	s_addc_u32 s11, s11, s7
.LBB117_3:
	s_load_dwordx2 s[6:7], s[4:5], 0x8
	s_waitcnt lgkmcnt(0)
	s_ashr_i32 s5, s6, 31
	s_mov_b32 s4, s6
	s_lshl_b64 s[4:5], s[4:5], 3
	s_add_u32 s4, s18, s4
	s_addc_u32 s5, s19, s5
	s_add_i32 s6, s7, s7
	v_add_u32_e32 v4, s6, v0
	v_ashrrev_i32_e32 v5, 31, v4
	v_lshlrev_b64 v[2:3], 3, v[4:5]
	v_add_u32_e32 v6, s7, v4
	v_mov_b32_e32 v1, s5
	v_add_co_u32_e32 v2, vcc, s4, v2
	v_ashrrev_i32_e32 v7, 31, v6
	v_addc_co_u32_e32 v3, vcc, v1, v3, vcc
	v_lshlrev_b64 v[4:5], 3, v[6:7]
	v_add_u32_e32 v8, s7, v6
	v_add_co_u32_e32 v4, vcc, s4, v4
	v_ashrrev_i32_e32 v9, 31, v8
	v_addc_co_u32_e32 v5, vcc, v1, v5, vcc
	v_lshlrev_b64 v[6:7], 3, v[8:9]
	v_add_u32_e32 v10, s7, v8
	;; [unrolled: 5-line block ×5, first 2 shown]
	v_add_co_u32_e32 v12, vcc, s4, v12
	v_ashrrev_i32_e32 v15, 31, v14
	v_addc_co_u32_e32 v13, vcc, v1, v13, vcc
	v_lshlrev_b64 v[16:17], 3, v[14:15]
	v_add_co_u32_e32 v18, vcc, s4, v16
	v_add_u32_e32 v16, s7, v14
	v_addc_co_u32_e32 v19, vcc, v1, v17, vcc
	v_ashrrev_i32_e32 v17, 31, v16
	v_lshlrev_b64 v[14:15], 3, v[16:17]
	v_add_u32_e32 v20, s7, v16
	v_add_co_u32_e32 v14, vcc, s4, v14
	v_ashrrev_i32_e32 v21, 31, v20
	v_addc_co_u32_e32 v15, vcc, v1, v15, vcc
	v_lshlrev_b64 v[16:17], 3, v[20:21]
	v_add_u32_e32 v22, s7, v20
	v_add_co_u32_e32 v16, vcc, s4, v16
	v_ashrrev_i32_e32 v23, 31, v22
	v_addc_co_u32_e32 v17, vcc, v1, v17, vcc
	;; [unrolled: 5-line block ×38, first 2 shown]
	v_lshlrev_b64 v[92:93], 3, v[94:95]
	v_add_co_u32_e32 v92, vcc, s4, v92
	v_addc_co_u32_e32 v93, vcc, v1, v93, vcc
	v_lshlrev_b32_e32 v1, 3, v0
	global_load_dwordx2 v[110:111], v1, s[4:5]
	global_load_dwordx2 v[114:115], v[2:3], off
	v_mov_b32_e32 v96, s5
	v_add_co_u32_e32 v108, vcc, s4, v1
	s_ashr_i32 s13, s7, 31
	s_mov_b32 s12, s7
	v_addc_co_u32_e32 v109, vcc, 0, v96, vcc
	s_lshl_b64 s[12:13], s[12:13], 3
	v_mov_b32_e32 v96, s13
	v_add_co_u32_e32 v106, vcc, s12, v108
	v_addc_co_u32_e32 v107, vcc, v109, v96, vcc
	global_load_dwordx2 v[112:113], v[106:107], off
	global_load_dwordx2 v[116:117], v[4:5], off
	;; [unrolled: 1-line block ×17, first 2 shown]
	v_add_u32_e32 v94, s7, v94
	v_ashrrev_i32_e32 v95, 31, v94
	v_lshlrev_b64 v[96:97], 3, v[94:95]
	v_add_u32_e32 v94, s7, v94
	v_mov_b32_e32 v98, s5
	v_add_co_u32_e32 v96, vcc, s4, v96
	v_ashrrev_i32_e32 v95, 31, v94
	v_addc_co_u32_e32 v97, vcc, v98, v97, vcc
	v_lshlrev_b64 v[98:99], 3, v[94:95]
	v_add_u32_e32 v94, s7, v94
	global_load_dwordx2 v[148:149], v[36:37], off
	global_load_dwordx2 v[150:151], v[38:39], off
	v_mov_b32_e32 v100, s5
	v_add_co_u32_e32 v98, vcc, s4, v98
	v_ashrrev_i32_e32 v95, 31, v94
	v_addc_co_u32_e32 v99, vcc, v100, v99, vcc
	v_lshlrev_b64 v[100:101], 3, v[94:95]
	v_add_u32_e32 v94, s7, v94
	v_mov_b32_e32 v102, s5
	v_add_co_u32_e32 v100, vcc, s4, v100
	v_ashrrev_i32_e32 v95, 31, v94
	v_addc_co_u32_e32 v101, vcc, v102, v101, vcc
	v_lshlrev_b64 v[102:103], 3, v[94:95]
	v_add_u32_e32 v94, s7, v94
	v_mov_b32_e32 v104, s5
	v_add_co_u32_e32 v102, vcc, s4, v102
	v_ashrrev_i32_e32 v95, 31, v94
	global_load_dwordx2 v[152:153], v[40:41], off
	global_load_dwordx2 v[154:155], v[42:43], off
	v_addc_co_u32_e32 v103, vcc, v104, v103, vcc
	v_lshlrev_b64 v[104:105], 3, v[94:95]
	v_mov_b32_e32 v156, s5
	v_add_co_u32_e32 v104, vcc, s4, v104
	v_addc_co_u32_e32 v105, vcc, v156, v105, vcc
	global_load_dwordx2 v[156:157], v[44:45], off
	global_load_dwordx2 v[158:159], v[46:47], off
	v_add_u32_e32 v94, s7, v94
	v_ashrrev_i32_e32 v95, 31, v94
	v_lshlrev_b64 v[94:95], 3, v[94:95]
	v_mov_b32_e32 v160, s5
	v_add_co_u32_e32 v94, vcc, s4, v94
	v_addc_co_u32_e32 v95, vcc, v160, v95, vcc
	global_load_dwordx2 v[160:161], v[48:49], off
	global_load_dwordx2 v[162:163], v[94:95], off
	s_waitcnt vmcnt(26)
	buffer_store_dword v111, off, s[0:3], 0 offset:4
	buffer_store_dword v110, off, s[0:3], 0
	global_load_dwordx2 v[110:111], v[50:51], off
	s_waitcnt vmcnt(27)
	buffer_store_dword v113, off, s[0:3], 0 offset:12
	buffer_store_dword v112, off, s[0:3], 0 offset:8
	;; [unrolled: 1-line block ×4, first 2 shown]
	s_waitcnt vmcnt(30)
	buffer_store_dword v117, off, s[0:3], 0 offset:28
	buffer_store_dword v116, off, s[0:3], 0 offset:24
	s_waitcnt vmcnt(31)
	buffer_store_dword v119, off, s[0:3], 0 offset:36
	buffer_store_dword v118, off, s[0:3], 0 offset:32
	;; [unrolled: 3-line block ×6, first 2 shown]
	buffer_store_dword v128, off, s[0:3], 0 offset:72
	buffer_store_dword v129, off, s[0:3], 0 offset:76
	;; [unrolled: 1-line block ×4, first 2 shown]
	s_waitcnt vmcnt(38)
	buffer_store_dword v132, off, s[0:3], 0 offset:88
	buffer_store_dword v133, off, s[0:3], 0 offset:92
	s_waitcnt vmcnt(39)
	buffer_store_dword v134, off, s[0:3], 0 offset:96
	buffer_store_dword v135, off, s[0:3], 0 offset:100
	;; [unrolled: 3-line block ×3, first 2 shown]
	s_waitcnt vmcnt(41)
	buffer_store_dword v139, off, s[0:3], 0 offset:116
	global_load_dwordx2 v[112:113], v[52:53], off
	global_load_dwordx2 v[114:115], v[54:55], off
	;; [unrolled: 1-line block ×13, first 2 shown]
	s_bitcmp0_b32 s20, 0
	buffer_store_dword v138, off, s[0:3], 0 offset:112
	global_load_dwordx2 v[138:139], v[78:79], off
	s_mov_b64 s[6:7], -1
	s_waitcnt vmcnt(56)
	buffer_store_dword v140, off, s[0:3], 0 offset:120
	buffer_store_dword v141, off, s[0:3], 0 offset:124
	global_load_dwordx2 v[140:141], v[80:81], off
	s_waitcnt vmcnt(58)
	buffer_store_dword v142, off, s[0:3], 0 offset:128
	buffer_store_dword v143, off, s[0:3], 0 offset:132
	global_load_dwordx2 v[142:143], v[82:83], off
	;; [unrolled: 4-line block ×5, first 2 shown]
	s_nop 0
	buffer_store_dword v151, off, s[0:3], 0 offset:164
	buffer_store_dword v150, off, s[0:3], 0 offset:160
	global_load_dwordx2 v[150:151], v[90:91], off
	s_nop 0
	buffer_store_dword v152, off, s[0:3], 0 offset:168
	buffer_store_dword v153, off, s[0:3], 0 offset:172
	global_load_dwordx2 v[152:153], v[92:93], off
	s_waitcnt vmcnt(62)
	buffer_store_dword v154, off, s[0:3], 0 offset:176
	buffer_store_dword v155, off, s[0:3], 0 offset:180
	global_load_dwordx2 v[154:155], v[96:97], off
	s_nop 0
	buffer_store_dword v156, off, s[0:3], 0 offset:184
	buffer_store_dword v157, off, s[0:3], 0 offset:188
	global_load_dwordx2 v[156:157], v[98:99], off
	s_nop 0
	;; [unrolled: 4-line block ×4, first 2 shown]
	buffer_store_dword v111, off, s[0:3], 0 offset:212
	buffer_store_dword v110, off, s[0:3], 0 offset:208
	global_load_dwordx2 v[110:111], v[104:105], off
	s_waitcnt vmcnt(50)
	buffer_store_dword v112, off, s[0:3], 0 offset:216
	buffer_store_dword v113, off, s[0:3], 0 offset:220
	s_waitcnt vmcnt(51)
	buffer_store_dword v114, off, s[0:3], 0 offset:224
	buffer_store_dword v115, off, s[0:3], 0 offset:228
	;; [unrolled: 3-line block ×26, first 2 shown]
	buffer_store_dword v162, off, s[0:3], 0 offset:424
	buffer_store_dword v163, off, s[0:3], 0 offset:428
	s_cbranch_scc1 .LBB117_222
; %bb.4:
	v_cmp_eq_u32_e64 s[4:5], 0, v0
	s_and_saveexec_b64 s[6:7], s[4:5]
	s_cbranch_execz .LBB117_6
; %bb.5:
	v_mov_b32_e32 v110, 0
	ds_write_b32 v110, v110 offset:864
.LBB117_6:
	s_or_b64 exec, exec, s[6:7]
	v_mov_b32_e32 v110, 0
	v_lshl_add_u32 v110, v0, 3, v110
	s_waitcnt lgkmcnt(0)
	; wave barrier
	s_waitcnt lgkmcnt(0)
	buffer_load_dword v112, v110, s[0:3], 0 offen
	buffer_load_dword v113, v110, s[0:3], 0 offen offset:4
	s_waitcnt vmcnt(0)
	v_cmp_eq_f64_e32 vcc, 0, v[112:113]
	s_and_saveexec_b64 s[12:13], vcc
	s_cbranch_execz .LBB117_10
; %bb.7:
	v_mov_b32_e32 v111, 0
	ds_read_b32 v113, v111 offset:864
	v_add_u32_e32 v112, 1, v0
	s_waitcnt lgkmcnt(0)
	v_readfirstlane_b32 s6, v113
	s_cmp_eq_u32 s6, 0
	s_cselect_b64 s[18:19], -1, 0
	v_cmp_gt_i32_e32 vcc, s6, v112
	s_or_b64 s[18:19], s[18:19], vcc
	s_and_b64 exec, exec, s[18:19]
	s_cbranch_execz .LBB117_10
; %bb.8:
	s_mov_b64 s[18:19], 0
	v_mov_b32_e32 v113, s6
.LBB117_9:                              ; =>This Inner Loop Header: Depth=1
	ds_cmpst_rtn_b32 v113, v111, v113, v112 offset:864
	s_waitcnt lgkmcnt(0)
	v_cmp_ne_u32_e32 vcc, 0, v113
	v_cmp_le_i32_e64 s[6:7], v113, v112
	s_and_b64 s[6:7], vcc, s[6:7]
	s_and_b64 s[6:7], exec, s[6:7]
	s_or_b64 s[18:19], s[6:7], s[18:19]
	s_andn2_b64 exec, exec, s[18:19]
	s_cbranch_execnz .LBB117_9
.LBB117_10:
	s_or_b64 exec, exec, s[12:13]
	v_mov_b32_e32 v112, 0
	s_waitcnt lgkmcnt(0)
	; wave barrier
	ds_read_b32 v111, v112 offset:864
	s_and_saveexec_b64 s[6:7], s[4:5]
	s_cbranch_execz .LBB117_12
; %bb.11:
	s_lshl_b64 s[12:13], s[8:9], 2
	s_add_u32 s12, s14, s12
	s_addc_u32 s13, s15, s13
	s_waitcnt lgkmcnt(0)
	global_store_dword v112, v111, s[12:13]
.LBB117_12:
	s_or_b64 exec, exec, s[6:7]
	s_waitcnt lgkmcnt(0)
	v_cmp_ne_u32_e32 vcc, 0, v111
	s_mov_b64 s[6:7], 0
	s_cbranch_vccnz .LBB117_222
; %bb.13:
	buffer_load_dword v112, v110, s[0:3], 0 offen
	buffer_load_dword v113, v110, s[0:3], 0 offen offset:4
	s_waitcnt vmcnt(0)
	v_div_scale_f64 v[114:115], s[6:7], v[112:113], v[112:113], 1.0
	v_rcp_f64_e32 v[116:117], v[114:115]
	v_div_scale_f64 v[118:119], vcc, 1.0, v[112:113], 1.0
	v_fma_f64 v[120:121], -v[114:115], v[116:117], 1.0
	v_fmac_f64_e32 v[116:117], v[116:117], v[120:121]
	v_fma_f64 v[120:121], -v[114:115], v[116:117], 1.0
	v_fmac_f64_e32 v[116:117], v[116:117], v[120:121]
	v_mul_f64 v[120:121], v[118:119], v[116:117]
	v_fma_f64 v[114:115], -v[114:115], v[120:121], v[118:119]
	v_div_fmas_f64 v[114:115], v[114:115], v[116:117], v[120:121]
	v_div_fixup_f64 v[114:115], v[114:115], v[112:113], 1.0
	buffer_store_dword v115, v110, s[0:3], 0 offen offset:4
	buffer_store_dword v114, v110, s[0:3], 0 offen
	buffer_load_dword v117, off, s[0:3], 0 offset:12
	buffer_load_dword v116, off, s[0:3], 0 offset:8
	v_add_u32_e32 v112, 0x1b0, v1
	v_xor_b32_e32 v115, 0x80000000, v115
	s_waitcnt vmcnt(0)
	ds_write2_b64 v1, v[114:115], v[116:117] offset1:54
	s_waitcnt lgkmcnt(0)
	; wave barrier
	s_waitcnt lgkmcnt(0)
	s_and_saveexec_b64 s[6:7], s[4:5]
	s_cbranch_execz .LBB117_15
; %bb.14:
	buffer_load_dword v114, v110, s[0:3], 0 offen
	buffer_load_dword v115, v110, s[0:3], 0 offen offset:4
	v_mov_b32_e32 v111, 0
	ds_read_b64 v[116:117], v112
	ds_read_b64 v[118:119], v111 offset:8
	s_waitcnt vmcnt(0) lgkmcnt(1)
	v_fma_f64 v[114:115], v[114:115], v[116:117], 0
	s_waitcnt lgkmcnt(0)
	v_mul_f64 v[114:115], v[114:115], v[118:119]
	buffer_store_dword v114, off, s[0:3], 0 offset:8
	buffer_store_dword v115, off, s[0:3], 0 offset:12
.LBB117_15:
	s_or_b64 exec, exec, s[6:7]
	s_waitcnt lgkmcnt(0)
	; wave barrier
	buffer_load_dword v114, off, s[0:3], 0 offset:16
	buffer_load_dword v115, off, s[0:3], 0 offset:20
	v_cmp_gt_u32_e32 vcc, 2, v0
	s_waitcnt vmcnt(0)
	ds_write_b64 v112, v[114:115]
	s_waitcnt lgkmcnt(0)
	; wave barrier
	s_waitcnt lgkmcnt(0)
	s_and_saveexec_b64 s[6:7], vcc
	s_cbranch_execz .LBB117_17
; %bb.16:
	buffer_load_dword v111, v110, s[0:3], 0 offen offset:4
	buffer_load_dword v118, off, s[0:3], 0 offset:8
	s_nop 0
	buffer_load_dword v110, v110, s[0:3], 0 offen
	s_nop 0
	buffer_load_dword v119, off, s[0:3], 0 offset:12
	ds_read_b64 v[120:121], v112
	v_mov_b32_e32 v113, 0
	ds_read2_b64 v[114:117], v113 offset0:2 offset1:55
	s_waitcnt vmcnt(1) lgkmcnt(1)
	v_fma_f64 v[110:111], v[110:111], v[120:121], 0
	s_waitcnt vmcnt(0) lgkmcnt(0)
	v_fma_f64 v[116:117], v[118:119], v[116:117], v[110:111]
	v_cndmask_b32_e64 v111, v111, v117, s[4:5]
	v_cndmask_b32_e64 v110, v110, v116, s[4:5]
	v_mul_f64 v[110:111], v[110:111], v[114:115]
	buffer_store_dword v111, off, s[0:3], 0 offset:20
	buffer_store_dword v110, off, s[0:3], 0 offset:16
.LBB117_17:
	s_or_b64 exec, exec, s[6:7]
	s_waitcnt lgkmcnt(0)
	; wave barrier
	buffer_load_dword v110, off, s[0:3], 0 offset:24
	buffer_load_dword v111, off, s[0:3], 0 offset:28
	v_cmp_gt_u32_e32 vcc, 3, v0
	v_add_u32_e32 v113, -1, v0
	s_waitcnt vmcnt(0)
	ds_write_b64 v112, v[110:111]
	s_waitcnt lgkmcnt(0)
	; wave barrier
	s_waitcnt lgkmcnt(0)
	s_and_saveexec_b64 s[4:5], vcc
	s_cbranch_execz .LBB117_21
; %bb.18:
	v_add_u32_e32 v114, -1, v0
	v_add_u32_e32 v115, 0x1b0, v1
	v_add_u32_e32 v116, 0, v1
	s_mov_b64 s[6:7], 0
	v_pk_mov_b32 v[110:111], 0, 0
.LBB117_19:                             ; =>This Inner Loop Header: Depth=1
	buffer_load_dword v118, v116, s[0:3], 0 offen
	buffer_load_dword v119, v116, s[0:3], 0 offen offset:4
	ds_read_b64 v[120:121], v115
	v_add_u32_e32 v114, 1, v114
	v_cmp_lt_u32_e32 vcc, 1, v114
	v_add_u32_e32 v115, 8, v115
	v_add_u32_e32 v116, 8, v116
	s_or_b64 s[6:7], vcc, s[6:7]
	s_waitcnt vmcnt(0) lgkmcnt(0)
	v_fmac_f64_e32 v[110:111], v[118:119], v[120:121]
	s_andn2_b64 exec, exec, s[6:7]
	s_cbranch_execnz .LBB117_19
; %bb.20:
	s_or_b64 exec, exec, s[6:7]
	v_mov_b32_e32 v114, 0
	ds_read_b64 v[114:115], v114 offset:24
	s_waitcnt lgkmcnt(0)
	v_mul_f64 v[110:111], v[110:111], v[114:115]
	buffer_store_dword v111, off, s[0:3], 0 offset:28
	buffer_store_dword v110, off, s[0:3], 0 offset:24
.LBB117_21:
	s_or_b64 exec, exec, s[4:5]
	s_waitcnt lgkmcnt(0)
	; wave barrier
	buffer_load_dword v110, off, s[0:3], 0 offset:32
	buffer_load_dword v111, off, s[0:3], 0 offset:36
	v_cmp_gt_u32_e32 vcc, 4, v0
	s_waitcnt vmcnt(0)
	ds_write_b64 v112, v[110:111]
	s_waitcnt lgkmcnt(0)
	; wave barrier
	s_waitcnt lgkmcnt(0)
	s_and_saveexec_b64 s[4:5], vcc
	s_cbranch_execz .LBB117_25
; %bb.22:
	v_add_u32_e32 v114, -1, v0
	v_add_u32_e32 v115, 0x1b0, v1
	v_add_u32_e32 v116, 0, v1
	s_mov_b64 s[6:7], 0
	v_pk_mov_b32 v[110:111], 0, 0
.LBB117_23:                             ; =>This Inner Loop Header: Depth=1
	buffer_load_dword v118, v116, s[0:3], 0 offen
	buffer_load_dword v119, v116, s[0:3], 0 offen offset:4
	ds_read_b64 v[120:121], v115
	v_add_u32_e32 v114, 1, v114
	v_cmp_lt_u32_e32 vcc, 2, v114
	v_add_u32_e32 v115, 8, v115
	v_add_u32_e32 v116, 8, v116
	s_or_b64 s[6:7], vcc, s[6:7]
	s_waitcnt vmcnt(0) lgkmcnt(0)
	v_fmac_f64_e32 v[110:111], v[118:119], v[120:121]
	s_andn2_b64 exec, exec, s[6:7]
	s_cbranch_execnz .LBB117_23
; %bb.24:
	s_or_b64 exec, exec, s[6:7]
	v_mov_b32_e32 v114, 0
	ds_read_b64 v[114:115], v114 offset:32
	s_waitcnt lgkmcnt(0)
	v_mul_f64 v[110:111], v[110:111], v[114:115]
	buffer_store_dword v111, off, s[0:3], 0 offset:36
	buffer_store_dword v110, off, s[0:3], 0 offset:32
.LBB117_25:
	s_or_b64 exec, exec, s[4:5]
	s_waitcnt lgkmcnt(0)
	; wave barrier
	buffer_load_dword v110, off, s[0:3], 0 offset:40
	buffer_load_dword v111, off, s[0:3], 0 offset:44
	v_cmp_gt_u32_e32 vcc, 5, v0
	s_waitcnt vmcnt(0)
	ds_write_b64 v112, v[110:111]
	s_waitcnt lgkmcnt(0)
	; wave barrier
	s_waitcnt lgkmcnt(0)
	s_and_saveexec_b64 s[4:5], vcc
	s_cbranch_execz .LBB117_29
; %bb.26:
	v_add_u32_e32 v114, -1, v0
	v_add_u32_e32 v115, 0x1b0, v1
	v_add_u32_e32 v116, 0, v1
	s_mov_b64 s[6:7], 0
	v_pk_mov_b32 v[110:111], 0, 0
.LBB117_27:                             ; =>This Inner Loop Header: Depth=1
	buffer_load_dword v118, v116, s[0:3], 0 offen
	buffer_load_dword v119, v116, s[0:3], 0 offen offset:4
	ds_read_b64 v[120:121], v115
	v_add_u32_e32 v114, 1, v114
	v_cmp_lt_u32_e32 vcc, 3, v114
	v_add_u32_e32 v115, 8, v115
	v_add_u32_e32 v116, 8, v116
	s_or_b64 s[6:7], vcc, s[6:7]
	s_waitcnt vmcnt(0) lgkmcnt(0)
	v_fmac_f64_e32 v[110:111], v[118:119], v[120:121]
	s_andn2_b64 exec, exec, s[6:7]
	s_cbranch_execnz .LBB117_27
; %bb.28:
	s_or_b64 exec, exec, s[6:7]
	v_mov_b32_e32 v114, 0
	ds_read_b64 v[114:115], v114 offset:40
	s_waitcnt lgkmcnt(0)
	v_mul_f64 v[110:111], v[110:111], v[114:115]
	buffer_store_dword v111, off, s[0:3], 0 offset:44
	buffer_store_dword v110, off, s[0:3], 0 offset:40
.LBB117_29:
	s_or_b64 exec, exec, s[4:5]
	s_waitcnt lgkmcnt(0)
	; wave barrier
	buffer_load_dword v110, off, s[0:3], 0 offset:48
	buffer_load_dword v111, off, s[0:3], 0 offset:52
	v_cmp_gt_u32_e32 vcc, 6, v0
	s_waitcnt vmcnt(0)
	ds_write_b64 v112, v[110:111]
	s_waitcnt lgkmcnt(0)
	; wave barrier
	s_waitcnt lgkmcnt(0)
	s_and_saveexec_b64 s[4:5], vcc
	s_cbranch_execz .LBB117_33
; %bb.30:
	v_add_u32_e32 v114, -1, v0
	v_add_u32_e32 v115, 0x1b0, v1
	v_add_u32_e32 v116, 0, v1
	s_mov_b64 s[6:7], 0
	v_pk_mov_b32 v[110:111], 0, 0
.LBB117_31:                             ; =>This Inner Loop Header: Depth=1
	buffer_load_dword v118, v116, s[0:3], 0 offen
	buffer_load_dword v119, v116, s[0:3], 0 offen offset:4
	ds_read_b64 v[120:121], v115
	v_add_u32_e32 v114, 1, v114
	v_cmp_lt_u32_e32 vcc, 4, v114
	v_add_u32_e32 v115, 8, v115
	v_add_u32_e32 v116, 8, v116
	s_or_b64 s[6:7], vcc, s[6:7]
	s_waitcnt vmcnt(0) lgkmcnt(0)
	v_fmac_f64_e32 v[110:111], v[118:119], v[120:121]
	s_andn2_b64 exec, exec, s[6:7]
	s_cbranch_execnz .LBB117_31
; %bb.32:
	s_or_b64 exec, exec, s[6:7]
	v_mov_b32_e32 v114, 0
	ds_read_b64 v[114:115], v114 offset:48
	s_waitcnt lgkmcnt(0)
	v_mul_f64 v[110:111], v[110:111], v[114:115]
	buffer_store_dword v111, off, s[0:3], 0 offset:52
	buffer_store_dword v110, off, s[0:3], 0 offset:48
.LBB117_33:
	s_or_b64 exec, exec, s[4:5]
	s_waitcnt lgkmcnt(0)
	; wave barrier
	buffer_load_dword v110, off, s[0:3], 0 offset:56
	buffer_load_dword v111, off, s[0:3], 0 offset:60
	v_cmp_gt_u32_e32 vcc, 7, v0
	s_waitcnt vmcnt(0)
	ds_write_b64 v112, v[110:111]
	s_waitcnt lgkmcnt(0)
	; wave barrier
	s_waitcnt lgkmcnt(0)
	s_and_saveexec_b64 s[4:5], vcc
	s_cbranch_execz .LBB117_37
; %bb.34:
	v_add_u32_e32 v114, -1, v0
	v_add_u32_e32 v115, 0x1b0, v1
	v_add_u32_e32 v116, 0, v1
	s_mov_b64 s[6:7], 0
	v_pk_mov_b32 v[110:111], 0, 0
.LBB117_35:                             ; =>This Inner Loop Header: Depth=1
	buffer_load_dword v118, v116, s[0:3], 0 offen
	buffer_load_dword v119, v116, s[0:3], 0 offen offset:4
	ds_read_b64 v[120:121], v115
	v_add_u32_e32 v114, 1, v114
	v_cmp_lt_u32_e32 vcc, 5, v114
	v_add_u32_e32 v115, 8, v115
	v_add_u32_e32 v116, 8, v116
	s_or_b64 s[6:7], vcc, s[6:7]
	s_waitcnt vmcnt(0) lgkmcnt(0)
	v_fmac_f64_e32 v[110:111], v[118:119], v[120:121]
	s_andn2_b64 exec, exec, s[6:7]
	s_cbranch_execnz .LBB117_35
; %bb.36:
	s_or_b64 exec, exec, s[6:7]
	v_mov_b32_e32 v114, 0
	ds_read_b64 v[114:115], v114 offset:56
	s_waitcnt lgkmcnt(0)
	v_mul_f64 v[110:111], v[110:111], v[114:115]
	buffer_store_dword v111, off, s[0:3], 0 offset:60
	buffer_store_dword v110, off, s[0:3], 0 offset:56
.LBB117_37:
	s_or_b64 exec, exec, s[4:5]
	s_waitcnt lgkmcnt(0)
	; wave barrier
	buffer_load_dword v110, off, s[0:3], 0 offset:64
	buffer_load_dword v111, off, s[0:3], 0 offset:68
	v_cmp_gt_u32_e32 vcc, 8, v0
	s_waitcnt vmcnt(0)
	ds_write_b64 v112, v[110:111]
	s_waitcnt lgkmcnt(0)
	; wave barrier
	s_waitcnt lgkmcnt(0)
	s_and_saveexec_b64 s[4:5], vcc
	s_cbranch_execz .LBB117_41
; %bb.38:
	v_add_u32_e32 v114, -1, v0
	v_add_u32_e32 v115, 0x1b0, v1
	v_add_u32_e32 v116, 0, v1
	s_mov_b64 s[6:7], 0
	v_pk_mov_b32 v[110:111], 0, 0
.LBB117_39:                             ; =>This Inner Loop Header: Depth=1
	buffer_load_dword v118, v116, s[0:3], 0 offen
	buffer_load_dword v119, v116, s[0:3], 0 offen offset:4
	ds_read_b64 v[120:121], v115
	v_add_u32_e32 v114, 1, v114
	v_cmp_lt_u32_e32 vcc, 6, v114
	v_add_u32_e32 v115, 8, v115
	v_add_u32_e32 v116, 8, v116
	s_or_b64 s[6:7], vcc, s[6:7]
	s_waitcnt vmcnt(0) lgkmcnt(0)
	v_fmac_f64_e32 v[110:111], v[118:119], v[120:121]
	s_andn2_b64 exec, exec, s[6:7]
	s_cbranch_execnz .LBB117_39
; %bb.40:
	s_or_b64 exec, exec, s[6:7]
	v_mov_b32_e32 v114, 0
	ds_read_b64 v[114:115], v114 offset:64
	s_waitcnt lgkmcnt(0)
	v_mul_f64 v[110:111], v[110:111], v[114:115]
	buffer_store_dword v111, off, s[0:3], 0 offset:68
	buffer_store_dword v110, off, s[0:3], 0 offset:64
.LBB117_41:
	s_or_b64 exec, exec, s[4:5]
	s_waitcnt lgkmcnt(0)
	; wave barrier
	buffer_load_dword v110, off, s[0:3], 0 offset:72
	buffer_load_dword v111, off, s[0:3], 0 offset:76
	v_cmp_gt_u32_e32 vcc, 9, v0
	s_waitcnt vmcnt(0)
	ds_write_b64 v112, v[110:111]
	s_waitcnt lgkmcnt(0)
	; wave barrier
	s_waitcnt lgkmcnt(0)
	s_and_saveexec_b64 s[4:5], vcc
	s_cbranch_execz .LBB117_45
; %bb.42:
	v_add_u32_e32 v114, -1, v0
	v_add_u32_e32 v115, 0x1b0, v1
	v_add_u32_e32 v116, 0, v1
	s_mov_b64 s[6:7], 0
	v_pk_mov_b32 v[110:111], 0, 0
.LBB117_43:                             ; =>This Inner Loop Header: Depth=1
	buffer_load_dword v118, v116, s[0:3], 0 offen
	buffer_load_dword v119, v116, s[0:3], 0 offen offset:4
	ds_read_b64 v[120:121], v115
	v_add_u32_e32 v114, 1, v114
	v_cmp_lt_u32_e32 vcc, 7, v114
	v_add_u32_e32 v115, 8, v115
	v_add_u32_e32 v116, 8, v116
	s_or_b64 s[6:7], vcc, s[6:7]
	s_waitcnt vmcnt(0) lgkmcnt(0)
	v_fmac_f64_e32 v[110:111], v[118:119], v[120:121]
	s_andn2_b64 exec, exec, s[6:7]
	s_cbranch_execnz .LBB117_43
; %bb.44:
	s_or_b64 exec, exec, s[6:7]
	v_mov_b32_e32 v114, 0
	ds_read_b64 v[114:115], v114 offset:72
	s_waitcnt lgkmcnt(0)
	v_mul_f64 v[110:111], v[110:111], v[114:115]
	buffer_store_dword v111, off, s[0:3], 0 offset:76
	buffer_store_dword v110, off, s[0:3], 0 offset:72
.LBB117_45:
	s_or_b64 exec, exec, s[4:5]
	s_waitcnt lgkmcnt(0)
	; wave barrier
	buffer_load_dword v110, off, s[0:3], 0 offset:80
	buffer_load_dword v111, off, s[0:3], 0 offset:84
	v_cmp_gt_u32_e32 vcc, 10, v0
	s_waitcnt vmcnt(0)
	ds_write_b64 v112, v[110:111]
	s_waitcnt lgkmcnt(0)
	; wave barrier
	s_waitcnt lgkmcnt(0)
	s_and_saveexec_b64 s[4:5], vcc
	s_cbranch_execz .LBB117_49
; %bb.46:
	v_add_u32_e32 v114, -1, v0
	v_add_u32_e32 v115, 0x1b0, v1
	v_add_u32_e32 v116, 0, v1
	s_mov_b64 s[6:7], 0
	v_pk_mov_b32 v[110:111], 0, 0
.LBB117_47:                             ; =>This Inner Loop Header: Depth=1
	buffer_load_dword v118, v116, s[0:3], 0 offen
	buffer_load_dword v119, v116, s[0:3], 0 offen offset:4
	ds_read_b64 v[120:121], v115
	v_add_u32_e32 v114, 1, v114
	v_cmp_lt_u32_e32 vcc, 8, v114
	v_add_u32_e32 v115, 8, v115
	v_add_u32_e32 v116, 8, v116
	s_or_b64 s[6:7], vcc, s[6:7]
	s_waitcnt vmcnt(0) lgkmcnt(0)
	v_fmac_f64_e32 v[110:111], v[118:119], v[120:121]
	s_andn2_b64 exec, exec, s[6:7]
	s_cbranch_execnz .LBB117_47
; %bb.48:
	s_or_b64 exec, exec, s[6:7]
	v_mov_b32_e32 v114, 0
	ds_read_b64 v[114:115], v114 offset:80
	s_waitcnt lgkmcnt(0)
	v_mul_f64 v[110:111], v[110:111], v[114:115]
	buffer_store_dword v111, off, s[0:3], 0 offset:84
	buffer_store_dword v110, off, s[0:3], 0 offset:80
.LBB117_49:
	s_or_b64 exec, exec, s[4:5]
	s_waitcnt lgkmcnt(0)
	; wave barrier
	buffer_load_dword v110, off, s[0:3], 0 offset:88
	buffer_load_dword v111, off, s[0:3], 0 offset:92
	v_cmp_gt_u32_e32 vcc, 11, v0
	s_waitcnt vmcnt(0)
	ds_write_b64 v112, v[110:111]
	s_waitcnt lgkmcnt(0)
	; wave barrier
	s_waitcnt lgkmcnt(0)
	s_and_saveexec_b64 s[4:5], vcc
	s_cbranch_execz .LBB117_53
; %bb.50:
	v_add_u32_e32 v114, -1, v0
	v_add_u32_e32 v115, 0x1b0, v1
	v_add_u32_e32 v116, 0, v1
	s_mov_b64 s[6:7], 0
	v_pk_mov_b32 v[110:111], 0, 0
.LBB117_51:                             ; =>This Inner Loop Header: Depth=1
	buffer_load_dword v118, v116, s[0:3], 0 offen
	buffer_load_dword v119, v116, s[0:3], 0 offen offset:4
	ds_read_b64 v[120:121], v115
	v_add_u32_e32 v114, 1, v114
	v_cmp_lt_u32_e32 vcc, 9, v114
	v_add_u32_e32 v115, 8, v115
	v_add_u32_e32 v116, 8, v116
	s_or_b64 s[6:7], vcc, s[6:7]
	s_waitcnt vmcnt(0) lgkmcnt(0)
	v_fmac_f64_e32 v[110:111], v[118:119], v[120:121]
	s_andn2_b64 exec, exec, s[6:7]
	s_cbranch_execnz .LBB117_51
; %bb.52:
	s_or_b64 exec, exec, s[6:7]
	v_mov_b32_e32 v114, 0
	ds_read_b64 v[114:115], v114 offset:88
	s_waitcnt lgkmcnt(0)
	v_mul_f64 v[110:111], v[110:111], v[114:115]
	buffer_store_dword v111, off, s[0:3], 0 offset:92
	buffer_store_dword v110, off, s[0:3], 0 offset:88
.LBB117_53:
	s_or_b64 exec, exec, s[4:5]
	s_waitcnt lgkmcnt(0)
	; wave barrier
	buffer_load_dword v110, off, s[0:3], 0 offset:96
	buffer_load_dword v111, off, s[0:3], 0 offset:100
	v_cmp_gt_u32_e32 vcc, 12, v0
	s_waitcnt vmcnt(0)
	ds_write_b64 v112, v[110:111]
	s_waitcnt lgkmcnt(0)
	; wave barrier
	s_waitcnt lgkmcnt(0)
	s_and_saveexec_b64 s[4:5], vcc
	s_cbranch_execz .LBB117_57
; %bb.54:
	v_add_u32_e32 v114, -1, v0
	v_add_u32_e32 v115, 0x1b0, v1
	v_add_u32_e32 v116, 0, v1
	s_mov_b64 s[6:7], 0
	v_pk_mov_b32 v[110:111], 0, 0
.LBB117_55:                             ; =>This Inner Loop Header: Depth=1
	buffer_load_dword v118, v116, s[0:3], 0 offen
	buffer_load_dword v119, v116, s[0:3], 0 offen offset:4
	ds_read_b64 v[120:121], v115
	v_add_u32_e32 v114, 1, v114
	v_cmp_lt_u32_e32 vcc, 10, v114
	v_add_u32_e32 v115, 8, v115
	v_add_u32_e32 v116, 8, v116
	s_or_b64 s[6:7], vcc, s[6:7]
	s_waitcnt vmcnt(0) lgkmcnt(0)
	v_fmac_f64_e32 v[110:111], v[118:119], v[120:121]
	s_andn2_b64 exec, exec, s[6:7]
	s_cbranch_execnz .LBB117_55
; %bb.56:
	s_or_b64 exec, exec, s[6:7]
	v_mov_b32_e32 v114, 0
	ds_read_b64 v[114:115], v114 offset:96
	s_waitcnt lgkmcnt(0)
	v_mul_f64 v[110:111], v[110:111], v[114:115]
	buffer_store_dword v111, off, s[0:3], 0 offset:100
	buffer_store_dword v110, off, s[0:3], 0 offset:96
.LBB117_57:
	s_or_b64 exec, exec, s[4:5]
	s_waitcnt lgkmcnt(0)
	; wave barrier
	buffer_load_dword v110, off, s[0:3], 0 offset:104
	buffer_load_dword v111, off, s[0:3], 0 offset:108
	v_cmp_gt_u32_e32 vcc, 13, v0
	s_waitcnt vmcnt(0)
	ds_write_b64 v112, v[110:111]
	s_waitcnt lgkmcnt(0)
	; wave barrier
	s_waitcnt lgkmcnt(0)
	s_and_saveexec_b64 s[4:5], vcc
	s_cbranch_execz .LBB117_61
; %bb.58:
	v_add_u32_e32 v114, -1, v0
	v_add_u32_e32 v115, 0x1b0, v1
	v_add_u32_e32 v116, 0, v1
	s_mov_b64 s[6:7], 0
	v_pk_mov_b32 v[110:111], 0, 0
.LBB117_59:                             ; =>This Inner Loop Header: Depth=1
	buffer_load_dword v118, v116, s[0:3], 0 offen
	buffer_load_dword v119, v116, s[0:3], 0 offen offset:4
	ds_read_b64 v[120:121], v115
	v_add_u32_e32 v114, 1, v114
	v_cmp_lt_u32_e32 vcc, 11, v114
	v_add_u32_e32 v115, 8, v115
	v_add_u32_e32 v116, 8, v116
	s_or_b64 s[6:7], vcc, s[6:7]
	s_waitcnt vmcnt(0) lgkmcnt(0)
	v_fmac_f64_e32 v[110:111], v[118:119], v[120:121]
	s_andn2_b64 exec, exec, s[6:7]
	s_cbranch_execnz .LBB117_59
; %bb.60:
	s_or_b64 exec, exec, s[6:7]
	v_mov_b32_e32 v114, 0
	ds_read_b64 v[114:115], v114 offset:104
	s_waitcnt lgkmcnt(0)
	v_mul_f64 v[110:111], v[110:111], v[114:115]
	buffer_store_dword v111, off, s[0:3], 0 offset:108
	buffer_store_dword v110, off, s[0:3], 0 offset:104
.LBB117_61:
	s_or_b64 exec, exec, s[4:5]
	s_waitcnt lgkmcnt(0)
	; wave barrier
	buffer_load_dword v110, off, s[0:3], 0 offset:112
	buffer_load_dword v111, off, s[0:3], 0 offset:116
	v_cmp_gt_u32_e32 vcc, 14, v0
	s_waitcnt vmcnt(0)
	ds_write_b64 v112, v[110:111]
	s_waitcnt lgkmcnt(0)
	; wave barrier
	s_waitcnt lgkmcnt(0)
	s_and_saveexec_b64 s[4:5], vcc
	s_cbranch_execz .LBB117_65
; %bb.62:
	v_add_u32_e32 v114, -1, v0
	v_add_u32_e32 v115, 0x1b0, v1
	v_add_u32_e32 v116, 0, v1
	s_mov_b64 s[6:7], 0
	v_pk_mov_b32 v[110:111], 0, 0
.LBB117_63:                             ; =>This Inner Loop Header: Depth=1
	buffer_load_dword v118, v116, s[0:3], 0 offen
	buffer_load_dword v119, v116, s[0:3], 0 offen offset:4
	ds_read_b64 v[120:121], v115
	v_add_u32_e32 v114, 1, v114
	v_cmp_lt_u32_e32 vcc, 12, v114
	v_add_u32_e32 v115, 8, v115
	v_add_u32_e32 v116, 8, v116
	s_or_b64 s[6:7], vcc, s[6:7]
	s_waitcnt vmcnt(0) lgkmcnt(0)
	v_fmac_f64_e32 v[110:111], v[118:119], v[120:121]
	s_andn2_b64 exec, exec, s[6:7]
	s_cbranch_execnz .LBB117_63
; %bb.64:
	s_or_b64 exec, exec, s[6:7]
	v_mov_b32_e32 v114, 0
	ds_read_b64 v[114:115], v114 offset:112
	s_waitcnt lgkmcnt(0)
	v_mul_f64 v[110:111], v[110:111], v[114:115]
	buffer_store_dword v111, off, s[0:3], 0 offset:116
	buffer_store_dword v110, off, s[0:3], 0 offset:112
.LBB117_65:
	s_or_b64 exec, exec, s[4:5]
	s_waitcnt lgkmcnt(0)
	; wave barrier
	buffer_load_dword v110, off, s[0:3], 0 offset:120
	buffer_load_dword v111, off, s[0:3], 0 offset:124
	v_cmp_gt_u32_e32 vcc, 15, v0
	s_waitcnt vmcnt(0)
	ds_write_b64 v112, v[110:111]
	s_waitcnt lgkmcnt(0)
	; wave barrier
	s_waitcnt lgkmcnt(0)
	s_and_saveexec_b64 s[4:5], vcc
	s_cbranch_execz .LBB117_69
; %bb.66:
	v_add_u32_e32 v114, -1, v0
	v_add_u32_e32 v115, 0x1b0, v1
	v_add_u32_e32 v116, 0, v1
	s_mov_b64 s[6:7], 0
	v_pk_mov_b32 v[110:111], 0, 0
.LBB117_67:                             ; =>This Inner Loop Header: Depth=1
	buffer_load_dword v118, v116, s[0:3], 0 offen
	buffer_load_dword v119, v116, s[0:3], 0 offen offset:4
	ds_read_b64 v[120:121], v115
	v_add_u32_e32 v114, 1, v114
	v_cmp_lt_u32_e32 vcc, 13, v114
	v_add_u32_e32 v115, 8, v115
	v_add_u32_e32 v116, 8, v116
	s_or_b64 s[6:7], vcc, s[6:7]
	s_waitcnt vmcnt(0) lgkmcnt(0)
	v_fmac_f64_e32 v[110:111], v[118:119], v[120:121]
	s_andn2_b64 exec, exec, s[6:7]
	s_cbranch_execnz .LBB117_67
; %bb.68:
	s_or_b64 exec, exec, s[6:7]
	v_mov_b32_e32 v114, 0
	ds_read_b64 v[114:115], v114 offset:120
	s_waitcnt lgkmcnt(0)
	v_mul_f64 v[110:111], v[110:111], v[114:115]
	buffer_store_dword v111, off, s[0:3], 0 offset:124
	buffer_store_dword v110, off, s[0:3], 0 offset:120
.LBB117_69:
	s_or_b64 exec, exec, s[4:5]
	s_waitcnt lgkmcnt(0)
	; wave barrier
	buffer_load_dword v110, off, s[0:3], 0 offset:128
	buffer_load_dword v111, off, s[0:3], 0 offset:132
	v_cmp_gt_u32_e32 vcc, 16, v0
	s_waitcnt vmcnt(0)
	ds_write_b64 v112, v[110:111]
	s_waitcnt lgkmcnt(0)
	; wave barrier
	s_waitcnt lgkmcnt(0)
	s_and_saveexec_b64 s[4:5], vcc
	s_cbranch_execz .LBB117_73
; %bb.70:
	v_add_u32_e32 v114, -1, v0
	v_add_u32_e32 v115, 0x1b0, v1
	v_add_u32_e32 v116, 0, v1
	s_mov_b64 s[6:7], 0
	v_pk_mov_b32 v[110:111], 0, 0
.LBB117_71:                             ; =>This Inner Loop Header: Depth=1
	buffer_load_dword v118, v116, s[0:3], 0 offen
	buffer_load_dword v119, v116, s[0:3], 0 offen offset:4
	ds_read_b64 v[120:121], v115
	v_add_u32_e32 v114, 1, v114
	v_cmp_lt_u32_e32 vcc, 14, v114
	v_add_u32_e32 v115, 8, v115
	v_add_u32_e32 v116, 8, v116
	s_or_b64 s[6:7], vcc, s[6:7]
	s_waitcnt vmcnt(0) lgkmcnt(0)
	v_fmac_f64_e32 v[110:111], v[118:119], v[120:121]
	s_andn2_b64 exec, exec, s[6:7]
	s_cbranch_execnz .LBB117_71
; %bb.72:
	s_or_b64 exec, exec, s[6:7]
	v_mov_b32_e32 v114, 0
	ds_read_b64 v[114:115], v114 offset:128
	s_waitcnt lgkmcnt(0)
	v_mul_f64 v[110:111], v[110:111], v[114:115]
	buffer_store_dword v111, off, s[0:3], 0 offset:132
	buffer_store_dword v110, off, s[0:3], 0 offset:128
.LBB117_73:
	s_or_b64 exec, exec, s[4:5]
	s_waitcnt lgkmcnt(0)
	; wave barrier
	buffer_load_dword v110, off, s[0:3], 0 offset:136
	buffer_load_dword v111, off, s[0:3], 0 offset:140
	v_cmp_gt_u32_e32 vcc, 17, v0
	s_waitcnt vmcnt(0)
	ds_write_b64 v112, v[110:111]
	s_waitcnt lgkmcnt(0)
	; wave barrier
	s_waitcnt lgkmcnt(0)
	s_and_saveexec_b64 s[4:5], vcc
	s_cbranch_execz .LBB117_77
; %bb.74:
	v_add_u32_e32 v114, -1, v0
	v_add_u32_e32 v115, 0x1b0, v1
	v_add_u32_e32 v116, 0, v1
	s_mov_b64 s[6:7], 0
	v_pk_mov_b32 v[110:111], 0, 0
.LBB117_75:                             ; =>This Inner Loop Header: Depth=1
	buffer_load_dword v118, v116, s[0:3], 0 offen
	buffer_load_dword v119, v116, s[0:3], 0 offen offset:4
	ds_read_b64 v[120:121], v115
	v_add_u32_e32 v114, 1, v114
	v_cmp_lt_u32_e32 vcc, 15, v114
	v_add_u32_e32 v115, 8, v115
	v_add_u32_e32 v116, 8, v116
	s_or_b64 s[6:7], vcc, s[6:7]
	s_waitcnt vmcnt(0) lgkmcnt(0)
	v_fmac_f64_e32 v[110:111], v[118:119], v[120:121]
	s_andn2_b64 exec, exec, s[6:7]
	s_cbranch_execnz .LBB117_75
; %bb.76:
	s_or_b64 exec, exec, s[6:7]
	v_mov_b32_e32 v114, 0
	ds_read_b64 v[114:115], v114 offset:136
	s_waitcnt lgkmcnt(0)
	v_mul_f64 v[110:111], v[110:111], v[114:115]
	buffer_store_dword v111, off, s[0:3], 0 offset:140
	buffer_store_dword v110, off, s[0:3], 0 offset:136
.LBB117_77:
	s_or_b64 exec, exec, s[4:5]
	s_waitcnt lgkmcnt(0)
	; wave barrier
	buffer_load_dword v110, off, s[0:3], 0 offset:144
	buffer_load_dword v111, off, s[0:3], 0 offset:148
	v_cmp_gt_u32_e32 vcc, 18, v0
	s_waitcnt vmcnt(0)
	ds_write_b64 v112, v[110:111]
	s_waitcnt lgkmcnt(0)
	; wave barrier
	s_waitcnt lgkmcnt(0)
	s_and_saveexec_b64 s[4:5], vcc
	s_cbranch_execz .LBB117_81
; %bb.78:
	v_add_u32_e32 v114, -1, v0
	v_add_u32_e32 v115, 0x1b0, v1
	v_add_u32_e32 v116, 0, v1
	s_mov_b64 s[6:7], 0
	v_pk_mov_b32 v[110:111], 0, 0
.LBB117_79:                             ; =>This Inner Loop Header: Depth=1
	buffer_load_dword v118, v116, s[0:3], 0 offen
	buffer_load_dword v119, v116, s[0:3], 0 offen offset:4
	ds_read_b64 v[120:121], v115
	v_add_u32_e32 v114, 1, v114
	v_cmp_lt_u32_e32 vcc, 16, v114
	v_add_u32_e32 v115, 8, v115
	v_add_u32_e32 v116, 8, v116
	s_or_b64 s[6:7], vcc, s[6:7]
	s_waitcnt vmcnt(0) lgkmcnt(0)
	v_fmac_f64_e32 v[110:111], v[118:119], v[120:121]
	s_andn2_b64 exec, exec, s[6:7]
	s_cbranch_execnz .LBB117_79
; %bb.80:
	s_or_b64 exec, exec, s[6:7]
	v_mov_b32_e32 v114, 0
	ds_read_b64 v[114:115], v114 offset:144
	s_waitcnt lgkmcnt(0)
	v_mul_f64 v[110:111], v[110:111], v[114:115]
	buffer_store_dword v111, off, s[0:3], 0 offset:148
	buffer_store_dword v110, off, s[0:3], 0 offset:144
.LBB117_81:
	s_or_b64 exec, exec, s[4:5]
	s_waitcnt lgkmcnt(0)
	; wave barrier
	buffer_load_dword v110, off, s[0:3], 0 offset:152
	buffer_load_dword v111, off, s[0:3], 0 offset:156
	v_cmp_gt_u32_e32 vcc, 19, v0
	s_waitcnt vmcnt(0)
	ds_write_b64 v112, v[110:111]
	s_waitcnt lgkmcnt(0)
	; wave barrier
	s_waitcnt lgkmcnt(0)
	s_and_saveexec_b64 s[4:5], vcc
	s_cbranch_execz .LBB117_85
; %bb.82:
	v_add_u32_e32 v114, -1, v0
	v_add_u32_e32 v115, 0x1b0, v1
	v_add_u32_e32 v116, 0, v1
	s_mov_b64 s[6:7], 0
	v_pk_mov_b32 v[110:111], 0, 0
.LBB117_83:                             ; =>This Inner Loop Header: Depth=1
	buffer_load_dword v118, v116, s[0:3], 0 offen
	buffer_load_dword v119, v116, s[0:3], 0 offen offset:4
	ds_read_b64 v[120:121], v115
	v_add_u32_e32 v114, 1, v114
	v_cmp_lt_u32_e32 vcc, 17, v114
	v_add_u32_e32 v115, 8, v115
	v_add_u32_e32 v116, 8, v116
	s_or_b64 s[6:7], vcc, s[6:7]
	s_waitcnt vmcnt(0) lgkmcnt(0)
	v_fmac_f64_e32 v[110:111], v[118:119], v[120:121]
	s_andn2_b64 exec, exec, s[6:7]
	s_cbranch_execnz .LBB117_83
; %bb.84:
	s_or_b64 exec, exec, s[6:7]
	v_mov_b32_e32 v114, 0
	ds_read_b64 v[114:115], v114 offset:152
	s_waitcnt lgkmcnt(0)
	v_mul_f64 v[110:111], v[110:111], v[114:115]
	buffer_store_dword v111, off, s[0:3], 0 offset:156
	buffer_store_dword v110, off, s[0:3], 0 offset:152
.LBB117_85:
	s_or_b64 exec, exec, s[4:5]
	s_waitcnt lgkmcnt(0)
	; wave barrier
	buffer_load_dword v110, off, s[0:3], 0 offset:160
	buffer_load_dword v111, off, s[0:3], 0 offset:164
	v_cmp_gt_u32_e32 vcc, 20, v0
	s_waitcnt vmcnt(0)
	ds_write_b64 v112, v[110:111]
	s_waitcnt lgkmcnt(0)
	; wave barrier
	s_waitcnt lgkmcnt(0)
	s_and_saveexec_b64 s[4:5], vcc
	s_cbranch_execz .LBB117_89
; %bb.86:
	v_add_u32_e32 v114, -1, v0
	v_add_u32_e32 v115, 0x1b0, v1
	v_add_u32_e32 v116, 0, v1
	s_mov_b64 s[6:7], 0
	v_pk_mov_b32 v[110:111], 0, 0
.LBB117_87:                             ; =>This Inner Loop Header: Depth=1
	buffer_load_dword v118, v116, s[0:3], 0 offen
	buffer_load_dword v119, v116, s[0:3], 0 offen offset:4
	ds_read_b64 v[120:121], v115
	v_add_u32_e32 v114, 1, v114
	v_cmp_lt_u32_e32 vcc, 18, v114
	v_add_u32_e32 v115, 8, v115
	v_add_u32_e32 v116, 8, v116
	s_or_b64 s[6:7], vcc, s[6:7]
	s_waitcnt vmcnt(0) lgkmcnt(0)
	v_fmac_f64_e32 v[110:111], v[118:119], v[120:121]
	s_andn2_b64 exec, exec, s[6:7]
	s_cbranch_execnz .LBB117_87
; %bb.88:
	s_or_b64 exec, exec, s[6:7]
	v_mov_b32_e32 v114, 0
	ds_read_b64 v[114:115], v114 offset:160
	s_waitcnt lgkmcnt(0)
	v_mul_f64 v[110:111], v[110:111], v[114:115]
	buffer_store_dword v111, off, s[0:3], 0 offset:164
	buffer_store_dword v110, off, s[0:3], 0 offset:160
.LBB117_89:
	s_or_b64 exec, exec, s[4:5]
	s_waitcnt lgkmcnt(0)
	; wave barrier
	buffer_load_dword v110, off, s[0:3], 0 offset:168
	buffer_load_dword v111, off, s[0:3], 0 offset:172
	v_cmp_gt_u32_e32 vcc, 21, v0
	s_waitcnt vmcnt(0)
	ds_write_b64 v112, v[110:111]
	s_waitcnt lgkmcnt(0)
	; wave barrier
	s_waitcnt lgkmcnt(0)
	s_and_saveexec_b64 s[4:5], vcc
	s_cbranch_execz .LBB117_93
; %bb.90:
	v_add_u32_e32 v114, -1, v0
	v_add_u32_e32 v115, 0x1b0, v1
	v_add_u32_e32 v116, 0, v1
	s_mov_b64 s[6:7], 0
	v_pk_mov_b32 v[110:111], 0, 0
.LBB117_91:                             ; =>This Inner Loop Header: Depth=1
	buffer_load_dword v118, v116, s[0:3], 0 offen
	buffer_load_dword v119, v116, s[0:3], 0 offen offset:4
	ds_read_b64 v[120:121], v115
	v_add_u32_e32 v114, 1, v114
	v_cmp_lt_u32_e32 vcc, 19, v114
	v_add_u32_e32 v115, 8, v115
	v_add_u32_e32 v116, 8, v116
	s_or_b64 s[6:7], vcc, s[6:7]
	s_waitcnt vmcnt(0) lgkmcnt(0)
	v_fmac_f64_e32 v[110:111], v[118:119], v[120:121]
	s_andn2_b64 exec, exec, s[6:7]
	s_cbranch_execnz .LBB117_91
; %bb.92:
	s_or_b64 exec, exec, s[6:7]
	v_mov_b32_e32 v114, 0
	ds_read_b64 v[114:115], v114 offset:168
	s_waitcnt lgkmcnt(0)
	v_mul_f64 v[110:111], v[110:111], v[114:115]
	buffer_store_dword v111, off, s[0:3], 0 offset:172
	buffer_store_dword v110, off, s[0:3], 0 offset:168
.LBB117_93:
	s_or_b64 exec, exec, s[4:5]
	s_waitcnt lgkmcnt(0)
	; wave barrier
	buffer_load_dword v110, off, s[0:3], 0 offset:176
	buffer_load_dword v111, off, s[0:3], 0 offset:180
	v_cmp_gt_u32_e32 vcc, 22, v0
	s_waitcnt vmcnt(0)
	ds_write_b64 v112, v[110:111]
	s_waitcnt lgkmcnt(0)
	; wave barrier
	s_waitcnt lgkmcnt(0)
	s_and_saveexec_b64 s[4:5], vcc
	s_cbranch_execz .LBB117_97
; %bb.94:
	v_add_u32_e32 v114, -1, v0
	v_add_u32_e32 v115, 0x1b0, v1
	v_add_u32_e32 v116, 0, v1
	s_mov_b64 s[6:7], 0
	v_pk_mov_b32 v[110:111], 0, 0
.LBB117_95:                             ; =>This Inner Loop Header: Depth=1
	buffer_load_dword v118, v116, s[0:3], 0 offen
	buffer_load_dword v119, v116, s[0:3], 0 offen offset:4
	ds_read_b64 v[120:121], v115
	v_add_u32_e32 v114, 1, v114
	v_cmp_lt_u32_e32 vcc, 20, v114
	v_add_u32_e32 v115, 8, v115
	v_add_u32_e32 v116, 8, v116
	s_or_b64 s[6:7], vcc, s[6:7]
	s_waitcnt vmcnt(0) lgkmcnt(0)
	v_fmac_f64_e32 v[110:111], v[118:119], v[120:121]
	s_andn2_b64 exec, exec, s[6:7]
	s_cbranch_execnz .LBB117_95
; %bb.96:
	s_or_b64 exec, exec, s[6:7]
	v_mov_b32_e32 v114, 0
	ds_read_b64 v[114:115], v114 offset:176
	s_waitcnt lgkmcnt(0)
	v_mul_f64 v[110:111], v[110:111], v[114:115]
	buffer_store_dword v111, off, s[0:3], 0 offset:180
	buffer_store_dword v110, off, s[0:3], 0 offset:176
.LBB117_97:
	s_or_b64 exec, exec, s[4:5]
	s_waitcnt lgkmcnt(0)
	; wave barrier
	buffer_load_dword v110, off, s[0:3], 0 offset:184
	buffer_load_dword v111, off, s[0:3], 0 offset:188
	v_cmp_gt_u32_e32 vcc, 23, v0
	s_waitcnt vmcnt(0)
	ds_write_b64 v112, v[110:111]
	s_waitcnt lgkmcnt(0)
	; wave barrier
	s_waitcnt lgkmcnt(0)
	s_and_saveexec_b64 s[4:5], vcc
	s_cbranch_execz .LBB117_101
; %bb.98:
	v_add_u32_e32 v114, -1, v0
	v_add_u32_e32 v115, 0x1b0, v1
	v_add_u32_e32 v116, 0, v1
	s_mov_b64 s[6:7], 0
	v_pk_mov_b32 v[110:111], 0, 0
.LBB117_99:                             ; =>This Inner Loop Header: Depth=1
	buffer_load_dword v118, v116, s[0:3], 0 offen
	buffer_load_dword v119, v116, s[0:3], 0 offen offset:4
	ds_read_b64 v[120:121], v115
	v_add_u32_e32 v114, 1, v114
	v_cmp_lt_u32_e32 vcc, 21, v114
	v_add_u32_e32 v115, 8, v115
	v_add_u32_e32 v116, 8, v116
	s_or_b64 s[6:7], vcc, s[6:7]
	s_waitcnt vmcnt(0) lgkmcnt(0)
	v_fmac_f64_e32 v[110:111], v[118:119], v[120:121]
	s_andn2_b64 exec, exec, s[6:7]
	s_cbranch_execnz .LBB117_99
; %bb.100:
	s_or_b64 exec, exec, s[6:7]
	v_mov_b32_e32 v114, 0
	ds_read_b64 v[114:115], v114 offset:184
	s_waitcnt lgkmcnt(0)
	v_mul_f64 v[110:111], v[110:111], v[114:115]
	buffer_store_dword v111, off, s[0:3], 0 offset:188
	buffer_store_dword v110, off, s[0:3], 0 offset:184
.LBB117_101:
	s_or_b64 exec, exec, s[4:5]
	s_waitcnt lgkmcnt(0)
	; wave barrier
	buffer_load_dword v110, off, s[0:3], 0 offset:192
	buffer_load_dword v111, off, s[0:3], 0 offset:196
	v_cmp_gt_u32_e32 vcc, 24, v0
	s_waitcnt vmcnt(0)
	ds_write_b64 v112, v[110:111]
	s_waitcnt lgkmcnt(0)
	; wave barrier
	s_waitcnt lgkmcnt(0)
	s_and_saveexec_b64 s[4:5], vcc
	s_cbranch_execz .LBB117_105
; %bb.102:
	v_add_u32_e32 v114, -1, v0
	v_add_u32_e32 v115, 0x1b0, v1
	v_add_u32_e32 v116, 0, v1
	s_mov_b64 s[6:7], 0
	v_pk_mov_b32 v[110:111], 0, 0
.LBB117_103:                            ; =>This Inner Loop Header: Depth=1
	buffer_load_dword v118, v116, s[0:3], 0 offen
	buffer_load_dword v119, v116, s[0:3], 0 offen offset:4
	ds_read_b64 v[120:121], v115
	v_add_u32_e32 v114, 1, v114
	v_cmp_lt_u32_e32 vcc, 22, v114
	v_add_u32_e32 v115, 8, v115
	v_add_u32_e32 v116, 8, v116
	s_or_b64 s[6:7], vcc, s[6:7]
	s_waitcnt vmcnt(0) lgkmcnt(0)
	v_fmac_f64_e32 v[110:111], v[118:119], v[120:121]
	s_andn2_b64 exec, exec, s[6:7]
	s_cbranch_execnz .LBB117_103
; %bb.104:
	s_or_b64 exec, exec, s[6:7]
	v_mov_b32_e32 v114, 0
	ds_read_b64 v[114:115], v114 offset:192
	s_waitcnt lgkmcnt(0)
	v_mul_f64 v[110:111], v[110:111], v[114:115]
	buffer_store_dword v111, off, s[0:3], 0 offset:196
	buffer_store_dword v110, off, s[0:3], 0 offset:192
.LBB117_105:
	s_or_b64 exec, exec, s[4:5]
	s_waitcnt lgkmcnt(0)
	; wave barrier
	buffer_load_dword v110, off, s[0:3], 0 offset:200
	buffer_load_dword v111, off, s[0:3], 0 offset:204
	v_cmp_gt_u32_e32 vcc, 25, v0
	s_waitcnt vmcnt(0)
	ds_write_b64 v112, v[110:111]
	s_waitcnt lgkmcnt(0)
	; wave barrier
	s_waitcnt lgkmcnt(0)
	s_and_saveexec_b64 s[4:5], vcc
	s_cbranch_execz .LBB117_109
; %bb.106:
	v_add_u32_e32 v114, -1, v0
	v_add_u32_e32 v115, 0x1b0, v1
	v_add_u32_e32 v116, 0, v1
	s_mov_b64 s[6:7], 0
	v_pk_mov_b32 v[110:111], 0, 0
.LBB117_107:                            ; =>This Inner Loop Header: Depth=1
	buffer_load_dword v118, v116, s[0:3], 0 offen
	buffer_load_dword v119, v116, s[0:3], 0 offen offset:4
	ds_read_b64 v[120:121], v115
	v_add_u32_e32 v114, 1, v114
	v_cmp_lt_u32_e32 vcc, 23, v114
	v_add_u32_e32 v115, 8, v115
	v_add_u32_e32 v116, 8, v116
	s_or_b64 s[6:7], vcc, s[6:7]
	s_waitcnt vmcnt(0) lgkmcnt(0)
	v_fmac_f64_e32 v[110:111], v[118:119], v[120:121]
	s_andn2_b64 exec, exec, s[6:7]
	s_cbranch_execnz .LBB117_107
; %bb.108:
	s_or_b64 exec, exec, s[6:7]
	v_mov_b32_e32 v114, 0
	ds_read_b64 v[114:115], v114 offset:200
	s_waitcnt lgkmcnt(0)
	v_mul_f64 v[110:111], v[110:111], v[114:115]
	buffer_store_dword v111, off, s[0:3], 0 offset:204
	buffer_store_dword v110, off, s[0:3], 0 offset:200
.LBB117_109:
	s_or_b64 exec, exec, s[4:5]
	s_waitcnt lgkmcnt(0)
	; wave barrier
	buffer_load_dword v110, off, s[0:3], 0 offset:208
	buffer_load_dword v111, off, s[0:3], 0 offset:212
	v_cmp_gt_u32_e32 vcc, 26, v0
	;; [unrolled: 41-line block ×28, first 2 shown]
	s_waitcnt vmcnt(0)
	ds_write_b64 v112, v[110:111]
	s_waitcnt lgkmcnt(0)
	; wave barrier
	s_waitcnt lgkmcnt(0)
	s_and_saveexec_b64 s[4:5], vcc
	s_cbranch_execz .LBB117_217
; %bb.214:
	v_add_u32_e32 v114, -1, v0
	v_add_u32_e32 v115, 0x1b0, v1
	v_add_u32_e32 v116, 0, v1
	s_mov_b64 s[6:7], 0
	v_pk_mov_b32 v[110:111], 0, 0
.LBB117_215:                            ; =>This Inner Loop Header: Depth=1
	buffer_load_dword v118, v116, s[0:3], 0 offen
	buffer_load_dword v119, v116, s[0:3], 0 offen offset:4
	ds_read_b64 v[120:121], v115
	v_add_u32_e32 v114, 1, v114
	v_cmp_lt_u32_e32 vcc, 50, v114
	v_add_u32_e32 v115, 8, v115
	v_add_u32_e32 v116, 8, v116
	s_or_b64 s[6:7], vcc, s[6:7]
	s_waitcnt vmcnt(0) lgkmcnt(0)
	v_fmac_f64_e32 v[110:111], v[118:119], v[120:121]
	s_andn2_b64 exec, exec, s[6:7]
	s_cbranch_execnz .LBB117_215
; %bb.216:
	s_or_b64 exec, exec, s[6:7]
	v_mov_b32_e32 v114, 0
	ds_read_b64 v[114:115], v114 offset:416
	s_waitcnt lgkmcnt(0)
	v_mul_f64 v[110:111], v[110:111], v[114:115]
	buffer_store_dword v111, off, s[0:3], 0 offset:420
	buffer_store_dword v110, off, s[0:3], 0 offset:416
.LBB117_217:
	s_or_b64 exec, exec, s[4:5]
	s_waitcnt lgkmcnt(0)
	; wave barrier
	buffer_load_dword v110, off, s[0:3], 0 offset:424
	buffer_load_dword v111, off, s[0:3], 0 offset:428
	v_cmp_ne_u32_e32 vcc, 53, v0
	s_waitcnt vmcnt(0)
	ds_write_b64 v112, v[110:111]
	s_waitcnt lgkmcnt(0)
	; wave barrier
	s_waitcnt lgkmcnt(0)
	s_and_saveexec_b64 s[4:5], vcc
	s_cbranch_execz .LBB117_221
; %bb.218:
	v_add_u32_e32 v112, 0x1b0, v1
	v_add_u32_e32 v1, 0, v1
	s_mov_b64 s[6:7], 0
	v_pk_mov_b32 v[110:111], 0, 0
.LBB117_219:                            ; =>This Inner Loop Header: Depth=1
	buffer_load_dword v114, v1, s[0:3], 0 offen
	buffer_load_dword v115, v1, s[0:3], 0 offen offset:4
	ds_read_b64 v[116:117], v112
	v_add_u32_e32 v113, 1, v113
	v_cmp_lt_u32_e32 vcc, 51, v113
	v_add_u32_e32 v112, 8, v112
	v_add_u32_e32 v1, 8, v1
	s_or_b64 s[6:7], vcc, s[6:7]
	s_waitcnt vmcnt(0) lgkmcnt(0)
	v_fmac_f64_e32 v[110:111], v[114:115], v[116:117]
	s_andn2_b64 exec, exec, s[6:7]
	s_cbranch_execnz .LBB117_219
; %bb.220:
	s_or_b64 exec, exec, s[6:7]
	v_mov_b32_e32 v1, 0
	ds_read_b64 v[112:113], v1 offset:424
	s_waitcnt lgkmcnt(0)
	v_mul_f64 v[110:111], v[110:111], v[112:113]
	buffer_store_dword v111, off, s[0:3], 0 offset:428
	buffer_store_dword v110, off, s[0:3], 0 offset:424
.LBB117_221:
	s_or_b64 exec, exec, s[4:5]
	s_mov_b64 s[6:7], -1
	s_waitcnt lgkmcnt(0)
	; wave barrier
.LBB117_222:
	s_and_b64 vcc, exec, s[6:7]
	s_cbranch_vccz .LBB117_224
; %bb.223:
	s_lshl_b64 s[4:5], s[8:9], 2
	s_add_u32 s4, s14, s4
	s_addc_u32 s5, s15, s5
	v_mov_b32_e32 v1, 0
	global_load_dword v1, v1, s[4:5]
	s_waitcnt vmcnt(0)
	v_cmp_ne_u32_e32 vcc, 0, v1
	s_cbranch_vccz .LBB117_225
.LBB117_224:
	s_endpgm
.LBB117_225:
	v_mov_b32_e32 v1, 0x1b0
	v_lshl_add_u32 v1, v0, 3, v1
	v_cmp_eq_u32_e32 vcc, 53, v0
	s_and_saveexec_b64 s[4:5], vcc
	s_cbranch_execz .LBB117_227
; %bb.226:
	buffer_load_dword v110, off, s[0:3], 0 offset:416
	buffer_load_dword v111, off, s[0:3], 0 offset:420
	v_mov_b32_e32 v112, 0
	buffer_store_dword v112, off, s[0:3], 0 offset:416
	buffer_store_dword v112, off, s[0:3], 0 offset:420
	s_waitcnt vmcnt(2)
	ds_write_b64 v1, v[110:111]
.LBB117_227:
	s_or_b64 exec, exec, s[4:5]
	s_waitcnt lgkmcnt(0)
	; wave barrier
	s_waitcnt lgkmcnt(0)
	buffer_load_dword v112, off, s[0:3], 0 offset:424
	buffer_load_dword v113, off, s[0:3], 0 offset:428
	;; [unrolled: 1-line block ×4, first 2 shown]
	v_mov_b32_e32 v110, 0
	ds_read_b64 v[116:117], v110 offset:856
	v_cmp_lt_u32_e32 vcc, 51, v0
	s_waitcnt vmcnt(2) lgkmcnt(0)
	v_fma_f64 v[112:113], v[112:113], v[116:117], 0
	s_waitcnt vmcnt(0)
	v_add_f64 v[112:113], v[114:115], -v[112:113]
	buffer_store_dword v112, off, s[0:3], 0 offset:416
	buffer_store_dword v113, off, s[0:3], 0 offset:420
	s_and_saveexec_b64 s[4:5], vcc
	s_cbranch_execz .LBB117_229
; %bb.228:
	buffer_load_dword v112, off, s[0:3], 0 offset:408
	buffer_load_dword v113, off, s[0:3], 0 offset:412
	s_waitcnt vmcnt(0)
	ds_write_b64 v1, v[112:113]
	buffer_store_dword v110, off, s[0:3], 0 offset:408
	buffer_store_dword v110, off, s[0:3], 0 offset:412
.LBB117_229:
	s_or_b64 exec, exec, s[4:5]
	s_waitcnt lgkmcnt(0)
	; wave barrier
	s_waitcnt lgkmcnt(0)
	buffer_load_dword v114, off, s[0:3], 0 offset:416
	buffer_load_dword v115, off, s[0:3], 0 offset:420
	;; [unrolled: 1-line block ×6, first 2 shown]
	ds_read_b128 v[110:113], v110 offset:848
	v_cmp_lt_u32_e32 vcc, 50, v0
	s_waitcnt vmcnt(4) lgkmcnt(0)
	v_fma_f64 v[110:111], v[114:115], v[110:111], 0
	s_waitcnt vmcnt(2)
	v_fmac_f64_e32 v[110:111], v[116:117], v[112:113]
	s_waitcnt vmcnt(0)
	v_add_f64 v[110:111], v[118:119], -v[110:111]
	buffer_store_dword v110, off, s[0:3], 0 offset:408
	buffer_store_dword v111, off, s[0:3], 0 offset:412
	s_and_saveexec_b64 s[4:5], vcc
	s_cbranch_execz .LBB117_231
; %bb.230:
	buffer_load_dword v110, off, s[0:3], 0 offset:400
	buffer_load_dword v111, off, s[0:3], 0 offset:404
	v_mov_b32_e32 v112, 0
	buffer_store_dword v112, off, s[0:3], 0 offset:400
	buffer_store_dword v112, off, s[0:3], 0 offset:404
	s_waitcnt vmcnt(2)
	ds_write_b64 v1, v[110:111]
.LBB117_231:
	s_or_b64 exec, exec, s[4:5]
	s_waitcnt lgkmcnt(0)
	; wave barrier
	s_waitcnt lgkmcnt(0)
	buffer_load_dword v116, off, s[0:3], 0 offset:408
	buffer_load_dword v117, off, s[0:3], 0 offset:412
	;; [unrolled: 1-line block ×8, first 2 shown]
	v_mov_b32_e32 v110, 0
	ds_read2_b64 v[112:115], v110 offset0:105 offset1:106
	ds_read_b64 v[124:125], v110 offset:856
	v_cmp_lt_u32_e32 vcc, 49, v0
	s_waitcnt vmcnt(6) lgkmcnt(1)
	v_fma_f64 v[112:113], v[116:117], v[112:113], 0
	s_waitcnt vmcnt(4)
	v_fmac_f64_e32 v[112:113], v[118:119], v[114:115]
	s_waitcnt vmcnt(2) lgkmcnt(0)
	v_fmac_f64_e32 v[112:113], v[120:121], v[124:125]
	s_waitcnt vmcnt(0)
	v_add_f64 v[112:113], v[122:123], -v[112:113]
	buffer_store_dword v112, off, s[0:3], 0 offset:400
	buffer_store_dword v113, off, s[0:3], 0 offset:404
	s_and_saveexec_b64 s[4:5], vcc
	s_cbranch_execz .LBB117_233
; %bb.232:
	buffer_load_dword v112, off, s[0:3], 0 offset:392
	buffer_load_dword v113, off, s[0:3], 0 offset:396
	s_waitcnt vmcnt(0)
	ds_write_b64 v1, v[112:113]
	buffer_store_dword v110, off, s[0:3], 0 offset:392
	buffer_store_dword v110, off, s[0:3], 0 offset:396
.LBB117_233:
	s_or_b64 exec, exec, s[4:5]
	s_waitcnt lgkmcnt(0)
	; wave barrier
	s_waitcnt lgkmcnt(0)
	buffer_load_dword v120, off, s[0:3], 0 offset:400
	buffer_load_dword v121, off, s[0:3], 0 offset:404
	;; [unrolled: 1-line block ×10, first 2 shown]
	ds_read_b128 v[112:115], v110 offset:832
	ds_read_b128 v[116:119], v110 offset:848
	v_cmp_lt_u32_e32 vcc, 48, v0
	s_waitcnt vmcnt(8) lgkmcnt(1)
	v_fma_f64 v[110:111], v[120:121], v[112:113], 0
	s_waitcnt vmcnt(6)
	v_fmac_f64_e32 v[110:111], v[122:123], v[114:115]
	s_waitcnt vmcnt(4) lgkmcnt(0)
	v_fmac_f64_e32 v[110:111], v[124:125], v[116:117]
	s_waitcnt vmcnt(2)
	v_fmac_f64_e32 v[110:111], v[126:127], v[118:119]
	s_waitcnt vmcnt(0)
	v_add_f64 v[110:111], v[128:129], -v[110:111]
	buffer_store_dword v110, off, s[0:3], 0 offset:392
	buffer_store_dword v111, off, s[0:3], 0 offset:396
	s_and_saveexec_b64 s[4:5], vcc
	s_cbranch_execz .LBB117_235
; %bb.234:
	buffer_load_dword v110, off, s[0:3], 0 offset:384
	buffer_load_dword v111, off, s[0:3], 0 offset:388
	v_mov_b32_e32 v112, 0
	buffer_store_dword v112, off, s[0:3], 0 offset:384
	buffer_store_dword v112, off, s[0:3], 0 offset:388
	s_waitcnt vmcnt(2)
	ds_write_b64 v1, v[110:111]
.LBB117_235:
	s_or_b64 exec, exec, s[4:5]
	s_waitcnt lgkmcnt(0)
	; wave barrier
	s_waitcnt lgkmcnt(0)
	buffer_load_dword v120, off, s[0:3], 0 offset:392
	buffer_load_dword v121, off, s[0:3], 0 offset:396
	;; [unrolled: 1-line block ×12, first 2 shown]
	v_mov_b32_e32 v110, 0
	ds_read2_b64 v[112:115], v110 offset0:103 offset1:104
	ds_read2_b64 v[116:119], v110 offset0:105 offset1:106
	ds_read_b64 v[132:133], v110 offset:856
	v_cmp_lt_u32_e32 vcc, 47, v0
	s_waitcnt vmcnt(10) lgkmcnt(2)
	v_fma_f64 v[112:113], v[120:121], v[112:113], 0
	s_waitcnt vmcnt(8)
	v_fmac_f64_e32 v[112:113], v[122:123], v[114:115]
	s_waitcnt vmcnt(6) lgkmcnt(1)
	v_fmac_f64_e32 v[112:113], v[124:125], v[116:117]
	s_waitcnt vmcnt(4)
	v_fmac_f64_e32 v[112:113], v[126:127], v[118:119]
	s_waitcnt vmcnt(2) lgkmcnt(0)
	v_fmac_f64_e32 v[112:113], v[128:129], v[132:133]
	s_waitcnt vmcnt(0)
	v_add_f64 v[112:113], v[130:131], -v[112:113]
	buffer_store_dword v112, off, s[0:3], 0 offset:384
	buffer_store_dword v113, off, s[0:3], 0 offset:388
	s_and_saveexec_b64 s[4:5], vcc
	s_cbranch_execz .LBB117_237
; %bb.236:
	buffer_load_dword v112, off, s[0:3], 0 offset:376
	buffer_load_dword v113, off, s[0:3], 0 offset:380
	s_waitcnt vmcnt(0)
	ds_write_b64 v1, v[112:113]
	buffer_store_dword v110, off, s[0:3], 0 offset:376
	buffer_store_dword v110, off, s[0:3], 0 offset:380
.LBB117_237:
	s_or_b64 exec, exec, s[4:5]
	s_waitcnt lgkmcnt(0)
	; wave barrier
	s_waitcnt lgkmcnt(0)
	buffer_load_dword v124, off, s[0:3], 0 offset:384
	buffer_load_dword v125, off, s[0:3], 0 offset:388
	;; [unrolled: 1-line block ×14, first 2 shown]
	ds_read_b128 v[112:115], v110 offset:816
	ds_read_b128 v[116:119], v110 offset:832
	;; [unrolled: 1-line block ×3, first 2 shown]
	v_cmp_lt_u32_e32 vcc, 46, v0
	s_waitcnt vmcnt(12) lgkmcnt(2)
	v_fma_f64 v[110:111], v[124:125], v[112:113], 0
	s_waitcnt vmcnt(10)
	v_fmac_f64_e32 v[110:111], v[126:127], v[114:115]
	s_waitcnt vmcnt(8) lgkmcnt(1)
	v_fmac_f64_e32 v[110:111], v[128:129], v[116:117]
	s_waitcnt vmcnt(6)
	v_fmac_f64_e32 v[110:111], v[130:131], v[118:119]
	s_waitcnt vmcnt(4) lgkmcnt(0)
	v_fmac_f64_e32 v[110:111], v[132:133], v[120:121]
	s_waitcnt vmcnt(2)
	v_fmac_f64_e32 v[110:111], v[134:135], v[122:123]
	s_waitcnt vmcnt(0)
	v_add_f64 v[110:111], v[136:137], -v[110:111]
	buffer_store_dword v110, off, s[0:3], 0 offset:376
	buffer_store_dword v111, off, s[0:3], 0 offset:380
	s_and_saveexec_b64 s[4:5], vcc
	s_cbranch_execz .LBB117_239
; %bb.238:
	buffer_load_dword v110, off, s[0:3], 0 offset:368
	buffer_load_dword v111, off, s[0:3], 0 offset:372
	v_mov_b32_e32 v112, 0
	buffer_store_dword v112, off, s[0:3], 0 offset:368
	buffer_store_dword v112, off, s[0:3], 0 offset:372
	s_waitcnt vmcnt(2)
	ds_write_b64 v1, v[110:111]
.LBB117_239:
	s_or_b64 exec, exec, s[4:5]
	s_waitcnt lgkmcnt(0)
	; wave barrier
	s_waitcnt lgkmcnt(0)
	buffer_load_dword v124, off, s[0:3], 0 offset:376
	buffer_load_dword v125, off, s[0:3], 0 offset:380
	;; [unrolled: 1-line block ×16, first 2 shown]
	v_mov_b32_e32 v110, 0
	ds_read2_b64 v[112:115], v110 offset0:101 offset1:102
	ds_read2_b64 v[116:119], v110 offset0:103 offset1:104
	;; [unrolled: 1-line block ×3, first 2 shown]
	ds_read_b64 v[140:141], v110 offset:856
	v_cmp_lt_u32_e32 vcc, 45, v0
	s_waitcnt vmcnt(14) lgkmcnt(3)
	v_fma_f64 v[112:113], v[124:125], v[112:113], 0
	s_waitcnt vmcnt(12)
	v_fmac_f64_e32 v[112:113], v[126:127], v[114:115]
	s_waitcnt vmcnt(10) lgkmcnt(2)
	v_fmac_f64_e32 v[112:113], v[128:129], v[116:117]
	s_waitcnt vmcnt(8)
	v_fmac_f64_e32 v[112:113], v[130:131], v[118:119]
	s_waitcnt vmcnt(6) lgkmcnt(1)
	v_fmac_f64_e32 v[112:113], v[132:133], v[120:121]
	;; [unrolled: 4-line block ×3, first 2 shown]
	s_waitcnt vmcnt(0)
	v_add_f64 v[112:113], v[138:139], -v[112:113]
	buffer_store_dword v112, off, s[0:3], 0 offset:368
	buffer_store_dword v113, off, s[0:3], 0 offset:372
	s_and_saveexec_b64 s[4:5], vcc
	s_cbranch_execz .LBB117_241
; %bb.240:
	buffer_load_dword v112, off, s[0:3], 0 offset:360
	buffer_load_dword v113, off, s[0:3], 0 offset:364
	s_waitcnt vmcnt(0)
	ds_write_b64 v1, v[112:113]
	buffer_store_dword v110, off, s[0:3], 0 offset:360
	buffer_store_dword v110, off, s[0:3], 0 offset:364
.LBB117_241:
	s_or_b64 exec, exec, s[4:5]
	s_waitcnt lgkmcnt(0)
	; wave barrier
	s_waitcnt lgkmcnt(0)
	buffer_load_dword v128, off, s[0:3], 0 offset:368
	buffer_load_dword v129, off, s[0:3], 0 offset:372
	;; [unrolled: 1-line block ×18, first 2 shown]
	ds_read_b128 v[112:115], v110 offset:800
	ds_read_b128 v[116:119], v110 offset:816
	;; [unrolled: 1-line block ×4, first 2 shown]
	v_cmp_lt_u32_e32 vcc, 44, v0
	s_waitcnt vmcnt(16) lgkmcnt(3)
	v_fma_f64 v[110:111], v[128:129], v[112:113], 0
	s_waitcnt vmcnt(14)
	v_fmac_f64_e32 v[110:111], v[130:131], v[114:115]
	s_waitcnt vmcnt(12) lgkmcnt(2)
	v_fmac_f64_e32 v[110:111], v[132:133], v[116:117]
	s_waitcnt vmcnt(10)
	v_fmac_f64_e32 v[110:111], v[134:135], v[118:119]
	s_waitcnt vmcnt(8) lgkmcnt(1)
	v_fmac_f64_e32 v[110:111], v[136:137], v[120:121]
	;; [unrolled: 4-line block ×3, first 2 shown]
	s_waitcnt vmcnt(2)
	v_fmac_f64_e32 v[110:111], v[142:143], v[126:127]
	s_waitcnt vmcnt(0)
	v_add_f64 v[110:111], v[144:145], -v[110:111]
	buffer_store_dword v110, off, s[0:3], 0 offset:360
	buffer_store_dword v111, off, s[0:3], 0 offset:364
	s_and_saveexec_b64 s[4:5], vcc
	s_cbranch_execz .LBB117_243
; %bb.242:
	buffer_load_dword v110, off, s[0:3], 0 offset:352
	buffer_load_dword v111, off, s[0:3], 0 offset:356
	v_mov_b32_e32 v112, 0
	buffer_store_dword v112, off, s[0:3], 0 offset:352
	buffer_store_dword v112, off, s[0:3], 0 offset:356
	s_waitcnt vmcnt(2)
	ds_write_b64 v1, v[110:111]
.LBB117_243:
	s_or_b64 exec, exec, s[4:5]
	s_waitcnt lgkmcnt(0)
	; wave barrier
	s_waitcnt lgkmcnt(0)
	buffer_load_dword v128, off, s[0:3], 0 offset:360
	buffer_load_dword v129, off, s[0:3], 0 offset:364
	;; [unrolled: 1-line block ×20, first 2 shown]
	v_mov_b32_e32 v110, 0
	ds_read2_b64 v[112:115], v110 offset0:99 offset1:100
	ds_read2_b64 v[116:119], v110 offset0:101 offset1:102
	;; [unrolled: 1-line block ×4, first 2 shown]
	ds_read_b64 v[148:149], v110 offset:856
	v_cmp_lt_u32_e32 vcc, 43, v0
	s_waitcnt vmcnt(18) lgkmcnt(4)
	v_fma_f64 v[112:113], v[128:129], v[112:113], 0
	s_waitcnt vmcnt(16)
	v_fmac_f64_e32 v[112:113], v[130:131], v[114:115]
	s_waitcnt vmcnt(14) lgkmcnt(3)
	v_fmac_f64_e32 v[112:113], v[132:133], v[116:117]
	s_waitcnt vmcnt(12)
	v_fmac_f64_e32 v[112:113], v[134:135], v[118:119]
	s_waitcnt vmcnt(10) lgkmcnt(2)
	v_fmac_f64_e32 v[112:113], v[136:137], v[120:121]
	;; [unrolled: 4-line block ×3, first 2 shown]
	s_waitcnt vmcnt(2)
	v_fmac_f64_e32 v[112:113], v[144:145], v[126:127]
	s_waitcnt lgkmcnt(0)
	v_fmac_f64_e32 v[112:113], v[142:143], v[148:149]
	s_waitcnt vmcnt(0)
	v_add_f64 v[112:113], v[146:147], -v[112:113]
	buffer_store_dword v112, off, s[0:3], 0 offset:352
	buffer_store_dword v113, off, s[0:3], 0 offset:356
	s_and_saveexec_b64 s[4:5], vcc
	s_cbranch_execz .LBB117_245
; %bb.244:
	buffer_load_dword v112, off, s[0:3], 0 offset:344
	buffer_load_dword v113, off, s[0:3], 0 offset:348
	s_waitcnt vmcnt(0)
	ds_write_b64 v1, v[112:113]
	buffer_store_dword v110, off, s[0:3], 0 offset:344
	buffer_store_dword v110, off, s[0:3], 0 offset:348
.LBB117_245:
	s_or_b64 exec, exec, s[4:5]
	s_waitcnt lgkmcnt(0)
	; wave barrier
	s_waitcnt lgkmcnt(0)
	buffer_load_dword v132, off, s[0:3], 0 offset:352
	buffer_load_dword v133, off, s[0:3], 0 offset:356
	;; [unrolled: 1-line block ×22, first 2 shown]
	ds_read_b128 v[112:115], v110 offset:784
	ds_read_b128 v[116:119], v110 offset:800
	ds_read_b128 v[120:123], v110 offset:816
	ds_read_b128 v[124:127], v110 offset:832
	ds_read_b128 v[128:131], v110 offset:848
	v_cmp_lt_u32_e32 vcc, 42, v0
	s_waitcnt vmcnt(20) lgkmcnt(4)
	v_fma_f64 v[110:111], v[132:133], v[112:113], 0
	s_waitcnt vmcnt(18)
	v_fmac_f64_e32 v[110:111], v[134:135], v[114:115]
	s_waitcnt vmcnt(16) lgkmcnt(3)
	v_fmac_f64_e32 v[110:111], v[136:137], v[116:117]
	s_waitcnt vmcnt(14)
	v_fmac_f64_e32 v[110:111], v[138:139], v[118:119]
	s_waitcnt vmcnt(12) lgkmcnt(2)
	v_fmac_f64_e32 v[110:111], v[140:141], v[120:121]
	;; [unrolled: 4-line block ×3, first 2 shown]
	s_waitcnt vmcnt(3)
	v_fmac_f64_e32 v[110:111], v[150:151], v[126:127]
	s_waitcnt lgkmcnt(0)
	v_fmac_f64_e32 v[110:111], v[148:149], v[128:129]
	s_waitcnt vmcnt(2)
	v_fmac_f64_e32 v[110:111], v[146:147], v[130:131]
	s_waitcnt vmcnt(0)
	v_add_f64 v[110:111], v[152:153], -v[110:111]
	buffer_store_dword v110, off, s[0:3], 0 offset:344
	buffer_store_dword v111, off, s[0:3], 0 offset:348
	s_and_saveexec_b64 s[4:5], vcc
	s_cbranch_execz .LBB117_247
; %bb.246:
	buffer_load_dword v110, off, s[0:3], 0 offset:336
	buffer_load_dword v111, off, s[0:3], 0 offset:340
	v_mov_b32_e32 v112, 0
	buffer_store_dword v112, off, s[0:3], 0 offset:336
	buffer_store_dword v112, off, s[0:3], 0 offset:340
	s_waitcnt vmcnt(2)
	ds_write_b64 v1, v[110:111]
.LBB117_247:
	s_or_b64 exec, exec, s[4:5]
	s_waitcnt lgkmcnt(0)
	; wave barrier
	s_waitcnt lgkmcnt(0)
	buffer_load_dword v132, off, s[0:3], 0 offset:344
	buffer_load_dword v133, off, s[0:3], 0 offset:348
	;; [unrolled: 1-line block ×24, first 2 shown]
	v_mov_b32_e32 v110, 0
	ds_read2_b64 v[112:115], v110 offset0:97 offset1:98
	ds_read2_b64 v[116:119], v110 offset0:99 offset1:100
	;; [unrolled: 1-line block ×5, first 2 shown]
	ds_read_b64 v[156:157], v110 offset:856
	v_cmp_lt_u32_e32 vcc, 41, v0
	s_waitcnt vmcnt(22) lgkmcnt(5)
	v_fma_f64 v[112:113], v[132:133], v[112:113], 0
	s_waitcnt vmcnt(20)
	v_fmac_f64_e32 v[112:113], v[134:135], v[114:115]
	s_waitcnt vmcnt(18) lgkmcnt(4)
	v_fmac_f64_e32 v[112:113], v[136:137], v[116:117]
	s_waitcnt vmcnt(16)
	v_fmac_f64_e32 v[112:113], v[138:139], v[118:119]
	s_waitcnt vmcnt(14) lgkmcnt(3)
	v_fmac_f64_e32 v[112:113], v[140:141], v[120:121]
	;; [unrolled: 4-line block ×3, first 2 shown]
	s_waitcnt vmcnt(4)
	v_fmac_f64_e32 v[112:113], v[152:153], v[126:127]
	s_waitcnt lgkmcnt(1)
	v_fmac_f64_e32 v[112:113], v[150:151], v[128:129]
	s_waitcnt vmcnt(3)
	v_fmac_f64_e32 v[112:113], v[148:149], v[130:131]
	s_waitcnt vmcnt(2) lgkmcnt(0)
	v_fmac_f64_e32 v[112:113], v[146:147], v[156:157]
	s_waitcnt vmcnt(0)
	v_add_f64 v[112:113], v[154:155], -v[112:113]
	buffer_store_dword v113, off, s[0:3], 0 offset:340
	buffer_store_dword v112, off, s[0:3], 0 offset:336
	s_and_saveexec_b64 s[4:5], vcc
	s_cbranch_execz .LBB117_249
; %bb.248:
	buffer_load_dword v112, off, s[0:3], 0 offset:328
	buffer_load_dword v113, off, s[0:3], 0 offset:332
	s_waitcnt vmcnt(0)
	ds_write_b64 v1, v[112:113]
	buffer_store_dword v110, off, s[0:3], 0 offset:328
	buffer_store_dword v110, off, s[0:3], 0 offset:332
.LBB117_249:
	s_or_b64 exec, exec, s[4:5]
	s_waitcnt lgkmcnt(0)
	; wave barrier
	s_waitcnt lgkmcnt(0)
	buffer_load_dword v136, off, s[0:3], 0 offset:336
	buffer_load_dword v137, off, s[0:3], 0 offset:340
	;; [unrolled: 1-line block ×26, first 2 shown]
	ds_read_b128 v[112:115], v110 offset:768
	ds_read_b128 v[116:119], v110 offset:784
	;; [unrolled: 1-line block ×6, first 2 shown]
	v_cmp_lt_u32_e32 vcc, 40, v0
	s_waitcnt vmcnt(24) lgkmcnt(5)
	v_fma_f64 v[110:111], v[136:137], v[112:113], 0
	s_waitcnt vmcnt(22)
	v_fmac_f64_e32 v[110:111], v[138:139], v[114:115]
	s_waitcnt vmcnt(20) lgkmcnt(4)
	v_fmac_f64_e32 v[110:111], v[140:141], v[116:117]
	s_waitcnt vmcnt(18)
	v_fmac_f64_e32 v[110:111], v[142:143], v[118:119]
	s_waitcnt vmcnt(16) lgkmcnt(3)
	v_fmac_f64_e32 v[110:111], v[144:145], v[120:121]
	;; [unrolled: 4-line block ×3, first 2 shown]
	s_waitcnt vmcnt(5)
	v_fmac_f64_e32 v[110:111], v[156:157], v[126:127]
	s_waitcnt lgkmcnt(1)
	v_fmac_f64_e32 v[110:111], v[154:155], v[128:129]
	v_fmac_f64_e32 v[110:111], v[152:153], v[130:131]
	s_waitcnt vmcnt(4) lgkmcnt(0)
	v_fmac_f64_e32 v[110:111], v[150:151], v[132:133]
	s_waitcnt vmcnt(2)
	v_fmac_f64_e32 v[110:111], v[158:159], v[134:135]
	s_waitcnt vmcnt(0)
	v_add_f64 v[110:111], v[160:161], -v[110:111]
	buffer_store_dword v111, off, s[0:3], 0 offset:332
	buffer_store_dword v110, off, s[0:3], 0 offset:328
	s_and_saveexec_b64 s[4:5], vcc
	s_cbranch_execz .LBB117_251
; %bb.250:
	buffer_load_dword v110, off, s[0:3], 0 offset:320
	buffer_load_dword v111, off, s[0:3], 0 offset:324
	v_mov_b32_e32 v112, 0
	buffer_store_dword v112, off, s[0:3], 0 offset:320
	buffer_store_dword v112, off, s[0:3], 0 offset:324
	s_waitcnt vmcnt(2)
	ds_write_b64 v1, v[110:111]
.LBB117_251:
	s_or_b64 exec, exec, s[4:5]
	s_waitcnt lgkmcnt(0)
	; wave barrier
	s_waitcnt lgkmcnt(0)
	buffer_load_dword v136, off, s[0:3], 0 offset:328
	buffer_load_dword v137, off, s[0:3], 0 offset:332
	;; [unrolled: 1-line block ×28, first 2 shown]
	v_mov_b32_e32 v110, 0
	ds_read2_b64 v[112:115], v110 offset0:95 offset1:96
	ds_read2_b64 v[116:119], v110 offset0:97 offset1:98
	;; [unrolled: 1-line block ×6, first 2 shown]
	ds_read_b64 v[164:165], v110 offset:856
	v_cmp_lt_u32_e32 vcc, 39, v0
	s_waitcnt vmcnt(26) lgkmcnt(6)
	v_fma_f64 v[112:113], v[136:137], v[112:113], 0
	s_waitcnt vmcnt(24)
	v_fmac_f64_e32 v[112:113], v[138:139], v[114:115]
	s_waitcnt vmcnt(22) lgkmcnt(5)
	v_fmac_f64_e32 v[112:113], v[140:141], v[116:117]
	s_waitcnt vmcnt(20)
	v_fmac_f64_e32 v[112:113], v[142:143], v[118:119]
	s_waitcnt vmcnt(18) lgkmcnt(4)
	v_fmac_f64_e32 v[112:113], v[144:145], v[120:121]
	s_waitcnt vmcnt(16)
	v_fmac_f64_e32 v[112:113], v[146:147], v[122:123]
	s_waitcnt vmcnt(14) lgkmcnt(3)
	v_fmac_f64_e32 v[112:113], v[148:149], v[124:125]
	s_waitcnt vmcnt(6)
	v_fmac_f64_e32 v[112:113], v[156:157], v[126:127]
	s_waitcnt lgkmcnt(2)
	v_fmac_f64_e32 v[112:113], v[154:155], v[128:129]
	v_fmac_f64_e32 v[112:113], v[152:153], v[130:131]
	s_waitcnt lgkmcnt(1)
	v_fmac_f64_e32 v[112:113], v[150:151], v[132:133]
	s_waitcnt vmcnt(2)
	v_fmac_f64_e32 v[112:113], v[160:161], v[134:135]
	s_waitcnt lgkmcnt(0)
	v_fmac_f64_e32 v[112:113], v[158:159], v[164:165]
	s_waitcnt vmcnt(0)
	v_add_f64 v[112:113], v[162:163], -v[112:113]
	buffer_store_dword v113, off, s[0:3], 0 offset:324
	buffer_store_dword v112, off, s[0:3], 0 offset:320
	s_and_saveexec_b64 s[4:5], vcc
	s_cbranch_execz .LBB117_253
; %bb.252:
	buffer_load_dword v112, off, s[0:3], 0 offset:312
	buffer_load_dword v113, off, s[0:3], 0 offset:316
	s_waitcnt vmcnt(0)
	ds_write_b64 v1, v[112:113]
	buffer_store_dword v110, off, s[0:3], 0 offset:312
	buffer_store_dword v110, off, s[0:3], 0 offset:316
.LBB117_253:
	s_or_b64 exec, exec, s[4:5]
	s_waitcnt lgkmcnt(0)
	; wave barrier
	s_waitcnt lgkmcnt(0)
	buffer_load_dword v128, off, s[0:3], 0 offset:312
	buffer_load_dword v129, off, s[0:3], 0 offset:316
	;; [unrolled: 1-line block ×16, first 2 shown]
	ds_read_b128 v[112:115], v110 offset:752
	ds_read_b128 v[116:119], v110 offset:768
	;; [unrolled: 1-line block ×4, first 2 shown]
	v_cmp_lt_u32_e32 vcc, 38, v0
	s_waitcnt vmcnt(12) lgkmcnt(3)
	v_fma_f64 v[130:131], v[130:131], v[112:113], 0
	buffer_load_dword v113, off, s[0:3], 0 offset:380
	buffer_load_dword v112, off, s[0:3], 0 offset:376
	s_waitcnt vmcnt(12)
	v_fmac_f64_e32 v[130:131], v[132:133], v[114:115]
	s_waitcnt vmcnt(10) lgkmcnt(2)
	v_fmac_f64_e32 v[130:131], v[134:135], v[116:117]
	buffer_load_dword v117, off, s[0:3], 0 offset:388
	buffer_load_dword v116, off, s[0:3], 0 offset:384
	s_waitcnt vmcnt(10)
	v_fmac_f64_e32 v[130:131], v[136:137], v[118:119]
	s_waitcnt vmcnt(8) lgkmcnt(1)
	v_fmac_f64_e32 v[130:131], v[138:139], v[120:121]
	s_waitcnt vmcnt(6)
	v_fmac_f64_e32 v[130:131], v[140:141], v[122:123]
	s_waitcnt vmcnt(4) lgkmcnt(0)
	v_fmac_f64_e32 v[130:131], v[142:143], v[124:125]
	s_waitcnt vmcnt(2)
	v_fmac_f64_e32 v[130:131], v[112:113], v[126:127]
	ds_read_b128 v[112:115], v110 offset:816
	s_waitcnt vmcnt(0) lgkmcnt(0)
	v_fmac_f64_e32 v[130:131], v[116:117], v[112:113]
	buffer_load_dword v113, off, s[0:3], 0 offset:396
	buffer_load_dword v112, off, s[0:3], 0 offset:392
	;; [unrolled: 1-line block ×4, first 2 shown]
	s_waitcnt vmcnt(2)
	v_fmac_f64_e32 v[130:131], v[112:113], v[114:115]
	ds_read_b128 v[112:115], v110 offset:832
	s_waitcnt vmcnt(0) lgkmcnt(0)
	v_fmac_f64_e32 v[130:131], v[116:117], v[112:113]
	buffer_load_dword v113, off, s[0:3], 0 offset:412
	buffer_load_dword v112, off, s[0:3], 0 offset:408
	s_waitcnt vmcnt(0)
	v_fmac_f64_e32 v[130:131], v[112:113], v[114:115]
	buffer_load_dword v115, off, s[0:3], 0 offset:420
	buffer_load_dword v114, off, s[0:3], 0 offset:416
	ds_read_b128 v[110:113], v110 offset:848
	s_waitcnt vmcnt(0) lgkmcnt(0)
	v_fmac_f64_e32 v[130:131], v[114:115], v[110:111]
	buffer_load_dword v111, off, s[0:3], 0 offset:428
	buffer_load_dword v110, off, s[0:3], 0 offset:424
	s_waitcnt vmcnt(0)
	v_fmac_f64_e32 v[130:131], v[110:111], v[112:113]
	v_add_f64 v[110:111], v[128:129], -v[130:131]
	buffer_store_dword v111, off, s[0:3], 0 offset:316
	buffer_store_dword v110, off, s[0:3], 0 offset:312
	s_and_saveexec_b64 s[4:5], vcc
	s_cbranch_execz .LBB117_255
; %bb.254:
	buffer_load_dword v110, off, s[0:3], 0 offset:304
	buffer_load_dword v111, off, s[0:3], 0 offset:308
	v_mov_b32_e32 v112, 0
	buffer_store_dword v112, off, s[0:3], 0 offset:304
	buffer_store_dword v112, off, s[0:3], 0 offset:308
	s_waitcnt vmcnt(2)
	ds_write_b64 v1, v[110:111]
.LBB117_255:
	s_or_b64 exec, exec, s[4:5]
	s_waitcnt lgkmcnt(0)
	; wave barrier
	s_waitcnt lgkmcnt(0)
	buffer_load_dword v116, off, s[0:3], 0 offset:304
	buffer_load_dword v117, off, s[0:3], 0 offset:308
	;; [unrolled: 1-line block ×16, first 2 shown]
	v_mov_b32_e32 v110, 0
	ds_read2_b64 v[112:115], v110 offset0:93 offset1:94
	v_cmp_lt_u32_e32 vcc, 37, v0
	s_waitcnt vmcnt(12) lgkmcnt(0)
	v_fma_f64 v[118:119], v[118:119], v[112:113], 0
	s_waitcnt vmcnt(10)
	v_fmac_f64_e32 v[118:119], v[120:121], v[114:115]
	ds_read2_b64 v[112:115], v110 offset0:95 offset1:96
	s_waitcnt vmcnt(8) lgkmcnt(0)
	v_fmac_f64_e32 v[118:119], v[122:123], v[112:113]
	s_waitcnt vmcnt(6)
	v_fmac_f64_e32 v[118:119], v[124:125], v[114:115]
	ds_read2_b64 v[112:115], v110 offset0:97 offset1:98
	s_waitcnt vmcnt(4) lgkmcnt(0)
	v_fmac_f64_e32 v[118:119], v[126:127], v[112:113]
	;; [unrolled: 5-line block ×3, first 2 shown]
	buffer_load_dword v113, off, s[0:3], 0 offset:372
	buffer_load_dword v112, off, s[0:3], 0 offset:368
	buffer_load_dword v121, off, s[0:3], 0 offset:380
	buffer_load_dword v120, off, s[0:3], 0 offset:376
	s_waitcnt vmcnt(2)
	v_fmac_f64_e32 v[118:119], v[112:113], v[114:115]
	ds_read2_b64 v[112:115], v110 offset0:101 offset1:102
	s_waitcnt vmcnt(0) lgkmcnt(0)
	v_fmac_f64_e32 v[118:119], v[120:121], v[112:113]
	buffer_load_dword v113, off, s[0:3], 0 offset:388
	buffer_load_dword v112, off, s[0:3], 0 offset:384
	buffer_load_dword v121, off, s[0:3], 0 offset:396
	buffer_load_dword v120, off, s[0:3], 0 offset:392
	s_waitcnt vmcnt(2)
	v_fmac_f64_e32 v[118:119], v[112:113], v[114:115]
	ds_read2_b64 v[112:115], v110 offset0:103 offset1:104
	s_waitcnt vmcnt(0) lgkmcnt(0)
	v_fmac_f64_e32 v[118:119], v[120:121], v[112:113]
	;; [unrolled: 9-line block ×3, first 2 shown]
	buffer_load_dword v113, off, s[0:3], 0 offset:420
	buffer_load_dword v112, off, s[0:3], 0 offset:416
	s_waitcnt vmcnt(0)
	v_fmac_f64_e32 v[118:119], v[112:113], v[114:115]
	buffer_load_dword v113, off, s[0:3], 0 offset:428
	buffer_load_dword v112, off, s[0:3], 0 offset:424
	ds_read_b64 v[114:115], v110 offset:856
	s_waitcnt vmcnt(0) lgkmcnt(0)
	v_fmac_f64_e32 v[118:119], v[112:113], v[114:115]
	v_add_f64 v[112:113], v[116:117], -v[118:119]
	buffer_store_dword v113, off, s[0:3], 0 offset:308
	buffer_store_dword v112, off, s[0:3], 0 offset:304
	s_and_saveexec_b64 s[4:5], vcc
	s_cbranch_execz .LBB117_257
; %bb.256:
	buffer_load_dword v112, off, s[0:3], 0 offset:296
	buffer_load_dword v113, off, s[0:3], 0 offset:300
	s_waitcnt vmcnt(0)
	ds_write_b64 v1, v[112:113]
	buffer_store_dword v110, off, s[0:3], 0 offset:296
	buffer_store_dword v110, off, s[0:3], 0 offset:300
.LBB117_257:
	s_or_b64 exec, exec, s[4:5]
	s_waitcnt lgkmcnt(0)
	; wave barrier
	s_waitcnt lgkmcnt(0)
	buffer_load_dword v128, off, s[0:3], 0 offset:296
	buffer_load_dword v129, off, s[0:3], 0 offset:300
	;; [unrolled: 1-line block ×16, first 2 shown]
	ds_read_b128 v[112:115], v110 offset:736
	ds_read_b128 v[116:119], v110 offset:752
	;; [unrolled: 1-line block ×4, first 2 shown]
	v_cmp_lt_u32_e32 vcc, 36, v0
	s_waitcnt vmcnt(12) lgkmcnt(3)
	v_fma_f64 v[130:131], v[130:131], v[112:113], 0
	buffer_load_dword v113, off, s[0:3], 0 offset:364
	buffer_load_dword v112, off, s[0:3], 0 offset:360
	s_waitcnt vmcnt(12)
	v_fmac_f64_e32 v[130:131], v[132:133], v[114:115]
	s_waitcnt vmcnt(10) lgkmcnt(2)
	v_fmac_f64_e32 v[130:131], v[134:135], v[116:117]
	buffer_load_dword v117, off, s[0:3], 0 offset:372
	buffer_load_dword v116, off, s[0:3], 0 offset:368
	s_waitcnt vmcnt(10)
	v_fmac_f64_e32 v[130:131], v[136:137], v[118:119]
	s_waitcnt vmcnt(8) lgkmcnt(1)
	v_fmac_f64_e32 v[130:131], v[138:139], v[120:121]
	s_waitcnt vmcnt(6)
	v_fmac_f64_e32 v[130:131], v[140:141], v[122:123]
	s_waitcnt vmcnt(4) lgkmcnt(0)
	v_fmac_f64_e32 v[130:131], v[142:143], v[124:125]
	s_waitcnt vmcnt(2)
	v_fmac_f64_e32 v[130:131], v[112:113], v[126:127]
	ds_read_b128 v[112:115], v110 offset:800
	s_waitcnt vmcnt(0) lgkmcnt(0)
	v_fmac_f64_e32 v[130:131], v[116:117], v[112:113]
	buffer_load_dword v113, off, s[0:3], 0 offset:380
	buffer_load_dword v112, off, s[0:3], 0 offset:376
	;; [unrolled: 1-line block ×4, first 2 shown]
	s_waitcnt vmcnt(2)
	v_fmac_f64_e32 v[130:131], v[112:113], v[114:115]
	ds_read_b128 v[112:115], v110 offset:816
	s_waitcnt vmcnt(0) lgkmcnt(0)
	v_fmac_f64_e32 v[130:131], v[116:117], v[112:113]
	buffer_load_dword v113, off, s[0:3], 0 offset:396
	buffer_load_dword v112, off, s[0:3], 0 offset:392
	;; [unrolled: 1-line block ×4, first 2 shown]
	s_waitcnt vmcnt(2)
	v_fmac_f64_e32 v[130:131], v[112:113], v[114:115]
	ds_read_b128 v[112:115], v110 offset:832
	s_waitcnt vmcnt(0) lgkmcnt(0)
	v_fmac_f64_e32 v[130:131], v[116:117], v[112:113]
	buffer_load_dword v113, off, s[0:3], 0 offset:412
	buffer_load_dword v112, off, s[0:3], 0 offset:408
	s_waitcnt vmcnt(0)
	v_fmac_f64_e32 v[130:131], v[112:113], v[114:115]
	buffer_load_dword v115, off, s[0:3], 0 offset:420
	buffer_load_dword v114, off, s[0:3], 0 offset:416
	ds_read_b128 v[110:113], v110 offset:848
	s_waitcnt vmcnt(0) lgkmcnt(0)
	v_fmac_f64_e32 v[130:131], v[114:115], v[110:111]
	buffer_load_dword v111, off, s[0:3], 0 offset:428
	buffer_load_dword v110, off, s[0:3], 0 offset:424
	s_waitcnt vmcnt(0)
	v_fmac_f64_e32 v[130:131], v[110:111], v[112:113]
	v_add_f64 v[110:111], v[128:129], -v[130:131]
	buffer_store_dword v111, off, s[0:3], 0 offset:300
	buffer_store_dword v110, off, s[0:3], 0 offset:296
	s_and_saveexec_b64 s[4:5], vcc
	s_cbranch_execz .LBB117_259
; %bb.258:
	buffer_load_dword v110, off, s[0:3], 0 offset:288
	buffer_load_dword v111, off, s[0:3], 0 offset:292
	v_mov_b32_e32 v112, 0
	buffer_store_dword v112, off, s[0:3], 0 offset:288
	buffer_store_dword v112, off, s[0:3], 0 offset:292
	s_waitcnt vmcnt(2)
	ds_write_b64 v1, v[110:111]
.LBB117_259:
	s_or_b64 exec, exec, s[4:5]
	s_waitcnt lgkmcnt(0)
	; wave barrier
	s_waitcnt lgkmcnt(0)
	buffer_load_dword v110, off, s[0:3], 0 offset:288
	buffer_load_dword v111, off, s[0:3], 0 offset:292
	buffer_load_dword v112, off, s[0:3], 0 offset:296
	buffer_load_dword v113, off, s[0:3], 0 offset:300
	buffer_load_dword v120, off, s[0:3], 0 offset:304
	buffer_load_dword v121, off, s[0:3], 0 offset:308
	buffer_load_dword v122, off, s[0:3], 0 offset:312
	buffer_load_dword v123, off, s[0:3], 0 offset:316
	buffer_load_dword v124, off, s[0:3], 0 offset:320
	buffer_load_dword v125, off, s[0:3], 0 offset:324
	buffer_load_dword v126, off, s[0:3], 0 offset:328
	buffer_load_dword v127, off, s[0:3], 0 offset:332
	buffer_load_dword v128, off, s[0:3], 0 offset:336
	buffer_load_dword v129, off, s[0:3], 0 offset:340
	buffer_load_dword v130, off, s[0:3], 0 offset:344
	buffer_load_dword v131, off, s[0:3], 0 offset:348
	v_mov_b32_e32 v114, 0
	ds_read2_b64 v[116:119], v114 offset0:91 offset1:92
	v_cmp_lt_u32_e32 vcc, 35, v0
	s_waitcnt vmcnt(12) lgkmcnt(0)
	v_fma_f64 v[112:113], v[112:113], v[116:117], 0
	s_waitcnt vmcnt(10)
	v_fmac_f64_e32 v[112:113], v[120:121], v[118:119]
	ds_read2_b64 v[116:119], v114 offset0:93 offset1:94
	s_waitcnt vmcnt(8) lgkmcnt(0)
	v_fmac_f64_e32 v[112:113], v[122:123], v[116:117]
	s_waitcnt vmcnt(6)
	v_fmac_f64_e32 v[112:113], v[124:125], v[118:119]
	ds_read2_b64 v[116:119], v114 offset0:95 offset1:96
	s_waitcnt vmcnt(4) lgkmcnt(0)
	v_fmac_f64_e32 v[112:113], v[126:127], v[116:117]
	s_waitcnt vmcnt(2)
	v_fmac_f64_e32 v[112:113], v[128:129], v[118:119]
	ds_read2_b64 v[116:119], v114 offset0:97 offset1:98
	s_waitcnt vmcnt(0) lgkmcnt(0)
	v_fmac_f64_e32 v[112:113], v[130:131], v[116:117]
	buffer_load_dword v117, off, s[0:3], 0 offset:356
	buffer_load_dword v116, off, s[0:3], 0 offset:352
	buffer_load_dword v121, off, s[0:3], 0 offset:364
	buffer_load_dword v120, off, s[0:3], 0 offset:360
	s_waitcnt vmcnt(2)
	v_fmac_f64_e32 v[112:113], v[116:117], v[118:119]
	ds_read2_b64 v[116:119], v114 offset0:99 offset1:100
	s_waitcnt vmcnt(0) lgkmcnt(0)
	v_fmac_f64_e32 v[112:113], v[120:121], v[116:117]
	buffer_load_dword v117, off, s[0:3], 0 offset:372
	buffer_load_dword v116, off, s[0:3], 0 offset:368
	buffer_load_dword v121, off, s[0:3], 0 offset:380
	buffer_load_dword v120, off, s[0:3], 0 offset:376
	s_waitcnt vmcnt(2)
	v_fmac_f64_e32 v[112:113], v[116:117], v[118:119]
	ds_read2_b64 v[116:119], v114 offset0:101 offset1:102
	s_waitcnt vmcnt(0) lgkmcnt(0)
	v_fmac_f64_e32 v[112:113], v[120:121], v[116:117]
	;; [unrolled: 9-line block ×4, first 2 shown]
	buffer_load_dword v117, off, s[0:3], 0 offset:420
	buffer_load_dword v116, off, s[0:3], 0 offset:416
	s_waitcnt vmcnt(0)
	v_fmac_f64_e32 v[112:113], v[116:117], v[118:119]
	buffer_load_dword v117, off, s[0:3], 0 offset:428
	buffer_load_dword v116, off, s[0:3], 0 offset:424
	ds_read_b64 v[118:119], v114 offset:856
	s_waitcnt vmcnt(0) lgkmcnt(0)
	v_fmac_f64_e32 v[112:113], v[116:117], v[118:119]
	v_add_f64 v[110:111], v[110:111], -v[112:113]
	buffer_store_dword v111, off, s[0:3], 0 offset:292
	buffer_store_dword v110, off, s[0:3], 0 offset:288
	s_and_saveexec_b64 s[4:5], vcc
	s_cbranch_execz .LBB117_261
; %bb.260:
	buffer_load_dword v110, off, s[0:3], 0 offset:280
	buffer_load_dword v111, off, s[0:3], 0 offset:284
	s_waitcnt vmcnt(0)
	ds_write_b64 v1, v[110:111]
	buffer_store_dword v114, off, s[0:3], 0 offset:280
	buffer_store_dword v114, off, s[0:3], 0 offset:284
.LBB117_261:
	s_or_b64 exec, exec, s[4:5]
	s_waitcnt lgkmcnt(0)
	; wave barrier
	s_waitcnt lgkmcnt(0)
	buffer_load_dword v110, off, s[0:3], 0 offset:280
	buffer_load_dword v111, off, s[0:3], 0 offset:284
	;; [unrolled: 1-line block ×16, first 2 shown]
	ds_read_b128 v[116:119], v114 offset:720
	ds_read_b128 v[120:123], v114 offset:736
	;; [unrolled: 1-line block ×4, first 2 shown]
	v_cmp_lt_u32_e32 vcc, 34, v0
	s_waitcnt vmcnt(12) lgkmcnt(3)
	v_fma_f64 v[112:113], v[112:113], v[116:117], 0
	buffer_load_dword v117, off, s[0:3], 0 offset:348
	buffer_load_dword v116, off, s[0:3], 0 offset:344
	s_waitcnt vmcnt(12)
	v_fmac_f64_e32 v[112:113], v[132:133], v[118:119]
	s_waitcnt vmcnt(10) lgkmcnt(2)
	v_fmac_f64_e32 v[112:113], v[134:135], v[120:121]
	buffer_load_dword v121, off, s[0:3], 0 offset:356
	buffer_load_dword v120, off, s[0:3], 0 offset:352
	s_waitcnt vmcnt(10)
	v_fmac_f64_e32 v[112:113], v[136:137], v[122:123]
	s_waitcnt vmcnt(8) lgkmcnt(1)
	v_fmac_f64_e32 v[112:113], v[138:139], v[124:125]
	s_waitcnt vmcnt(6)
	v_fmac_f64_e32 v[112:113], v[140:141], v[126:127]
	s_waitcnt vmcnt(4) lgkmcnt(0)
	v_fmac_f64_e32 v[112:113], v[142:143], v[128:129]
	s_waitcnt vmcnt(2)
	v_fmac_f64_e32 v[112:113], v[116:117], v[130:131]
	ds_read_b128 v[116:119], v114 offset:784
	s_waitcnt vmcnt(0) lgkmcnt(0)
	v_fmac_f64_e32 v[112:113], v[120:121], v[116:117]
	buffer_load_dword v117, off, s[0:3], 0 offset:364
	buffer_load_dword v116, off, s[0:3], 0 offset:360
	buffer_load_dword v121, off, s[0:3], 0 offset:372
	buffer_load_dword v120, off, s[0:3], 0 offset:368
	s_waitcnt vmcnt(2)
	v_fmac_f64_e32 v[112:113], v[116:117], v[118:119]
	ds_read_b128 v[116:119], v114 offset:800
	s_waitcnt vmcnt(0) lgkmcnt(0)
	v_fmac_f64_e32 v[112:113], v[120:121], v[116:117]
	buffer_load_dword v117, off, s[0:3], 0 offset:380
	buffer_load_dword v116, off, s[0:3], 0 offset:376
	buffer_load_dword v121, off, s[0:3], 0 offset:388
	buffer_load_dword v120, off, s[0:3], 0 offset:384
	;; [unrolled: 9-line block ×3, first 2 shown]
	s_waitcnt vmcnt(2)
	v_fmac_f64_e32 v[112:113], v[116:117], v[118:119]
	ds_read_b128 v[116:119], v114 offset:832
	s_waitcnt vmcnt(0) lgkmcnt(0)
	v_fmac_f64_e32 v[112:113], v[120:121], v[116:117]
	buffer_load_dword v117, off, s[0:3], 0 offset:412
	buffer_load_dword v116, off, s[0:3], 0 offset:408
	s_waitcnt vmcnt(0)
	v_fmac_f64_e32 v[112:113], v[116:117], v[118:119]
	buffer_load_dword v119, off, s[0:3], 0 offset:420
	buffer_load_dword v118, off, s[0:3], 0 offset:416
	ds_read_b128 v[114:117], v114 offset:848
	s_waitcnt vmcnt(0) lgkmcnt(0)
	v_fmac_f64_e32 v[112:113], v[118:119], v[114:115]
	buffer_load_dword v115, off, s[0:3], 0 offset:428
	buffer_load_dword v114, off, s[0:3], 0 offset:424
	s_waitcnt vmcnt(0)
	v_fmac_f64_e32 v[112:113], v[114:115], v[116:117]
	v_add_f64 v[110:111], v[110:111], -v[112:113]
	buffer_store_dword v111, off, s[0:3], 0 offset:284
	buffer_store_dword v110, off, s[0:3], 0 offset:280
	s_and_saveexec_b64 s[4:5], vcc
	s_cbranch_execz .LBB117_263
; %bb.262:
	buffer_load_dword v110, off, s[0:3], 0 offset:272
	buffer_load_dword v111, off, s[0:3], 0 offset:276
	v_mov_b32_e32 v112, 0
	buffer_store_dword v112, off, s[0:3], 0 offset:272
	buffer_store_dword v112, off, s[0:3], 0 offset:276
	s_waitcnt vmcnt(2)
	ds_write_b64 v1, v[110:111]
.LBB117_263:
	s_or_b64 exec, exec, s[4:5]
	s_waitcnt lgkmcnt(0)
	; wave barrier
	s_waitcnt lgkmcnt(0)
	buffer_load_dword v110, off, s[0:3], 0 offset:272
	buffer_load_dword v111, off, s[0:3], 0 offset:276
	;; [unrolled: 1-line block ×16, first 2 shown]
	v_mov_b32_e32 v114, 0
	ds_read2_b64 v[116:119], v114 offset0:89 offset1:90
	v_cmp_lt_u32_e32 vcc, 33, v0
	s_waitcnt vmcnt(12) lgkmcnt(0)
	v_fma_f64 v[112:113], v[112:113], v[116:117], 0
	s_waitcnt vmcnt(10)
	v_fmac_f64_e32 v[112:113], v[120:121], v[118:119]
	ds_read2_b64 v[116:119], v114 offset0:91 offset1:92
	s_waitcnt vmcnt(8) lgkmcnt(0)
	v_fmac_f64_e32 v[112:113], v[122:123], v[116:117]
	s_waitcnt vmcnt(6)
	v_fmac_f64_e32 v[112:113], v[124:125], v[118:119]
	ds_read2_b64 v[116:119], v114 offset0:93 offset1:94
	s_waitcnt vmcnt(4) lgkmcnt(0)
	v_fmac_f64_e32 v[112:113], v[126:127], v[116:117]
	;; [unrolled: 5-line block ×3, first 2 shown]
	buffer_load_dword v117, off, s[0:3], 0 offset:340
	buffer_load_dword v116, off, s[0:3], 0 offset:336
	buffer_load_dword v121, off, s[0:3], 0 offset:348
	buffer_load_dword v120, off, s[0:3], 0 offset:344
	s_waitcnt vmcnt(2)
	v_fmac_f64_e32 v[112:113], v[116:117], v[118:119]
	ds_read2_b64 v[116:119], v114 offset0:97 offset1:98
	s_waitcnt vmcnt(0) lgkmcnt(0)
	v_fmac_f64_e32 v[112:113], v[120:121], v[116:117]
	buffer_load_dword v117, off, s[0:3], 0 offset:356
	buffer_load_dword v116, off, s[0:3], 0 offset:352
	buffer_load_dword v121, off, s[0:3], 0 offset:364
	buffer_load_dword v120, off, s[0:3], 0 offset:360
	s_waitcnt vmcnt(2)
	v_fmac_f64_e32 v[112:113], v[116:117], v[118:119]
	ds_read2_b64 v[116:119], v114 offset0:99 offset1:100
	s_waitcnt vmcnt(0) lgkmcnt(0)
	v_fmac_f64_e32 v[112:113], v[120:121], v[116:117]
	;; [unrolled: 9-line block ×5, first 2 shown]
	buffer_load_dword v117, off, s[0:3], 0 offset:420
	buffer_load_dword v116, off, s[0:3], 0 offset:416
	s_waitcnt vmcnt(0)
	v_fmac_f64_e32 v[112:113], v[116:117], v[118:119]
	buffer_load_dword v117, off, s[0:3], 0 offset:428
	buffer_load_dword v116, off, s[0:3], 0 offset:424
	ds_read_b64 v[118:119], v114 offset:856
	s_waitcnt vmcnt(0) lgkmcnt(0)
	v_fmac_f64_e32 v[112:113], v[116:117], v[118:119]
	v_add_f64 v[110:111], v[110:111], -v[112:113]
	buffer_store_dword v111, off, s[0:3], 0 offset:276
	buffer_store_dword v110, off, s[0:3], 0 offset:272
	s_and_saveexec_b64 s[4:5], vcc
	s_cbranch_execz .LBB117_265
; %bb.264:
	buffer_load_dword v110, off, s[0:3], 0 offset:264
	buffer_load_dword v111, off, s[0:3], 0 offset:268
	s_waitcnt vmcnt(0)
	ds_write_b64 v1, v[110:111]
	buffer_store_dword v114, off, s[0:3], 0 offset:264
	buffer_store_dword v114, off, s[0:3], 0 offset:268
.LBB117_265:
	s_or_b64 exec, exec, s[4:5]
	s_waitcnt lgkmcnt(0)
	; wave barrier
	s_waitcnt lgkmcnt(0)
	buffer_load_dword v110, off, s[0:3], 0 offset:264
	buffer_load_dword v111, off, s[0:3], 0 offset:268
	;; [unrolled: 1-line block ×16, first 2 shown]
	ds_read_b128 v[116:119], v114 offset:704
	ds_read_b128 v[120:123], v114 offset:720
	;; [unrolled: 1-line block ×4, first 2 shown]
	v_cmp_lt_u32_e32 vcc, 32, v0
	s_waitcnt vmcnt(12) lgkmcnt(3)
	v_fma_f64 v[112:113], v[112:113], v[116:117], 0
	buffer_load_dword v117, off, s[0:3], 0 offset:332
	buffer_load_dword v116, off, s[0:3], 0 offset:328
	s_waitcnt vmcnt(12)
	v_fmac_f64_e32 v[112:113], v[132:133], v[118:119]
	s_waitcnt vmcnt(10) lgkmcnt(2)
	v_fmac_f64_e32 v[112:113], v[134:135], v[120:121]
	buffer_load_dword v121, off, s[0:3], 0 offset:340
	buffer_load_dword v120, off, s[0:3], 0 offset:336
	s_waitcnt vmcnt(10)
	v_fmac_f64_e32 v[112:113], v[136:137], v[122:123]
	s_waitcnt vmcnt(8) lgkmcnt(1)
	v_fmac_f64_e32 v[112:113], v[138:139], v[124:125]
	s_waitcnt vmcnt(6)
	v_fmac_f64_e32 v[112:113], v[140:141], v[126:127]
	s_waitcnt vmcnt(4) lgkmcnt(0)
	v_fmac_f64_e32 v[112:113], v[142:143], v[128:129]
	s_waitcnt vmcnt(2)
	v_fmac_f64_e32 v[112:113], v[116:117], v[130:131]
	ds_read_b128 v[116:119], v114 offset:768
	s_waitcnt vmcnt(0) lgkmcnt(0)
	v_fmac_f64_e32 v[112:113], v[120:121], v[116:117]
	buffer_load_dword v117, off, s[0:3], 0 offset:348
	buffer_load_dword v116, off, s[0:3], 0 offset:344
	buffer_load_dword v121, off, s[0:3], 0 offset:356
	buffer_load_dword v120, off, s[0:3], 0 offset:352
	s_waitcnt vmcnt(2)
	v_fmac_f64_e32 v[112:113], v[116:117], v[118:119]
	ds_read_b128 v[116:119], v114 offset:784
	s_waitcnt vmcnt(0) lgkmcnt(0)
	v_fmac_f64_e32 v[112:113], v[120:121], v[116:117]
	buffer_load_dword v117, off, s[0:3], 0 offset:364
	buffer_load_dword v116, off, s[0:3], 0 offset:360
	buffer_load_dword v121, off, s[0:3], 0 offset:372
	buffer_load_dword v120, off, s[0:3], 0 offset:368
	;; [unrolled: 9-line block ×4, first 2 shown]
	s_waitcnt vmcnt(2)
	v_fmac_f64_e32 v[112:113], v[116:117], v[118:119]
	ds_read_b128 v[116:119], v114 offset:832
	s_waitcnt vmcnt(0) lgkmcnt(0)
	v_fmac_f64_e32 v[112:113], v[120:121], v[116:117]
	buffer_load_dword v117, off, s[0:3], 0 offset:412
	buffer_load_dword v116, off, s[0:3], 0 offset:408
	s_waitcnt vmcnt(0)
	v_fmac_f64_e32 v[112:113], v[116:117], v[118:119]
	buffer_load_dword v119, off, s[0:3], 0 offset:420
	buffer_load_dword v118, off, s[0:3], 0 offset:416
	ds_read_b128 v[114:117], v114 offset:848
	s_waitcnt vmcnt(0) lgkmcnt(0)
	v_fmac_f64_e32 v[112:113], v[118:119], v[114:115]
	buffer_load_dword v115, off, s[0:3], 0 offset:428
	buffer_load_dword v114, off, s[0:3], 0 offset:424
	s_waitcnt vmcnt(0)
	v_fmac_f64_e32 v[112:113], v[114:115], v[116:117]
	v_add_f64 v[110:111], v[110:111], -v[112:113]
	buffer_store_dword v111, off, s[0:3], 0 offset:268
	buffer_store_dword v110, off, s[0:3], 0 offset:264
	s_and_saveexec_b64 s[4:5], vcc
	s_cbranch_execz .LBB117_267
; %bb.266:
	buffer_load_dword v110, off, s[0:3], 0 offset:256
	buffer_load_dword v111, off, s[0:3], 0 offset:260
	v_mov_b32_e32 v112, 0
	buffer_store_dword v112, off, s[0:3], 0 offset:256
	buffer_store_dword v112, off, s[0:3], 0 offset:260
	s_waitcnt vmcnt(2)
	ds_write_b64 v1, v[110:111]
.LBB117_267:
	s_or_b64 exec, exec, s[4:5]
	s_waitcnt lgkmcnt(0)
	; wave barrier
	s_waitcnt lgkmcnt(0)
	buffer_load_dword v110, off, s[0:3], 0 offset:256
	buffer_load_dword v111, off, s[0:3], 0 offset:260
	buffer_load_dword v112, off, s[0:3], 0 offset:264
	buffer_load_dword v113, off, s[0:3], 0 offset:268
	buffer_load_dword v120, off, s[0:3], 0 offset:272
	buffer_load_dword v121, off, s[0:3], 0 offset:276
	buffer_load_dword v122, off, s[0:3], 0 offset:280
	buffer_load_dword v123, off, s[0:3], 0 offset:284
	buffer_load_dword v124, off, s[0:3], 0 offset:288
	buffer_load_dword v125, off, s[0:3], 0 offset:292
	buffer_load_dword v126, off, s[0:3], 0 offset:296
	buffer_load_dword v127, off, s[0:3], 0 offset:300
	buffer_load_dword v128, off, s[0:3], 0 offset:304
	buffer_load_dword v129, off, s[0:3], 0 offset:308
	buffer_load_dword v130, off, s[0:3], 0 offset:312
	buffer_load_dword v131, off, s[0:3], 0 offset:316
	v_mov_b32_e32 v114, 0
	ds_read2_b64 v[116:119], v114 offset0:87 offset1:88
	v_cmp_lt_u32_e32 vcc, 31, v0
	s_waitcnt vmcnt(12) lgkmcnt(0)
	v_fma_f64 v[112:113], v[112:113], v[116:117], 0
	s_waitcnt vmcnt(10)
	v_fmac_f64_e32 v[112:113], v[120:121], v[118:119]
	ds_read2_b64 v[116:119], v114 offset0:89 offset1:90
	s_waitcnt vmcnt(8) lgkmcnt(0)
	v_fmac_f64_e32 v[112:113], v[122:123], v[116:117]
	s_waitcnt vmcnt(6)
	v_fmac_f64_e32 v[112:113], v[124:125], v[118:119]
	ds_read2_b64 v[116:119], v114 offset0:91 offset1:92
	s_waitcnt vmcnt(4) lgkmcnt(0)
	v_fmac_f64_e32 v[112:113], v[126:127], v[116:117]
	;; [unrolled: 5-line block ×3, first 2 shown]
	buffer_load_dword v117, off, s[0:3], 0 offset:324
	buffer_load_dword v116, off, s[0:3], 0 offset:320
	buffer_load_dword v121, off, s[0:3], 0 offset:332
	buffer_load_dword v120, off, s[0:3], 0 offset:328
	s_waitcnt vmcnt(2)
	v_fmac_f64_e32 v[112:113], v[116:117], v[118:119]
	ds_read2_b64 v[116:119], v114 offset0:95 offset1:96
	s_waitcnt vmcnt(0) lgkmcnt(0)
	v_fmac_f64_e32 v[112:113], v[120:121], v[116:117]
	buffer_load_dword v117, off, s[0:3], 0 offset:340
	buffer_load_dword v116, off, s[0:3], 0 offset:336
	buffer_load_dword v121, off, s[0:3], 0 offset:348
	buffer_load_dword v120, off, s[0:3], 0 offset:344
	s_waitcnt vmcnt(2)
	v_fmac_f64_e32 v[112:113], v[116:117], v[118:119]
	ds_read2_b64 v[116:119], v114 offset0:97 offset1:98
	s_waitcnt vmcnt(0) lgkmcnt(0)
	v_fmac_f64_e32 v[112:113], v[120:121], v[116:117]
	;; [unrolled: 9-line block ×6, first 2 shown]
	buffer_load_dword v117, off, s[0:3], 0 offset:420
	buffer_load_dword v116, off, s[0:3], 0 offset:416
	s_waitcnt vmcnt(0)
	v_fmac_f64_e32 v[112:113], v[116:117], v[118:119]
	buffer_load_dword v117, off, s[0:3], 0 offset:428
	buffer_load_dword v116, off, s[0:3], 0 offset:424
	ds_read_b64 v[118:119], v114 offset:856
	s_waitcnt vmcnt(0) lgkmcnt(0)
	v_fmac_f64_e32 v[112:113], v[116:117], v[118:119]
	v_add_f64 v[110:111], v[110:111], -v[112:113]
	buffer_store_dword v111, off, s[0:3], 0 offset:260
	buffer_store_dword v110, off, s[0:3], 0 offset:256
	s_and_saveexec_b64 s[4:5], vcc
	s_cbranch_execz .LBB117_269
; %bb.268:
	buffer_load_dword v110, off, s[0:3], 0 offset:248
	buffer_load_dword v111, off, s[0:3], 0 offset:252
	s_waitcnt vmcnt(0)
	ds_write_b64 v1, v[110:111]
	buffer_store_dword v114, off, s[0:3], 0 offset:248
	buffer_store_dword v114, off, s[0:3], 0 offset:252
.LBB117_269:
	s_or_b64 exec, exec, s[4:5]
	s_waitcnt lgkmcnt(0)
	; wave barrier
	s_waitcnt lgkmcnt(0)
	buffer_load_dword v110, off, s[0:3], 0 offset:248
	buffer_load_dword v111, off, s[0:3], 0 offset:252
	;; [unrolled: 1-line block ×16, first 2 shown]
	ds_read_b128 v[116:119], v114 offset:688
	ds_read_b128 v[120:123], v114 offset:704
	;; [unrolled: 1-line block ×4, first 2 shown]
	v_cmp_lt_u32_e32 vcc, 30, v0
	s_waitcnt vmcnt(12) lgkmcnt(3)
	v_fma_f64 v[112:113], v[112:113], v[116:117], 0
	buffer_load_dword v117, off, s[0:3], 0 offset:316
	buffer_load_dword v116, off, s[0:3], 0 offset:312
	s_waitcnt vmcnt(12)
	v_fmac_f64_e32 v[112:113], v[132:133], v[118:119]
	s_waitcnt vmcnt(10) lgkmcnt(2)
	v_fmac_f64_e32 v[112:113], v[134:135], v[120:121]
	buffer_load_dword v121, off, s[0:3], 0 offset:324
	buffer_load_dword v120, off, s[0:3], 0 offset:320
	s_waitcnt vmcnt(10)
	v_fmac_f64_e32 v[112:113], v[136:137], v[122:123]
	s_waitcnt vmcnt(8) lgkmcnt(1)
	v_fmac_f64_e32 v[112:113], v[138:139], v[124:125]
	s_waitcnt vmcnt(6)
	v_fmac_f64_e32 v[112:113], v[140:141], v[126:127]
	s_waitcnt vmcnt(4) lgkmcnt(0)
	v_fmac_f64_e32 v[112:113], v[142:143], v[128:129]
	s_waitcnt vmcnt(2)
	v_fmac_f64_e32 v[112:113], v[116:117], v[130:131]
	ds_read_b128 v[116:119], v114 offset:752
	s_waitcnt vmcnt(0) lgkmcnt(0)
	v_fmac_f64_e32 v[112:113], v[120:121], v[116:117]
	buffer_load_dword v117, off, s[0:3], 0 offset:332
	buffer_load_dword v116, off, s[0:3], 0 offset:328
	buffer_load_dword v121, off, s[0:3], 0 offset:340
	buffer_load_dword v120, off, s[0:3], 0 offset:336
	s_waitcnt vmcnt(2)
	v_fmac_f64_e32 v[112:113], v[116:117], v[118:119]
	ds_read_b128 v[116:119], v114 offset:768
	s_waitcnt vmcnt(0) lgkmcnt(0)
	v_fmac_f64_e32 v[112:113], v[120:121], v[116:117]
	buffer_load_dword v117, off, s[0:3], 0 offset:348
	buffer_load_dword v116, off, s[0:3], 0 offset:344
	buffer_load_dword v121, off, s[0:3], 0 offset:356
	buffer_load_dword v120, off, s[0:3], 0 offset:352
	s_waitcnt vmcnt(2)
	v_fmac_f64_e32 v[112:113], v[116:117], v[118:119]
	ds_read_b128 v[116:119], v114 offset:784
	s_waitcnt vmcnt(0) lgkmcnt(0)
	v_fmac_f64_e32 v[112:113], v[120:121], v[116:117]
	buffer_load_dword v117, off, s[0:3], 0 offset:364
	buffer_load_dword v116, off, s[0:3], 0 offset:360
	buffer_load_dword v121, off, s[0:3], 0 offset:372
	buffer_load_dword v120, off, s[0:3], 0 offset:368
	s_waitcnt vmcnt(2)
	v_fmac_f64_e32 v[112:113], v[116:117], v[118:119]
	ds_read_b128 v[116:119], v114 offset:800
	s_waitcnt vmcnt(0) lgkmcnt(0)
	v_fmac_f64_e32 v[112:113], v[120:121], v[116:117]
	buffer_load_dword v117, off, s[0:3], 0 offset:380
	buffer_load_dword v116, off, s[0:3], 0 offset:376
	buffer_load_dword v121, off, s[0:3], 0 offset:388
	buffer_load_dword v120, off, s[0:3], 0 offset:384
	s_waitcnt vmcnt(2)
	v_fmac_f64_e32 v[112:113], v[116:117], v[118:119]
	ds_read_b128 v[116:119], v114 offset:816
	s_waitcnt vmcnt(0) lgkmcnt(0)
	v_fmac_f64_e32 v[112:113], v[120:121], v[116:117]
	buffer_load_dword v117, off, s[0:3], 0 offset:396
	buffer_load_dword v116, off, s[0:3], 0 offset:392
	buffer_load_dword v121, off, s[0:3], 0 offset:404
	buffer_load_dword v120, off, s[0:3], 0 offset:400
	s_waitcnt vmcnt(2)
	v_fmac_f64_e32 v[112:113], v[116:117], v[118:119]
	ds_read_b128 v[116:119], v114 offset:832
	s_waitcnt vmcnt(0) lgkmcnt(0)
	v_fmac_f64_e32 v[112:113], v[120:121], v[116:117]
	buffer_load_dword v117, off, s[0:3], 0 offset:412
	buffer_load_dword v116, off, s[0:3], 0 offset:408
	s_waitcnt vmcnt(0)
	v_fmac_f64_e32 v[112:113], v[116:117], v[118:119]
	buffer_load_dword v119, off, s[0:3], 0 offset:420
	buffer_load_dword v118, off, s[0:3], 0 offset:416
	ds_read_b128 v[114:117], v114 offset:848
	s_waitcnt vmcnt(0) lgkmcnt(0)
	v_fmac_f64_e32 v[112:113], v[118:119], v[114:115]
	buffer_load_dword v115, off, s[0:3], 0 offset:428
	buffer_load_dword v114, off, s[0:3], 0 offset:424
	s_waitcnt vmcnt(0)
	v_fmac_f64_e32 v[112:113], v[114:115], v[116:117]
	v_add_f64 v[110:111], v[110:111], -v[112:113]
	buffer_store_dword v111, off, s[0:3], 0 offset:252
	buffer_store_dword v110, off, s[0:3], 0 offset:248
	s_and_saveexec_b64 s[4:5], vcc
	s_cbranch_execz .LBB117_271
; %bb.270:
	buffer_load_dword v110, off, s[0:3], 0 offset:240
	buffer_load_dword v111, off, s[0:3], 0 offset:244
	v_mov_b32_e32 v112, 0
	buffer_store_dword v112, off, s[0:3], 0 offset:240
	buffer_store_dword v112, off, s[0:3], 0 offset:244
	s_waitcnt vmcnt(2)
	ds_write_b64 v1, v[110:111]
.LBB117_271:
	s_or_b64 exec, exec, s[4:5]
	s_waitcnt lgkmcnt(0)
	; wave barrier
	s_waitcnt lgkmcnt(0)
	buffer_load_dword v110, off, s[0:3], 0 offset:240
	buffer_load_dword v111, off, s[0:3], 0 offset:244
	;; [unrolled: 1-line block ×16, first 2 shown]
	v_mov_b32_e32 v114, 0
	ds_read2_b64 v[116:119], v114 offset0:85 offset1:86
	v_cmp_lt_u32_e32 vcc, 29, v0
	s_waitcnt vmcnt(12) lgkmcnt(0)
	v_fma_f64 v[112:113], v[112:113], v[116:117], 0
	s_waitcnt vmcnt(10)
	v_fmac_f64_e32 v[112:113], v[120:121], v[118:119]
	ds_read2_b64 v[116:119], v114 offset0:87 offset1:88
	s_waitcnt vmcnt(8) lgkmcnt(0)
	v_fmac_f64_e32 v[112:113], v[122:123], v[116:117]
	s_waitcnt vmcnt(6)
	v_fmac_f64_e32 v[112:113], v[124:125], v[118:119]
	ds_read2_b64 v[116:119], v114 offset0:89 offset1:90
	s_waitcnt vmcnt(4) lgkmcnt(0)
	v_fmac_f64_e32 v[112:113], v[126:127], v[116:117]
	;; [unrolled: 5-line block ×3, first 2 shown]
	buffer_load_dword v117, off, s[0:3], 0 offset:308
	buffer_load_dword v116, off, s[0:3], 0 offset:304
	buffer_load_dword v121, off, s[0:3], 0 offset:316
	buffer_load_dword v120, off, s[0:3], 0 offset:312
	s_waitcnt vmcnt(2)
	v_fmac_f64_e32 v[112:113], v[116:117], v[118:119]
	ds_read2_b64 v[116:119], v114 offset0:93 offset1:94
	s_waitcnt vmcnt(0) lgkmcnt(0)
	v_fmac_f64_e32 v[112:113], v[120:121], v[116:117]
	buffer_load_dword v117, off, s[0:3], 0 offset:324
	buffer_load_dword v116, off, s[0:3], 0 offset:320
	buffer_load_dword v121, off, s[0:3], 0 offset:332
	buffer_load_dword v120, off, s[0:3], 0 offset:328
	s_waitcnt vmcnt(2)
	v_fmac_f64_e32 v[112:113], v[116:117], v[118:119]
	ds_read2_b64 v[116:119], v114 offset0:95 offset1:96
	s_waitcnt vmcnt(0) lgkmcnt(0)
	v_fmac_f64_e32 v[112:113], v[120:121], v[116:117]
	;; [unrolled: 9-line block ×7, first 2 shown]
	buffer_load_dword v117, off, s[0:3], 0 offset:420
	buffer_load_dword v116, off, s[0:3], 0 offset:416
	s_waitcnt vmcnt(0)
	v_fmac_f64_e32 v[112:113], v[116:117], v[118:119]
	buffer_load_dword v117, off, s[0:3], 0 offset:428
	buffer_load_dword v116, off, s[0:3], 0 offset:424
	ds_read_b64 v[118:119], v114 offset:856
	s_waitcnt vmcnt(0) lgkmcnt(0)
	v_fmac_f64_e32 v[112:113], v[116:117], v[118:119]
	v_add_f64 v[110:111], v[110:111], -v[112:113]
	buffer_store_dword v111, off, s[0:3], 0 offset:244
	buffer_store_dword v110, off, s[0:3], 0 offset:240
	s_and_saveexec_b64 s[4:5], vcc
	s_cbranch_execz .LBB117_273
; %bb.272:
	buffer_load_dword v110, off, s[0:3], 0 offset:232
	buffer_load_dword v111, off, s[0:3], 0 offset:236
	s_waitcnt vmcnt(0)
	ds_write_b64 v1, v[110:111]
	buffer_store_dword v114, off, s[0:3], 0 offset:232
	buffer_store_dword v114, off, s[0:3], 0 offset:236
.LBB117_273:
	s_or_b64 exec, exec, s[4:5]
	s_waitcnt lgkmcnt(0)
	; wave barrier
	s_waitcnt lgkmcnt(0)
	buffer_load_dword v110, off, s[0:3], 0 offset:232
	buffer_load_dword v111, off, s[0:3], 0 offset:236
	;; [unrolled: 1-line block ×16, first 2 shown]
	ds_read_b128 v[116:119], v114 offset:672
	ds_read_b128 v[120:123], v114 offset:688
	;; [unrolled: 1-line block ×4, first 2 shown]
	v_cmp_lt_u32_e32 vcc, 28, v0
	s_waitcnt vmcnt(12) lgkmcnt(3)
	v_fma_f64 v[112:113], v[112:113], v[116:117], 0
	buffer_load_dword v117, off, s[0:3], 0 offset:300
	buffer_load_dword v116, off, s[0:3], 0 offset:296
	s_waitcnt vmcnt(12)
	v_fmac_f64_e32 v[112:113], v[132:133], v[118:119]
	s_waitcnt vmcnt(10) lgkmcnt(2)
	v_fmac_f64_e32 v[112:113], v[134:135], v[120:121]
	buffer_load_dword v121, off, s[0:3], 0 offset:308
	buffer_load_dword v120, off, s[0:3], 0 offset:304
	s_waitcnt vmcnt(10)
	v_fmac_f64_e32 v[112:113], v[136:137], v[122:123]
	s_waitcnt vmcnt(8) lgkmcnt(1)
	v_fmac_f64_e32 v[112:113], v[138:139], v[124:125]
	s_waitcnt vmcnt(6)
	v_fmac_f64_e32 v[112:113], v[140:141], v[126:127]
	s_waitcnt vmcnt(4) lgkmcnt(0)
	v_fmac_f64_e32 v[112:113], v[142:143], v[128:129]
	s_waitcnt vmcnt(2)
	v_fmac_f64_e32 v[112:113], v[116:117], v[130:131]
	ds_read_b128 v[116:119], v114 offset:736
	s_waitcnt vmcnt(0) lgkmcnt(0)
	v_fmac_f64_e32 v[112:113], v[120:121], v[116:117]
	buffer_load_dword v117, off, s[0:3], 0 offset:316
	buffer_load_dword v116, off, s[0:3], 0 offset:312
	buffer_load_dword v121, off, s[0:3], 0 offset:324
	buffer_load_dword v120, off, s[0:3], 0 offset:320
	s_waitcnt vmcnt(2)
	v_fmac_f64_e32 v[112:113], v[116:117], v[118:119]
	ds_read_b128 v[116:119], v114 offset:752
	s_waitcnt vmcnt(0) lgkmcnt(0)
	v_fmac_f64_e32 v[112:113], v[120:121], v[116:117]
	buffer_load_dword v117, off, s[0:3], 0 offset:332
	buffer_load_dword v116, off, s[0:3], 0 offset:328
	buffer_load_dword v121, off, s[0:3], 0 offset:340
	buffer_load_dword v120, off, s[0:3], 0 offset:336
	;; [unrolled: 9-line block ×6, first 2 shown]
	s_waitcnt vmcnt(2)
	v_fmac_f64_e32 v[112:113], v[116:117], v[118:119]
	ds_read_b128 v[116:119], v114 offset:832
	s_waitcnt vmcnt(0) lgkmcnt(0)
	v_fmac_f64_e32 v[112:113], v[120:121], v[116:117]
	buffer_load_dword v117, off, s[0:3], 0 offset:412
	buffer_load_dword v116, off, s[0:3], 0 offset:408
	s_waitcnt vmcnt(0)
	v_fmac_f64_e32 v[112:113], v[116:117], v[118:119]
	buffer_load_dword v119, off, s[0:3], 0 offset:420
	buffer_load_dword v118, off, s[0:3], 0 offset:416
	ds_read_b128 v[114:117], v114 offset:848
	s_waitcnt vmcnt(0) lgkmcnt(0)
	v_fmac_f64_e32 v[112:113], v[118:119], v[114:115]
	buffer_load_dword v115, off, s[0:3], 0 offset:428
	buffer_load_dword v114, off, s[0:3], 0 offset:424
	s_waitcnt vmcnt(0)
	v_fmac_f64_e32 v[112:113], v[114:115], v[116:117]
	v_add_f64 v[110:111], v[110:111], -v[112:113]
	buffer_store_dword v111, off, s[0:3], 0 offset:236
	buffer_store_dword v110, off, s[0:3], 0 offset:232
	s_and_saveexec_b64 s[4:5], vcc
	s_cbranch_execz .LBB117_275
; %bb.274:
	buffer_load_dword v110, off, s[0:3], 0 offset:224
	buffer_load_dword v111, off, s[0:3], 0 offset:228
	v_mov_b32_e32 v112, 0
	buffer_store_dword v112, off, s[0:3], 0 offset:224
	buffer_store_dword v112, off, s[0:3], 0 offset:228
	s_waitcnt vmcnt(2)
	ds_write_b64 v1, v[110:111]
.LBB117_275:
	s_or_b64 exec, exec, s[4:5]
	s_waitcnt lgkmcnt(0)
	; wave barrier
	s_waitcnt lgkmcnt(0)
	buffer_load_dword v110, off, s[0:3], 0 offset:224
	buffer_load_dword v111, off, s[0:3], 0 offset:228
	buffer_load_dword v112, off, s[0:3], 0 offset:232
	buffer_load_dword v113, off, s[0:3], 0 offset:236
	buffer_load_dword v120, off, s[0:3], 0 offset:240
	buffer_load_dword v121, off, s[0:3], 0 offset:244
	buffer_load_dword v122, off, s[0:3], 0 offset:248
	buffer_load_dword v123, off, s[0:3], 0 offset:252
	buffer_load_dword v124, off, s[0:3], 0 offset:256
	buffer_load_dword v125, off, s[0:3], 0 offset:260
	buffer_load_dword v126, off, s[0:3], 0 offset:264
	buffer_load_dword v127, off, s[0:3], 0 offset:268
	buffer_load_dword v128, off, s[0:3], 0 offset:272
	buffer_load_dword v129, off, s[0:3], 0 offset:276
	buffer_load_dword v130, off, s[0:3], 0 offset:280
	buffer_load_dword v131, off, s[0:3], 0 offset:284
	v_mov_b32_e32 v114, 0
	ds_read2_b64 v[116:119], v114 offset0:83 offset1:84
	v_cmp_lt_u32_e32 vcc, 27, v0
	s_waitcnt vmcnt(12) lgkmcnt(0)
	v_fma_f64 v[112:113], v[112:113], v[116:117], 0
	s_waitcnt vmcnt(10)
	v_fmac_f64_e32 v[112:113], v[120:121], v[118:119]
	ds_read2_b64 v[116:119], v114 offset0:85 offset1:86
	s_waitcnt vmcnt(8) lgkmcnt(0)
	v_fmac_f64_e32 v[112:113], v[122:123], v[116:117]
	s_waitcnt vmcnt(6)
	v_fmac_f64_e32 v[112:113], v[124:125], v[118:119]
	ds_read2_b64 v[116:119], v114 offset0:87 offset1:88
	s_waitcnt vmcnt(4) lgkmcnt(0)
	v_fmac_f64_e32 v[112:113], v[126:127], v[116:117]
	;; [unrolled: 5-line block ×3, first 2 shown]
	buffer_load_dword v117, off, s[0:3], 0 offset:292
	buffer_load_dword v116, off, s[0:3], 0 offset:288
	buffer_load_dword v121, off, s[0:3], 0 offset:300
	buffer_load_dword v120, off, s[0:3], 0 offset:296
	s_waitcnt vmcnt(2)
	v_fmac_f64_e32 v[112:113], v[116:117], v[118:119]
	ds_read2_b64 v[116:119], v114 offset0:91 offset1:92
	s_waitcnt vmcnt(0) lgkmcnt(0)
	v_fmac_f64_e32 v[112:113], v[120:121], v[116:117]
	buffer_load_dword v117, off, s[0:3], 0 offset:308
	buffer_load_dword v116, off, s[0:3], 0 offset:304
	buffer_load_dword v121, off, s[0:3], 0 offset:316
	buffer_load_dword v120, off, s[0:3], 0 offset:312
	s_waitcnt vmcnt(2)
	v_fmac_f64_e32 v[112:113], v[116:117], v[118:119]
	ds_read2_b64 v[116:119], v114 offset0:93 offset1:94
	s_waitcnt vmcnt(0) lgkmcnt(0)
	v_fmac_f64_e32 v[112:113], v[120:121], v[116:117]
	;; [unrolled: 9-line block ×8, first 2 shown]
	buffer_load_dword v117, off, s[0:3], 0 offset:420
	buffer_load_dword v116, off, s[0:3], 0 offset:416
	s_waitcnt vmcnt(0)
	v_fmac_f64_e32 v[112:113], v[116:117], v[118:119]
	buffer_load_dword v117, off, s[0:3], 0 offset:428
	buffer_load_dword v116, off, s[0:3], 0 offset:424
	ds_read_b64 v[118:119], v114 offset:856
	s_waitcnt vmcnt(0) lgkmcnt(0)
	v_fmac_f64_e32 v[112:113], v[116:117], v[118:119]
	v_add_f64 v[110:111], v[110:111], -v[112:113]
	buffer_store_dword v111, off, s[0:3], 0 offset:228
	buffer_store_dword v110, off, s[0:3], 0 offset:224
	s_and_saveexec_b64 s[4:5], vcc
	s_cbranch_execz .LBB117_277
; %bb.276:
	buffer_load_dword v110, off, s[0:3], 0 offset:216
	buffer_load_dword v111, off, s[0:3], 0 offset:220
	s_waitcnt vmcnt(0)
	ds_write_b64 v1, v[110:111]
	buffer_store_dword v114, off, s[0:3], 0 offset:216
	buffer_store_dword v114, off, s[0:3], 0 offset:220
.LBB117_277:
	s_or_b64 exec, exec, s[4:5]
	s_waitcnt lgkmcnt(0)
	; wave barrier
	s_waitcnt lgkmcnt(0)
	buffer_load_dword v110, off, s[0:3], 0 offset:216
	buffer_load_dword v111, off, s[0:3], 0 offset:220
	;; [unrolled: 1-line block ×16, first 2 shown]
	ds_read_b128 v[116:119], v114 offset:656
	ds_read_b128 v[120:123], v114 offset:672
	;; [unrolled: 1-line block ×4, first 2 shown]
	v_cmp_lt_u32_e32 vcc, 26, v0
	s_waitcnt vmcnt(12) lgkmcnt(3)
	v_fma_f64 v[112:113], v[112:113], v[116:117], 0
	buffer_load_dword v117, off, s[0:3], 0 offset:284
	buffer_load_dword v116, off, s[0:3], 0 offset:280
	s_waitcnt vmcnt(12)
	v_fmac_f64_e32 v[112:113], v[132:133], v[118:119]
	s_waitcnt vmcnt(10) lgkmcnt(2)
	v_fmac_f64_e32 v[112:113], v[134:135], v[120:121]
	buffer_load_dword v121, off, s[0:3], 0 offset:292
	buffer_load_dword v120, off, s[0:3], 0 offset:288
	s_waitcnt vmcnt(10)
	v_fmac_f64_e32 v[112:113], v[136:137], v[122:123]
	s_waitcnt vmcnt(8) lgkmcnt(1)
	v_fmac_f64_e32 v[112:113], v[138:139], v[124:125]
	s_waitcnt vmcnt(6)
	v_fmac_f64_e32 v[112:113], v[140:141], v[126:127]
	s_waitcnt vmcnt(4) lgkmcnt(0)
	v_fmac_f64_e32 v[112:113], v[142:143], v[128:129]
	s_waitcnt vmcnt(2)
	v_fmac_f64_e32 v[112:113], v[116:117], v[130:131]
	ds_read_b128 v[116:119], v114 offset:720
	s_waitcnt vmcnt(0) lgkmcnt(0)
	v_fmac_f64_e32 v[112:113], v[120:121], v[116:117]
	buffer_load_dword v117, off, s[0:3], 0 offset:300
	buffer_load_dword v116, off, s[0:3], 0 offset:296
	buffer_load_dword v121, off, s[0:3], 0 offset:308
	buffer_load_dword v120, off, s[0:3], 0 offset:304
	s_waitcnt vmcnt(2)
	v_fmac_f64_e32 v[112:113], v[116:117], v[118:119]
	ds_read_b128 v[116:119], v114 offset:736
	s_waitcnt vmcnt(0) lgkmcnt(0)
	v_fmac_f64_e32 v[112:113], v[120:121], v[116:117]
	buffer_load_dword v117, off, s[0:3], 0 offset:316
	buffer_load_dword v116, off, s[0:3], 0 offset:312
	buffer_load_dword v121, off, s[0:3], 0 offset:324
	buffer_load_dword v120, off, s[0:3], 0 offset:320
	;; [unrolled: 9-line block ×7, first 2 shown]
	s_waitcnt vmcnt(2)
	v_fmac_f64_e32 v[112:113], v[116:117], v[118:119]
	ds_read_b128 v[116:119], v114 offset:832
	s_waitcnt vmcnt(0) lgkmcnt(0)
	v_fmac_f64_e32 v[112:113], v[120:121], v[116:117]
	buffer_load_dword v117, off, s[0:3], 0 offset:412
	buffer_load_dword v116, off, s[0:3], 0 offset:408
	s_waitcnt vmcnt(0)
	v_fmac_f64_e32 v[112:113], v[116:117], v[118:119]
	buffer_load_dword v119, off, s[0:3], 0 offset:420
	buffer_load_dword v118, off, s[0:3], 0 offset:416
	ds_read_b128 v[114:117], v114 offset:848
	s_waitcnt vmcnt(0) lgkmcnt(0)
	v_fmac_f64_e32 v[112:113], v[118:119], v[114:115]
	buffer_load_dword v115, off, s[0:3], 0 offset:428
	buffer_load_dword v114, off, s[0:3], 0 offset:424
	s_waitcnt vmcnt(0)
	v_fmac_f64_e32 v[112:113], v[114:115], v[116:117]
	v_add_f64 v[110:111], v[110:111], -v[112:113]
	buffer_store_dword v111, off, s[0:3], 0 offset:220
	buffer_store_dword v110, off, s[0:3], 0 offset:216
	s_and_saveexec_b64 s[4:5], vcc
	s_cbranch_execz .LBB117_279
; %bb.278:
	buffer_load_dword v110, off, s[0:3], 0 offset:208
	buffer_load_dword v111, off, s[0:3], 0 offset:212
	v_mov_b32_e32 v112, 0
	buffer_store_dword v112, off, s[0:3], 0 offset:208
	buffer_store_dword v112, off, s[0:3], 0 offset:212
	s_waitcnt vmcnt(2)
	ds_write_b64 v1, v[110:111]
.LBB117_279:
	s_or_b64 exec, exec, s[4:5]
	s_waitcnt lgkmcnt(0)
	; wave barrier
	s_waitcnt lgkmcnt(0)
	buffer_load_dword v110, off, s[0:3], 0 offset:208
	buffer_load_dword v111, off, s[0:3], 0 offset:212
	;; [unrolled: 1-line block ×16, first 2 shown]
	v_mov_b32_e32 v114, 0
	ds_read2_b64 v[116:119], v114 offset0:81 offset1:82
	v_cmp_lt_u32_e32 vcc, 25, v0
	s_waitcnt vmcnt(12) lgkmcnt(0)
	v_fma_f64 v[112:113], v[112:113], v[116:117], 0
	s_waitcnt vmcnt(10)
	v_fmac_f64_e32 v[112:113], v[120:121], v[118:119]
	ds_read2_b64 v[116:119], v114 offset0:83 offset1:84
	s_waitcnt vmcnt(8) lgkmcnt(0)
	v_fmac_f64_e32 v[112:113], v[122:123], v[116:117]
	s_waitcnt vmcnt(6)
	v_fmac_f64_e32 v[112:113], v[124:125], v[118:119]
	ds_read2_b64 v[116:119], v114 offset0:85 offset1:86
	s_waitcnt vmcnt(4) lgkmcnt(0)
	v_fmac_f64_e32 v[112:113], v[126:127], v[116:117]
	;; [unrolled: 5-line block ×3, first 2 shown]
	buffer_load_dword v117, off, s[0:3], 0 offset:276
	buffer_load_dword v116, off, s[0:3], 0 offset:272
	buffer_load_dword v121, off, s[0:3], 0 offset:284
	buffer_load_dword v120, off, s[0:3], 0 offset:280
	s_waitcnt vmcnt(2)
	v_fmac_f64_e32 v[112:113], v[116:117], v[118:119]
	ds_read2_b64 v[116:119], v114 offset0:89 offset1:90
	s_waitcnt vmcnt(0) lgkmcnt(0)
	v_fmac_f64_e32 v[112:113], v[120:121], v[116:117]
	buffer_load_dword v117, off, s[0:3], 0 offset:292
	buffer_load_dword v116, off, s[0:3], 0 offset:288
	buffer_load_dword v121, off, s[0:3], 0 offset:300
	buffer_load_dword v120, off, s[0:3], 0 offset:296
	s_waitcnt vmcnt(2)
	v_fmac_f64_e32 v[112:113], v[116:117], v[118:119]
	ds_read2_b64 v[116:119], v114 offset0:91 offset1:92
	s_waitcnt vmcnt(0) lgkmcnt(0)
	v_fmac_f64_e32 v[112:113], v[120:121], v[116:117]
	;; [unrolled: 9-line block ×9, first 2 shown]
	buffer_load_dword v117, off, s[0:3], 0 offset:420
	buffer_load_dword v116, off, s[0:3], 0 offset:416
	s_waitcnt vmcnt(0)
	v_fmac_f64_e32 v[112:113], v[116:117], v[118:119]
	buffer_load_dword v117, off, s[0:3], 0 offset:428
	buffer_load_dword v116, off, s[0:3], 0 offset:424
	ds_read_b64 v[118:119], v114 offset:856
	s_waitcnt vmcnt(0) lgkmcnt(0)
	v_fmac_f64_e32 v[112:113], v[116:117], v[118:119]
	v_add_f64 v[110:111], v[110:111], -v[112:113]
	buffer_store_dword v111, off, s[0:3], 0 offset:212
	buffer_store_dword v110, off, s[0:3], 0 offset:208
	s_and_saveexec_b64 s[4:5], vcc
	s_cbranch_execz .LBB117_281
; %bb.280:
	buffer_load_dword v110, off, s[0:3], 0 offset:200
	buffer_load_dword v111, off, s[0:3], 0 offset:204
	s_waitcnt vmcnt(0)
	ds_write_b64 v1, v[110:111]
	buffer_store_dword v114, off, s[0:3], 0 offset:200
	buffer_store_dword v114, off, s[0:3], 0 offset:204
.LBB117_281:
	s_or_b64 exec, exec, s[4:5]
	s_waitcnt lgkmcnt(0)
	; wave barrier
	s_waitcnt lgkmcnt(0)
	buffer_load_dword v110, off, s[0:3], 0 offset:200
	buffer_load_dword v111, off, s[0:3], 0 offset:204
	;; [unrolled: 1-line block ×16, first 2 shown]
	ds_read_b128 v[116:119], v114 offset:640
	ds_read_b128 v[120:123], v114 offset:656
	;; [unrolled: 1-line block ×4, first 2 shown]
	v_cmp_lt_u32_e32 vcc, 24, v0
	s_waitcnt vmcnt(12) lgkmcnt(3)
	v_fma_f64 v[112:113], v[112:113], v[116:117], 0
	buffer_load_dword v117, off, s[0:3], 0 offset:268
	buffer_load_dword v116, off, s[0:3], 0 offset:264
	s_waitcnt vmcnt(12)
	v_fmac_f64_e32 v[112:113], v[132:133], v[118:119]
	s_waitcnt vmcnt(10) lgkmcnt(2)
	v_fmac_f64_e32 v[112:113], v[134:135], v[120:121]
	buffer_load_dword v121, off, s[0:3], 0 offset:276
	buffer_load_dword v120, off, s[0:3], 0 offset:272
	s_waitcnt vmcnt(10)
	v_fmac_f64_e32 v[112:113], v[136:137], v[122:123]
	s_waitcnt vmcnt(8) lgkmcnt(1)
	v_fmac_f64_e32 v[112:113], v[138:139], v[124:125]
	s_waitcnt vmcnt(6)
	v_fmac_f64_e32 v[112:113], v[140:141], v[126:127]
	s_waitcnt vmcnt(4) lgkmcnt(0)
	v_fmac_f64_e32 v[112:113], v[142:143], v[128:129]
	s_waitcnt vmcnt(2)
	v_fmac_f64_e32 v[112:113], v[116:117], v[130:131]
	ds_read_b128 v[116:119], v114 offset:704
	s_waitcnt vmcnt(0) lgkmcnt(0)
	v_fmac_f64_e32 v[112:113], v[120:121], v[116:117]
	buffer_load_dword v117, off, s[0:3], 0 offset:284
	buffer_load_dword v116, off, s[0:3], 0 offset:280
	buffer_load_dword v121, off, s[0:3], 0 offset:292
	buffer_load_dword v120, off, s[0:3], 0 offset:288
	s_waitcnt vmcnt(2)
	v_fmac_f64_e32 v[112:113], v[116:117], v[118:119]
	ds_read_b128 v[116:119], v114 offset:720
	s_waitcnt vmcnt(0) lgkmcnt(0)
	v_fmac_f64_e32 v[112:113], v[120:121], v[116:117]
	buffer_load_dword v117, off, s[0:3], 0 offset:300
	buffer_load_dword v116, off, s[0:3], 0 offset:296
	buffer_load_dword v121, off, s[0:3], 0 offset:308
	buffer_load_dword v120, off, s[0:3], 0 offset:304
	;; [unrolled: 9-line block ×8, first 2 shown]
	s_waitcnt vmcnt(2)
	v_fmac_f64_e32 v[112:113], v[116:117], v[118:119]
	ds_read_b128 v[116:119], v114 offset:832
	s_waitcnt vmcnt(0) lgkmcnt(0)
	v_fmac_f64_e32 v[112:113], v[120:121], v[116:117]
	buffer_load_dword v117, off, s[0:3], 0 offset:412
	buffer_load_dword v116, off, s[0:3], 0 offset:408
	s_waitcnt vmcnt(0)
	v_fmac_f64_e32 v[112:113], v[116:117], v[118:119]
	buffer_load_dword v119, off, s[0:3], 0 offset:420
	buffer_load_dword v118, off, s[0:3], 0 offset:416
	ds_read_b128 v[114:117], v114 offset:848
	s_waitcnt vmcnt(0) lgkmcnt(0)
	v_fmac_f64_e32 v[112:113], v[118:119], v[114:115]
	buffer_load_dword v115, off, s[0:3], 0 offset:428
	buffer_load_dword v114, off, s[0:3], 0 offset:424
	s_waitcnt vmcnt(0)
	v_fmac_f64_e32 v[112:113], v[114:115], v[116:117]
	v_add_f64 v[110:111], v[110:111], -v[112:113]
	buffer_store_dword v111, off, s[0:3], 0 offset:204
	buffer_store_dword v110, off, s[0:3], 0 offset:200
	s_and_saveexec_b64 s[4:5], vcc
	s_cbranch_execz .LBB117_283
; %bb.282:
	buffer_load_dword v110, off, s[0:3], 0 offset:192
	buffer_load_dword v111, off, s[0:3], 0 offset:196
	v_mov_b32_e32 v112, 0
	buffer_store_dword v112, off, s[0:3], 0 offset:192
	buffer_store_dword v112, off, s[0:3], 0 offset:196
	s_waitcnt vmcnt(2)
	ds_write_b64 v1, v[110:111]
.LBB117_283:
	s_or_b64 exec, exec, s[4:5]
	s_waitcnt lgkmcnt(0)
	; wave barrier
	s_waitcnt lgkmcnt(0)
	buffer_load_dword v110, off, s[0:3], 0 offset:192
	buffer_load_dword v111, off, s[0:3], 0 offset:196
	;; [unrolled: 1-line block ×16, first 2 shown]
	v_mov_b32_e32 v114, 0
	ds_read2_b64 v[116:119], v114 offset0:79 offset1:80
	v_cmp_lt_u32_e32 vcc, 23, v0
	s_waitcnt vmcnt(12) lgkmcnt(0)
	v_fma_f64 v[112:113], v[112:113], v[116:117], 0
	s_waitcnt vmcnt(10)
	v_fmac_f64_e32 v[112:113], v[120:121], v[118:119]
	ds_read2_b64 v[116:119], v114 offset0:81 offset1:82
	s_waitcnt vmcnt(8) lgkmcnt(0)
	v_fmac_f64_e32 v[112:113], v[122:123], v[116:117]
	s_waitcnt vmcnt(6)
	v_fmac_f64_e32 v[112:113], v[124:125], v[118:119]
	ds_read2_b64 v[116:119], v114 offset0:83 offset1:84
	s_waitcnt vmcnt(4) lgkmcnt(0)
	v_fmac_f64_e32 v[112:113], v[126:127], v[116:117]
	;; [unrolled: 5-line block ×3, first 2 shown]
	buffer_load_dword v117, off, s[0:3], 0 offset:260
	buffer_load_dword v116, off, s[0:3], 0 offset:256
	buffer_load_dword v121, off, s[0:3], 0 offset:268
	buffer_load_dword v120, off, s[0:3], 0 offset:264
	s_waitcnt vmcnt(2)
	v_fmac_f64_e32 v[112:113], v[116:117], v[118:119]
	ds_read2_b64 v[116:119], v114 offset0:87 offset1:88
	s_waitcnt vmcnt(0) lgkmcnt(0)
	v_fmac_f64_e32 v[112:113], v[120:121], v[116:117]
	buffer_load_dword v117, off, s[0:3], 0 offset:276
	buffer_load_dword v116, off, s[0:3], 0 offset:272
	buffer_load_dword v121, off, s[0:3], 0 offset:284
	buffer_load_dword v120, off, s[0:3], 0 offset:280
	s_waitcnt vmcnt(2)
	v_fmac_f64_e32 v[112:113], v[116:117], v[118:119]
	ds_read2_b64 v[116:119], v114 offset0:89 offset1:90
	s_waitcnt vmcnt(0) lgkmcnt(0)
	v_fmac_f64_e32 v[112:113], v[120:121], v[116:117]
	;; [unrolled: 9-line block ×10, first 2 shown]
	buffer_load_dword v117, off, s[0:3], 0 offset:420
	buffer_load_dword v116, off, s[0:3], 0 offset:416
	s_waitcnt vmcnt(0)
	v_fmac_f64_e32 v[112:113], v[116:117], v[118:119]
	buffer_load_dword v117, off, s[0:3], 0 offset:428
	buffer_load_dword v116, off, s[0:3], 0 offset:424
	ds_read_b64 v[118:119], v114 offset:856
	s_waitcnt vmcnt(0) lgkmcnt(0)
	v_fmac_f64_e32 v[112:113], v[116:117], v[118:119]
	v_add_f64 v[110:111], v[110:111], -v[112:113]
	buffer_store_dword v111, off, s[0:3], 0 offset:196
	buffer_store_dword v110, off, s[0:3], 0 offset:192
	s_and_saveexec_b64 s[4:5], vcc
	s_cbranch_execz .LBB117_285
; %bb.284:
	buffer_load_dword v110, off, s[0:3], 0 offset:184
	buffer_load_dword v111, off, s[0:3], 0 offset:188
	s_waitcnt vmcnt(0)
	ds_write_b64 v1, v[110:111]
	buffer_store_dword v114, off, s[0:3], 0 offset:184
	buffer_store_dword v114, off, s[0:3], 0 offset:188
.LBB117_285:
	s_or_b64 exec, exec, s[4:5]
	s_waitcnt lgkmcnt(0)
	; wave barrier
	s_waitcnt lgkmcnt(0)
	buffer_load_dword v110, off, s[0:3], 0 offset:184
	buffer_load_dword v111, off, s[0:3], 0 offset:188
	;; [unrolled: 1-line block ×16, first 2 shown]
	ds_read_b128 v[116:119], v114 offset:624
	ds_read_b128 v[120:123], v114 offset:640
	;; [unrolled: 1-line block ×4, first 2 shown]
	v_cmp_lt_u32_e32 vcc, 22, v0
	s_waitcnt vmcnt(12) lgkmcnt(3)
	v_fma_f64 v[112:113], v[112:113], v[116:117], 0
	buffer_load_dword v117, off, s[0:3], 0 offset:252
	buffer_load_dword v116, off, s[0:3], 0 offset:248
	s_waitcnt vmcnt(12)
	v_fmac_f64_e32 v[112:113], v[132:133], v[118:119]
	s_waitcnt vmcnt(10) lgkmcnt(2)
	v_fmac_f64_e32 v[112:113], v[134:135], v[120:121]
	buffer_load_dword v121, off, s[0:3], 0 offset:260
	buffer_load_dword v120, off, s[0:3], 0 offset:256
	s_waitcnt vmcnt(10)
	v_fmac_f64_e32 v[112:113], v[136:137], v[122:123]
	s_waitcnt vmcnt(8) lgkmcnt(1)
	v_fmac_f64_e32 v[112:113], v[138:139], v[124:125]
	s_waitcnt vmcnt(6)
	v_fmac_f64_e32 v[112:113], v[140:141], v[126:127]
	s_waitcnt vmcnt(4) lgkmcnt(0)
	v_fmac_f64_e32 v[112:113], v[142:143], v[128:129]
	s_waitcnt vmcnt(2)
	v_fmac_f64_e32 v[112:113], v[116:117], v[130:131]
	ds_read_b128 v[116:119], v114 offset:688
	s_waitcnt vmcnt(0) lgkmcnt(0)
	v_fmac_f64_e32 v[112:113], v[120:121], v[116:117]
	buffer_load_dword v117, off, s[0:3], 0 offset:268
	buffer_load_dword v116, off, s[0:3], 0 offset:264
	buffer_load_dword v121, off, s[0:3], 0 offset:276
	buffer_load_dword v120, off, s[0:3], 0 offset:272
	s_waitcnt vmcnt(2)
	v_fmac_f64_e32 v[112:113], v[116:117], v[118:119]
	ds_read_b128 v[116:119], v114 offset:704
	s_waitcnt vmcnt(0) lgkmcnt(0)
	v_fmac_f64_e32 v[112:113], v[120:121], v[116:117]
	buffer_load_dword v117, off, s[0:3], 0 offset:284
	buffer_load_dword v116, off, s[0:3], 0 offset:280
	buffer_load_dword v121, off, s[0:3], 0 offset:292
	buffer_load_dword v120, off, s[0:3], 0 offset:288
	s_waitcnt vmcnt(2)
	v_fmac_f64_e32 v[112:113], v[116:117], v[118:119]
	ds_read_b128 v[116:119], v114 offset:720
	s_waitcnt vmcnt(0) lgkmcnt(0)
	v_fmac_f64_e32 v[112:113], v[120:121], v[116:117]
	buffer_load_dword v117, off, s[0:3], 0 offset:300
	buffer_load_dword v116, off, s[0:3], 0 offset:296
	buffer_load_dword v121, off, s[0:3], 0 offset:308
	buffer_load_dword v120, off, s[0:3], 0 offset:304
	s_waitcnt vmcnt(2)
	v_fmac_f64_e32 v[112:113], v[116:117], v[118:119]
	ds_read_b128 v[116:119], v114 offset:736
	s_waitcnt vmcnt(0) lgkmcnt(0)
	v_fmac_f64_e32 v[112:113], v[120:121], v[116:117]
	buffer_load_dword v117, off, s[0:3], 0 offset:316
	buffer_load_dword v116, off, s[0:3], 0 offset:312
	buffer_load_dword v121, off, s[0:3], 0 offset:324
	buffer_load_dword v120, off, s[0:3], 0 offset:320
	s_waitcnt vmcnt(2)
	v_fmac_f64_e32 v[112:113], v[116:117], v[118:119]
	ds_read_b128 v[116:119], v114 offset:752
	s_waitcnt vmcnt(0) lgkmcnt(0)
	v_fmac_f64_e32 v[112:113], v[120:121], v[116:117]
	buffer_load_dword v117, off, s[0:3], 0 offset:332
	buffer_load_dword v116, off, s[0:3], 0 offset:328
	buffer_load_dword v121, off, s[0:3], 0 offset:340
	buffer_load_dword v120, off, s[0:3], 0 offset:336
	s_waitcnt vmcnt(2)
	v_fmac_f64_e32 v[112:113], v[116:117], v[118:119]
	ds_read_b128 v[116:119], v114 offset:768
	s_waitcnt vmcnt(0) lgkmcnt(0)
	v_fmac_f64_e32 v[112:113], v[120:121], v[116:117]
	buffer_load_dword v117, off, s[0:3], 0 offset:348
	buffer_load_dword v116, off, s[0:3], 0 offset:344
	buffer_load_dword v121, off, s[0:3], 0 offset:356
	buffer_load_dword v120, off, s[0:3], 0 offset:352
	s_waitcnt vmcnt(2)
	v_fmac_f64_e32 v[112:113], v[116:117], v[118:119]
	ds_read_b128 v[116:119], v114 offset:784
	s_waitcnt vmcnt(0) lgkmcnt(0)
	v_fmac_f64_e32 v[112:113], v[120:121], v[116:117]
	buffer_load_dword v117, off, s[0:3], 0 offset:364
	buffer_load_dword v116, off, s[0:3], 0 offset:360
	buffer_load_dword v121, off, s[0:3], 0 offset:372
	buffer_load_dword v120, off, s[0:3], 0 offset:368
	s_waitcnt vmcnt(2)
	v_fmac_f64_e32 v[112:113], v[116:117], v[118:119]
	ds_read_b128 v[116:119], v114 offset:800
	s_waitcnt vmcnt(0) lgkmcnt(0)
	v_fmac_f64_e32 v[112:113], v[120:121], v[116:117]
	buffer_load_dword v117, off, s[0:3], 0 offset:380
	buffer_load_dword v116, off, s[0:3], 0 offset:376
	buffer_load_dword v121, off, s[0:3], 0 offset:388
	buffer_load_dword v120, off, s[0:3], 0 offset:384
	s_waitcnt vmcnt(2)
	v_fmac_f64_e32 v[112:113], v[116:117], v[118:119]
	ds_read_b128 v[116:119], v114 offset:816
	s_waitcnt vmcnt(0) lgkmcnt(0)
	v_fmac_f64_e32 v[112:113], v[120:121], v[116:117]
	buffer_load_dword v117, off, s[0:3], 0 offset:396
	buffer_load_dword v116, off, s[0:3], 0 offset:392
	buffer_load_dword v121, off, s[0:3], 0 offset:404
	buffer_load_dword v120, off, s[0:3], 0 offset:400
	s_waitcnt vmcnt(2)
	v_fmac_f64_e32 v[112:113], v[116:117], v[118:119]
	ds_read_b128 v[116:119], v114 offset:832
	s_waitcnt vmcnt(0) lgkmcnt(0)
	v_fmac_f64_e32 v[112:113], v[120:121], v[116:117]
	buffer_load_dword v117, off, s[0:3], 0 offset:412
	buffer_load_dword v116, off, s[0:3], 0 offset:408
	s_waitcnt vmcnt(0)
	v_fmac_f64_e32 v[112:113], v[116:117], v[118:119]
	buffer_load_dword v119, off, s[0:3], 0 offset:420
	buffer_load_dword v118, off, s[0:3], 0 offset:416
	ds_read_b128 v[114:117], v114 offset:848
	s_waitcnt vmcnt(0) lgkmcnt(0)
	v_fmac_f64_e32 v[112:113], v[118:119], v[114:115]
	buffer_load_dword v115, off, s[0:3], 0 offset:428
	buffer_load_dword v114, off, s[0:3], 0 offset:424
	s_waitcnt vmcnt(0)
	v_fmac_f64_e32 v[112:113], v[114:115], v[116:117]
	v_add_f64 v[110:111], v[110:111], -v[112:113]
	buffer_store_dword v111, off, s[0:3], 0 offset:188
	buffer_store_dword v110, off, s[0:3], 0 offset:184
	s_and_saveexec_b64 s[4:5], vcc
	s_cbranch_execz .LBB117_287
; %bb.286:
	buffer_load_dword v110, off, s[0:3], 0 offset:176
	buffer_load_dword v111, off, s[0:3], 0 offset:180
	v_mov_b32_e32 v112, 0
	buffer_store_dword v112, off, s[0:3], 0 offset:176
	buffer_store_dword v112, off, s[0:3], 0 offset:180
	s_waitcnt vmcnt(2)
	ds_write_b64 v1, v[110:111]
.LBB117_287:
	s_or_b64 exec, exec, s[4:5]
	s_waitcnt lgkmcnt(0)
	; wave barrier
	s_waitcnt lgkmcnt(0)
	buffer_load_dword v110, off, s[0:3], 0 offset:176
	buffer_load_dword v111, off, s[0:3], 0 offset:180
	;; [unrolled: 1-line block ×16, first 2 shown]
	v_mov_b32_e32 v114, 0
	ds_read2_b64 v[116:119], v114 offset0:77 offset1:78
	v_cmp_lt_u32_e32 vcc, 21, v0
	s_waitcnt vmcnt(12) lgkmcnt(0)
	v_fma_f64 v[112:113], v[112:113], v[116:117], 0
	s_waitcnt vmcnt(10)
	v_fmac_f64_e32 v[112:113], v[120:121], v[118:119]
	ds_read2_b64 v[116:119], v114 offset0:79 offset1:80
	s_waitcnt vmcnt(8) lgkmcnt(0)
	v_fmac_f64_e32 v[112:113], v[122:123], v[116:117]
	s_waitcnt vmcnt(6)
	v_fmac_f64_e32 v[112:113], v[124:125], v[118:119]
	ds_read2_b64 v[116:119], v114 offset0:81 offset1:82
	s_waitcnt vmcnt(4) lgkmcnt(0)
	v_fmac_f64_e32 v[112:113], v[126:127], v[116:117]
	s_waitcnt vmcnt(2)
	v_fmac_f64_e32 v[112:113], v[128:129], v[118:119]
	ds_read2_b64 v[116:119], v114 offset0:83 offset1:84
	s_waitcnt vmcnt(0) lgkmcnt(0)
	v_fmac_f64_e32 v[112:113], v[130:131], v[116:117]
	buffer_load_dword v117, off, s[0:3], 0 offset:244
	buffer_load_dword v116, off, s[0:3], 0 offset:240
	buffer_load_dword v121, off, s[0:3], 0 offset:252
	buffer_load_dword v120, off, s[0:3], 0 offset:248
	s_waitcnt vmcnt(2)
	v_fmac_f64_e32 v[112:113], v[116:117], v[118:119]
	ds_read2_b64 v[116:119], v114 offset0:85 offset1:86
	s_waitcnt vmcnt(0) lgkmcnt(0)
	v_fmac_f64_e32 v[112:113], v[120:121], v[116:117]
	buffer_load_dword v117, off, s[0:3], 0 offset:260
	buffer_load_dword v116, off, s[0:3], 0 offset:256
	buffer_load_dword v121, off, s[0:3], 0 offset:268
	buffer_load_dword v120, off, s[0:3], 0 offset:264
	s_waitcnt vmcnt(2)
	v_fmac_f64_e32 v[112:113], v[116:117], v[118:119]
	ds_read2_b64 v[116:119], v114 offset0:87 offset1:88
	s_waitcnt vmcnt(0) lgkmcnt(0)
	v_fmac_f64_e32 v[112:113], v[120:121], v[116:117]
	;; [unrolled: 9-line block ×11, first 2 shown]
	buffer_load_dword v117, off, s[0:3], 0 offset:420
	buffer_load_dword v116, off, s[0:3], 0 offset:416
	s_waitcnt vmcnt(0)
	v_fmac_f64_e32 v[112:113], v[116:117], v[118:119]
	buffer_load_dword v117, off, s[0:3], 0 offset:428
	buffer_load_dword v116, off, s[0:3], 0 offset:424
	ds_read_b64 v[118:119], v114 offset:856
	s_waitcnt vmcnt(0) lgkmcnt(0)
	v_fmac_f64_e32 v[112:113], v[116:117], v[118:119]
	v_add_f64 v[110:111], v[110:111], -v[112:113]
	buffer_store_dword v111, off, s[0:3], 0 offset:180
	buffer_store_dword v110, off, s[0:3], 0 offset:176
	s_and_saveexec_b64 s[4:5], vcc
	s_cbranch_execz .LBB117_289
; %bb.288:
	buffer_load_dword v110, off, s[0:3], 0 offset:168
	buffer_load_dword v111, off, s[0:3], 0 offset:172
	s_waitcnt vmcnt(0)
	ds_write_b64 v1, v[110:111]
	buffer_store_dword v114, off, s[0:3], 0 offset:168
	buffer_store_dword v114, off, s[0:3], 0 offset:172
.LBB117_289:
	s_or_b64 exec, exec, s[4:5]
	s_waitcnt lgkmcnt(0)
	; wave barrier
	s_waitcnt lgkmcnt(0)
	buffer_load_dword v110, off, s[0:3], 0 offset:168
	buffer_load_dword v111, off, s[0:3], 0 offset:172
	;; [unrolled: 1-line block ×16, first 2 shown]
	ds_read_b128 v[116:119], v114 offset:608
	ds_read_b128 v[120:123], v114 offset:624
	;; [unrolled: 1-line block ×4, first 2 shown]
	v_cmp_lt_u32_e32 vcc, 20, v0
	s_waitcnt vmcnt(12) lgkmcnt(3)
	v_fma_f64 v[112:113], v[112:113], v[116:117], 0
	buffer_load_dword v117, off, s[0:3], 0 offset:236
	buffer_load_dword v116, off, s[0:3], 0 offset:232
	s_waitcnt vmcnt(12)
	v_fmac_f64_e32 v[112:113], v[132:133], v[118:119]
	s_waitcnt vmcnt(10) lgkmcnt(2)
	v_fmac_f64_e32 v[112:113], v[134:135], v[120:121]
	buffer_load_dword v121, off, s[0:3], 0 offset:244
	buffer_load_dword v120, off, s[0:3], 0 offset:240
	s_waitcnt vmcnt(10)
	v_fmac_f64_e32 v[112:113], v[136:137], v[122:123]
	s_waitcnt vmcnt(8) lgkmcnt(1)
	v_fmac_f64_e32 v[112:113], v[138:139], v[124:125]
	s_waitcnt vmcnt(6)
	v_fmac_f64_e32 v[112:113], v[140:141], v[126:127]
	s_waitcnt vmcnt(4) lgkmcnt(0)
	v_fmac_f64_e32 v[112:113], v[142:143], v[128:129]
	s_waitcnt vmcnt(2)
	v_fmac_f64_e32 v[112:113], v[116:117], v[130:131]
	ds_read_b128 v[116:119], v114 offset:672
	s_waitcnt vmcnt(0) lgkmcnt(0)
	v_fmac_f64_e32 v[112:113], v[120:121], v[116:117]
	buffer_load_dword v117, off, s[0:3], 0 offset:252
	buffer_load_dword v116, off, s[0:3], 0 offset:248
	buffer_load_dword v121, off, s[0:3], 0 offset:260
	buffer_load_dword v120, off, s[0:3], 0 offset:256
	s_waitcnt vmcnt(2)
	v_fmac_f64_e32 v[112:113], v[116:117], v[118:119]
	ds_read_b128 v[116:119], v114 offset:688
	s_waitcnt vmcnt(0) lgkmcnt(0)
	v_fmac_f64_e32 v[112:113], v[120:121], v[116:117]
	buffer_load_dword v117, off, s[0:3], 0 offset:268
	buffer_load_dword v116, off, s[0:3], 0 offset:264
	buffer_load_dword v121, off, s[0:3], 0 offset:276
	buffer_load_dword v120, off, s[0:3], 0 offset:272
	;; [unrolled: 9-line block ×10, first 2 shown]
	s_waitcnt vmcnt(2)
	v_fmac_f64_e32 v[112:113], v[116:117], v[118:119]
	ds_read_b128 v[116:119], v114 offset:832
	s_waitcnt vmcnt(0) lgkmcnt(0)
	v_fmac_f64_e32 v[112:113], v[120:121], v[116:117]
	buffer_load_dword v117, off, s[0:3], 0 offset:412
	buffer_load_dword v116, off, s[0:3], 0 offset:408
	s_waitcnt vmcnt(0)
	v_fmac_f64_e32 v[112:113], v[116:117], v[118:119]
	buffer_load_dword v119, off, s[0:3], 0 offset:420
	buffer_load_dword v118, off, s[0:3], 0 offset:416
	ds_read_b128 v[114:117], v114 offset:848
	s_waitcnt vmcnt(0) lgkmcnt(0)
	v_fmac_f64_e32 v[112:113], v[118:119], v[114:115]
	buffer_load_dword v115, off, s[0:3], 0 offset:428
	buffer_load_dword v114, off, s[0:3], 0 offset:424
	s_waitcnt vmcnt(0)
	v_fmac_f64_e32 v[112:113], v[114:115], v[116:117]
	v_add_f64 v[110:111], v[110:111], -v[112:113]
	buffer_store_dword v111, off, s[0:3], 0 offset:172
	buffer_store_dword v110, off, s[0:3], 0 offset:168
	s_and_saveexec_b64 s[4:5], vcc
	s_cbranch_execz .LBB117_291
; %bb.290:
	buffer_load_dword v110, off, s[0:3], 0 offset:160
	buffer_load_dword v111, off, s[0:3], 0 offset:164
	v_mov_b32_e32 v112, 0
	buffer_store_dword v112, off, s[0:3], 0 offset:160
	buffer_store_dword v112, off, s[0:3], 0 offset:164
	s_waitcnt vmcnt(2)
	ds_write_b64 v1, v[110:111]
.LBB117_291:
	s_or_b64 exec, exec, s[4:5]
	s_waitcnt lgkmcnt(0)
	; wave barrier
	s_waitcnt lgkmcnt(0)
	buffer_load_dword v110, off, s[0:3], 0 offset:160
	buffer_load_dword v111, off, s[0:3], 0 offset:164
	;; [unrolled: 1-line block ×16, first 2 shown]
	v_mov_b32_e32 v114, 0
	ds_read2_b64 v[116:119], v114 offset0:75 offset1:76
	v_cmp_lt_u32_e32 vcc, 19, v0
	s_waitcnt vmcnt(12) lgkmcnt(0)
	v_fma_f64 v[112:113], v[112:113], v[116:117], 0
	s_waitcnt vmcnt(10)
	v_fmac_f64_e32 v[112:113], v[120:121], v[118:119]
	ds_read2_b64 v[116:119], v114 offset0:77 offset1:78
	s_waitcnt vmcnt(8) lgkmcnt(0)
	v_fmac_f64_e32 v[112:113], v[122:123], v[116:117]
	s_waitcnt vmcnt(6)
	v_fmac_f64_e32 v[112:113], v[124:125], v[118:119]
	ds_read2_b64 v[116:119], v114 offset0:79 offset1:80
	s_waitcnt vmcnt(4) lgkmcnt(0)
	v_fmac_f64_e32 v[112:113], v[126:127], v[116:117]
	;; [unrolled: 5-line block ×3, first 2 shown]
	buffer_load_dword v117, off, s[0:3], 0 offset:228
	buffer_load_dword v116, off, s[0:3], 0 offset:224
	buffer_load_dword v121, off, s[0:3], 0 offset:236
	buffer_load_dword v120, off, s[0:3], 0 offset:232
	s_waitcnt vmcnt(2)
	v_fmac_f64_e32 v[112:113], v[116:117], v[118:119]
	ds_read2_b64 v[116:119], v114 offset0:83 offset1:84
	s_waitcnt vmcnt(0) lgkmcnt(0)
	v_fmac_f64_e32 v[112:113], v[120:121], v[116:117]
	buffer_load_dword v117, off, s[0:3], 0 offset:244
	buffer_load_dword v116, off, s[0:3], 0 offset:240
	buffer_load_dword v121, off, s[0:3], 0 offset:252
	buffer_load_dword v120, off, s[0:3], 0 offset:248
	s_waitcnt vmcnt(2)
	v_fmac_f64_e32 v[112:113], v[116:117], v[118:119]
	ds_read2_b64 v[116:119], v114 offset0:85 offset1:86
	s_waitcnt vmcnt(0) lgkmcnt(0)
	v_fmac_f64_e32 v[112:113], v[120:121], v[116:117]
	buffer_load_dword v117, off, s[0:3], 0 offset:260
	buffer_load_dword v116, off, s[0:3], 0 offset:256
	buffer_load_dword v121, off, s[0:3], 0 offset:268
	buffer_load_dword v120, off, s[0:3], 0 offset:264
	s_waitcnt vmcnt(2)
	v_fmac_f64_e32 v[112:113], v[116:117], v[118:119]
	ds_read2_b64 v[116:119], v114 offset0:87 offset1:88
	s_waitcnt vmcnt(0) lgkmcnt(0)
	v_fmac_f64_e32 v[112:113], v[120:121], v[116:117]
	buffer_load_dword v117, off, s[0:3], 0 offset:276
	buffer_load_dword v116, off, s[0:3], 0 offset:272
	buffer_load_dword v121, off, s[0:3], 0 offset:284
	buffer_load_dword v120, off, s[0:3], 0 offset:280
	s_waitcnt vmcnt(2)
	v_fmac_f64_e32 v[112:113], v[116:117], v[118:119]
	ds_read2_b64 v[116:119], v114 offset0:89 offset1:90
	s_waitcnt vmcnt(0) lgkmcnt(0)
	v_fmac_f64_e32 v[112:113], v[120:121], v[116:117]
	buffer_load_dword v117, off, s[0:3], 0 offset:292
	buffer_load_dword v116, off, s[0:3], 0 offset:288
	buffer_load_dword v121, off, s[0:3], 0 offset:300
	buffer_load_dword v120, off, s[0:3], 0 offset:296
	s_waitcnt vmcnt(2)
	v_fmac_f64_e32 v[112:113], v[116:117], v[118:119]
	ds_read2_b64 v[116:119], v114 offset0:91 offset1:92
	s_waitcnt vmcnt(0) lgkmcnt(0)
	v_fmac_f64_e32 v[112:113], v[120:121], v[116:117]
	buffer_load_dword v117, off, s[0:3], 0 offset:308
	buffer_load_dword v116, off, s[0:3], 0 offset:304
	buffer_load_dword v121, off, s[0:3], 0 offset:316
	buffer_load_dword v120, off, s[0:3], 0 offset:312
	s_waitcnt vmcnt(2)
	v_fmac_f64_e32 v[112:113], v[116:117], v[118:119]
	ds_read2_b64 v[116:119], v114 offset0:93 offset1:94
	s_waitcnt vmcnt(0) lgkmcnt(0)
	v_fmac_f64_e32 v[112:113], v[120:121], v[116:117]
	buffer_load_dword v117, off, s[0:3], 0 offset:324
	buffer_load_dword v116, off, s[0:3], 0 offset:320
	buffer_load_dword v121, off, s[0:3], 0 offset:332
	buffer_load_dword v120, off, s[0:3], 0 offset:328
	s_waitcnt vmcnt(2)
	v_fmac_f64_e32 v[112:113], v[116:117], v[118:119]
	ds_read2_b64 v[116:119], v114 offset0:95 offset1:96
	s_waitcnt vmcnt(0) lgkmcnt(0)
	v_fmac_f64_e32 v[112:113], v[120:121], v[116:117]
	buffer_load_dword v117, off, s[0:3], 0 offset:340
	buffer_load_dword v116, off, s[0:3], 0 offset:336
	buffer_load_dword v121, off, s[0:3], 0 offset:348
	buffer_load_dword v120, off, s[0:3], 0 offset:344
	s_waitcnt vmcnt(2)
	v_fmac_f64_e32 v[112:113], v[116:117], v[118:119]
	ds_read2_b64 v[116:119], v114 offset0:97 offset1:98
	s_waitcnt vmcnt(0) lgkmcnt(0)
	v_fmac_f64_e32 v[112:113], v[120:121], v[116:117]
	buffer_load_dword v117, off, s[0:3], 0 offset:356
	buffer_load_dword v116, off, s[0:3], 0 offset:352
	buffer_load_dword v121, off, s[0:3], 0 offset:364
	buffer_load_dword v120, off, s[0:3], 0 offset:360
	s_waitcnt vmcnt(2)
	v_fmac_f64_e32 v[112:113], v[116:117], v[118:119]
	ds_read2_b64 v[116:119], v114 offset0:99 offset1:100
	s_waitcnt vmcnt(0) lgkmcnt(0)
	v_fmac_f64_e32 v[112:113], v[120:121], v[116:117]
	buffer_load_dword v117, off, s[0:3], 0 offset:372
	buffer_load_dword v116, off, s[0:3], 0 offset:368
	buffer_load_dword v121, off, s[0:3], 0 offset:380
	buffer_load_dword v120, off, s[0:3], 0 offset:376
	s_waitcnt vmcnt(2)
	v_fmac_f64_e32 v[112:113], v[116:117], v[118:119]
	ds_read2_b64 v[116:119], v114 offset0:101 offset1:102
	s_waitcnt vmcnt(0) lgkmcnt(0)
	v_fmac_f64_e32 v[112:113], v[120:121], v[116:117]
	buffer_load_dword v117, off, s[0:3], 0 offset:388
	buffer_load_dword v116, off, s[0:3], 0 offset:384
	buffer_load_dword v121, off, s[0:3], 0 offset:396
	buffer_load_dword v120, off, s[0:3], 0 offset:392
	s_waitcnt vmcnt(2)
	v_fmac_f64_e32 v[112:113], v[116:117], v[118:119]
	ds_read2_b64 v[116:119], v114 offset0:103 offset1:104
	s_waitcnt vmcnt(0) lgkmcnt(0)
	v_fmac_f64_e32 v[112:113], v[120:121], v[116:117]
	buffer_load_dword v117, off, s[0:3], 0 offset:404
	buffer_load_dword v116, off, s[0:3], 0 offset:400
	buffer_load_dword v121, off, s[0:3], 0 offset:412
	buffer_load_dword v120, off, s[0:3], 0 offset:408
	s_waitcnt vmcnt(2)
	v_fmac_f64_e32 v[112:113], v[116:117], v[118:119]
	ds_read2_b64 v[116:119], v114 offset0:105 offset1:106
	s_waitcnt vmcnt(0) lgkmcnt(0)
	v_fmac_f64_e32 v[112:113], v[120:121], v[116:117]
	buffer_load_dword v117, off, s[0:3], 0 offset:420
	buffer_load_dword v116, off, s[0:3], 0 offset:416
	s_waitcnt vmcnt(0)
	v_fmac_f64_e32 v[112:113], v[116:117], v[118:119]
	buffer_load_dword v117, off, s[0:3], 0 offset:428
	buffer_load_dword v116, off, s[0:3], 0 offset:424
	ds_read_b64 v[118:119], v114 offset:856
	s_waitcnt vmcnt(0) lgkmcnt(0)
	v_fmac_f64_e32 v[112:113], v[116:117], v[118:119]
	v_add_f64 v[110:111], v[110:111], -v[112:113]
	buffer_store_dword v111, off, s[0:3], 0 offset:164
	buffer_store_dword v110, off, s[0:3], 0 offset:160
	s_and_saveexec_b64 s[4:5], vcc
	s_cbranch_execz .LBB117_293
; %bb.292:
	buffer_load_dword v110, off, s[0:3], 0 offset:152
	buffer_load_dword v111, off, s[0:3], 0 offset:156
	s_waitcnt vmcnt(0)
	ds_write_b64 v1, v[110:111]
	buffer_store_dword v114, off, s[0:3], 0 offset:152
	buffer_store_dword v114, off, s[0:3], 0 offset:156
.LBB117_293:
	s_or_b64 exec, exec, s[4:5]
	s_waitcnt lgkmcnt(0)
	; wave barrier
	s_waitcnt lgkmcnt(0)
	buffer_load_dword v110, off, s[0:3], 0 offset:152
	buffer_load_dword v111, off, s[0:3], 0 offset:156
	;; [unrolled: 1-line block ×16, first 2 shown]
	ds_read_b128 v[116:119], v114 offset:592
	ds_read_b128 v[120:123], v114 offset:608
	;; [unrolled: 1-line block ×4, first 2 shown]
	v_cmp_lt_u32_e32 vcc, 18, v0
	s_waitcnt vmcnt(12) lgkmcnt(3)
	v_fma_f64 v[112:113], v[112:113], v[116:117], 0
	buffer_load_dword v117, off, s[0:3], 0 offset:220
	buffer_load_dword v116, off, s[0:3], 0 offset:216
	s_waitcnt vmcnt(12)
	v_fmac_f64_e32 v[112:113], v[132:133], v[118:119]
	s_waitcnt vmcnt(10) lgkmcnt(2)
	v_fmac_f64_e32 v[112:113], v[134:135], v[120:121]
	buffer_load_dword v121, off, s[0:3], 0 offset:228
	buffer_load_dword v120, off, s[0:3], 0 offset:224
	s_waitcnt vmcnt(10)
	v_fmac_f64_e32 v[112:113], v[136:137], v[122:123]
	s_waitcnt vmcnt(8) lgkmcnt(1)
	v_fmac_f64_e32 v[112:113], v[138:139], v[124:125]
	s_waitcnt vmcnt(6)
	v_fmac_f64_e32 v[112:113], v[140:141], v[126:127]
	s_waitcnt vmcnt(4) lgkmcnt(0)
	v_fmac_f64_e32 v[112:113], v[142:143], v[128:129]
	s_waitcnt vmcnt(2)
	v_fmac_f64_e32 v[112:113], v[116:117], v[130:131]
	ds_read_b128 v[116:119], v114 offset:656
	s_waitcnt vmcnt(0) lgkmcnt(0)
	v_fmac_f64_e32 v[112:113], v[120:121], v[116:117]
	buffer_load_dword v117, off, s[0:3], 0 offset:236
	buffer_load_dword v116, off, s[0:3], 0 offset:232
	buffer_load_dword v121, off, s[0:3], 0 offset:244
	buffer_load_dword v120, off, s[0:3], 0 offset:240
	s_waitcnt vmcnt(2)
	v_fmac_f64_e32 v[112:113], v[116:117], v[118:119]
	ds_read_b128 v[116:119], v114 offset:672
	s_waitcnt vmcnt(0) lgkmcnt(0)
	v_fmac_f64_e32 v[112:113], v[120:121], v[116:117]
	buffer_load_dword v117, off, s[0:3], 0 offset:252
	buffer_load_dword v116, off, s[0:3], 0 offset:248
	buffer_load_dword v121, off, s[0:3], 0 offset:260
	buffer_load_dword v120, off, s[0:3], 0 offset:256
	s_waitcnt vmcnt(2)
	v_fmac_f64_e32 v[112:113], v[116:117], v[118:119]
	ds_read_b128 v[116:119], v114 offset:688
	s_waitcnt vmcnt(0) lgkmcnt(0)
	v_fmac_f64_e32 v[112:113], v[120:121], v[116:117]
	buffer_load_dword v117, off, s[0:3], 0 offset:268
	buffer_load_dword v116, off, s[0:3], 0 offset:264
	buffer_load_dword v121, off, s[0:3], 0 offset:276
	buffer_load_dword v120, off, s[0:3], 0 offset:272
	s_waitcnt vmcnt(2)
	v_fmac_f64_e32 v[112:113], v[116:117], v[118:119]
	ds_read_b128 v[116:119], v114 offset:704
	s_waitcnt vmcnt(0) lgkmcnt(0)
	v_fmac_f64_e32 v[112:113], v[120:121], v[116:117]
	buffer_load_dword v117, off, s[0:3], 0 offset:284
	buffer_load_dword v116, off, s[0:3], 0 offset:280
	buffer_load_dword v121, off, s[0:3], 0 offset:292
	buffer_load_dword v120, off, s[0:3], 0 offset:288
	s_waitcnt vmcnt(2)
	v_fmac_f64_e32 v[112:113], v[116:117], v[118:119]
	ds_read_b128 v[116:119], v114 offset:720
	s_waitcnt vmcnt(0) lgkmcnt(0)
	v_fmac_f64_e32 v[112:113], v[120:121], v[116:117]
	buffer_load_dword v117, off, s[0:3], 0 offset:300
	buffer_load_dword v116, off, s[0:3], 0 offset:296
	buffer_load_dword v121, off, s[0:3], 0 offset:308
	buffer_load_dword v120, off, s[0:3], 0 offset:304
	s_waitcnt vmcnt(2)
	v_fmac_f64_e32 v[112:113], v[116:117], v[118:119]
	ds_read_b128 v[116:119], v114 offset:736
	s_waitcnt vmcnt(0) lgkmcnt(0)
	v_fmac_f64_e32 v[112:113], v[120:121], v[116:117]
	buffer_load_dword v117, off, s[0:3], 0 offset:316
	buffer_load_dword v116, off, s[0:3], 0 offset:312
	buffer_load_dword v121, off, s[0:3], 0 offset:324
	buffer_load_dword v120, off, s[0:3], 0 offset:320
	s_waitcnt vmcnt(2)
	v_fmac_f64_e32 v[112:113], v[116:117], v[118:119]
	ds_read_b128 v[116:119], v114 offset:752
	s_waitcnt vmcnt(0) lgkmcnt(0)
	v_fmac_f64_e32 v[112:113], v[120:121], v[116:117]
	buffer_load_dword v117, off, s[0:3], 0 offset:332
	buffer_load_dword v116, off, s[0:3], 0 offset:328
	buffer_load_dword v121, off, s[0:3], 0 offset:340
	buffer_load_dword v120, off, s[0:3], 0 offset:336
	s_waitcnt vmcnt(2)
	v_fmac_f64_e32 v[112:113], v[116:117], v[118:119]
	ds_read_b128 v[116:119], v114 offset:768
	s_waitcnt vmcnt(0) lgkmcnt(0)
	v_fmac_f64_e32 v[112:113], v[120:121], v[116:117]
	buffer_load_dword v117, off, s[0:3], 0 offset:348
	buffer_load_dword v116, off, s[0:3], 0 offset:344
	buffer_load_dword v121, off, s[0:3], 0 offset:356
	buffer_load_dword v120, off, s[0:3], 0 offset:352
	s_waitcnt vmcnt(2)
	v_fmac_f64_e32 v[112:113], v[116:117], v[118:119]
	ds_read_b128 v[116:119], v114 offset:784
	s_waitcnt vmcnt(0) lgkmcnt(0)
	v_fmac_f64_e32 v[112:113], v[120:121], v[116:117]
	buffer_load_dword v117, off, s[0:3], 0 offset:364
	buffer_load_dword v116, off, s[0:3], 0 offset:360
	buffer_load_dword v121, off, s[0:3], 0 offset:372
	buffer_load_dword v120, off, s[0:3], 0 offset:368
	s_waitcnt vmcnt(2)
	v_fmac_f64_e32 v[112:113], v[116:117], v[118:119]
	ds_read_b128 v[116:119], v114 offset:800
	s_waitcnt vmcnt(0) lgkmcnt(0)
	v_fmac_f64_e32 v[112:113], v[120:121], v[116:117]
	buffer_load_dword v117, off, s[0:3], 0 offset:380
	buffer_load_dword v116, off, s[0:3], 0 offset:376
	buffer_load_dword v121, off, s[0:3], 0 offset:388
	buffer_load_dword v120, off, s[0:3], 0 offset:384
	s_waitcnt vmcnt(2)
	v_fmac_f64_e32 v[112:113], v[116:117], v[118:119]
	ds_read_b128 v[116:119], v114 offset:816
	s_waitcnt vmcnt(0) lgkmcnt(0)
	v_fmac_f64_e32 v[112:113], v[120:121], v[116:117]
	buffer_load_dword v117, off, s[0:3], 0 offset:396
	buffer_load_dword v116, off, s[0:3], 0 offset:392
	buffer_load_dword v121, off, s[0:3], 0 offset:404
	buffer_load_dword v120, off, s[0:3], 0 offset:400
	s_waitcnt vmcnt(2)
	v_fmac_f64_e32 v[112:113], v[116:117], v[118:119]
	ds_read_b128 v[116:119], v114 offset:832
	s_waitcnt vmcnt(0) lgkmcnt(0)
	v_fmac_f64_e32 v[112:113], v[120:121], v[116:117]
	buffer_load_dword v117, off, s[0:3], 0 offset:412
	buffer_load_dword v116, off, s[0:3], 0 offset:408
	s_waitcnt vmcnt(0)
	v_fmac_f64_e32 v[112:113], v[116:117], v[118:119]
	buffer_load_dword v119, off, s[0:3], 0 offset:420
	buffer_load_dword v118, off, s[0:3], 0 offset:416
	ds_read_b128 v[114:117], v114 offset:848
	s_waitcnt vmcnt(0) lgkmcnt(0)
	v_fmac_f64_e32 v[112:113], v[118:119], v[114:115]
	buffer_load_dword v115, off, s[0:3], 0 offset:428
	buffer_load_dword v114, off, s[0:3], 0 offset:424
	s_waitcnt vmcnt(0)
	v_fmac_f64_e32 v[112:113], v[114:115], v[116:117]
	v_add_f64 v[110:111], v[110:111], -v[112:113]
	buffer_store_dword v111, off, s[0:3], 0 offset:156
	buffer_store_dword v110, off, s[0:3], 0 offset:152
	s_and_saveexec_b64 s[4:5], vcc
	s_cbranch_execz .LBB117_295
; %bb.294:
	buffer_load_dword v110, off, s[0:3], 0 offset:144
	buffer_load_dword v111, off, s[0:3], 0 offset:148
	v_mov_b32_e32 v112, 0
	buffer_store_dword v112, off, s[0:3], 0 offset:144
	buffer_store_dword v112, off, s[0:3], 0 offset:148
	s_waitcnt vmcnt(2)
	ds_write_b64 v1, v[110:111]
.LBB117_295:
	s_or_b64 exec, exec, s[4:5]
	s_waitcnt lgkmcnt(0)
	; wave barrier
	s_waitcnt lgkmcnt(0)
	buffer_load_dword v110, off, s[0:3], 0 offset:144
	buffer_load_dword v111, off, s[0:3], 0 offset:148
	;; [unrolled: 1-line block ×16, first 2 shown]
	v_mov_b32_e32 v114, 0
	ds_read2_b64 v[116:119], v114 offset0:73 offset1:74
	v_cmp_lt_u32_e32 vcc, 17, v0
	s_waitcnt vmcnt(12) lgkmcnt(0)
	v_fma_f64 v[112:113], v[112:113], v[116:117], 0
	s_waitcnt vmcnt(10)
	v_fmac_f64_e32 v[112:113], v[120:121], v[118:119]
	ds_read2_b64 v[116:119], v114 offset0:75 offset1:76
	s_waitcnt vmcnt(8) lgkmcnt(0)
	v_fmac_f64_e32 v[112:113], v[122:123], v[116:117]
	s_waitcnt vmcnt(6)
	v_fmac_f64_e32 v[112:113], v[124:125], v[118:119]
	ds_read2_b64 v[116:119], v114 offset0:77 offset1:78
	s_waitcnt vmcnt(4) lgkmcnt(0)
	v_fmac_f64_e32 v[112:113], v[126:127], v[116:117]
	;; [unrolled: 5-line block ×3, first 2 shown]
	buffer_load_dword v117, off, s[0:3], 0 offset:212
	buffer_load_dword v116, off, s[0:3], 0 offset:208
	buffer_load_dword v121, off, s[0:3], 0 offset:220
	buffer_load_dword v120, off, s[0:3], 0 offset:216
	s_waitcnt vmcnt(2)
	v_fmac_f64_e32 v[112:113], v[116:117], v[118:119]
	ds_read2_b64 v[116:119], v114 offset0:81 offset1:82
	s_waitcnt vmcnt(0) lgkmcnt(0)
	v_fmac_f64_e32 v[112:113], v[120:121], v[116:117]
	buffer_load_dword v117, off, s[0:3], 0 offset:228
	buffer_load_dword v116, off, s[0:3], 0 offset:224
	buffer_load_dword v121, off, s[0:3], 0 offset:236
	buffer_load_dword v120, off, s[0:3], 0 offset:232
	s_waitcnt vmcnt(2)
	v_fmac_f64_e32 v[112:113], v[116:117], v[118:119]
	ds_read2_b64 v[116:119], v114 offset0:83 offset1:84
	s_waitcnt vmcnt(0) lgkmcnt(0)
	v_fmac_f64_e32 v[112:113], v[120:121], v[116:117]
	;; [unrolled: 9-line block ×13, first 2 shown]
	buffer_load_dword v117, off, s[0:3], 0 offset:420
	buffer_load_dword v116, off, s[0:3], 0 offset:416
	s_waitcnt vmcnt(0)
	v_fmac_f64_e32 v[112:113], v[116:117], v[118:119]
	buffer_load_dword v117, off, s[0:3], 0 offset:428
	buffer_load_dword v116, off, s[0:3], 0 offset:424
	ds_read_b64 v[118:119], v114 offset:856
	s_waitcnt vmcnt(0) lgkmcnt(0)
	v_fmac_f64_e32 v[112:113], v[116:117], v[118:119]
	v_add_f64 v[110:111], v[110:111], -v[112:113]
	buffer_store_dword v111, off, s[0:3], 0 offset:148
	buffer_store_dword v110, off, s[0:3], 0 offset:144
	s_and_saveexec_b64 s[4:5], vcc
	s_cbranch_execz .LBB117_297
; %bb.296:
	buffer_load_dword v110, off, s[0:3], 0 offset:136
	buffer_load_dword v111, off, s[0:3], 0 offset:140
	s_waitcnt vmcnt(0)
	ds_write_b64 v1, v[110:111]
	buffer_store_dword v114, off, s[0:3], 0 offset:136
	buffer_store_dword v114, off, s[0:3], 0 offset:140
.LBB117_297:
	s_or_b64 exec, exec, s[4:5]
	s_waitcnt lgkmcnt(0)
	; wave barrier
	s_waitcnt lgkmcnt(0)
	buffer_load_dword v110, off, s[0:3], 0 offset:136
	buffer_load_dword v111, off, s[0:3], 0 offset:140
	;; [unrolled: 1-line block ×16, first 2 shown]
	ds_read_b128 v[116:119], v114 offset:576
	ds_read_b128 v[120:123], v114 offset:592
	;; [unrolled: 1-line block ×4, first 2 shown]
	v_cmp_lt_u32_e32 vcc, 16, v0
	s_waitcnt vmcnt(12) lgkmcnt(3)
	v_fma_f64 v[112:113], v[112:113], v[116:117], 0
	buffer_load_dword v117, off, s[0:3], 0 offset:204
	buffer_load_dword v116, off, s[0:3], 0 offset:200
	s_waitcnt vmcnt(12)
	v_fmac_f64_e32 v[112:113], v[132:133], v[118:119]
	s_waitcnt vmcnt(10) lgkmcnt(2)
	v_fmac_f64_e32 v[112:113], v[134:135], v[120:121]
	buffer_load_dword v121, off, s[0:3], 0 offset:212
	buffer_load_dword v120, off, s[0:3], 0 offset:208
	s_waitcnt vmcnt(10)
	v_fmac_f64_e32 v[112:113], v[136:137], v[122:123]
	s_waitcnt vmcnt(8) lgkmcnt(1)
	v_fmac_f64_e32 v[112:113], v[138:139], v[124:125]
	s_waitcnt vmcnt(6)
	v_fmac_f64_e32 v[112:113], v[140:141], v[126:127]
	s_waitcnt vmcnt(4) lgkmcnt(0)
	v_fmac_f64_e32 v[112:113], v[142:143], v[128:129]
	s_waitcnt vmcnt(2)
	v_fmac_f64_e32 v[112:113], v[116:117], v[130:131]
	ds_read_b128 v[116:119], v114 offset:640
	s_waitcnt vmcnt(0) lgkmcnt(0)
	v_fmac_f64_e32 v[112:113], v[120:121], v[116:117]
	buffer_load_dword v117, off, s[0:3], 0 offset:220
	buffer_load_dword v116, off, s[0:3], 0 offset:216
	buffer_load_dword v121, off, s[0:3], 0 offset:228
	buffer_load_dword v120, off, s[0:3], 0 offset:224
	s_waitcnt vmcnt(2)
	v_fmac_f64_e32 v[112:113], v[116:117], v[118:119]
	ds_read_b128 v[116:119], v114 offset:656
	s_waitcnt vmcnt(0) lgkmcnt(0)
	v_fmac_f64_e32 v[112:113], v[120:121], v[116:117]
	buffer_load_dword v117, off, s[0:3], 0 offset:236
	buffer_load_dword v116, off, s[0:3], 0 offset:232
	buffer_load_dword v121, off, s[0:3], 0 offset:244
	buffer_load_dword v120, off, s[0:3], 0 offset:240
	;; [unrolled: 9-line block ×12, first 2 shown]
	s_waitcnt vmcnt(2)
	v_fmac_f64_e32 v[112:113], v[116:117], v[118:119]
	ds_read_b128 v[116:119], v114 offset:832
	s_waitcnt vmcnt(0) lgkmcnt(0)
	v_fmac_f64_e32 v[112:113], v[120:121], v[116:117]
	buffer_load_dword v117, off, s[0:3], 0 offset:412
	buffer_load_dword v116, off, s[0:3], 0 offset:408
	s_waitcnt vmcnt(0)
	v_fmac_f64_e32 v[112:113], v[116:117], v[118:119]
	buffer_load_dword v119, off, s[0:3], 0 offset:420
	buffer_load_dword v118, off, s[0:3], 0 offset:416
	ds_read_b128 v[114:117], v114 offset:848
	s_waitcnt vmcnt(0) lgkmcnt(0)
	v_fmac_f64_e32 v[112:113], v[118:119], v[114:115]
	buffer_load_dword v115, off, s[0:3], 0 offset:428
	buffer_load_dword v114, off, s[0:3], 0 offset:424
	s_waitcnt vmcnt(0)
	v_fmac_f64_e32 v[112:113], v[114:115], v[116:117]
	v_add_f64 v[110:111], v[110:111], -v[112:113]
	buffer_store_dword v111, off, s[0:3], 0 offset:140
	buffer_store_dword v110, off, s[0:3], 0 offset:136
	s_and_saveexec_b64 s[4:5], vcc
	s_cbranch_execz .LBB117_299
; %bb.298:
	buffer_load_dword v110, off, s[0:3], 0 offset:128
	buffer_load_dword v111, off, s[0:3], 0 offset:132
	v_mov_b32_e32 v112, 0
	buffer_store_dword v112, off, s[0:3], 0 offset:128
	buffer_store_dword v112, off, s[0:3], 0 offset:132
	s_waitcnt vmcnt(2)
	ds_write_b64 v1, v[110:111]
.LBB117_299:
	s_or_b64 exec, exec, s[4:5]
	s_waitcnt lgkmcnt(0)
	; wave barrier
	s_waitcnt lgkmcnt(0)
	buffer_load_dword v110, off, s[0:3], 0 offset:128
	buffer_load_dword v111, off, s[0:3], 0 offset:132
	;; [unrolled: 1-line block ×16, first 2 shown]
	v_mov_b32_e32 v114, 0
	ds_read2_b64 v[116:119], v114 offset0:71 offset1:72
	v_cmp_lt_u32_e32 vcc, 15, v0
	s_waitcnt vmcnt(12) lgkmcnt(0)
	v_fma_f64 v[112:113], v[112:113], v[116:117], 0
	s_waitcnt vmcnt(10)
	v_fmac_f64_e32 v[112:113], v[120:121], v[118:119]
	ds_read2_b64 v[116:119], v114 offset0:73 offset1:74
	s_waitcnt vmcnt(8) lgkmcnt(0)
	v_fmac_f64_e32 v[112:113], v[122:123], v[116:117]
	s_waitcnt vmcnt(6)
	v_fmac_f64_e32 v[112:113], v[124:125], v[118:119]
	ds_read2_b64 v[116:119], v114 offset0:75 offset1:76
	s_waitcnt vmcnt(4) lgkmcnt(0)
	v_fmac_f64_e32 v[112:113], v[126:127], v[116:117]
	;; [unrolled: 5-line block ×3, first 2 shown]
	buffer_load_dword v117, off, s[0:3], 0 offset:196
	buffer_load_dword v116, off, s[0:3], 0 offset:192
	buffer_load_dword v121, off, s[0:3], 0 offset:204
	buffer_load_dword v120, off, s[0:3], 0 offset:200
	s_waitcnt vmcnt(2)
	v_fmac_f64_e32 v[112:113], v[116:117], v[118:119]
	ds_read2_b64 v[116:119], v114 offset0:79 offset1:80
	s_waitcnt vmcnt(0) lgkmcnt(0)
	v_fmac_f64_e32 v[112:113], v[120:121], v[116:117]
	buffer_load_dword v117, off, s[0:3], 0 offset:212
	buffer_load_dword v116, off, s[0:3], 0 offset:208
	buffer_load_dword v121, off, s[0:3], 0 offset:220
	buffer_load_dword v120, off, s[0:3], 0 offset:216
	s_waitcnt vmcnt(2)
	v_fmac_f64_e32 v[112:113], v[116:117], v[118:119]
	ds_read2_b64 v[116:119], v114 offset0:81 offset1:82
	s_waitcnt vmcnt(0) lgkmcnt(0)
	v_fmac_f64_e32 v[112:113], v[120:121], v[116:117]
	buffer_load_dword v117, off, s[0:3], 0 offset:228
	buffer_load_dword v116, off, s[0:3], 0 offset:224
	buffer_load_dword v121, off, s[0:3], 0 offset:236
	buffer_load_dword v120, off, s[0:3], 0 offset:232
	s_waitcnt vmcnt(2)
	v_fmac_f64_e32 v[112:113], v[116:117], v[118:119]
	ds_read2_b64 v[116:119], v114 offset0:83 offset1:84
	s_waitcnt vmcnt(0) lgkmcnt(0)
	v_fmac_f64_e32 v[112:113], v[120:121], v[116:117]
	buffer_load_dword v117, off, s[0:3], 0 offset:244
	buffer_load_dword v116, off, s[0:3], 0 offset:240
	buffer_load_dword v121, off, s[0:3], 0 offset:252
	buffer_load_dword v120, off, s[0:3], 0 offset:248
	s_waitcnt vmcnt(2)
	v_fmac_f64_e32 v[112:113], v[116:117], v[118:119]
	ds_read2_b64 v[116:119], v114 offset0:85 offset1:86
	s_waitcnt vmcnt(0) lgkmcnt(0)
	v_fmac_f64_e32 v[112:113], v[120:121], v[116:117]
	buffer_load_dword v117, off, s[0:3], 0 offset:260
	buffer_load_dword v116, off, s[0:3], 0 offset:256
	buffer_load_dword v121, off, s[0:3], 0 offset:268
	buffer_load_dword v120, off, s[0:3], 0 offset:264
	s_waitcnt vmcnt(2)
	v_fmac_f64_e32 v[112:113], v[116:117], v[118:119]
	ds_read2_b64 v[116:119], v114 offset0:87 offset1:88
	s_waitcnt vmcnt(0) lgkmcnt(0)
	v_fmac_f64_e32 v[112:113], v[120:121], v[116:117]
	buffer_load_dword v117, off, s[0:3], 0 offset:276
	buffer_load_dword v116, off, s[0:3], 0 offset:272
	buffer_load_dword v121, off, s[0:3], 0 offset:284
	buffer_load_dword v120, off, s[0:3], 0 offset:280
	s_waitcnt vmcnt(2)
	v_fmac_f64_e32 v[112:113], v[116:117], v[118:119]
	ds_read2_b64 v[116:119], v114 offset0:89 offset1:90
	s_waitcnt vmcnt(0) lgkmcnt(0)
	v_fmac_f64_e32 v[112:113], v[120:121], v[116:117]
	buffer_load_dword v117, off, s[0:3], 0 offset:292
	buffer_load_dword v116, off, s[0:3], 0 offset:288
	buffer_load_dword v121, off, s[0:3], 0 offset:300
	buffer_load_dword v120, off, s[0:3], 0 offset:296
	s_waitcnt vmcnt(2)
	v_fmac_f64_e32 v[112:113], v[116:117], v[118:119]
	ds_read2_b64 v[116:119], v114 offset0:91 offset1:92
	s_waitcnt vmcnt(0) lgkmcnt(0)
	v_fmac_f64_e32 v[112:113], v[120:121], v[116:117]
	buffer_load_dword v117, off, s[0:3], 0 offset:308
	buffer_load_dword v116, off, s[0:3], 0 offset:304
	buffer_load_dword v121, off, s[0:3], 0 offset:316
	buffer_load_dword v120, off, s[0:3], 0 offset:312
	s_waitcnt vmcnt(2)
	v_fmac_f64_e32 v[112:113], v[116:117], v[118:119]
	ds_read2_b64 v[116:119], v114 offset0:93 offset1:94
	s_waitcnt vmcnt(0) lgkmcnt(0)
	v_fmac_f64_e32 v[112:113], v[120:121], v[116:117]
	buffer_load_dword v117, off, s[0:3], 0 offset:324
	buffer_load_dword v116, off, s[0:3], 0 offset:320
	buffer_load_dword v121, off, s[0:3], 0 offset:332
	buffer_load_dword v120, off, s[0:3], 0 offset:328
	s_waitcnt vmcnt(2)
	v_fmac_f64_e32 v[112:113], v[116:117], v[118:119]
	ds_read2_b64 v[116:119], v114 offset0:95 offset1:96
	s_waitcnt vmcnt(0) lgkmcnt(0)
	v_fmac_f64_e32 v[112:113], v[120:121], v[116:117]
	buffer_load_dword v117, off, s[0:3], 0 offset:340
	buffer_load_dword v116, off, s[0:3], 0 offset:336
	buffer_load_dword v121, off, s[0:3], 0 offset:348
	buffer_load_dword v120, off, s[0:3], 0 offset:344
	s_waitcnt vmcnt(2)
	v_fmac_f64_e32 v[112:113], v[116:117], v[118:119]
	ds_read2_b64 v[116:119], v114 offset0:97 offset1:98
	s_waitcnt vmcnt(0) lgkmcnt(0)
	v_fmac_f64_e32 v[112:113], v[120:121], v[116:117]
	buffer_load_dword v117, off, s[0:3], 0 offset:356
	buffer_load_dword v116, off, s[0:3], 0 offset:352
	buffer_load_dword v121, off, s[0:3], 0 offset:364
	buffer_load_dword v120, off, s[0:3], 0 offset:360
	s_waitcnt vmcnt(2)
	v_fmac_f64_e32 v[112:113], v[116:117], v[118:119]
	ds_read2_b64 v[116:119], v114 offset0:99 offset1:100
	s_waitcnt vmcnt(0) lgkmcnt(0)
	v_fmac_f64_e32 v[112:113], v[120:121], v[116:117]
	buffer_load_dword v117, off, s[0:3], 0 offset:372
	buffer_load_dword v116, off, s[0:3], 0 offset:368
	buffer_load_dword v121, off, s[0:3], 0 offset:380
	buffer_load_dword v120, off, s[0:3], 0 offset:376
	s_waitcnt vmcnt(2)
	v_fmac_f64_e32 v[112:113], v[116:117], v[118:119]
	ds_read2_b64 v[116:119], v114 offset0:101 offset1:102
	s_waitcnt vmcnt(0) lgkmcnt(0)
	v_fmac_f64_e32 v[112:113], v[120:121], v[116:117]
	buffer_load_dword v117, off, s[0:3], 0 offset:388
	buffer_load_dword v116, off, s[0:3], 0 offset:384
	buffer_load_dword v121, off, s[0:3], 0 offset:396
	buffer_load_dword v120, off, s[0:3], 0 offset:392
	s_waitcnt vmcnt(2)
	v_fmac_f64_e32 v[112:113], v[116:117], v[118:119]
	ds_read2_b64 v[116:119], v114 offset0:103 offset1:104
	s_waitcnt vmcnt(0) lgkmcnt(0)
	v_fmac_f64_e32 v[112:113], v[120:121], v[116:117]
	buffer_load_dword v117, off, s[0:3], 0 offset:404
	buffer_load_dword v116, off, s[0:3], 0 offset:400
	buffer_load_dword v121, off, s[0:3], 0 offset:412
	buffer_load_dword v120, off, s[0:3], 0 offset:408
	s_waitcnt vmcnt(2)
	v_fmac_f64_e32 v[112:113], v[116:117], v[118:119]
	ds_read2_b64 v[116:119], v114 offset0:105 offset1:106
	s_waitcnt vmcnt(0) lgkmcnt(0)
	v_fmac_f64_e32 v[112:113], v[120:121], v[116:117]
	buffer_load_dword v117, off, s[0:3], 0 offset:420
	buffer_load_dword v116, off, s[0:3], 0 offset:416
	s_waitcnt vmcnt(0)
	v_fmac_f64_e32 v[112:113], v[116:117], v[118:119]
	buffer_load_dword v117, off, s[0:3], 0 offset:428
	buffer_load_dword v116, off, s[0:3], 0 offset:424
	ds_read_b64 v[118:119], v114 offset:856
	s_waitcnt vmcnt(0) lgkmcnt(0)
	v_fmac_f64_e32 v[112:113], v[116:117], v[118:119]
	v_add_f64 v[110:111], v[110:111], -v[112:113]
	buffer_store_dword v111, off, s[0:3], 0 offset:132
	buffer_store_dword v110, off, s[0:3], 0 offset:128
	s_and_saveexec_b64 s[4:5], vcc
	s_cbranch_execz .LBB117_301
; %bb.300:
	buffer_load_dword v110, off, s[0:3], 0 offset:120
	buffer_load_dword v111, off, s[0:3], 0 offset:124
	s_waitcnt vmcnt(0)
	ds_write_b64 v1, v[110:111]
	buffer_store_dword v114, off, s[0:3], 0 offset:120
	buffer_store_dword v114, off, s[0:3], 0 offset:124
.LBB117_301:
	s_or_b64 exec, exec, s[4:5]
	s_waitcnt lgkmcnt(0)
	; wave barrier
	s_waitcnt lgkmcnt(0)
	buffer_load_dword v110, off, s[0:3], 0 offset:120
	buffer_load_dword v111, off, s[0:3], 0 offset:124
	;; [unrolled: 1-line block ×16, first 2 shown]
	ds_read_b128 v[116:119], v114 offset:560
	ds_read_b128 v[120:123], v114 offset:576
	;; [unrolled: 1-line block ×4, first 2 shown]
	v_cmp_lt_u32_e32 vcc, 14, v0
	s_waitcnt vmcnt(12) lgkmcnt(3)
	v_fma_f64 v[112:113], v[112:113], v[116:117], 0
	buffer_load_dword v117, off, s[0:3], 0 offset:188
	buffer_load_dword v116, off, s[0:3], 0 offset:184
	s_waitcnt vmcnt(12)
	v_fmac_f64_e32 v[112:113], v[132:133], v[118:119]
	s_waitcnt vmcnt(10) lgkmcnt(2)
	v_fmac_f64_e32 v[112:113], v[134:135], v[120:121]
	buffer_load_dword v121, off, s[0:3], 0 offset:196
	buffer_load_dword v120, off, s[0:3], 0 offset:192
	s_waitcnt vmcnt(10)
	v_fmac_f64_e32 v[112:113], v[136:137], v[122:123]
	s_waitcnt vmcnt(8) lgkmcnt(1)
	v_fmac_f64_e32 v[112:113], v[138:139], v[124:125]
	s_waitcnt vmcnt(6)
	v_fmac_f64_e32 v[112:113], v[140:141], v[126:127]
	s_waitcnt vmcnt(4) lgkmcnt(0)
	v_fmac_f64_e32 v[112:113], v[142:143], v[128:129]
	s_waitcnt vmcnt(2)
	v_fmac_f64_e32 v[112:113], v[116:117], v[130:131]
	ds_read_b128 v[116:119], v114 offset:624
	s_waitcnt vmcnt(0) lgkmcnt(0)
	v_fmac_f64_e32 v[112:113], v[120:121], v[116:117]
	buffer_load_dword v117, off, s[0:3], 0 offset:204
	buffer_load_dword v116, off, s[0:3], 0 offset:200
	buffer_load_dword v121, off, s[0:3], 0 offset:212
	buffer_load_dword v120, off, s[0:3], 0 offset:208
	s_waitcnt vmcnt(2)
	v_fmac_f64_e32 v[112:113], v[116:117], v[118:119]
	ds_read_b128 v[116:119], v114 offset:640
	s_waitcnt vmcnt(0) lgkmcnt(0)
	v_fmac_f64_e32 v[112:113], v[120:121], v[116:117]
	buffer_load_dword v117, off, s[0:3], 0 offset:220
	buffer_load_dword v116, off, s[0:3], 0 offset:216
	buffer_load_dword v121, off, s[0:3], 0 offset:228
	buffer_load_dword v120, off, s[0:3], 0 offset:224
	;; [unrolled: 9-line block ×13, first 2 shown]
	s_waitcnt vmcnt(2)
	v_fmac_f64_e32 v[112:113], v[116:117], v[118:119]
	ds_read_b128 v[116:119], v114 offset:832
	s_waitcnt vmcnt(0) lgkmcnt(0)
	v_fmac_f64_e32 v[112:113], v[120:121], v[116:117]
	buffer_load_dword v117, off, s[0:3], 0 offset:412
	buffer_load_dword v116, off, s[0:3], 0 offset:408
	s_waitcnt vmcnt(0)
	v_fmac_f64_e32 v[112:113], v[116:117], v[118:119]
	buffer_load_dword v119, off, s[0:3], 0 offset:420
	buffer_load_dword v118, off, s[0:3], 0 offset:416
	ds_read_b128 v[114:117], v114 offset:848
	s_waitcnt vmcnt(0) lgkmcnt(0)
	v_fmac_f64_e32 v[112:113], v[118:119], v[114:115]
	buffer_load_dword v115, off, s[0:3], 0 offset:428
	buffer_load_dword v114, off, s[0:3], 0 offset:424
	s_waitcnt vmcnt(0)
	v_fmac_f64_e32 v[112:113], v[114:115], v[116:117]
	v_add_f64 v[110:111], v[110:111], -v[112:113]
	buffer_store_dword v111, off, s[0:3], 0 offset:124
	buffer_store_dword v110, off, s[0:3], 0 offset:120
	s_and_saveexec_b64 s[4:5], vcc
	s_cbranch_execz .LBB117_303
; %bb.302:
	buffer_load_dword v110, off, s[0:3], 0 offset:112
	buffer_load_dword v111, off, s[0:3], 0 offset:116
	v_mov_b32_e32 v112, 0
	buffer_store_dword v112, off, s[0:3], 0 offset:112
	buffer_store_dword v112, off, s[0:3], 0 offset:116
	s_waitcnt vmcnt(2)
	ds_write_b64 v1, v[110:111]
.LBB117_303:
	s_or_b64 exec, exec, s[4:5]
	s_waitcnt lgkmcnt(0)
	; wave barrier
	s_waitcnt lgkmcnt(0)
	buffer_load_dword v110, off, s[0:3], 0 offset:112
	buffer_load_dword v111, off, s[0:3], 0 offset:116
	;; [unrolled: 1-line block ×16, first 2 shown]
	v_mov_b32_e32 v114, 0
	ds_read2_b64 v[116:119], v114 offset0:69 offset1:70
	v_cmp_lt_u32_e32 vcc, 13, v0
	s_waitcnt vmcnt(12) lgkmcnt(0)
	v_fma_f64 v[112:113], v[112:113], v[116:117], 0
	s_waitcnt vmcnt(10)
	v_fmac_f64_e32 v[112:113], v[120:121], v[118:119]
	ds_read2_b64 v[116:119], v114 offset0:71 offset1:72
	s_waitcnt vmcnt(8) lgkmcnt(0)
	v_fmac_f64_e32 v[112:113], v[122:123], v[116:117]
	s_waitcnt vmcnt(6)
	v_fmac_f64_e32 v[112:113], v[124:125], v[118:119]
	ds_read2_b64 v[116:119], v114 offset0:73 offset1:74
	s_waitcnt vmcnt(4) lgkmcnt(0)
	v_fmac_f64_e32 v[112:113], v[126:127], v[116:117]
	;; [unrolled: 5-line block ×3, first 2 shown]
	buffer_load_dword v117, off, s[0:3], 0 offset:180
	buffer_load_dword v116, off, s[0:3], 0 offset:176
	buffer_load_dword v121, off, s[0:3], 0 offset:188
	buffer_load_dword v120, off, s[0:3], 0 offset:184
	s_waitcnt vmcnt(2)
	v_fmac_f64_e32 v[112:113], v[116:117], v[118:119]
	ds_read2_b64 v[116:119], v114 offset0:77 offset1:78
	s_waitcnt vmcnt(0) lgkmcnt(0)
	v_fmac_f64_e32 v[112:113], v[120:121], v[116:117]
	buffer_load_dword v117, off, s[0:3], 0 offset:196
	buffer_load_dword v116, off, s[0:3], 0 offset:192
	buffer_load_dword v121, off, s[0:3], 0 offset:204
	buffer_load_dword v120, off, s[0:3], 0 offset:200
	s_waitcnt vmcnt(2)
	v_fmac_f64_e32 v[112:113], v[116:117], v[118:119]
	ds_read2_b64 v[116:119], v114 offset0:79 offset1:80
	s_waitcnt vmcnt(0) lgkmcnt(0)
	v_fmac_f64_e32 v[112:113], v[120:121], v[116:117]
	;; [unrolled: 9-line block ×15, first 2 shown]
	buffer_load_dword v117, off, s[0:3], 0 offset:420
	buffer_load_dword v116, off, s[0:3], 0 offset:416
	s_waitcnt vmcnt(0)
	v_fmac_f64_e32 v[112:113], v[116:117], v[118:119]
	buffer_load_dword v117, off, s[0:3], 0 offset:428
	buffer_load_dword v116, off, s[0:3], 0 offset:424
	ds_read_b64 v[118:119], v114 offset:856
	s_waitcnt vmcnt(0) lgkmcnt(0)
	v_fmac_f64_e32 v[112:113], v[116:117], v[118:119]
	v_add_f64 v[110:111], v[110:111], -v[112:113]
	buffer_store_dword v111, off, s[0:3], 0 offset:116
	buffer_store_dword v110, off, s[0:3], 0 offset:112
	s_and_saveexec_b64 s[4:5], vcc
	s_cbranch_execz .LBB117_305
; %bb.304:
	buffer_load_dword v110, off, s[0:3], 0 offset:104
	buffer_load_dword v111, off, s[0:3], 0 offset:108
	s_waitcnt vmcnt(0)
	ds_write_b64 v1, v[110:111]
	buffer_store_dword v114, off, s[0:3], 0 offset:104
	buffer_store_dword v114, off, s[0:3], 0 offset:108
.LBB117_305:
	s_or_b64 exec, exec, s[4:5]
	s_waitcnt lgkmcnt(0)
	; wave barrier
	s_waitcnt lgkmcnt(0)
	buffer_load_dword v110, off, s[0:3], 0 offset:104
	buffer_load_dword v111, off, s[0:3], 0 offset:108
	buffer_load_dword v112, off, s[0:3], 0 offset:112
	buffer_load_dword v113, off, s[0:3], 0 offset:116
	buffer_load_dword v132, off, s[0:3], 0 offset:120
	buffer_load_dword v133, off, s[0:3], 0 offset:124
	buffer_load_dword v134, off, s[0:3], 0 offset:128
	buffer_load_dword v135, off, s[0:3], 0 offset:132
	buffer_load_dword v136, off, s[0:3], 0 offset:136
	buffer_load_dword v137, off, s[0:3], 0 offset:140
	buffer_load_dword v138, off, s[0:3], 0 offset:144
	buffer_load_dword v139, off, s[0:3], 0 offset:148
	buffer_load_dword v140, off, s[0:3], 0 offset:152
	buffer_load_dword v141, off, s[0:3], 0 offset:156
	buffer_load_dword v142, off, s[0:3], 0 offset:160
	buffer_load_dword v143, off, s[0:3], 0 offset:164
	ds_read_b128 v[116:119], v114 offset:544
	ds_read_b128 v[120:123], v114 offset:560
	;; [unrolled: 1-line block ×4, first 2 shown]
	v_cmp_lt_u32_e32 vcc, 12, v0
	s_waitcnt vmcnt(12) lgkmcnt(3)
	v_fma_f64 v[112:113], v[112:113], v[116:117], 0
	buffer_load_dword v117, off, s[0:3], 0 offset:172
	buffer_load_dword v116, off, s[0:3], 0 offset:168
	s_waitcnt vmcnt(12)
	v_fmac_f64_e32 v[112:113], v[132:133], v[118:119]
	s_waitcnt vmcnt(10) lgkmcnt(2)
	v_fmac_f64_e32 v[112:113], v[134:135], v[120:121]
	buffer_load_dword v121, off, s[0:3], 0 offset:180
	buffer_load_dword v120, off, s[0:3], 0 offset:176
	s_waitcnt vmcnt(10)
	v_fmac_f64_e32 v[112:113], v[136:137], v[122:123]
	s_waitcnt vmcnt(8) lgkmcnt(1)
	v_fmac_f64_e32 v[112:113], v[138:139], v[124:125]
	s_waitcnt vmcnt(6)
	v_fmac_f64_e32 v[112:113], v[140:141], v[126:127]
	s_waitcnt vmcnt(4) lgkmcnt(0)
	v_fmac_f64_e32 v[112:113], v[142:143], v[128:129]
	s_waitcnt vmcnt(2)
	v_fmac_f64_e32 v[112:113], v[116:117], v[130:131]
	ds_read_b128 v[116:119], v114 offset:608
	s_waitcnt vmcnt(0) lgkmcnt(0)
	v_fmac_f64_e32 v[112:113], v[120:121], v[116:117]
	buffer_load_dword v117, off, s[0:3], 0 offset:188
	buffer_load_dword v116, off, s[0:3], 0 offset:184
	buffer_load_dword v121, off, s[0:3], 0 offset:196
	buffer_load_dword v120, off, s[0:3], 0 offset:192
	s_waitcnt vmcnt(2)
	v_fmac_f64_e32 v[112:113], v[116:117], v[118:119]
	ds_read_b128 v[116:119], v114 offset:624
	s_waitcnt vmcnt(0) lgkmcnt(0)
	v_fmac_f64_e32 v[112:113], v[120:121], v[116:117]
	buffer_load_dword v117, off, s[0:3], 0 offset:204
	buffer_load_dword v116, off, s[0:3], 0 offset:200
	buffer_load_dword v121, off, s[0:3], 0 offset:212
	buffer_load_dword v120, off, s[0:3], 0 offset:208
	;; [unrolled: 9-line block ×14, first 2 shown]
	s_waitcnt vmcnt(2)
	v_fmac_f64_e32 v[112:113], v[116:117], v[118:119]
	ds_read_b128 v[116:119], v114 offset:832
	s_waitcnt vmcnt(0) lgkmcnt(0)
	v_fmac_f64_e32 v[112:113], v[120:121], v[116:117]
	buffer_load_dword v117, off, s[0:3], 0 offset:412
	buffer_load_dword v116, off, s[0:3], 0 offset:408
	s_waitcnt vmcnt(0)
	v_fmac_f64_e32 v[112:113], v[116:117], v[118:119]
	buffer_load_dword v119, off, s[0:3], 0 offset:420
	buffer_load_dword v118, off, s[0:3], 0 offset:416
	ds_read_b128 v[114:117], v114 offset:848
	s_waitcnt vmcnt(0) lgkmcnt(0)
	v_fmac_f64_e32 v[112:113], v[118:119], v[114:115]
	buffer_load_dword v115, off, s[0:3], 0 offset:428
	buffer_load_dword v114, off, s[0:3], 0 offset:424
	s_waitcnt vmcnt(0)
	v_fmac_f64_e32 v[112:113], v[114:115], v[116:117]
	v_add_f64 v[110:111], v[110:111], -v[112:113]
	buffer_store_dword v111, off, s[0:3], 0 offset:108
	buffer_store_dword v110, off, s[0:3], 0 offset:104
	s_and_saveexec_b64 s[4:5], vcc
	s_cbranch_execz .LBB117_307
; %bb.306:
	buffer_load_dword v110, off, s[0:3], 0 offset:96
	buffer_load_dword v111, off, s[0:3], 0 offset:100
	v_mov_b32_e32 v112, 0
	buffer_store_dword v112, off, s[0:3], 0 offset:96
	buffer_store_dword v112, off, s[0:3], 0 offset:100
	s_waitcnt vmcnt(2)
	ds_write_b64 v1, v[110:111]
.LBB117_307:
	s_or_b64 exec, exec, s[4:5]
	s_waitcnt lgkmcnt(0)
	; wave barrier
	s_waitcnt lgkmcnt(0)
	buffer_load_dword v110, off, s[0:3], 0 offset:96
	buffer_load_dword v111, off, s[0:3], 0 offset:100
	;; [unrolled: 1-line block ×16, first 2 shown]
	v_mov_b32_e32 v114, 0
	ds_read2_b64 v[116:119], v114 offset0:67 offset1:68
	v_cmp_lt_u32_e32 vcc, 11, v0
	s_waitcnt vmcnt(12) lgkmcnt(0)
	v_fma_f64 v[112:113], v[112:113], v[116:117], 0
	s_waitcnt vmcnt(10)
	v_fmac_f64_e32 v[112:113], v[120:121], v[118:119]
	ds_read2_b64 v[116:119], v114 offset0:69 offset1:70
	s_waitcnt vmcnt(8) lgkmcnt(0)
	v_fmac_f64_e32 v[112:113], v[122:123], v[116:117]
	s_waitcnt vmcnt(6)
	v_fmac_f64_e32 v[112:113], v[124:125], v[118:119]
	ds_read2_b64 v[116:119], v114 offset0:71 offset1:72
	s_waitcnt vmcnt(4) lgkmcnt(0)
	v_fmac_f64_e32 v[112:113], v[126:127], v[116:117]
	;; [unrolled: 5-line block ×3, first 2 shown]
	buffer_load_dword v117, off, s[0:3], 0 offset:164
	buffer_load_dword v116, off, s[0:3], 0 offset:160
	buffer_load_dword v121, off, s[0:3], 0 offset:172
	buffer_load_dword v120, off, s[0:3], 0 offset:168
	s_waitcnt vmcnt(2)
	v_fmac_f64_e32 v[112:113], v[116:117], v[118:119]
	ds_read2_b64 v[116:119], v114 offset0:75 offset1:76
	s_waitcnt vmcnt(0) lgkmcnt(0)
	v_fmac_f64_e32 v[112:113], v[120:121], v[116:117]
	buffer_load_dword v117, off, s[0:3], 0 offset:180
	buffer_load_dword v116, off, s[0:3], 0 offset:176
	buffer_load_dword v121, off, s[0:3], 0 offset:188
	buffer_load_dword v120, off, s[0:3], 0 offset:184
	s_waitcnt vmcnt(2)
	v_fmac_f64_e32 v[112:113], v[116:117], v[118:119]
	ds_read2_b64 v[116:119], v114 offset0:77 offset1:78
	s_waitcnt vmcnt(0) lgkmcnt(0)
	v_fmac_f64_e32 v[112:113], v[120:121], v[116:117]
	;; [unrolled: 9-line block ×16, first 2 shown]
	buffer_load_dword v117, off, s[0:3], 0 offset:420
	buffer_load_dword v116, off, s[0:3], 0 offset:416
	s_waitcnt vmcnt(0)
	v_fmac_f64_e32 v[112:113], v[116:117], v[118:119]
	buffer_load_dword v117, off, s[0:3], 0 offset:428
	buffer_load_dword v116, off, s[0:3], 0 offset:424
	ds_read_b64 v[118:119], v114 offset:856
	s_waitcnt vmcnt(0) lgkmcnt(0)
	v_fmac_f64_e32 v[112:113], v[116:117], v[118:119]
	v_add_f64 v[110:111], v[110:111], -v[112:113]
	buffer_store_dword v111, off, s[0:3], 0 offset:100
	buffer_store_dword v110, off, s[0:3], 0 offset:96
	s_and_saveexec_b64 s[4:5], vcc
	s_cbranch_execz .LBB117_309
; %bb.308:
	buffer_load_dword v110, off, s[0:3], 0 offset:88
	buffer_load_dword v111, off, s[0:3], 0 offset:92
	s_waitcnt vmcnt(0)
	ds_write_b64 v1, v[110:111]
	buffer_store_dword v114, off, s[0:3], 0 offset:88
	buffer_store_dword v114, off, s[0:3], 0 offset:92
.LBB117_309:
	s_or_b64 exec, exec, s[4:5]
	s_waitcnt lgkmcnt(0)
	; wave barrier
	s_waitcnt lgkmcnt(0)
	buffer_load_dword v110, off, s[0:3], 0 offset:88
	buffer_load_dword v111, off, s[0:3], 0 offset:92
	;; [unrolled: 1-line block ×16, first 2 shown]
	ds_read_b128 v[116:119], v114 offset:528
	ds_read_b128 v[120:123], v114 offset:544
	;; [unrolled: 1-line block ×4, first 2 shown]
	v_cmp_lt_u32_e32 vcc, 10, v0
	s_waitcnt vmcnt(12) lgkmcnt(3)
	v_fma_f64 v[112:113], v[112:113], v[116:117], 0
	buffer_load_dword v117, off, s[0:3], 0 offset:156
	buffer_load_dword v116, off, s[0:3], 0 offset:152
	s_waitcnt vmcnt(12)
	v_fmac_f64_e32 v[112:113], v[132:133], v[118:119]
	s_waitcnt vmcnt(10) lgkmcnt(2)
	v_fmac_f64_e32 v[112:113], v[134:135], v[120:121]
	buffer_load_dword v121, off, s[0:3], 0 offset:164
	buffer_load_dword v120, off, s[0:3], 0 offset:160
	s_waitcnt vmcnt(10)
	v_fmac_f64_e32 v[112:113], v[136:137], v[122:123]
	s_waitcnt vmcnt(8) lgkmcnt(1)
	v_fmac_f64_e32 v[112:113], v[138:139], v[124:125]
	s_waitcnt vmcnt(6)
	v_fmac_f64_e32 v[112:113], v[140:141], v[126:127]
	s_waitcnt vmcnt(4) lgkmcnt(0)
	v_fmac_f64_e32 v[112:113], v[142:143], v[128:129]
	s_waitcnt vmcnt(2)
	v_fmac_f64_e32 v[112:113], v[116:117], v[130:131]
	ds_read_b128 v[116:119], v114 offset:592
	s_waitcnt vmcnt(0) lgkmcnt(0)
	v_fmac_f64_e32 v[112:113], v[120:121], v[116:117]
	buffer_load_dword v117, off, s[0:3], 0 offset:172
	buffer_load_dword v116, off, s[0:3], 0 offset:168
	buffer_load_dword v121, off, s[0:3], 0 offset:180
	buffer_load_dword v120, off, s[0:3], 0 offset:176
	s_waitcnt vmcnt(2)
	v_fmac_f64_e32 v[112:113], v[116:117], v[118:119]
	ds_read_b128 v[116:119], v114 offset:608
	s_waitcnt vmcnt(0) lgkmcnt(0)
	v_fmac_f64_e32 v[112:113], v[120:121], v[116:117]
	buffer_load_dword v117, off, s[0:3], 0 offset:188
	buffer_load_dword v116, off, s[0:3], 0 offset:184
	buffer_load_dword v121, off, s[0:3], 0 offset:196
	buffer_load_dword v120, off, s[0:3], 0 offset:192
	s_waitcnt vmcnt(2)
	v_fmac_f64_e32 v[112:113], v[116:117], v[118:119]
	ds_read_b128 v[116:119], v114 offset:624
	s_waitcnt vmcnt(0) lgkmcnt(0)
	v_fmac_f64_e32 v[112:113], v[120:121], v[116:117]
	buffer_load_dword v117, off, s[0:3], 0 offset:204
	buffer_load_dword v116, off, s[0:3], 0 offset:200
	buffer_load_dword v121, off, s[0:3], 0 offset:212
	buffer_load_dword v120, off, s[0:3], 0 offset:208
	s_waitcnt vmcnt(2)
	v_fmac_f64_e32 v[112:113], v[116:117], v[118:119]
	ds_read_b128 v[116:119], v114 offset:640
	s_waitcnt vmcnt(0) lgkmcnt(0)
	v_fmac_f64_e32 v[112:113], v[120:121], v[116:117]
	buffer_load_dword v117, off, s[0:3], 0 offset:220
	buffer_load_dword v116, off, s[0:3], 0 offset:216
	buffer_load_dword v121, off, s[0:3], 0 offset:228
	buffer_load_dword v120, off, s[0:3], 0 offset:224
	s_waitcnt vmcnt(2)
	v_fmac_f64_e32 v[112:113], v[116:117], v[118:119]
	ds_read_b128 v[116:119], v114 offset:656
	s_waitcnt vmcnt(0) lgkmcnt(0)
	v_fmac_f64_e32 v[112:113], v[120:121], v[116:117]
	buffer_load_dword v117, off, s[0:3], 0 offset:236
	buffer_load_dword v116, off, s[0:3], 0 offset:232
	buffer_load_dword v121, off, s[0:3], 0 offset:244
	buffer_load_dword v120, off, s[0:3], 0 offset:240
	s_waitcnt vmcnt(2)
	v_fmac_f64_e32 v[112:113], v[116:117], v[118:119]
	ds_read_b128 v[116:119], v114 offset:672
	s_waitcnt vmcnt(0) lgkmcnt(0)
	v_fmac_f64_e32 v[112:113], v[120:121], v[116:117]
	buffer_load_dword v117, off, s[0:3], 0 offset:252
	buffer_load_dword v116, off, s[0:3], 0 offset:248
	buffer_load_dword v121, off, s[0:3], 0 offset:260
	buffer_load_dword v120, off, s[0:3], 0 offset:256
	s_waitcnt vmcnt(2)
	v_fmac_f64_e32 v[112:113], v[116:117], v[118:119]
	ds_read_b128 v[116:119], v114 offset:688
	s_waitcnt vmcnt(0) lgkmcnt(0)
	v_fmac_f64_e32 v[112:113], v[120:121], v[116:117]
	buffer_load_dword v117, off, s[0:3], 0 offset:268
	buffer_load_dword v116, off, s[0:3], 0 offset:264
	buffer_load_dword v121, off, s[0:3], 0 offset:276
	buffer_load_dword v120, off, s[0:3], 0 offset:272
	s_waitcnt vmcnt(2)
	v_fmac_f64_e32 v[112:113], v[116:117], v[118:119]
	ds_read_b128 v[116:119], v114 offset:704
	s_waitcnt vmcnt(0) lgkmcnt(0)
	v_fmac_f64_e32 v[112:113], v[120:121], v[116:117]
	buffer_load_dword v117, off, s[0:3], 0 offset:284
	buffer_load_dword v116, off, s[0:3], 0 offset:280
	buffer_load_dword v121, off, s[0:3], 0 offset:292
	buffer_load_dword v120, off, s[0:3], 0 offset:288
	s_waitcnt vmcnt(2)
	v_fmac_f64_e32 v[112:113], v[116:117], v[118:119]
	ds_read_b128 v[116:119], v114 offset:720
	s_waitcnt vmcnt(0) lgkmcnt(0)
	v_fmac_f64_e32 v[112:113], v[120:121], v[116:117]
	buffer_load_dword v117, off, s[0:3], 0 offset:300
	buffer_load_dword v116, off, s[0:3], 0 offset:296
	buffer_load_dword v121, off, s[0:3], 0 offset:308
	buffer_load_dword v120, off, s[0:3], 0 offset:304
	s_waitcnt vmcnt(2)
	v_fmac_f64_e32 v[112:113], v[116:117], v[118:119]
	ds_read_b128 v[116:119], v114 offset:736
	s_waitcnt vmcnt(0) lgkmcnt(0)
	v_fmac_f64_e32 v[112:113], v[120:121], v[116:117]
	buffer_load_dword v117, off, s[0:3], 0 offset:316
	buffer_load_dword v116, off, s[0:3], 0 offset:312
	buffer_load_dword v121, off, s[0:3], 0 offset:324
	buffer_load_dword v120, off, s[0:3], 0 offset:320
	s_waitcnt vmcnt(2)
	v_fmac_f64_e32 v[112:113], v[116:117], v[118:119]
	ds_read_b128 v[116:119], v114 offset:752
	s_waitcnt vmcnt(0) lgkmcnt(0)
	v_fmac_f64_e32 v[112:113], v[120:121], v[116:117]
	buffer_load_dword v117, off, s[0:3], 0 offset:332
	buffer_load_dword v116, off, s[0:3], 0 offset:328
	buffer_load_dword v121, off, s[0:3], 0 offset:340
	buffer_load_dword v120, off, s[0:3], 0 offset:336
	s_waitcnt vmcnt(2)
	v_fmac_f64_e32 v[112:113], v[116:117], v[118:119]
	ds_read_b128 v[116:119], v114 offset:768
	s_waitcnt vmcnt(0) lgkmcnt(0)
	v_fmac_f64_e32 v[112:113], v[120:121], v[116:117]
	buffer_load_dword v117, off, s[0:3], 0 offset:348
	buffer_load_dword v116, off, s[0:3], 0 offset:344
	buffer_load_dword v121, off, s[0:3], 0 offset:356
	buffer_load_dword v120, off, s[0:3], 0 offset:352
	s_waitcnt vmcnt(2)
	v_fmac_f64_e32 v[112:113], v[116:117], v[118:119]
	ds_read_b128 v[116:119], v114 offset:784
	s_waitcnt vmcnt(0) lgkmcnt(0)
	v_fmac_f64_e32 v[112:113], v[120:121], v[116:117]
	buffer_load_dword v117, off, s[0:3], 0 offset:364
	buffer_load_dword v116, off, s[0:3], 0 offset:360
	buffer_load_dword v121, off, s[0:3], 0 offset:372
	buffer_load_dword v120, off, s[0:3], 0 offset:368
	s_waitcnt vmcnt(2)
	v_fmac_f64_e32 v[112:113], v[116:117], v[118:119]
	ds_read_b128 v[116:119], v114 offset:800
	s_waitcnt vmcnt(0) lgkmcnt(0)
	v_fmac_f64_e32 v[112:113], v[120:121], v[116:117]
	buffer_load_dword v117, off, s[0:3], 0 offset:380
	buffer_load_dword v116, off, s[0:3], 0 offset:376
	buffer_load_dword v121, off, s[0:3], 0 offset:388
	buffer_load_dword v120, off, s[0:3], 0 offset:384
	s_waitcnt vmcnt(2)
	v_fmac_f64_e32 v[112:113], v[116:117], v[118:119]
	ds_read_b128 v[116:119], v114 offset:816
	s_waitcnt vmcnt(0) lgkmcnt(0)
	v_fmac_f64_e32 v[112:113], v[120:121], v[116:117]
	buffer_load_dword v117, off, s[0:3], 0 offset:396
	buffer_load_dword v116, off, s[0:3], 0 offset:392
	buffer_load_dword v121, off, s[0:3], 0 offset:404
	buffer_load_dword v120, off, s[0:3], 0 offset:400
	s_waitcnt vmcnt(2)
	v_fmac_f64_e32 v[112:113], v[116:117], v[118:119]
	ds_read_b128 v[116:119], v114 offset:832
	s_waitcnt vmcnt(0) lgkmcnt(0)
	v_fmac_f64_e32 v[112:113], v[120:121], v[116:117]
	buffer_load_dword v117, off, s[0:3], 0 offset:412
	buffer_load_dword v116, off, s[0:3], 0 offset:408
	s_waitcnt vmcnt(0)
	v_fmac_f64_e32 v[112:113], v[116:117], v[118:119]
	buffer_load_dword v119, off, s[0:3], 0 offset:420
	buffer_load_dword v118, off, s[0:3], 0 offset:416
	ds_read_b128 v[114:117], v114 offset:848
	s_waitcnt vmcnt(0) lgkmcnt(0)
	v_fmac_f64_e32 v[112:113], v[118:119], v[114:115]
	buffer_load_dword v115, off, s[0:3], 0 offset:428
	buffer_load_dword v114, off, s[0:3], 0 offset:424
	s_waitcnt vmcnt(0)
	v_fmac_f64_e32 v[112:113], v[114:115], v[116:117]
	v_add_f64 v[110:111], v[110:111], -v[112:113]
	buffer_store_dword v111, off, s[0:3], 0 offset:92
	buffer_store_dword v110, off, s[0:3], 0 offset:88
	s_and_saveexec_b64 s[4:5], vcc
	s_cbranch_execz .LBB117_311
; %bb.310:
	buffer_load_dword v110, off, s[0:3], 0 offset:80
	buffer_load_dword v111, off, s[0:3], 0 offset:84
	v_mov_b32_e32 v112, 0
	buffer_store_dword v112, off, s[0:3], 0 offset:80
	buffer_store_dword v112, off, s[0:3], 0 offset:84
	s_waitcnt vmcnt(2)
	ds_write_b64 v1, v[110:111]
.LBB117_311:
	s_or_b64 exec, exec, s[4:5]
	s_waitcnt lgkmcnt(0)
	; wave barrier
	s_waitcnt lgkmcnt(0)
	buffer_load_dword v110, off, s[0:3], 0 offset:80
	buffer_load_dword v111, off, s[0:3], 0 offset:84
	;; [unrolled: 1-line block ×16, first 2 shown]
	v_mov_b32_e32 v114, 0
	ds_read2_b64 v[116:119], v114 offset0:65 offset1:66
	v_cmp_lt_u32_e32 vcc, 9, v0
	s_waitcnt vmcnt(12) lgkmcnt(0)
	v_fma_f64 v[112:113], v[112:113], v[116:117], 0
	s_waitcnt vmcnt(10)
	v_fmac_f64_e32 v[112:113], v[120:121], v[118:119]
	ds_read2_b64 v[116:119], v114 offset0:67 offset1:68
	s_waitcnt vmcnt(8) lgkmcnt(0)
	v_fmac_f64_e32 v[112:113], v[122:123], v[116:117]
	s_waitcnt vmcnt(6)
	v_fmac_f64_e32 v[112:113], v[124:125], v[118:119]
	ds_read2_b64 v[116:119], v114 offset0:69 offset1:70
	s_waitcnt vmcnt(4) lgkmcnt(0)
	v_fmac_f64_e32 v[112:113], v[126:127], v[116:117]
	s_waitcnt vmcnt(2)
	v_fmac_f64_e32 v[112:113], v[128:129], v[118:119]
	ds_read2_b64 v[116:119], v114 offset0:71 offset1:72
	s_waitcnt vmcnt(0) lgkmcnt(0)
	v_fmac_f64_e32 v[112:113], v[130:131], v[116:117]
	buffer_load_dword v117, off, s[0:3], 0 offset:148
	buffer_load_dword v116, off, s[0:3], 0 offset:144
	buffer_load_dword v121, off, s[0:3], 0 offset:156
	buffer_load_dword v120, off, s[0:3], 0 offset:152
	s_waitcnt vmcnt(2)
	v_fmac_f64_e32 v[112:113], v[116:117], v[118:119]
	ds_read2_b64 v[116:119], v114 offset0:73 offset1:74
	s_waitcnt vmcnt(0) lgkmcnt(0)
	v_fmac_f64_e32 v[112:113], v[120:121], v[116:117]
	buffer_load_dword v117, off, s[0:3], 0 offset:164
	buffer_load_dword v116, off, s[0:3], 0 offset:160
	buffer_load_dword v121, off, s[0:3], 0 offset:172
	buffer_load_dword v120, off, s[0:3], 0 offset:168
	s_waitcnt vmcnt(2)
	v_fmac_f64_e32 v[112:113], v[116:117], v[118:119]
	ds_read2_b64 v[116:119], v114 offset0:75 offset1:76
	s_waitcnt vmcnt(0) lgkmcnt(0)
	v_fmac_f64_e32 v[112:113], v[120:121], v[116:117]
	;; [unrolled: 9-line block ×17, first 2 shown]
	buffer_load_dword v117, off, s[0:3], 0 offset:420
	buffer_load_dword v116, off, s[0:3], 0 offset:416
	s_waitcnt vmcnt(0)
	v_fmac_f64_e32 v[112:113], v[116:117], v[118:119]
	buffer_load_dword v117, off, s[0:3], 0 offset:428
	buffer_load_dword v116, off, s[0:3], 0 offset:424
	ds_read_b64 v[118:119], v114 offset:856
	s_waitcnt vmcnt(0) lgkmcnt(0)
	v_fmac_f64_e32 v[112:113], v[116:117], v[118:119]
	v_add_f64 v[110:111], v[110:111], -v[112:113]
	buffer_store_dword v111, off, s[0:3], 0 offset:84
	buffer_store_dword v110, off, s[0:3], 0 offset:80
	s_and_saveexec_b64 s[4:5], vcc
	s_cbranch_execz .LBB117_313
; %bb.312:
	buffer_load_dword v110, off, s[0:3], 0 offset:72
	buffer_load_dword v111, off, s[0:3], 0 offset:76
	s_waitcnt vmcnt(0)
	ds_write_b64 v1, v[110:111]
	buffer_store_dword v114, off, s[0:3], 0 offset:72
	buffer_store_dword v114, off, s[0:3], 0 offset:76
.LBB117_313:
	s_or_b64 exec, exec, s[4:5]
	s_waitcnt lgkmcnt(0)
	; wave barrier
	s_waitcnt lgkmcnt(0)
	buffer_load_dword v110, off, s[0:3], 0 offset:72
	buffer_load_dword v111, off, s[0:3], 0 offset:76
	;; [unrolled: 1-line block ×16, first 2 shown]
	ds_read_b128 v[116:119], v114 offset:512
	ds_read_b128 v[120:123], v114 offset:528
	;; [unrolled: 1-line block ×4, first 2 shown]
	v_cmp_lt_u32_e32 vcc, 8, v0
	s_waitcnt vmcnt(12) lgkmcnt(3)
	v_fma_f64 v[112:113], v[112:113], v[116:117], 0
	buffer_load_dword v117, off, s[0:3], 0 offset:140
	buffer_load_dword v116, off, s[0:3], 0 offset:136
	s_waitcnt vmcnt(12)
	v_fmac_f64_e32 v[112:113], v[132:133], v[118:119]
	s_waitcnt vmcnt(10) lgkmcnt(2)
	v_fmac_f64_e32 v[112:113], v[134:135], v[120:121]
	buffer_load_dword v121, off, s[0:3], 0 offset:148
	buffer_load_dword v120, off, s[0:3], 0 offset:144
	s_waitcnt vmcnt(10)
	v_fmac_f64_e32 v[112:113], v[136:137], v[122:123]
	s_waitcnt vmcnt(8) lgkmcnt(1)
	v_fmac_f64_e32 v[112:113], v[138:139], v[124:125]
	s_waitcnt vmcnt(6)
	v_fmac_f64_e32 v[112:113], v[140:141], v[126:127]
	s_waitcnt vmcnt(4) lgkmcnt(0)
	v_fmac_f64_e32 v[112:113], v[142:143], v[128:129]
	s_waitcnt vmcnt(2)
	v_fmac_f64_e32 v[112:113], v[116:117], v[130:131]
	ds_read_b128 v[116:119], v114 offset:576
	s_waitcnt vmcnt(0) lgkmcnt(0)
	v_fmac_f64_e32 v[112:113], v[120:121], v[116:117]
	buffer_load_dword v117, off, s[0:3], 0 offset:156
	buffer_load_dword v116, off, s[0:3], 0 offset:152
	buffer_load_dword v121, off, s[0:3], 0 offset:164
	buffer_load_dword v120, off, s[0:3], 0 offset:160
	s_waitcnt vmcnt(2)
	v_fmac_f64_e32 v[112:113], v[116:117], v[118:119]
	ds_read_b128 v[116:119], v114 offset:592
	s_waitcnt vmcnt(0) lgkmcnt(0)
	v_fmac_f64_e32 v[112:113], v[120:121], v[116:117]
	buffer_load_dword v117, off, s[0:3], 0 offset:172
	buffer_load_dword v116, off, s[0:3], 0 offset:168
	buffer_load_dword v121, off, s[0:3], 0 offset:180
	buffer_load_dword v120, off, s[0:3], 0 offset:176
	;; [unrolled: 9-line block ×16, first 2 shown]
	s_waitcnt vmcnt(2)
	v_fmac_f64_e32 v[112:113], v[116:117], v[118:119]
	ds_read_b128 v[116:119], v114 offset:832
	s_waitcnt vmcnt(0) lgkmcnt(0)
	v_fmac_f64_e32 v[112:113], v[120:121], v[116:117]
	buffer_load_dword v117, off, s[0:3], 0 offset:412
	buffer_load_dword v116, off, s[0:3], 0 offset:408
	s_waitcnt vmcnt(0)
	v_fmac_f64_e32 v[112:113], v[116:117], v[118:119]
	buffer_load_dword v119, off, s[0:3], 0 offset:420
	buffer_load_dword v118, off, s[0:3], 0 offset:416
	ds_read_b128 v[114:117], v114 offset:848
	s_waitcnt vmcnt(0) lgkmcnt(0)
	v_fmac_f64_e32 v[112:113], v[118:119], v[114:115]
	buffer_load_dword v115, off, s[0:3], 0 offset:428
	buffer_load_dword v114, off, s[0:3], 0 offset:424
	s_waitcnt vmcnt(0)
	v_fmac_f64_e32 v[112:113], v[114:115], v[116:117]
	v_add_f64 v[110:111], v[110:111], -v[112:113]
	buffer_store_dword v111, off, s[0:3], 0 offset:76
	buffer_store_dword v110, off, s[0:3], 0 offset:72
	s_and_saveexec_b64 s[4:5], vcc
	s_cbranch_execz .LBB117_315
; %bb.314:
	buffer_load_dword v110, off, s[0:3], 0 offset:64
	buffer_load_dword v111, off, s[0:3], 0 offset:68
	v_mov_b32_e32 v112, 0
	buffer_store_dword v112, off, s[0:3], 0 offset:64
	buffer_store_dword v112, off, s[0:3], 0 offset:68
	s_waitcnt vmcnt(2)
	ds_write_b64 v1, v[110:111]
.LBB117_315:
	s_or_b64 exec, exec, s[4:5]
	s_waitcnt lgkmcnt(0)
	; wave barrier
	s_waitcnt lgkmcnt(0)
	buffer_load_dword v110, off, s[0:3], 0 offset:64
	buffer_load_dword v111, off, s[0:3], 0 offset:68
	;; [unrolled: 1-line block ×16, first 2 shown]
	v_mov_b32_e32 v114, 0
	ds_read2_b64 v[116:119], v114 offset0:63 offset1:64
	v_cmp_lt_u32_e32 vcc, 7, v0
	s_waitcnt vmcnt(12) lgkmcnt(0)
	v_fma_f64 v[112:113], v[112:113], v[116:117], 0
	s_waitcnt vmcnt(10)
	v_fmac_f64_e32 v[112:113], v[120:121], v[118:119]
	ds_read2_b64 v[116:119], v114 offset0:65 offset1:66
	s_waitcnt vmcnt(8) lgkmcnt(0)
	v_fmac_f64_e32 v[112:113], v[122:123], v[116:117]
	s_waitcnt vmcnt(6)
	v_fmac_f64_e32 v[112:113], v[124:125], v[118:119]
	ds_read2_b64 v[116:119], v114 offset0:67 offset1:68
	s_waitcnt vmcnt(4) lgkmcnt(0)
	v_fmac_f64_e32 v[112:113], v[126:127], v[116:117]
	;; [unrolled: 5-line block ×3, first 2 shown]
	buffer_load_dword v117, off, s[0:3], 0 offset:132
	buffer_load_dword v116, off, s[0:3], 0 offset:128
	buffer_load_dword v121, off, s[0:3], 0 offset:140
	buffer_load_dword v120, off, s[0:3], 0 offset:136
	s_waitcnt vmcnt(2)
	v_fmac_f64_e32 v[112:113], v[116:117], v[118:119]
	ds_read2_b64 v[116:119], v114 offset0:71 offset1:72
	s_waitcnt vmcnt(0) lgkmcnt(0)
	v_fmac_f64_e32 v[112:113], v[120:121], v[116:117]
	buffer_load_dword v117, off, s[0:3], 0 offset:148
	buffer_load_dword v116, off, s[0:3], 0 offset:144
	buffer_load_dword v121, off, s[0:3], 0 offset:156
	buffer_load_dword v120, off, s[0:3], 0 offset:152
	s_waitcnt vmcnt(2)
	v_fmac_f64_e32 v[112:113], v[116:117], v[118:119]
	ds_read2_b64 v[116:119], v114 offset0:73 offset1:74
	s_waitcnt vmcnt(0) lgkmcnt(0)
	v_fmac_f64_e32 v[112:113], v[120:121], v[116:117]
	;; [unrolled: 9-line block ×18, first 2 shown]
	buffer_load_dword v117, off, s[0:3], 0 offset:420
	buffer_load_dword v116, off, s[0:3], 0 offset:416
	s_waitcnt vmcnt(0)
	v_fmac_f64_e32 v[112:113], v[116:117], v[118:119]
	buffer_load_dword v117, off, s[0:3], 0 offset:428
	buffer_load_dword v116, off, s[0:3], 0 offset:424
	ds_read_b64 v[118:119], v114 offset:856
	s_waitcnt vmcnt(0) lgkmcnt(0)
	v_fmac_f64_e32 v[112:113], v[116:117], v[118:119]
	v_add_f64 v[110:111], v[110:111], -v[112:113]
	buffer_store_dword v111, off, s[0:3], 0 offset:68
	buffer_store_dword v110, off, s[0:3], 0 offset:64
	s_and_saveexec_b64 s[4:5], vcc
	s_cbranch_execz .LBB117_317
; %bb.316:
	buffer_load_dword v110, off, s[0:3], 0 offset:56
	buffer_load_dword v111, off, s[0:3], 0 offset:60
	s_waitcnt vmcnt(0)
	ds_write_b64 v1, v[110:111]
	buffer_store_dword v114, off, s[0:3], 0 offset:56
	buffer_store_dword v114, off, s[0:3], 0 offset:60
.LBB117_317:
	s_or_b64 exec, exec, s[4:5]
	s_waitcnt lgkmcnt(0)
	; wave barrier
	s_waitcnt lgkmcnt(0)
	buffer_load_dword v110, off, s[0:3], 0 offset:56
	buffer_load_dword v111, off, s[0:3], 0 offset:60
	;; [unrolled: 1-line block ×16, first 2 shown]
	ds_read_b128 v[116:119], v114 offset:496
	ds_read_b128 v[120:123], v114 offset:512
	;; [unrolled: 1-line block ×4, first 2 shown]
	v_cmp_lt_u32_e32 vcc, 6, v0
	s_waitcnt vmcnt(12) lgkmcnt(3)
	v_fma_f64 v[112:113], v[112:113], v[116:117], 0
	buffer_load_dword v117, off, s[0:3], 0 offset:124
	buffer_load_dword v116, off, s[0:3], 0 offset:120
	s_waitcnt vmcnt(12)
	v_fmac_f64_e32 v[112:113], v[132:133], v[118:119]
	s_waitcnt vmcnt(10) lgkmcnt(2)
	v_fmac_f64_e32 v[112:113], v[134:135], v[120:121]
	buffer_load_dword v121, off, s[0:3], 0 offset:132
	buffer_load_dword v120, off, s[0:3], 0 offset:128
	s_waitcnt vmcnt(10)
	v_fmac_f64_e32 v[112:113], v[136:137], v[122:123]
	s_waitcnt vmcnt(8) lgkmcnt(1)
	v_fmac_f64_e32 v[112:113], v[138:139], v[124:125]
	s_waitcnt vmcnt(6)
	v_fmac_f64_e32 v[112:113], v[140:141], v[126:127]
	s_waitcnt vmcnt(4) lgkmcnt(0)
	v_fmac_f64_e32 v[112:113], v[142:143], v[128:129]
	s_waitcnt vmcnt(2)
	v_fmac_f64_e32 v[112:113], v[116:117], v[130:131]
	ds_read_b128 v[116:119], v114 offset:560
	s_waitcnt vmcnt(0) lgkmcnt(0)
	v_fmac_f64_e32 v[112:113], v[120:121], v[116:117]
	buffer_load_dword v117, off, s[0:3], 0 offset:140
	buffer_load_dword v116, off, s[0:3], 0 offset:136
	buffer_load_dword v121, off, s[0:3], 0 offset:148
	buffer_load_dword v120, off, s[0:3], 0 offset:144
	s_waitcnt vmcnt(2)
	v_fmac_f64_e32 v[112:113], v[116:117], v[118:119]
	ds_read_b128 v[116:119], v114 offset:576
	s_waitcnt vmcnt(0) lgkmcnt(0)
	v_fmac_f64_e32 v[112:113], v[120:121], v[116:117]
	buffer_load_dword v117, off, s[0:3], 0 offset:156
	buffer_load_dword v116, off, s[0:3], 0 offset:152
	buffer_load_dword v121, off, s[0:3], 0 offset:164
	buffer_load_dword v120, off, s[0:3], 0 offset:160
	;; [unrolled: 9-line block ×17, first 2 shown]
	s_waitcnt vmcnt(2)
	v_fmac_f64_e32 v[112:113], v[116:117], v[118:119]
	ds_read_b128 v[116:119], v114 offset:832
	s_waitcnt vmcnt(0) lgkmcnt(0)
	v_fmac_f64_e32 v[112:113], v[120:121], v[116:117]
	buffer_load_dword v117, off, s[0:3], 0 offset:412
	buffer_load_dword v116, off, s[0:3], 0 offset:408
	s_waitcnt vmcnt(0)
	v_fmac_f64_e32 v[112:113], v[116:117], v[118:119]
	buffer_load_dword v119, off, s[0:3], 0 offset:420
	buffer_load_dword v118, off, s[0:3], 0 offset:416
	ds_read_b128 v[114:117], v114 offset:848
	s_waitcnt vmcnt(0) lgkmcnt(0)
	v_fmac_f64_e32 v[112:113], v[118:119], v[114:115]
	buffer_load_dword v115, off, s[0:3], 0 offset:428
	buffer_load_dword v114, off, s[0:3], 0 offset:424
	s_waitcnt vmcnt(0)
	v_fmac_f64_e32 v[112:113], v[114:115], v[116:117]
	v_add_f64 v[110:111], v[110:111], -v[112:113]
	buffer_store_dword v111, off, s[0:3], 0 offset:60
	buffer_store_dword v110, off, s[0:3], 0 offset:56
	s_and_saveexec_b64 s[4:5], vcc
	s_cbranch_execz .LBB117_319
; %bb.318:
	buffer_load_dword v110, off, s[0:3], 0 offset:48
	buffer_load_dword v111, off, s[0:3], 0 offset:52
	v_mov_b32_e32 v112, 0
	buffer_store_dword v112, off, s[0:3], 0 offset:48
	buffer_store_dword v112, off, s[0:3], 0 offset:52
	s_waitcnt vmcnt(2)
	ds_write_b64 v1, v[110:111]
.LBB117_319:
	s_or_b64 exec, exec, s[4:5]
	s_waitcnt lgkmcnt(0)
	; wave barrier
	s_waitcnt lgkmcnt(0)
	buffer_load_dword v110, off, s[0:3], 0 offset:48
	buffer_load_dword v111, off, s[0:3], 0 offset:52
	;; [unrolled: 1-line block ×16, first 2 shown]
	v_mov_b32_e32 v114, 0
	ds_read2_b64 v[116:119], v114 offset0:61 offset1:62
	v_cmp_lt_u32_e32 vcc, 5, v0
	s_waitcnt vmcnt(12) lgkmcnt(0)
	v_fma_f64 v[112:113], v[112:113], v[116:117], 0
	s_waitcnt vmcnt(10)
	v_fmac_f64_e32 v[112:113], v[120:121], v[118:119]
	ds_read2_b64 v[116:119], v114 offset0:63 offset1:64
	s_waitcnt vmcnt(8) lgkmcnt(0)
	v_fmac_f64_e32 v[112:113], v[122:123], v[116:117]
	s_waitcnt vmcnt(6)
	v_fmac_f64_e32 v[112:113], v[124:125], v[118:119]
	ds_read2_b64 v[116:119], v114 offset0:65 offset1:66
	s_waitcnt vmcnt(4) lgkmcnt(0)
	v_fmac_f64_e32 v[112:113], v[126:127], v[116:117]
	;; [unrolled: 5-line block ×3, first 2 shown]
	buffer_load_dword v117, off, s[0:3], 0 offset:116
	buffer_load_dword v116, off, s[0:3], 0 offset:112
	buffer_load_dword v121, off, s[0:3], 0 offset:124
	buffer_load_dword v120, off, s[0:3], 0 offset:120
	s_waitcnt vmcnt(2)
	v_fmac_f64_e32 v[112:113], v[116:117], v[118:119]
	ds_read2_b64 v[116:119], v114 offset0:69 offset1:70
	s_waitcnt vmcnt(0) lgkmcnt(0)
	v_fmac_f64_e32 v[112:113], v[120:121], v[116:117]
	buffer_load_dword v117, off, s[0:3], 0 offset:132
	buffer_load_dword v116, off, s[0:3], 0 offset:128
	buffer_load_dword v121, off, s[0:3], 0 offset:140
	buffer_load_dword v120, off, s[0:3], 0 offset:136
	s_waitcnt vmcnt(2)
	v_fmac_f64_e32 v[112:113], v[116:117], v[118:119]
	ds_read2_b64 v[116:119], v114 offset0:71 offset1:72
	s_waitcnt vmcnt(0) lgkmcnt(0)
	v_fmac_f64_e32 v[112:113], v[120:121], v[116:117]
	;; [unrolled: 9-line block ×19, first 2 shown]
	buffer_load_dword v117, off, s[0:3], 0 offset:420
	buffer_load_dword v116, off, s[0:3], 0 offset:416
	s_waitcnt vmcnt(0)
	v_fmac_f64_e32 v[112:113], v[116:117], v[118:119]
	buffer_load_dword v117, off, s[0:3], 0 offset:428
	buffer_load_dword v116, off, s[0:3], 0 offset:424
	ds_read_b64 v[118:119], v114 offset:856
	s_waitcnt vmcnt(0) lgkmcnt(0)
	v_fmac_f64_e32 v[112:113], v[116:117], v[118:119]
	v_add_f64 v[110:111], v[110:111], -v[112:113]
	buffer_store_dword v111, off, s[0:3], 0 offset:52
	buffer_store_dword v110, off, s[0:3], 0 offset:48
	s_and_saveexec_b64 s[4:5], vcc
	s_cbranch_execz .LBB117_321
; %bb.320:
	buffer_load_dword v110, off, s[0:3], 0 offset:40
	buffer_load_dword v111, off, s[0:3], 0 offset:44
	s_waitcnt vmcnt(0)
	ds_write_b64 v1, v[110:111]
	buffer_store_dword v114, off, s[0:3], 0 offset:40
	buffer_store_dword v114, off, s[0:3], 0 offset:44
.LBB117_321:
	s_or_b64 exec, exec, s[4:5]
	s_waitcnt lgkmcnt(0)
	; wave barrier
	s_waitcnt lgkmcnt(0)
	buffer_load_dword v110, off, s[0:3], 0 offset:40
	buffer_load_dword v111, off, s[0:3], 0 offset:44
	;; [unrolled: 1-line block ×16, first 2 shown]
	ds_read_b128 v[116:119], v114 offset:480
	ds_read_b128 v[120:123], v114 offset:496
	ds_read_b128 v[124:127], v114 offset:512
	ds_read_b128 v[128:131], v114 offset:528
	v_cmp_lt_u32_e32 vcc, 4, v0
	s_waitcnt vmcnt(12) lgkmcnt(3)
	v_fma_f64 v[112:113], v[112:113], v[116:117], 0
	buffer_load_dword v117, off, s[0:3], 0 offset:108
	buffer_load_dword v116, off, s[0:3], 0 offset:104
	s_waitcnt vmcnt(12)
	v_fmac_f64_e32 v[112:113], v[132:133], v[118:119]
	s_waitcnt vmcnt(10) lgkmcnt(2)
	v_fmac_f64_e32 v[112:113], v[134:135], v[120:121]
	buffer_load_dword v121, off, s[0:3], 0 offset:116
	buffer_load_dword v120, off, s[0:3], 0 offset:112
	s_waitcnt vmcnt(10)
	v_fmac_f64_e32 v[112:113], v[136:137], v[122:123]
	s_waitcnt vmcnt(8) lgkmcnt(1)
	v_fmac_f64_e32 v[112:113], v[138:139], v[124:125]
	s_waitcnt vmcnt(6)
	v_fmac_f64_e32 v[112:113], v[140:141], v[126:127]
	s_waitcnt vmcnt(4) lgkmcnt(0)
	v_fmac_f64_e32 v[112:113], v[142:143], v[128:129]
	s_waitcnt vmcnt(2)
	v_fmac_f64_e32 v[112:113], v[116:117], v[130:131]
	ds_read_b128 v[116:119], v114 offset:544
	s_waitcnt vmcnt(0) lgkmcnt(0)
	v_fmac_f64_e32 v[112:113], v[120:121], v[116:117]
	buffer_load_dword v117, off, s[0:3], 0 offset:124
	buffer_load_dword v116, off, s[0:3], 0 offset:120
	buffer_load_dword v121, off, s[0:3], 0 offset:132
	buffer_load_dword v120, off, s[0:3], 0 offset:128
	s_waitcnt vmcnt(2)
	v_fmac_f64_e32 v[112:113], v[116:117], v[118:119]
	ds_read_b128 v[116:119], v114 offset:560
	s_waitcnt vmcnt(0) lgkmcnt(0)
	v_fmac_f64_e32 v[112:113], v[120:121], v[116:117]
	buffer_load_dword v117, off, s[0:3], 0 offset:140
	buffer_load_dword v116, off, s[0:3], 0 offset:136
	buffer_load_dword v121, off, s[0:3], 0 offset:148
	buffer_load_dword v120, off, s[0:3], 0 offset:144
	;; [unrolled: 9-line block ×18, first 2 shown]
	s_waitcnt vmcnt(2)
	v_fmac_f64_e32 v[112:113], v[116:117], v[118:119]
	ds_read_b128 v[116:119], v114 offset:832
	s_waitcnt vmcnt(0) lgkmcnt(0)
	v_fmac_f64_e32 v[112:113], v[120:121], v[116:117]
	buffer_load_dword v117, off, s[0:3], 0 offset:412
	buffer_load_dword v116, off, s[0:3], 0 offset:408
	s_waitcnt vmcnt(0)
	v_fmac_f64_e32 v[112:113], v[116:117], v[118:119]
	buffer_load_dword v119, off, s[0:3], 0 offset:420
	buffer_load_dword v118, off, s[0:3], 0 offset:416
	ds_read_b128 v[114:117], v114 offset:848
	s_waitcnt vmcnt(0) lgkmcnt(0)
	v_fmac_f64_e32 v[112:113], v[118:119], v[114:115]
	buffer_load_dword v115, off, s[0:3], 0 offset:428
	buffer_load_dword v114, off, s[0:3], 0 offset:424
	s_waitcnt vmcnt(0)
	v_fmac_f64_e32 v[112:113], v[114:115], v[116:117]
	v_add_f64 v[110:111], v[110:111], -v[112:113]
	buffer_store_dword v111, off, s[0:3], 0 offset:44
	buffer_store_dword v110, off, s[0:3], 0 offset:40
	s_and_saveexec_b64 s[4:5], vcc
	s_cbranch_execz .LBB117_323
; %bb.322:
	buffer_load_dword v110, off, s[0:3], 0 offset:32
	buffer_load_dword v111, off, s[0:3], 0 offset:36
	v_mov_b32_e32 v112, 0
	buffer_store_dword v112, off, s[0:3], 0 offset:32
	buffer_store_dword v112, off, s[0:3], 0 offset:36
	s_waitcnt vmcnt(2)
	ds_write_b64 v1, v[110:111]
.LBB117_323:
	s_or_b64 exec, exec, s[4:5]
	s_waitcnt lgkmcnt(0)
	; wave barrier
	s_waitcnt lgkmcnt(0)
	buffer_load_dword v110, off, s[0:3], 0 offset:32
	buffer_load_dword v111, off, s[0:3], 0 offset:36
	;; [unrolled: 1-line block ×16, first 2 shown]
	v_mov_b32_e32 v114, 0
	ds_read2_b64 v[116:119], v114 offset0:59 offset1:60
	v_cmp_lt_u32_e32 vcc, 3, v0
	s_waitcnt vmcnt(12) lgkmcnt(0)
	v_fma_f64 v[112:113], v[112:113], v[116:117], 0
	s_waitcnt vmcnt(10)
	v_fmac_f64_e32 v[112:113], v[120:121], v[118:119]
	ds_read2_b64 v[116:119], v114 offset0:61 offset1:62
	s_waitcnt vmcnt(8) lgkmcnt(0)
	v_fmac_f64_e32 v[112:113], v[122:123], v[116:117]
	s_waitcnt vmcnt(6)
	v_fmac_f64_e32 v[112:113], v[124:125], v[118:119]
	ds_read2_b64 v[116:119], v114 offset0:63 offset1:64
	s_waitcnt vmcnt(4) lgkmcnt(0)
	v_fmac_f64_e32 v[112:113], v[126:127], v[116:117]
	s_waitcnt vmcnt(2)
	v_fmac_f64_e32 v[112:113], v[128:129], v[118:119]
	ds_read2_b64 v[116:119], v114 offset0:65 offset1:66
	s_waitcnt vmcnt(0) lgkmcnt(0)
	v_fmac_f64_e32 v[112:113], v[130:131], v[116:117]
	buffer_load_dword v117, off, s[0:3], 0 offset:100
	buffer_load_dword v116, off, s[0:3], 0 offset:96
	buffer_load_dword v121, off, s[0:3], 0 offset:108
	buffer_load_dword v120, off, s[0:3], 0 offset:104
	s_waitcnt vmcnt(2)
	v_fmac_f64_e32 v[112:113], v[116:117], v[118:119]
	ds_read2_b64 v[116:119], v114 offset0:67 offset1:68
	s_waitcnt vmcnt(0) lgkmcnt(0)
	v_fmac_f64_e32 v[112:113], v[120:121], v[116:117]
	buffer_load_dword v117, off, s[0:3], 0 offset:116
	buffer_load_dword v116, off, s[0:3], 0 offset:112
	buffer_load_dword v121, off, s[0:3], 0 offset:124
	buffer_load_dword v120, off, s[0:3], 0 offset:120
	s_waitcnt vmcnt(2)
	v_fmac_f64_e32 v[112:113], v[116:117], v[118:119]
	ds_read2_b64 v[116:119], v114 offset0:69 offset1:70
	s_waitcnt vmcnt(0) lgkmcnt(0)
	v_fmac_f64_e32 v[112:113], v[120:121], v[116:117]
	buffer_load_dword v117, off, s[0:3], 0 offset:132
	buffer_load_dword v116, off, s[0:3], 0 offset:128
	buffer_load_dword v121, off, s[0:3], 0 offset:140
	buffer_load_dword v120, off, s[0:3], 0 offset:136
	s_waitcnt vmcnt(2)
	v_fmac_f64_e32 v[112:113], v[116:117], v[118:119]
	ds_read2_b64 v[116:119], v114 offset0:71 offset1:72
	s_waitcnt vmcnt(0) lgkmcnt(0)
	v_fmac_f64_e32 v[112:113], v[120:121], v[116:117]
	buffer_load_dword v117, off, s[0:3], 0 offset:148
	buffer_load_dword v116, off, s[0:3], 0 offset:144
	buffer_load_dword v121, off, s[0:3], 0 offset:156
	buffer_load_dword v120, off, s[0:3], 0 offset:152
	s_waitcnt vmcnt(2)
	v_fmac_f64_e32 v[112:113], v[116:117], v[118:119]
	ds_read2_b64 v[116:119], v114 offset0:73 offset1:74
	s_waitcnt vmcnt(0) lgkmcnt(0)
	v_fmac_f64_e32 v[112:113], v[120:121], v[116:117]
	buffer_load_dword v117, off, s[0:3], 0 offset:164
	buffer_load_dword v116, off, s[0:3], 0 offset:160
	buffer_load_dword v121, off, s[0:3], 0 offset:172
	buffer_load_dword v120, off, s[0:3], 0 offset:168
	s_waitcnt vmcnt(2)
	v_fmac_f64_e32 v[112:113], v[116:117], v[118:119]
	ds_read2_b64 v[116:119], v114 offset0:75 offset1:76
	s_waitcnt vmcnt(0) lgkmcnt(0)
	v_fmac_f64_e32 v[112:113], v[120:121], v[116:117]
	buffer_load_dword v117, off, s[0:3], 0 offset:180
	buffer_load_dword v116, off, s[0:3], 0 offset:176
	buffer_load_dword v121, off, s[0:3], 0 offset:188
	buffer_load_dword v120, off, s[0:3], 0 offset:184
	s_waitcnt vmcnt(2)
	v_fmac_f64_e32 v[112:113], v[116:117], v[118:119]
	ds_read2_b64 v[116:119], v114 offset0:77 offset1:78
	s_waitcnt vmcnt(0) lgkmcnt(0)
	v_fmac_f64_e32 v[112:113], v[120:121], v[116:117]
	buffer_load_dword v117, off, s[0:3], 0 offset:196
	buffer_load_dword v116, off, s[0:3], 0 offset:192
	buffer_load_dword v121, off, s[0:3], 0 offset:204
	buffer_load_dword v120, off, s[0:3], 0 offset:200
	s_waitcnt vmcnt(2)
	v_fmac_f64_e32 v[112:113], v[116:117], v[118:119]
	ds_read2_b64 v[116:119], v114 offset0:79 offset1:80
	s_waitcnt vmcnt(0) lgkmcnt(0)
	v_fmac_f64_e32 v[112:113], v[120:121], v[116:117]
	buffer_load_dword v117, off, s[0:3], 0 offset:212
	buffer_load_dword v116, off, s[0:3], 0 offset:208
	buffer_load_dword v121, off, s[0:3], 0 offset:220
	buffer_load_dword v120, off, s[0:3], 0 offset:216
	s_waitcnt vmcnt(2)
	v_fmac_f64_e32 v[112:113], v[116:117], v[118:119]
	ds_read2_b64 v[116:119], v114 offset0:81 offset1:82
	s_waitcnt vmcnt(0) lgkmcnt(0)
	v_fmac_f64_e32 v[112:113], v[120:121], v[116:117]
	buffer_load_dword v117, off, s[0:3], 0 offset:228
	buffer_load_dword v116, off, s[0:3], 0 offset:224
	buffer_load_dword v121, off, s[0:3], 0 offset:236
	buffer_load_dword v120, off, s[0:3], 0 offset:232
	s_waitcnt vmcnt(2)
	v_fmac_f64_e32 v[112:113], v[116:117], v[118:119]
	ds_read2_b64 v[116:119], v114 offset0:83 offset1:84
	s_waitcnt vmcnt(0) lgkmcnt(0)
	v_fmac_f64_e32 v[112:113], v[120:121], v[116:117]
	buffer_load_dword v117, off, s[0:3], 0 offset:244
	buffer_load_dword v116, off, s[0:3], 0 offset:240
	buffer_load_dword v121, off, s[0:3], 0 offset:252
	buffer_load_dword v120, off, s[0:3], 0 offset:248
	s_waitcnt vmcnt(2)
	v_fmac_f64_e32 v[112:113], v[116:117], v[118:119]
	ds_read2_b64 v[116:119], v114 offset0:85 offset1:86
	s_waitcnt vmcnt(0) lgkmcnt(0)
	v_fmac_f64_e32 v[112:113], v[120:121], v[116:117]
	buffer_load_dword v117, off, s[0:3], 0 offset:260
	buffer_load_dword v116, off, s[0:3], 0 offset:256
	buffer_load_dword v121, off, s[0:3], 0 offset:268
	buffer_load_dword v120, off, s[0:3], 0 offset:264
	s_waitcnt vmcnt(2)
	v_fmac_f64_e32 v[112:113], v[116:117], v[118:119]
	ds_read2_b64 v[116:119], v114 offset0:87 offset1:88
	s_waitcnt vmcnt(0) lgkmcnt(0)
	v_fmac_f64_e32 v[112:113], v[120:121], v[116:117]
	buffer_load_dword v117, off, s[0:3], 0 offset:276
	buffer_load_dword v116, off, s[0:3], 0 offset:272
	buffer_load_dword v121, off, s[0:3], 0 offset:284
	buffer_load_dword v120, off, s[0:3], 0 offset:280
	s_waitcnt vmcnt(2)
	v_fmac_f64_e32 v[112:113], v[116:117], v[118:119]
	ds_read2_b64 v[116:119], v114 offset0:89 offset1:90
	s_waitcnt vmcnt(0) lgkmcnt(0)
	v_fmac_f64_e32 v[112:113], v[120:121], v[116:117]
	buffer_load_dword v117, off, s[0:3], 0 offset:292
	buffer_load_dword v116, off, s[0:3], 0 offset:288
	buffer_load_dword v121, off, s[0:3], 0 offset:300
	buffer_load_dword v120, off, s[0:3], 0 offset:296
	s_waitcnt vmcnt(2)
	v_fmac_f64_e32 v[112:113], v[116:117], v[118:119]
	ds_read2_b64 v[116:119], v114 offset0:91 offset1:92
	s_waitcnt vmcnt(0) lgkmcnt(0)
	v_fmac_f64_e32 v[112:113], v[120:121], v[116:117]
	buffer_load_dword v117, off, s[0:3], 0 offset:308
	buffer_load_dword v116, off, s[0:3], 0 offset:304
	buffer_load_dword v121, off, s[0:3], 0 offset:316
	buffer_load_dword v120, off, s[0:3], 0 offset:312
	s_waitcnt vmcnt(2)
	v_fmac_f64_e32 v[112:113], v[116:117], v[118:119]
	ds_read2_b64 v[116:119], v114 offset0:93 offset1:94
	s_waitcnt vmcnt(0) lgkmcnt(0)
	v_fmac_f64_e32 v[112:113], v[120:121], v[116:117]
	buffer_load_dword v117, off, s[0:3], 0 offset:324
	buffer_load_dword v116, off, s[0:3], 0 offset:320
	buffer_load_dword v121, off, s[0:3], 0 offset:332
	buffer_load_dword v120, off, s[0:3], 0 offset:328
	s_waitcnt vmcnt(2)
	v_fmac_f64_e32 v[112:113], v[116:117], v[118:119]
	ds_read2_b64 v[116:119], v114 offset0:95 offset1:96
	s_waitcnt vmcnt(0) lgkmcnt(0)
	v_fmac_f64_e32 v[112:113], v[120:121], v[116:117]
	buffer_load_dword v117, off, s[0:3], 0 offset:340
	buffer_load_dword v116, off, s[0:3], 0 offset:336
	buffer_load_dword v121, off, s[0:3], 0 offset:348
	buffer_load_dword v120, off, s[0:3], 0 offset:344
	s_waitcnt vmcnt(2)
	v_fmac_f64_e32 v[112:113], v[116:117], v[118:119]
	ds_read2_b64 v[116:119], v114 offset0:97 offset1:98
	s_waitcnt vmcnt(0) lgkmcnt(0)
	v_fmac_f64_e32 v[112:113], v[120:121], v[116:117]
	buffer_load_dword v117, off, s[0:3], 0 offset:356
	buffer_load_dword v116, off, s[0:3], 0 offset:352
	buffer_load_dword v121, off, s[0:3], 0 offset:364
	buffer_load_dword v120, off, s[0:3], 0 offset:360
	s_waitcnt vmcnt(2)
	v_fmac_f64_e32 v[112:113], v[116:117], v[118:119]
	ds_read2_b64 v[116:119], v114 offset0:99 offset1:100
	s_waitcnt vmcnt(0) lgkmcnt(0)
	v_fmac_f64_e32 v[112:113], v[120:121], v[116:117]
	buffer_load_dword v117, off, s[0:3], 0 offset:372
	buffer_load_dword v116, off, s[0:3], 0 offset:368
	buffer_load_dword v121, off, s[0:3], 0 offset:380
	buffer_load_dword v120, off, s[0:3], 0 offset:376
	s_waitcnt vmcnt(2)
	v_fmac_f64_e32 v[112:113], v[116:117], v[118:119]
	ds_read2_b64 v[116:119], v114 offset0:101 offset1:102
	s_waitcnt vmcnt(0) lgkmcnt(0)
	v_fmac_f64_e32 v[112:113], v[120:121], v[116:117]
	buffer_load_dword v117, off, s[0:3], 0 offset:388
	buffer_load_dword v116, off, s[0:3], 0 offset:384
	buffer_load_dword v121, off, s[0:3], 0 offset:396
	buffer_load_dword v120, off, s[0:3], 0 offset:392
	s_waitcnt vmcnt(2)
	v_fmac_f64_e32 v[112:113], v[116:117], v[118:119]
	ds_read2_b64 v[116:119], v114 offset0:103 offset1:104
	s_waitcnt vmcnt(0) lgkmcnt(0)
	v_fmac_f64_e32 v[112:113], v[120:121], v[116:117]
	buffer_load_dword v117, off, s[0:3], 0 offset:404
	buffer_load_dword v116, off, s[0:3], 0 offset:400
	buffer_load_dword v121, off, s[0:3], 0 offset:412
	buffer_load_dword v120, off, s[0:3], 0 offset:408
	s_waitcnt vmcnt(2)
	v_fmac_f64_e32 v[112:113], v[116:117], v[118:119]
	ds_read2_b64 v[116:119], v114 offset0:105 offset1:106
	s_waitcnt vmcnt(0) lgkmcnt(0)
	v_fmac_f64_e32 v[112:113], v[120:121], v[116:117]
	buffer_load_dword v117, off, s[0:3], 0 offset:420
	buffer_load_dword v116, off, s[0:3], 0 offset:416
	s_waitcnt vmcnt(0)
	v_fmac_f64_e32 v[112:113], v[116:117], v[118:119]
	buffer_load_dword v117, off, s[0:3], 0 offset:428
	buffer_load_dword v116, off, s[0:3], 0 offset:424
	ds_read_b64 v[118:119], v114 offset:856
	s_waitcnt vmcnt(0) lgkmcnt(0)
	v_fmac_f64_e32 v[112:113], v[116:117], v[118:119]
	v_add_f64 v[110:111], v[110:111], -v[112:113]
	buffer_store_dword v111, off, s[0:3], 0 offset:36
	buffer_store_dword v110, off, s[0:3], 0 offset:32
	s_and_saveexec_b64 s[4:5], vcc
	s_cbranch_execz .LBB117_325
; %bb.324:
	buffer_load_dword v110, off, s[0:3], 0 offset:24
	buffer_load_dword v111, off, s[0:3], 0 offset:28
	s_waitcnt vmcnt(0)
	ds_write_b64 v1, v[110:111]
	buffer_store_dword v114, off, s[0:3], 0 offset:24
	buffer_store_dword v114, off, s[0:3], 0 offset:28
.LBB117_325:
	s_or_b64 exec, exec, s[4:5]
	s_waitcnt lgkmcnt(0)
	; wave barrier
	s_waitcnt lgkmcnt(0)
	buffer_load_dword v110, off, s[0:3], 0 offset:24
	buffer_load_dword v111, off, s[0:3], 0 offset:28
	;; [unrolled: 1-line block ×16, first 2 shown]
	ds_read_b128 v[116:119], v114 offset:464
	v_cmp_lt_u32_e32 vcc, 2, v0
	s_waitcnt vmcnt(12) lgkmcnt(0)
	v_fma_f64 v[112:113], v[112:113], v[116:117], 0
	s_waitcnt vmcnt(10)
	v_fmac_f64_e32 v[112:113], v[120:121], v[118:119]
	ds_read_b128 v[116:119], v114 offset:480
	s_waitcnt vmcnt(8) lgkmcnt(0)
	v_fmac_f64_e32 v[112:113], v[122:123], v[116:117]
	s_waitcnt vmcnt(6)
	v_fmac_f64_e32 v[112:113], v[124:125], v[118:119]
	ds_read_b128 v[116:119], v114 offset:496
	s_waitcnt vmcnt(4) lgkmcnt(0)
	v_fmac_f64_e32 v[112:113], v[126:127], v[116:117]
	;; [unrolled: 5-line block ×3, first 2 shown]
	buffer_load_dword v117, off, s[0:3], 0 offset:92
	buffer_load_dword v116, off, s[0:3], 0 offset:88
	buffer_load_dword v121, off, s[0:3], 0 offset:100
	buffer_load_dword v120, off, s[0:3], 0 offset:96
	s_waitcnt vmcnt(2)
	v_fmac_f64_e32 v[112:113], v[116:117], v[118:119]
	ds_read_b128 v[116:119], v114 offset:528
	s_waitcnt vmcnt(0) lgkmcnt(0)
	v_fmac_f64_e32 v[112:113], v[120:121], v[116:117]
	buffer_load_dword v117, off, s[0:3], 0 offset:108
	buffer_load_dword v116, off, s[0:3], 0 offset:104
	buffer_load_dword v121, off, s[0:3], 0 offset:116
	buffer_load_dword v120, off, s[0:3], 0 offset:112
	s_waitcnt vmcnt(2)
	v_fmac_f64_e32 v[112:113], v[116:117], v[118:119]
	ds_read_b128 v[116:119], v114 offset:544
	s_waitcnt vmcnt(0) lgkmcnt(0)
	v_fmac_f64_e32 v[112:113], v[120:121], v[116:117]
	;; [unrolled: 9-line block ×20, first 2 shown]
	buffer_load_dword v117, off, s[0:3], 0 offset:412
	buffer_load_dword v116, off, s[0:3], 0 offset:408
	s_waitcnt vmcnt(0)
	v_fmac_f64_e32 v[112:113], v[116:117], v[118:119]
	buffer_load_dword v119, off, s[0:3], 0 offset:420
	buffer_load_dword v118, off, s[0:3], 0 offset:416
	ds_read_b128 v[114:117], v114 offset:848
	s_waitcnt vmcnt(0) lgkmcnt(0)
	v_fmac_f64_e32 v[112:113], v[118:119], v[114:115]
	buffer_load_dword v115, off, s[0:3], 0 offset:428
	buffer_load_dword v114, off, s[0:3], 0 offset:424
	s_waitcnt vmcnt(0)
	v_fmac_f64_e32 v[112:113], v[114:115], v[116:117]
	v_add_f64 v[110:111], v[110:111], -v[112:113]
	buffer_store_dword v111, off, s[0:3], 0 offset:28
	buffer_store_dword v110, off, s[0:3], 0 offset:24
	s_and_saveexec_b64 s[4:5], vcc
	s_cbranch_execz .LBB117_327
; %bb.326:
	buffer_load_dword v110, off, s[0:3], 0 offset:16
	buffer_load_dword v111, off, s[0:3], 0 offset:20
	v_mov_b32_e32 v112, 0
	buffer_store_dword v112, off, s[0:3], 0 offset:16
	buffer_store_dword v112, off, s[0:3], 0 offset:20
	s_waitcnt vmcnt(2)
	ds_write_b64 v1, v[110:111]
.LBB117_327:
	s_or_b64 exec, exec, s[4:5]
	s_waitcnt lgkmcnt(0)
	; wave barrier
	s_waitcnt lgkmcnt(0)
	buffer_load_dword v110, off, s[0:3], 0 offset:16
	buffer_load_dword v111, off, s[0:3], 0 offset:20
	;; [unrolled: 1-line block ×16, first 2 shown]
	v_mov_b32_e32 v114, 0
	ds_read2_b64 v[116:119], v114 offset0:57 offset1:58
	v_cmp_lt_u32_e32 vcc, 1, v0
	s_waitcnt vmcnt(12) lgkmcnt(0)
	v_fma_f64 v[112:113], v[112:113], v[116:117], 0
	s_waitcnt vmcnt(10)
	v_fmac_f64_e32 v[112:113], v[120:121], v[118:119]
	ds_read2_b64 v[116:119], v114 offset0:59 offset1:60
	s_waitcnt vmcnt(8) lgkmcnt(0)
	v_fmac_f64_e32 v[112:113], v[122:123], v[116:117]
	s_waitcnt vmcnt(6)
	v_fmac_f64_e32 v[112:113], v[124:125], v[118:119]
	ds_read2_b64 v[116:119], v114 offset0:61 offset1:62
	s_waitcnt vmcnt(4) lgkmcnt(0)
	v_fmac_f64_e32 v[112:113], v[126:127], v[116:117]
	;; [unrolled: 5-line block ×3, first 2 shown]
	buffer_load_dword v117, off, s[0:3], 0 offset:84
	buffer_load_dword v116, off, s[0:3], 0 offset:80
	buffer_load_dword v121, off, s[0:3], 0 offset:92
	buffer_load_dword v120, off, s[0:3], 0 offset:88
	s_waitcnt vmcnt(2)
	v_fmac_f64_e32 v[112:113], v[116:117], v[118:119]
	ds_read2_b64 v[116:119], v114 offset0:65 offset1:66
	s_waitcnt vmcnt(0) lgkmcnt(0)
	v_fmac_f64_e32 v[112:113], v[120:121], v[116:117]
	buffer_load_dword v117, off, s[0:3], 0 offset:100
	buffer_load_dword v116, off, s[0:3], 0 offset:96
	buffer_load_dword v121, off, s[0:3], 0 offset:108
	buffer_load_dword v120, off, s[0:3], 0 offset:104
	s_waitcnt vmcnt(2)
	v_fmac_f64_e32 v[112:113], v[116:117], v[118:119]
	ds_read2_b64 v[116:119], v114 offset0:67 offset1:68
	s_waitcnt vmcnt(0) lgkmcnt(0)
	v_fmac_f64_e32 v[112:113], v[120:121], v[116:117]
	;; [unrolled: 9-line block ×21, first 2 shown]
	buffer_load_dword v117, off, s[0:3], 0 offset:420
	buffer_load_dword v116, off, s[0:3], 0 offset:416
	s_waitcnt vmcnt(0)
	v_fmac_f64_e32 v[112:113], v[116:117], v[118:119]
	buffer_load_dword v117, off, s[0:3], 0 offset:428
	buffer_load_dword v116, off, s[0:3], 0 offset:424
	ds_read_b64 v[118:119], v114 offset:856
	s_waitcnt vmcnt(0) lgkmcnt(0)
	v_fmac_f64_e32 v[112:113], v[116:117], v[118:119]
	v_add_f64 v[110:111], v[110:111], -v[112:113]
	buffer_store_dword v111, off, s[0:3], 0 offset:20
	buffer_store_dword v110, off, s[0:3], 0 offset:16
	s_and_saveexec_b64 s[4:5], vcc
	s_cbranch_execz .LBB117_329
; %bb.328:
	buffer_load_dword v110, off, s[0:3], 0 offset:8
	buffer_load_dword v111, off, s[0:3], 0 offset:12
	s_waitcnt vmcnt(0)
	ds_write_b64 v1, v[110:111]
	buffer_store_dword v114, off, s[0:3], 0 offset:8
	buffer_store_dword v114, off, s[0:3], 0 offset:12
.LBB117_329:
	s_or_b64 exec, exec, s[4:5]
	s_waitcnt lgkmcnt(0)
	; wave barrier
	s_waitcnt lgkmcnt(0)
	buffer_load_dword v110, off, s[0:3], 0 offset:8
	buffer_load_dword v111, off, s[0:3], 0 offset:12
	;; [unrolled: 1-line block ×16, first 2 shown]
	ds_read_b128 v[116:119], v114 offset:448
	v_cmp_ne_u32_e32 vcc, 0, v0
	s_waitcnt vmcnt(12) lgkmcnt(0)
	v_fma_f64 v[112:113], v[112:113], v[116:117], 0
	s_waitcnt vmcnt(10)
	v_fmac_f64_e32 v[112:113], v[120:121], v[118:119]
	ds_read_b128 v[116:119], v114 offset:464
	s_waitcnt vmcnt(8) lgkmcnt(0)
	v_fmac_f64_e32 v[112:113], v[122:123], v[116:117]
	s_waitcnt vmcnt(6)
	v_fmac_f64_e32 v[112:113], v[124:125], v[118:119]
	ds_read_b128 v[116:119], v114 offset:480
	s_waitcnt vmcnt(4) lgkmcnt(0)
	v_fmac_f64_e32 v[112:113], v[126:127], v[116:117]
	;; [unrolled: 5-line block ×3, first 2 shown]
	buffer_load_dword v117, off, s[0:3], 0 offset:76
	buffer_load_dword v116, off, s[0:3], 0 offset:72
	buffer_load_dword v121, off, s[0:3], 0 offset:84
	buffer_load_dword v120, off, s[0:3], 0 offset:80
	s_waitcnt vmcnt(2)
	v_fmac_f64_e32 v[112:113], v[116:117], v[118:119]
	ds_read_b128 v[116:119], v114 offset:512
	s_waitcnt vmcnt(0) lgkmcnt(0)
	v_fmac_f64_e32 v[112:113], v[120:121], v[116:117]
	buffer_load_dword v117, off, s[0:3], 0 offset:92
	buffer_load_dword v116, off, s[0:3], 0 offset:88
	buffer_load_dword v121, off, s[0:3], 0 offset:100
	buffer_load_dword v120, off, s[0:3], 0 offset:96
	s_waitcnt vmcnt(2)
	v_fmac_f64_e32 v[112:113], v[116:117], v[118:119]
	ds_read_b128 v[116:119], v114 offset:528
	s_waitcnt vmcnt(0) lgkmcnt(0)
	v_fmac_f64_e32 v[112:113], v[120:121], v[116:117]
	;; [unrolled: 9-line block ×21, first 2 shown]
	buffer_load_dword v117, off, s[0:3], 0 offset:412
	buffer_load_dword v116, off, s[0:3], 0 offset:408
	s_waitcnt vmcnt(0)
	v_fmac_f64_e32 v[112:113], v[116:117], v[118:119]
	buffer_load_dword v119, off, s[0:3], 0 offset:420
	buffer_load_dword v118, off, s[0:3], 0 offset:416
	ds_read_b128 v[114:117], v114 offset:848
	s_waitcnt vmcnt(0) lgkmcnt(0)
	v_fmac_f64_e32 v[112:113], v[118:119], v[114:115]
	buffer_load_dword v115, off, s[0:3], 0 offset:428
	buffer_load_dword v114, off, s[0:3], 0 offset:424
	s_waitcnt vmcnt(0)
	v_fmac_f64_e32 v[112:113], v[114:115], v[116:117]
	v_add_f64 v[110:111], v[110:111], -v[112:113]
	buffer_store_dword v111, off, s[0:3], 0 offset:12
	buffer_store_dword v110, off, s[0:3], 0 offset:8
	s_and_saveexec_b64 s[4:5], vcc
	s_cbranch_execz .LBB117_331
; %bb.330:
	buffer_load_dword v110, off, s[0:3], 0
	buffer_load_dword v111, off, s[0:3], 0 offset:4
	v_mov_b32_e32 v0, 0
	buffer_store_dword v0, off, s[0:3], 0
	buffer_store_dword v0, off, s[0:3], 0 offset:4
	s_waitcnt vmcnt(2)
	ds_write_b64 v1, v[110:111]
.LBB117_331:
	s_or_b64 exec, exec, s[4:5]
	s_waitcnt lgkmcnt(0)
	; wave barrier
	s_waitcnt lgkmcnt(0)
	buffer_load_dword v0, off, s[0:3], 0
	buffer_load_dword v1, off, s[0:3], 0 offset:4
	buffer_load_dword v116, off, s[0:3], 0 offset:8
	;; [unrolled: 1-line block ×15, first 2 shown]
	v_mov_b32_e32 v114, 0
	ds_read2_b64 v[110:113], v114 offset0:55 offset1:56
	s_and_b64 vcc, exec, s[16:17]
	s_waitcnt vmcnt(12) lgkmcnt(0)
	v_fma_f64 v[110:111], v[116:117], v[110:111], 0
	s_waitcnt vmcnt(10)
	v_fmac_f64_e32 v[110:111], v[118:119], v[112:113]
	ds_read2_b64 v[116:119], v114 offset0:57 offset1:58
	s_waitcnt vmcnt(8) lgkmcnt(0)
	v_fmac_f64_e32 v[110:111], v[120:121], v[116:117]
	s_waitcnt vmcnt(6)
	v_fmac_f64_e32 v[110:111], v[122:123], v[118:119]
	ds_read2_b64 v[116:119], v114 offset0:59 offset1:60
	s_waitcnt vmcnt(4) lgkmcnt(0)
	v_fmac_f64_e32 v[110:111], v[124:125], v[116:117]
	s_waitcnt vmcnt(2)
	v_fmac_f64_e32 v[110:111], v[126:127], v[118:119]
	ds_read2_b64 v[116:119], v114 offset0:61 offset1:62
	buffer_load_dword v113, off, s[0:3], 0 offset:68
	buffer_load_dword v112, off, s[0:3], 0 offset:64
	s_waitcnt vmcnt(2) lgkmcnt(0)
	v_fmac_f64_e32 v[110:111], v[128:129], v[116:117]
	s_waitcnt vmcnt(0)
	v_fmac_f64_e32 v[110:111], v[112:113], v[118:119]
	buffer_load_dword v113, off, s[0:3], 0 offset:76
	buffer_load_dword v112, off, s[0:3], 0 offset:72
	ds_read2_b64 v[116:119], v114 offset0:63 offset1:64
	s_waitcnt vmcnt(0) lgkmcnt(0)
	v_fmac_f64_e32 v[110:111], v[112:113], v[116:117]
	buffer_load_dword v113, off, s[0:3], 0 offset:84
	buffer_load_dword v112, off, s[0:3], 0 offset:80
	s_waitcnt vmcnt(0)
	v_fmac_f64_e32 v[110:111], v[112:113], v[118:119]
	buffer_load_dword v113, off, s[0:3], 0 offset:92
	buffer_load_dword v112, off, s[0:3], 0 offset:88
	ds_read2_b64 v[116:119], v114 offset0:65 offset1:66
	s_waitcnt vmcnt(0) lgkmcnt(0)
	v_fmac_f64_e32 v[110:111], v[112:113], v[116:117]
	buffer_load_dword v113, off, s[0:3], 0 offset:100
	buffer_load_dword v112, off, s[0:3], 0 offset:96
	;; [unrolled: 9-line block ×22, first 2 shown]
	buffer_load_dword v117, off, s[0:3], 0 offset:428
	buffer_load_dword v116, off, s[0:3], 0 offset:424
	ds_read_b64 v[114:115], v114 offset:856
	s_waitcnt vmcnt(2)
	v_fmac_f64_e32 v[110:111], v[112:113], v[118:119]
	s_waitcnt vmcnt(0) lgkmcnt(0)
	v_fmac_f64_e32 v[110:111], v[116:117], v[114:115]
	v_add_f64 v[0:1], v[0:1], -v[110:111]
	buffer_store_dword v1, off, s[0:3], 0 offset:4
	buffer_store_dword v0, off, s[0:3], 0
	s_cbranch_vccz .LBB117_439
; %bb.332:
	v_pk_mov_b32 v[0:1], s[10:11], s[10:11] op_sel:[0,1]
	flat_load_dword v0, v[0:1] offset:208
	s_waitcnt vmcnt(0) lgkmcnt(0)
	v_add_u32_e32 v0, -1, v0
	v_cmp_ne_u32_e32 vcc, 52, v0
	s_and_saveexec_b64 s[4:5], vcc
	s_cbranch_execz .LBB117_334
; %bb.333:
	v_mov_b32_e32 v1, 0
	v_lshl_add_u32 v0, v0, 3, v1
	buffer_load_dword v1, v0, s[0:3], 0 offen offset:4
	buffer_load_dword v110, v0, s[0:3], 0 offen
	s_waitcnt vmcnt(1)
	buffer_store_dword v1, off, s[0:3], 0 offset:420
	s_waitcnt vmcnt(1)
	buffer_store_dword v110, off, s[0:3], 0 offset:416
	buffer_store_dword v113, v0, s[0:3], 0 offen offset:4
	buffer_store_dword v112, v0, s[0:3], 0 offen
.LBB117_334:
	s_or_b64 exec, exec, s[4:5]
	v_pk_mov_b32 v[0:1], s[10:11], s[10:11] op_sel:[0,1]
	flat_load_dword v0, v[0:1] offset:204
	s_waitcnt vmcnt(0) lgkmcnt(0)
	v_add_u32_e32 v0, -1, v0
	v_cmp_ne_u32_e32 vcc, 51, v0
	s_and_saveexec_b64 s[4:5], vcc
	s_cbranch_execz .LBB117_336
; %bb.335:
	v_mov_b32_e32 v1, 0
	v_lshl_add_u32 v0, v0, 3, v1
	buffer_load_dword v1, v0, s[0:3], 0 offen
	buffer_load_dword v110, v0, s[0:3], 0 offen offset:4
	buffer_load_dword v111, off, s[0:3], 0 offset:408
	buffer_load_dword v112, off, s[0:3], 0 offset:412
	s_waitcnt vmcnt(3)
	buffer_store_dword v1, off, s[0:3], 0 offset:408
	s_waitcnt vmcnt(3)
	buffer_store_dword v110, off, s[0:3], 0 offset:412
	s_waitcnt vmcnt(3)
	buffer_store_dword v111, v0, s[0:3], 0 offen
	s_waitcnt vmcnt(3)
	buffer_store_dword v112, v0, s[0:3], 0 offen offset:4
.LBB117_336:
	s_or_b64 exec, exec, s[4:5]
	v_pk_mov_b32 v[0:1], s[10:11], s[10:11] op_sel:[0,1]
	flat_load_dword v0, v[0:1] offset:200
	s_waitcnt vmcnt(0) lgkmcnt(0)
	v_add_u32_e32 v0, -1, v0
	v_cmp_ne_u32_e32 vcc, 50, v0
	s_and_saveexec_b64 s[4:5], vcc
	s_cbranch_execz .LBB117_338
; %bb.337:
	v_mov_b32_e32 v1, 0
	v_lshl_add_u32 v0, v0, 3, v1
	buffer_load_dword v1, v0, s[0:3], 0 offen
	buffer_load_dword v110, v0, s[0:3], 0 offen offset:4
	buffer_load_dword v111, off, s[0:3], 0 offset:404
	buffer_load_dword v112, off, s[0:3], 0 offset:400
	s_waitcnt vmcnt(3)
	buffer_store_dword v1, off, s[0:3], 0 offset:400
	s_waitcnt vmcnt(3)
	buffer_store_dword v110, off, s[0:3], 0 offset:404
	s_waitcnt vmcnt(3)
	buffer_store_dword v111, v0, s[0:3], 0 offen offset:4
	s_waitcnt vmcnt(3)
	buffer_store_dword v112, v0, s[0:3], 0 offen
.LBB117_338:
	s_or_b64 exec, exec, s[4:5]
	v_pk_mov_b32 v[0:1], s[10:11], s[10:11] op_sel:[0,1]
	flat_load_dword v0, v[0:1] offset:196
	s_waitcnt vmcnt(0) lgkmcnt(0)
	v_add_u32_e32 v0, -1, v0
	v_cmp_ne_u32_e32 vcc, 49, v0
	s_and_saveexec_b64 s[4:5], vcc
	s_cbranch_execz .LBB117_340
; %bb.339:
	v_mov_b32_e32 v1, 0
	v_lshl_add_u32 v0, v0, 3, v1
	buffer_load_dword v1, v0, s[0:3], 0 offen
	buffer_load_dword v110, v0, s[0:3], 0 offen offset:4
	buffer_load_dword v111, off, s[0:3], 0 offset:392
	buffer_load_dword v112, off, s[0:3], 0 offset:396
	s_waitcnt vmcnt(3)
	buffer_store_dword v1, off, s[0:3], 0 offset:392
	s_waitcnt vmcnt(3)
	buffer_store_dword v110, off, s[0:3], 0 offset:396
	s_waitcnt vmcnt(3)
	buffer_store_dword v111, v0, s[0:3], 0 offen
	s_waitcnt vmcnt(3)
	buffer_store_dword v112, v0, s[0:3], 0 offen offset:4
.LBB117_340:
	s_or_b64 exec, exec, s[4:5]
	v_pk_mov_b32 v[0:1], s[10:11], s[10:11] op_sel:[0,1]
	flat_load_dword v0, v[0:1] offset:192
	s_waitcnt vmcnt(0) lgkmcnt(0)
	v_add_u32_e32 v0, -1, v0
	v_cmp_ne_u32_e32 vcc, 48, v0
	s_and_saveexec_b64 s[4:5], vcc
	s_cbranch_execz .LBB117_342
; %bb.341:
	v_mov_b32_e32 v1, 0
	v_lshl_add_u32 v0, v0, 3, v1
	buffer_load_dword v1, v0, s[0:3], 0 offen
	buffer_load_dword v110, v0, s[0:3], 0 offen offset:4
	buffer_load_dword v111, off, s[0:3], 0 offset:388
	buffer_load_dword v112, off, s[0:3], 0 offset:384
	s_waitcnt vmcnt(3)
	buffer_store_dword v1, off, s[0:3], 0 offset:384
	s_waitcnt vmcnt(3)
	buffer_store_dword v110, off, s[0:3], 0 offset:388
	s_waitcnt vmcnt(3)
	buffer_store_dword v111, v0, s[0:3], 0 offen offset:4
	s_waitcnt vmcnt(3)
	buffer_store_dword v112, v0, s[0:3], 0 offen
.LBB117_342:
	;; [unrolled: 48-line block ×25, first 2 shown]
	s_or_b64 exec, exec, s[4:5]
	v_pk_mov_b32 v[0:1], s[10:11], s[10:11] op_sel:[0,1]
	flat_load_dword v0, v[0:1] offset:4
	s_waitcnt vmcnt(0) lgkmcnt(0)
	v_add_u32_e32 v0, -1, v0
	v_cmp_ne_u32_e32 vcc, 1, v0
	s_and_saveexec_b64 s[4:5], vcc
	s_cbranch_execz .LBB117_436
; %bb.435:
	v_mov_b32_e32 v1, 0
	v_lshl_add_u32 v0, v0, 3, v1
	buffer_load_dword v1, v0, s[0:3], 0 offen
	buffer_load_dword v110, v0, s[0:3], 0 offen offset:4
	buffer_load_dword v111, off, s[0:3], 0 offset:8
	buffer_load_dword v112, off, s[0:3], 0 offset:12
	s_waitcnt vmcnt(3)
	buffer_store_dword v1, off, s[0:3], 0 offset:8
	s_waitcnt vmcnt(3)
	buffer_store_dword v110, off, s[0:3], 0 offset:12
	s_waitcnt vmcnt(3)
	buffer_store_dword v111, v0, s[0:3], 0 offen
	s_waitcnt vmcnt(3)
	buffer_store_dword v112, v0, s[0:3], 0 offen offset:4
.LBB117_436:
	s_or_b64 exec, exec, s[4:5]
	v_pk_mov_b32 v[0:1], s[10:11], s[10:11] op_sel:[0,1]
	flat_load_dword v110, v[0:1]
	s_nop 0
	buffer_load_dword v0, off, s[0:3], 0
	buffer_load_dword v1, off, s[0:3], 0 offset:4
	s_waitcnt vmcnt(0) lgkmcnt(0)
	v_add_u32_e32 v110, -1, v110
	v_cmp_ne_u32_e32 vcc, 0, v110
	s_and_saveexec_b64 s[4:5], vcc
	s_cbranch_execz .LBB117_438
; %bb.437:
	v_mov_b32_e32 v111, 0
	v_lshl_add_u32 v110, v110, 3, v111
	buffer_load_dword v111, v110, s[0:3], 0 offen offset:4
	buffer_load_dword v112, v110, s[0:3], 0 offen
	s_waitcnt vmcnt(1)
	buffer_store_dword v111, off, s[0:3], 0 offset:4
	s_waitcnt vmcnt(1)
	buffer_store_dword v112, off, s[0:3], 0
	buffer_store_dword v1, v110, s[0:3], 0 offen offset:4
	buffer_store_dword v0, v110, s[0:3], 0 offen
	buffer_load_dword v0, off, s[0:3], 0
	s_nop 0
	buffer_load_dword v1, off, s[0:3], 0 offset:4
.LBB117_438:
	s_or_b64 exec, exec, s[4:5]
.LBB117_439:
	s_waitcnt vmcnt(0)
	global_store_dwordx2 v[108:109], v[0:1], off
	buffer_load_dword v0, off, s[0:3], 0 offset:8
	s_nop 0
	buffer_load_dword v1, off, s[0:3], 0 offset:12
	buffer_load_dword v108, off, s[0:3], 0 offset:16
	;; [unrolled: 1-line block ×15, first 2 shown]
	s_waitcnt vmcnt(14)
	global_store_dwordx2 v[106:107], v[0:1], off
	s_waitcnt vmcnt(13)
	global_store_dwordx2 v[2:3], v[108:109], off
	;; [unrolled: 2-line block ×8, first 2 shown]
	buffer_load_dword v0, off, s[0:3], 0 offset:72
	buffer_load_dword v1, off, s[0:3], 0 offset:76
	s_waitcnt vmcnt(0)
	global_store_dwordx2 v[14:15], v[0:1], off
	buffer_load_dword v0, off, s[0:3], 0 offset:80
	s_nop 0
	buffer_load_dword v1, off, s[0:3], 0 offset:84
	s_waitcnt vmcnt(0)
	global_store_dwordx2 v[16:17], v[0:1], off
	buffer_load_dword v0, off, s[0:3], 0 offset:88
	s_nop 0
	;; [unrolled: 5-line block ×44, first 2 shown]
	buffer_load_dword v1, off, s[0:3], 0 offset:428
	s_waitcnt vmcnt(0)
	global_store_dwordx2 v[94:95], v[0:1], off
	s_endpgm
	.section	.rodata,"a",@progbits
	.p2align	6, 0x0
	.amdhsa_kernel _ZN9rocsolver6v33100L18getri_kernel_smallILi54EdPKPdEEvT1_iilPiilS6_bb
		.amdhsa_group_segment_fixed_size 872
		.amdhsa_private_segment_fixed_size 448
		.amdhsa_kernarg_size 60
		.amdhsa_user_sgpr_count 8
		.amdhsa_user_sgpr_private_segment_buffer 1
		.amdhsa_user_sgpr_dispatch_ptr 0
		.amdhsa_user_sgpr_queue_ptr 0
		.amdhsa_user_sgpr_kernarg_segment_ptr 1
		.amdhsa_user_sgpr_dispatch_id 0
		.amdhsa_user_sgpr_flat_scratch_init 1
		.amdhsa_user_sgpr_kernarg_preload_length 0
		.amdhsa_user_sgpr_kernarg_preload_offset 0
		.amdhsa_user_sgpr_private_segment_size 0
		.amdhsa_uses_dynamic_stack 0
		.amdhsa_system_sgpr_private_segment_wavefront_offset 1
		.amdhsa_system_sgpr_workgroup_id_x 1
		.amdhsa_system_sgpr_workgroup_id_y 0
		.amdhsa_system_sgpr_workgroup_id_z 0
		.amdhsa_system_sgpr_workgroup_info 0
		.amdhsa_system_vgpr_workitem_id 0
		.amdhsa_next_free_vgpr 166
		.amdhsa_next_free_sgpr 22
		.amdhsa_accum_offset 168
		.amdhsa_reserve_vcc 1
		.amdhsa_reserve_flat_scratch 1
		.amdhsa_float_round_mode_32 0
		.amdhsa_float_round_mode_16_64 0
		.amdhsa_float_denorm_mode_32 3
		.amdhsa_float_denorm_mode_16_64 3
		.amdhsa_dx10_clamp 1
		.amdhsa_ieee_mode 1
		.amdhsa_fp16_overflow 0
		.amdhsa_tg_split 0
		.amdhsa_exception_fp_ieee_invalid_op 0
		.amdhsa_exception_fp_denorm_src 0
		.amdhsa_exception_fp_ieee_div_zero 0
		.amdhsa_exception_fp_ieee_overflow 0
		.amdhsa_exception_fp_ieee_underflow 0
		.amdhsa_exception_fp_ieee_inexact 0
		.amdhsa_exception_int_div_zero 0
	.end_amdhsa_kernel
	.section	.text._ZN9rocsolver6v33100L18getri_kernel_smallILi54EdPKPdEEvT1_iilPiilS6_bb,"axG",@progbits,_ZN9rocsolver6v33100L18getri_kernel_smallILi54EdPKPdEEvT1_iilPiilS6_bb,comdat
.Lfunc_end117:
	.size	_ZN9rocsolver6v33100L18getri_kernel_smallILi54EdPKPdEEvT1_iilPiilS6_bb, .Lfunc_end117-_ZN9rocsolver6v33100L18getri_kernel_smallILi54EdPKPdEEvT1_iilPiilS6_bb
                                        ; -- End function
	.section	.AMDGPU.csdata,"",@progbits
; Kernel info:
; codeLenInByte = 68432
; NumSgprs: 28
; NumVgprs: 166
; NumAgprs: 0
; TotalNumVgprs: 166
; ScratchSize: 448
; MemoryBound: 1
; FloatMode: 240
; IeeeMode: 1
; LDSByteSize: 872 bytes/workgroup (compile time only)
; SGPRBlocks: 3
; VGPRBlocks: 20
; NumSGPRsForWavesPerEU: 28
; NumVGPRsForWavesPerEU: 166
; AccumOffset: 168
; Occupancy: 3
; WaveLimiterHint : 1
; COMPUTE_PGM_RSRC2:SCRATCH_EN: 1
; COMPUTE_PGM_RSRC2:USER_SGPR: 8
; COMPUTE_PGM_RSRC2:TRAP_HANDLER: 0
; COMPUTE_PGM_RSRC2:TGID_X_EN: 1
; COMPUTE_PGM_RSRC2:TGID_Y_EN: 0
; COMPUTE_PGM_RSRC2:TGID_Z_EN: 0
; COMPUTE_PGM_RSRC2:TIDIG_COMP_CNT: 0
; COMPUTE_PGM_RSRC3_GFX90A:ACCUM_OFFSET: 41
; COMPUTE_PGM_RSRC3_GFX90A:TG_SPLIT: 0
	.section	.text._ZN9rocsolver6v33100L18getri_kernel_smallILi55EdPKPdEEvT1_iilPiilS6_bb,"axG",@progbits,_ZN9rocsolver6v33100L18getri_kernel_smallILi55EdPKPdEEvT1_iilPiilS6_bb,comdat
	.globl	_ZN9rocsolver6v33100L18getri_kernel_smallILi55EdPKPdEEvT1_iilPiilS6_bb ; -- Begin function _ZN9rocsolver6v33100L18getri_kernel_smallILi55EdPKPdEEvT1_iilPiilS6_bb
	.p2align	8
	.type	_ZN9rocsolver6v33100L18getri_kernel_smallILi55EdPKPdEEvT1_iilPiilS6_bb,@function
_ZN9rocsolver6v33100L18getri_kernel_smallILi55EdPKPdEEvT1_iilPiilS6_bb: ; @_ZN9rocsolver6v33100L18getri_kernel_smallILi55EdPKPdEEvT1_iilPiilS6_bb
; %bb.0:
	s_add_u32 flat_scratch_lo, s6, s9
	s_addc_u32 flat_scratch_hi, s7, 0
	s_add_u32 s0, s0, s9
	s_addc_u32 s1, s1, 0
	v_cmp_gt_u32_e32 vcc, 55, v0
	s_and_saveexec_b64 s[6:7], vcc
	s_cbranch_execz .LBB118_228
; %bb.1:
	s_load_dword s20, s[4:5], 0x38
	s_load_dwordx2 s[6:7], s[4:5], 0x0
	s_load_dwordx4 s[12:15], s[4:5], 0x28
	s_waitcnt lgkmcnt(0)
	s_bitcmp1_b32 s20, 8
	s_cselect_b64 s[16:17], -1, 0
	s_ashr_i32 s9, s8, 31
	s_lshl_b64 s[10:11], s[8:9], 3
	s_add_u32 s6, s6, s10
	s_addc_u32 s7, s7, s11
	s_load_dwordx2 s[18:19], s[6:7], 0x0
	s_bfe_u32 s6, s20, 0x10008
	s_cmp_eq_u32 s6, 0
                                        ; implicit-def: $sgpr10_sgpr11
	s_cbranch_scc1 .LBB118_3
; %bb.2:
	s_load_dword s6, s[4:5], 0x20
	s_load_dwordx2 s[10:11], s[4:5], 0x18
	s_mul_i32 s7, s8, s13
	s_mul_hi_u32 s13, s8, s12
	s_add_i32 s13, s13, s7
	s_mul_i32 s21, s9, s12
	s_add_i32 s13, s13, s21
	s_mul_i32 s12, s8, s12
	s_waitcnt lgkmcnt(0)
	s_ashr_i32 s7, s6, 31
	s_lshl_b64 s[12:13], s[12:13], 2
	s_add_u32 s10, s10, s12
	s_addc_u32 s11, s11, s13
	s_lshl_b64 s[6:7], s[6:7], 2
	s_add_u32 s10, s10, s6
	s_addc_u32 s11, s11, s7
.LBB118_3:
	s_load_dwordx2 s[6:7], s[4:5], 0x8
	s_waitcnt lgkmcnt(0)
	s_ashr_i32 s5, s6, 31
	s_mov_b32 s4, s6
	s_lshl_b64 s[4:5], s[4:5], 3
	s_add_u32 s4, s18, s4
	s_addc_u32 s5, s19, s5
	s_add_i32 s6, s7, s7
	v_add_u32_e32 v4, s6, v0
	v_ashrrev_i32_e32 v5, 31, v4
	v_lshlrev_b64 v[2:3], 3, v[4:5]
	v_add_u32_e32 v6, s7, v4
	v_mov_b32_e32 v1, s5
	v_add_co_u32_e32 v2, vcc, s4, v2
	v_ashrrev_i32_e32 v7, 31, v6
	v_addc_co_u32_e32 v3, vcc, v1, v3, vcc
	v_lshlrev_b64 v[4:5], 3, v[6:7]
	v_add_u32_e32 v8, s7, v6
	v_add_co_u32_e32 v4, vcc, s4, v4
	v_ashrrev_i32_e32 v9, 31, v8
	v_addc_co_u32_e32 v5, vcc, v1, v5, vcc
	v_lshlrev_b64 v[6:7], 3, v[8:9]
	v_add_u32_e32 v10, s7, v8
	;; [unrolled: 5-line block ×5, first 2 shown]
	v_add_co_u32_e32 v12, vcc, s4, v12
	v_ashrrev_i32_e32 v15, 31, v14
	v_addc_co_u32_e32 v13, vcc, v1, v13, vcc
	v_lshlrev_b64 v[16:17], 3, v[14:15]
	v_add_co_u32_e32 v18, vcc, s4, v16
	v_add_u32_e32 v16, s7, v14
	v_addc_co_u32_e32 v19, vcc, v1, v17, vcc
	v_ashrrev_i32_e32 v17, 31, v16
	v_lshlrev_b64 v[14:15], 3, v[16:17]
	v_add_u32_e32 v20, s7, v16
	v_add_co_u32_e32 v14, vcc, s4, v14
	v_ashrrev_i32_e32 v21, 31, v20
	v_addc_co_u32_e32 v15, vcc, v1, v15, vcc
	v_lshlrev_b64 v[16:17], 3, v[20:21]
	v_add_u32_e32 v22, s7, v20
	v_add_co_u32_e32 v16, vcc, s4, v16
	v_ashrrev_i32_e32 v23, 31, v22
	v_addc_co_u32_e32 v17, vcc, v1, v17, vcc
	;; [unrolled: 5-line block ×38, first 2 shown]
	v_lshlrev_b64 v[92:93], 3, v[94:95]
	v_add_co_u32_e32 v92, vcc, s4, v92
	v_add_u32_e32 v96, s7, v94
	v_addc_co_u32_e32 v93, vcc, v1, v93, vcc
	v_ashrrev_i32_e32 v97, 31, v96
	v_lshlrev_b32_e32 v1, 3, v0
	v_lshlrev_b64 v[94:95], 3, v[96:97]
	global_load_dwordx2 v[112:113], v1, s[4:5]
	global_load_dwordx2 v[116:117], v[2:3], off
	global_load_dwordx2 v[118:119], v[4:5], off
	v_mov_b32_e32 v97, s5
	v_add_co_u32_e32 v110, vcc, s4, v1
	s_ashr_i32 s13, s7, 31
	s_mov_b32 s12, s7
	v_addc_co_u32_e32 v111, vcc, 0, v97, vcc
	s_lshl_b64 s[12:13], s[12:13], 3
	v_mov_b32_e32 v97, s13
	v_add_co_u32_e32 v108, vcc, s12, v110
	v_addc_co_u32_e32 v109, vcc, v111, v97, vcc
	global_load_dwordx2 v[114:115], v[108:109], off
	global_load_dwordx2 v[120:121], v[6:7], off
	;; [unrolled: 1-line block ×12, first 2 shown]
	v_mov_b32_e32 v98, s5
	v_add_co_u32_e32 v94, vcc, s4, v94
	v_addc_co_u32_e32 v95, vcc, v98, v95, vcc
	v_add_u32_e32 v98, s7, v96
	global_load_dwordx2 v[142:143], v[28:29], off
	global_load_dwordx2 v[144:145], v[30:31], off
	;; [unrolled: 1-line block ×4, first 2 shown]
	v_ashrrev_i32_e32 v99, 31, v98
	v_lshlrev_b64 v[96:97], 3, v[98:99]
	v_add_u32_e32 v98, s7, v98
	v_mov_b32_e32 v100, s5
	v_add_co_u32_e32 v96, vcc, s4, v96
	v_ashrrev_i32_e32 v99, 31, v98
	v_addc_co_u32_e32 v97, vcc, v100, v97, vcc
	v_lshlrev_b64 v[100:101], 3, v[98:99]
	v_add_u32_e32 v98, s7, v98
	v_mov_b32_e32 v102, s5
	v_add_co_u32_e32 v100, vcc, s4, v100
	v_ashrrev_i32_e32 v99, 31, v98
	v_addc_co_u32_e32 v101, vcc, v102, v101, vcc
	;; [unrolled: 6-line block ×3, first 2 shown]
	v_lshlrev_b64 v[104:105], 3, v[98:99]
	v_add_u32_e32 v98, s7, v98
	v_mov_b32_e32 v106, s5
	v_add_co_u32_e32 v104, vcc, s4, v104
	global_load_dwordx2 v[150:151], v[36:37], off
	v_ashrrev_i32_e32 v99, 31, v98
	v_addc_co_u32_e32 v105, vcc, v106, v105, vcc
	v_lshlrev_b64 v[106:107], 3, v[98:99]
	v_add_u32_e32 v98, s7, v98
	v_mov_b32_e32 v156, s5
	v_add_co_u32_e32 v106, vcc, s4, v106
	v_ashrrev_i32_e32 v99, 31, v98
	global_load_dwordx2 v[152:153], v[38:39], off
	global_load_dwordx2 v[154:155], v[40:41], off
	v_addc_co_u32_e32 v107, vcc, v156, v107, vcc
	v_lshlrev_b64 v[98:99], 3, v[98:99]
	v_mov_b32_e32 v160, s5
	v_add_co_u32_e32 v98, vcc, s4, v98
	global_load_dwordx2 v[156:157], v[42:43], off
	global_load_dwordx2 v[158:159], v[44:45], off
	v_addc_co_u32_e32 v99, vcc, v160, v99, vcc
	global_load_dwordx2 v[160:161], v[46:47], off
	global_load_dwordx2 v[162:163], v[98:99], off
	s_waitcnt vmcnt(25)
	buffer_store_dword v113, off, s[0:3], 0 offset:4
	buffer_store_dword v112, off, s[0:3], 0
	global_load_dwordx2 v[112:113], v[48:49], off
	s_waitcnt vmcnt(25)
	buffer_store_dword v115, off, s[0:3], 0 offset:12
	buffer_store_dword v114, off, s[0:3], 0 offset:8
	global_load_dwordx2 v[114:115], v[50:51], off
	s_nop 0
	buffer_store_dword v117, off, s[0:3], 0 offset:20
	buffer_store_dword v116, off, s[0:3], 0 offset:16
	global_load_dwordx2 v[116:117], v[52:53], off
	s_nop 0
	buffer_store_dword v119, off, s[0:3], 0 offset:28
	buffer_store_dword v118, off, s[0:3], 0 offset:24
	global_load_dwordx2 v[118:119], v[54:55], off
	s_waitcnt vmcnt(33)
	buffer_store_dword v121, off, s[0:3], 0 offset:36
	buffer_store_dword v120, off, s[0:3], 0 offset:32
	s_waitcnt vmcnt(34)
	buffer_store_dword v123, off, s[0:3], 0 offset:44
	buffer_store_dword v122, off, s[0:3], 0 offset:40
	;; [unrolled: 3-line block ×5, first 2 shown]
	buffer_store_dword v130, off, s[0:3], 0 offset:72
	buffer_store_dword v131, off, s[0:3], 0 offset:76
	buffer_store_dword v132, off, s[0:3], 0 offset:80
	buffer_store_dword v133, off, s[0:3], 0 offset:84
	s_waitcnt vmcnt(40)
	buffer_store_dword v134, off, s[0:3], 0 offset:88
	buffer_store_dword v135, off, s[0:3], 0 offset:92
	s_waitcnt vmcnt(41)
	buffer_store_dword v136, off, s[0:3], 0 offset:96
	buffer_store_dword v137, off, s[0:3], 0 offset:100
	s_waitcnt vmcnt(42)
	buffer_store_dword v138, off, s[0:3], 0 offset:104
	buffer_store_dword v139, off, s[0:3], 0 offset:108
	s_waitcnt vmcnt(43)
	buffer_store_dword v141, off, s[0:3], 0 offset:116
	buffer_store_dword v140, off, s[0:3], 0 offset:112
	s_waitcnt vmcnt(44)
	buffer_store_dword v142, off, s[0:3], 0 offset:120
	buffer_store_dword v143, off, s[0:3], 0 offset:124
	s_waitcnt vmcnt(45)
	buffer_store_dword v144, off, s[0:3], 0 offset:128
	buffer_store_dword v145, off, s[0:3], 0 offset:132
	global_load_dwordx2 v[120:121], v[56:57], off
	global_load_dwordx2 v[122:123], v[58:59], off
	;; [unrolled: 1-line block ×13, first 2 shown]
	s_bitcmp0_b32 s20, 0
	s_waitcnt vmcnt(59)
	buffer_store_dword v146, off, s[0:3], 0 offset:136
	buffer_store_dword v147, off, s[0:3], 0 offset:140
	global_load_dwordx2 v[146:147], v[82:83], off
	s_mov_b64 s[6:7], -1
	s_waitcnt vmcnt(61)
	buffer_store_dword v148, off, s[0:3], 0 offset:144
	buffer_store_dword v149, off, s[0:3], 0 offset:148
	global_load_dwordx2 v[148:149], v[84:85], off
	s_waitcnt vmcnt(62)
	buffer_store_dword v151, off, s[0:3], 0 offset:156
	buffer_store_dword v150, off, s[0:3], 0 offset:152
	global_load_dwordx2 v[150:151], v[86:87], off
	s_nop 0
	buffer_store_dword v153, off, s[0:3], 0 offset:164
	buffer_store_dword v152, off, s[0:3], 0 offset:160
	global_load_dwordx2 v[152:153], v[88:89], off
	s_waitcnt vmcnt(62)
	buffer_store_dword v154, off, s[0:3], 0 offset:168
	buffer_store_dword v155, off, s[0:3], 0 offset:172
	global_load_dwordx2 v[154:155], v[90:91], off
	s_nop 0
	buffer_store_dword v156, off, s[0:3], 0 offset:176
	buffer_store_dword v157, off, s[0:3], 0 offset:180
	global_load_dwordx2 v[156:157], v[94:95], off
	s_nop 0
	buffer_store_dword v158, off, s[0:3], 0 offset:184
	buffer_store_dword v159, off, s[0:3], 0 offset:188
	s_waitcnt vmcnt(62)
	buffer_store_dword v113, off, s[0:3], 0 offset:204
	buffer_store_dword v112, off, s[0:3], 0 offset:200
	global_load_dwordx2 v[112:113], v[92:93], off
	s_nop 0
	global_load_dwordx2 v[158:159], v[100:101], off
	s_nop 0
	buffer_store_dword v160, off, s[0:3], 0 offset:192
	buffer_store_dword v161, off, s[0:3], 0 offset:196
	global_load_dwordx2 v[160:161], v[104:105], off
	s_nop 0
	buffer_store_dword v115, off, s[0:3], 0 offset:212
	buffer_store_dword v114, off, s[0:3], 0 offset:208
	global_load_dwordx2 v[114:115], v[96:97], off
	s_nop 0
	buffer_store_dword v116, off, s[0:3], 0 offset:216
	buffer_store_dword v117, off, s[0:3], 0 offset:220
	global_load_dwordx2 v[116:117], v[102:103], off
	s_waitcnt vmcnt(62)
	buffer_store_dword v118, off, s[0:3], 0 offset:224
	buffer_store_dword v119, off, s[0:3], 0 offset:228
	global_load_dwordx2 v[118:119], v[106:107], off
	s_waitcnt vmcnt(48)
	buffer_store_dword v120, off, s[0:3], 0 offset:232
	buffer_store_dword v121, off, s[0:3], 0 offset:236
	s_waitcnt vmcnt(49)
	buffer_store_dword v122, off, s[0:3], 0 offset:240
	buffer_store_dword v123, off, s[0:3], 0 offset:244
	;; [unrolled: 3-line block ×19, first 2 shown]
	buffer_store_dword v156, off, s[0:3], 0 offset:384
	buffer_store_dword v157, off, s[0:3], 0 offset:388
	s_waitcnt vmcnt(46)
	buffer_store_dword v115, off, s[0:3], 0 offset:396
	buffer_store_dword v114, off, s[0:3], 0 offset:392
	buffer_store_dword v159, off, s[0:3], 0 offset:404
	buffer_store_dword v158, off, s[0:3], 0 offset:400
	s_waitcnt vmcnt(47)
	buffer_store_dword v116, off, s[0:3], 0 offset:408
	buffer_store_dword v117, off, s[0:3], 0 offset:412
	;; [unrolled: 5-line block ×3, first 2 shown]
	buffer_store_dword v162, off, s[0:3], 0 offset:432
	buffer_store_dword v163, off, s[0:3], 0 offset:436
	s_cbranch_scc1 .LBB118_226
; %bb.4:
	v_cmp_eq_u32_e64 s[4:5], 0, v0
	s_and_saveexec_b64 s[6:7], s[4:5]
	s_cbranch_execz .LBB118_6
; %bb.5:
	v_mov_b32_e32 v112, 0
	ds_write_b32 v112, v112 offset:440
.LBB118_6:
	s_or_b64 exec, exec, s[6:7]
	v_mov_b32_e32 v112, 0
	v_lshl_add_u32 v112, v0, 3, v112
	s_waitcnt lgkmcnt(0)
	; wave barrier
	s_waitcnt lgkmcnt(0)
	buffer_load_dword v114, v112, s[0:3], 0 offen
	buffer_load_dword v115, v112, s[0:3], 0 offen offset:4
	s_waitcnt vmcnt(0)
	v_cmp_eq_f64_e32 vcc, 0, v[114:115]
	s_and_saveexec_b64 s[12:13], vcc
	s_cbranch_execz .LBB118_10
; %bb.7:
	v_mov_b32_e32 v113, 0
	ds_read_b32 v115, v113 offset:440
	v_add_u32_e32 v114, 1, v0
	s_waitcnt lgkmcnt(0)
	v_readfirstlane_b32 s6, v115
	s_cmp_eq_u32 s6, 0
	s_cselect_b64 s[18:19], -1, 0
	v_cmp_gt_i32_e32 vcc, s6, v114
	s_or_b64 s[18:19], s[18:19], vcc
	s_and_b64 exec, exec, s[18:19]
	s_cbranch_execz .LBB118_10
; %bb.8:
	s_mov_b64 s[18:19], 0
	v_mov_b32_e32 v115, s6
.LBB118_9:                              ; =>This Inner Loop Header: Depth=1
	ds_cmpst_rtn_b32 v115, v113, v115, v114 offset:440
	s_waitcnt lgkmcnt(0)
	v_cmp_ne_u32_e32 vcc, 0, v115
	v_cmp_le_i32_e64 s[6:7], v115, v114
	s_and_b64 s[6:7], vcc, s[6:7]
	s_and_b64 s[6:7], exec, s[6:7]
	s_or_b64 s[18:19], s[6:7], s[18:19]
	s_andn2_b64 exec, exec, s[18:19]
	s_cbranch_execnz .LBB118_9
.LBB118_10:
	s_or_b64 exec, exec, s[12:13]
	v_mov_b32_e32 v114, 0
	s_waitcnt lgkmcnt(0)
	; wave barrier
	ds_read_b32 v113, v114 offset:440
	s_and_saveexec_b64 s[6:7], s[4:5]
	s_cbranch_execz .LBB118_12
; %bb.11:
	s_lshl_b64 s[12:13], s[8:9], 2
	s_add_u32 s12, s14, s12
	s_addc_u32 s13, s15, s13
	s_waitcnt lgkmcnt(0)
	global_store_dword v114, v113, s[12:13]
.LBB118_12:
	s_or_b64 exec, exec, s[6:7]
	s_waitcnt lgkmcnt(0)
	v_cmp_ne_u32_e32 vcc, 0, v113
	s_mov_b64 s[6:7], 0
	s_cbranch_vccnz .LBB118_226
; %bb.13:
	buffer_load_dword v114, v112, s[0:3], 0 offen
	buffer_load_dword v115, v112, s[0:3], 0 offen offset:4
	s_waitcnt vmcnt(0)
	v_div_scale_f64 v[116:117], s[6:7], v[114:115], v[114:115], 1.0
	v_rcp_f64_e32 v[118:119], v[116:117]
	v_div_scale_f64 v[120:121], vcc, 1.0, v[114:115], 1.0
	v_fma_f64 v[122:123], -v[116:117], v[118:119], 1.0
	v_fmac_f64_e32 v[118:119], v[118:119], v[122:123]
	v_fma_f64 v[122:123], -v[116:117], v[118:119], 1.0
	v_fmac_f64_e32 v[118:119], v[118:119], v[122:123]
	v_mul_f64 v[122:123], v[120:121], v[118:119]
	v_fma_f64 v[116:117], -v[116:117], v[122:123], v[120:121]
	v_div_fmas_f64 v[116:117], v[116:117], v[118:119], v[122:123]
	v_div_fixup_f64 v[116:117], v[116:117], v[114:115], 1.0
	buffer_store_dword v117, v112, s[0:3], 0 offen offset:4
	buffer_store_dword v116, v112, s[0:3], 0 offen
	buffer_load_dword v119, off, s[0:3], 0 offset:12
	buffer_load_dword v118, off, s[0:3], 0 offset:8
	v_add_u32_e32 v114, 0x1c0, v1
	v_xor_b32_e32 v117, 0x80000000, v117
	s_waitcnt vmcnt(0)
	ds_write2_b64 v1, v[116:117], v[118:119] offset1:56
	s_waitcnt lgkmcnt(0)
	; wave barrier
	s_waitcnt lgkmcnt(0)
	s_and_saveexec_b64 s[6:7], s[4:5]
	s_cbranch_execz .LBB118_15
; %bb.14:
	buffer_load_dword v116, v112, s[0:3], 0 offen
	buffer_load_dword v117, v112, s[0:3], 0 offen offset:4
	v_mov_b32_e32 v113, 0
	ds_read_b64 v[118:119], v114
	ds_read_b64 v[120:121], v113 offset:8
	s_waitcnt vmcnt(0) lgkmcnt(1)
	v_fma_f64 v[116:117], v[116:117], v[118:119], 0
	s_waitcnt lgkmcnt(0)
	v_mul_f64 v[116:117], v[116:117], v[120:121]
	buffer_store_dword v116, off, s[0:3], 0 offset:8
	buffer_store_dword v117, off, s[0:3], 0 offset:12
.LBB118_15:
	s_or_b64 exec, exec, s[6:7]
	s_waitcnt lgkmcnt(0)
	; wave barrier
	buffer_load_dword v116, off, s[0:3], 0 offset:16
	buffer_load_dword v117, off, s[0:3], 0 offset:20
	v_cmp_gt_u32_e32 vcc, 2, v0
	s_waitcnt vmcnt(0)
	ds_write_b64 v114, v[116:117]
	s_waitcnt lgkmcnt(0)
	; wave barrier
	s_waitcnt lgkmcnt(0)
	s_and_saveexec_b64 s[6:7], vcc
	s_cbranch_execz .LBB118_17
; %bb.16:
	buffer_load_dword v113, v112, s[0:3], 0 offen offset:4
	buffer_load_dword v120, off, s[0:3], 0 offset:8
	s_nop 0
	buffer_load_dword v112, v112, s[0:3], 0 offen
	s_nop 0
	buffer_load_dword v121, off, s[0:3], 0 offset:12
	ds_read_b64 v[122:123], v114
	v_mov_b32_e32 v115, 0
	ds_read2_b64 v[116:119], v115 offset0:2 offset1:57
	s_waitcnt vmcnt(1) lgkmcnt(1)
	v_fma_f64 v[112:113], v[112:113], v[122:123], 0
	s_waitcnt vmcnt(0) lgkmcnt(0)
	v_fma_f64 v[118:119], v[120:121], v[118:119], v[112:113]
	v_cndmask_b32_e64 v113, v113, v119, s[4:5]
	v_cndmask_b32_e64 v112, v112, v118, s[4:5]
	v_mul_f64 v[112:113], v[112:113], v[116:117]
	buffer_store_dword v113, off, s[0:3], 0 offset:20
	buffer_store_dword v112, off, s[0:3], 0 offset:16
.LBB118_17:
	s_or_b64 exec, exec, s[6:7]
	s_waitcnt lgkmcnt(0)
	; wave barrier
	buffer_load_dword v112, off, s[0:3], 0 offset:24
	buffer_load_dword v113, off, s[0:3], 0 offset:28
	v_cmp_gt_u32_e32 vcc, 3, v0
	v_add_u32_e32 v115, -1, v0
	s_waitcnt vmcnt(0)
	ds_write_b64 v114, v[112:113]
	s_waitcnt lgkmcnt(0)
	; wave barrier
	s_waitcnt lgkmcnt(0)
	s_and_saveexec_b64 s[4:5], vcc
	s_cbranch_execz .LBB118_21
; %bb.18:
	v_add_u32_e32 v116, -1, v0
	v_add_u32_e32 v117, 0x1c0, v1
	v_add_u32_e32 v118, 0, v1
	s_mov_b64 s[6:7], 0
	v_pk_mov_b32 v[112:113], 0, 0
.LBB118_19:                             ; =>This Inner Loop Header: Depth=1
	buffer_load_dword v120, v118, s[0:3], 0 offen
	buffer_load_dword v121, v118, s[0:3], 0 offen offset:4
	ds_read_b64 v[122:123], v117
	v_add_u32_e32 v116, 1, v116
	v_cmp_lt_u32_e32 vcc, 1, v116
	v_add_u32_e32 v117, 8, v117
	v_add_u32_e32 v118, 8, v118
	s_or_b64 s[6:7], vcc, s[6:7]
	s_waitcnt vmcnt(0) lgkmcnt(0)
	v_fmac_f64_e32 v[112:113], v[120:121], v[122:123]
	s_andn2_b64 exec, exec, s[6:7]
	s_cbranch_execnz .LBB118_19
; %bb.20:
	s_or_b64 exec, exec, s[6:7]
	v_mov_b32_e32 v116, 0
	ds_read_b64 v[116:117], v116 offset:24
	s_waitcnt lgkmcnt(0)
	v_mul_f64 v[112:113], v[112:113], v[116:117]
	buffer_store_dword v113, off, s[0:3], 0 offset:28
	buffer_store_dword v112, off, s[0:3], 0 offset:24
.LBB118_21:
	s_or_b64 exec, exec, s[4:5]
	s_waitcnt lgkmcnt(0)
	; wave barrier
	buffer_load_dword v112, off, s[0:3], 0 offset:32
	buffer_load_dword v113, off, s[0:3], 0 offset:36
	v_cmp_gt_u32_e32 vcc, 4, v0
	s_waitcnt vmcnt(0)
	ds_write_b64 v114, v[112:113]
	s_waitcnt lgkmcnt(0)
	; wave barrier
	s_waitcnt lgkmcnt(0)
	s_and_saveexec_b64 s[4:5], vcc
	s_cbranch_execz .LBB118_25
; %bb.22:
	v_add_u32_e32 v116, -1, v0
	v_add_u32_e32 v117, 0x1c0, v1
	v_add_u32_e32 v118, 0, v1
	s_mov_b64 s[6:7], 0
	v_pk_mov_b32 v[112:113], 0, 0
.LBB118_23:                             ; =>This Inner Loop Header: Depth=1
	buffer_load_dword v120, v118, s[0:3], 0 offen
	buffer_load_dword v121, v118, s[0:3], 0 offen offset:4
	ds_read_b64 v[122:123], v117
	v_add_u32_e32 v116, 1, v116
	v_cmp_lt_u32_e32 vcc, 2, v116
	v_add_u32_e32 v117, 8, v117
	v_add_u32_e32 v118, 8, v118
	s_or_b64 s[6:7], vcc, s[6:7]
	s_waitcnt vmcnt(0) lgkmcnt(0)
	v_fmac_f64_e32 v[112:113], v[120:121], v[122:123]
	s_andn2_b64 exec, exec, s[6:7]
	s_cbranch_execnz .LBB118_23
; %bb.24:
	s_or_b64 exec, exec, s[6:7]
	v_mov_b32_e32 v116, 0
	ds_read_b64 v[116:117], v116 offset:32
	s_waitcnt lgkmcnt(0)
	v_mul_f64 v[112:113], v[112:113], v[116:117]
	buffer_store_dword v113, off, s[0:3], 0 offset:36
	buffer_store_dword v112, off, s[0:3], 0 offset:32
.LBB118_25:
	s_or_b64 exec, exec, s[4:5]
	s_waitcnt lgkmcnt(0)
	; wave barrier
	buffer_load_dword v112, off, s[0:3], 0 offset:40
	buffer_load_dword v113, off, s[0:3], 0 offset:44
	v_cmp_gt_u32_e32 vcc, 5, v0
	;; [unrolled: 41-line block ×21, first 2 shown]
	s_waitcnt vmcnt(0)
	ds_write_b64 v114, v[112:113]
	s_waitcnt lgkmcnt(0)
	; wave barrier
	s_waitcnt lgkmcnt(0)
	s_and_saveexec_b64 s[4:5], vcc
	s_cbranch_execz .LBB118_105
; %bb.102:
	v_add_u32_e32 v116, -1, v0
	v_add_u32_e32 v117, 0x1c0, v1
	v_add_u32_e32 v118, 0, v1
	s_mov_b64 s[6:7], 0
	v_pk_mov_b32 v[112:113], 0, 0
.LBB118_103:                            ; =>This Inner Loop Header: Depth=1
	buffer_load_dword v120, v118, s[0:3], 0 offen
	buffer_load_dword v121, v118, s[0:3], 0 offen offset:4
	ds_read_b64 v[122:123], v117
	v_add_u32_e32 v116, 1, v116
	v_cmp_lt_u32_e32 vcc, 22, v116
	v_add_u32_e32 v117, 8, v117
	v_add_u32_e32 v118, 8, v118
	s_or_b64 s[6:7], vcc, s[6:7]
	s_waitcnt vmcnt(0) lgkmcnt(0)
	v_fmac_f64_e32 v[112:113], v[120:121], v[122:123]
	s_andn2_b64 exec, exec, s[6:7]
	s_cbranch_execnz .LBB118_103
; %bb.104:
	s_or_b64 exec, exec, s[6:7]
	v_mov_b32_e32 v116, 0
	ds_read_b64 v[116:117], v116 offset:192
	s_waitcnt lgkmcnt(0)
	v_mul_f64 v[112:113], v[112:113], v[116:117]
	buffer_store_dword v113, off, s[0:3], 0 offset:196
	buffer_store_dword v112, off, s[0:3], 0 offset:192
.LBB118_105:
	s_or_b64 exec, exec, s[4:5]
	s_waitcnt lgkmcnt(0)
	; wave barrier
	buffer_load_dword v112, off, s[0:3], 0 offset:200
	buffer_load_dword v113, off, s[0:3], 0 offset:204
	v_cmp_gt_u32_e32 vcc, 25, v0
	s_waitcnt vmcnt(0)
	ds_write_b64 v114, v[112:113]
	s_waitcnt lgkmcnt(0)
	; wave barrier
	s_waitcnt lgkmcnt(0)
	s_and_saveexec_b64 s[4:5], vcc
	s_cbranch_execz .LBB118_109
; %bb.106:
	v_add_u32_e32 v116, -1, v0
	v_add_u32_e32 v117, 0x1c0, v1
	v_add_u32_e32 v118, 0, v1
	s_mov_b64 s[6:7], 0
	v_pk_mov_b32 v[112:113], 0, 0
.LBB118_107:                            ; =>This Inner Loop Header: Depth=1
	buffer_load_dword v120, v118, s[0:3], 0 offen
	buffer_load_dword v121, v118, s[0:3], 0 offen offset:4
	ds_read_b64 v[122:123], v117
	v_add_u32_e32 v116, 1, v116
	v_cmp_lt_u32_e32 vcc, 23, v116
	v_add_u32_e32 v117, 8, v117
	v_add_u32_e32 v118, 8, v118
	s_or_b64 s[6:7], vcc, s[6:7]
	s_waitcnt vmcnt(0) lgkmcnt(0)
	v_fmac_f64_e32 v[112:113], v[120:121], v[122:123]
	s_andn2_b64 exec, exec, s[6:7]
	s_cbranch_execnz .LBB118_107
; %bb.108:
	s_or_b64 exec, exec, s[6:7]
	v_mov_b32_e32 v116, 0
	ds_read_b64 v[116:117], v116 offset:200
	s_waitcnt lgkmcnt(0)
	v_mul_f64 v[112:113], v[112:113], v[116:117]
	buffer_store_dword v113, off, s[0:3], 0 offset:204
	buffer_store_dword v112, off, s[0:3], 0 offset:200
.LBB118_109:
	s_or_b64 exec, exec, s[4:5]
	s_waitcnt lgkmcnt(0)
	; wave barrier
	buffer_load_dword v112, off, s[0:3], 0 offset:208
	buffer_load_dword v113, off, s[0:3], 0 offset:212
	v_cmp_gt_u32_e32 vcc, 26, v0
	;; [unrolled: 41-line block ×29, first 2 shown]
	s_waitcnt vmcnt(0)
	ds_write_b64 v114, v[112:113]
	s_waitcnt lgkmcnt(0)
	; wave barrier
	s_waitcnt lgkmcnt(0)
	s_and_saveexec_b64 s[4:5], vcc
	s_cbranch_execz .LBB118_221
; %bb.218:
	v_add_u32_e32 v116, -1, v0
	v_add_u32_e32 v117, 0x1c0, v1
	v_add_u32_e32 v118, 0, v1
	s_mov_b64 s[6:7], 0
	v_pk_mov_b32 v[112:113], 0, 0
.LBB118_219:                            ; =>This Inner Loop Header: Depth=1
	buffer_load_dword v120, v118, s[0:3], 0 offen
	buffer_load_dword v121, v118, s[0:3], 0 offen offset:4
	ds_read_b64 v[122:123], v117
	v_add_u32_e32 v116, 1, v116
	v_cmp_lt_u32_e32 vcc, 51, v116
	v_add_u32_e32 v117, 8, v117
	v_add_u32_e32 v118, 8, v118
	s_or_b64 s[6:7], vcc, s[6:7]
	s_waitcnt vmcnt(0) lgkmcnt(0)
	v_fmac_f64_e32 v[112:113], v[120:121], v[122:123]
	s_andn2_b64 exec, exec, s[6:7]
	s_cbranch_execnz .LBB118_219
; %bb.220:
	s_or_b64 exec, exec, s[6:7]
	v_mov_b32_e32 v116, 0
	ds_read_b64 v[116:117], v116 offset:424
	s_waitcnt lgkmcnt(0)
	v_mul_f64 v[112:113], v[112:113], v[116:117]
	buffer_store_dword v113, off, s[0:3], 0 offset:428
	buffer_store_dword v112, off, s[0:3], 0 offset:424
.LBB118_221:
	s_or_b64 exec, exec, s[4:5]
	s_waitcnt lgkmcnt(0)
	; wave barrier
	buffer_load_dword v112, off, s[0:3], 0 offset:432
	buffer_load_dword v113, off, s[0:3], 0 offset:436
	v_cmp_ne_u32_e32 vcc, 54, v0
	s_waitcnt vmcnt(0)
	ds_write_b64 v114, v[112:113]
	s_waitcnt lgkmcnt(0)
	; wave barrier
	s_waitcnt lgkmcnt(0)
	s_and_saveexec_b64 s[4:5], vcc
	s_cbranch_execz .LBB118_225
; %bb.222:
	v_add_u32_e32 v114, 0x1c0, v1
	v_add_u32_e32 v1, 0, v1
	s_mov_b64 s[6:7], 0
	v_pk_mov_b32 v[112:113], 0, 0
.LBB118_223:                            ; =>This Inner Loop Header: Depth=1
	buffer_load_dword v116, v1, s[0:3], 0 offen
	buffer_load_dword v117, v1, s[0:3], 0 offen offset:4
	ds_read_b64 v[118:119], v114
	v_add_u32_e32 v115, 1, v115
	v_cmp_lt_u32_e32 vcc, 52, v115
	v_add_u32_e32 v114, 8, v114
	v_add_u32_e32 v1, 8, v1
	s_or_b64 s[6:7], vcc, s[6:7]
	s_waitcnt vmcnt(0) lgkmcnt(0)
	v_fmac_f64_e32 v[112:113], v[116:117], v[118:119]
	s_andn2_b64 exec, exec, s[6:7]
	s_cbranch_execnz .LBB118_223
; %bb.224:
	s_or_b64 exec, exec, s[6:7]
	v_mov_b32_e32 v1, 0
	ds_read_b64 v[114:115], v1 offset:432
	s_waitcnt lgkmcnt(0)
	v_mul_f64 v[112:113], v[112:113], v[114:115]
	buffer_store_dword v113, off, s[0:3], 0 offset:436
	buffer_store_dword v112, off, s[0:3], 0 offset:432
.LBB118_225:
	s_or_b64 exec, exec, s[4:5]
	s_mov_b64 s[6:7], -1
	s_waitcnt lgkmcnt(0)
	; wave barrier
.LBB118_226:
	s_and_b64 vcc, exec, s[6:7]
	s_cbranch_vccz .LBB118_228
; %bb.227:
	s_lshl_b64 s[4:5], s[8:9], 2
	s_add_u32 s4, s14, s4
	s_addc_u32 s5, s15, s5
	v_mov_b32_e32 v1, 0
	global_load_dword v1, v1, s[4:5]
	s_waitcnt vmcnt(0)
	v_cmp_ne_u32_e32 vcc, 0, v1
	s_cbranch_vccz .LBB118_229
.LBB118_228:
	s_endpgm
.LBB118_229:
	v_mov_b32_e32 v1, 0x1c0
	v_lshl_add_u32 v1, v0, 3, v1
	v_cmp_eq_u32_e32 vcc, 54, v0
	s_and_saveexec_b64 s[4:5], vcc
	s_cbranch_execz .LBB118_231
; %bb.230:
	buffer_load_dword v112, off, s[0:3], 0 offset:424
	buffer_load_dword v113, off, s[0:3], 0 offset:428
	v_mov_b32_e32 v114, 0
	buffer_store_dword v114, off, s[0:3], 0 offset:424
	buffer_store_dword v114, off, s[0:3], 0 offset:428
	s_waitcnt vmcnt(2)
	ds_write_b64 v1, v[112:113]
.LBB118_231:
	s_or_b64 exec, exec, s[4:5]
	s_waitcnt lgkmcnt(0)
	; wave barrier
	s_waitcnt lgkmcnt(0)
	buffer_load_dword v114, off, s[0:3], 0 offset:432
	buffer_load_dword v115, off, s[0:3], 0 offset:436
	buffer_load_dword v116, off, s[0:3], 0 offset:424
	buffer_load_dword v117, off, s[0:3], 0 offset:428
	v_mov_b32_e32 v112, 0
	ds_read_b64 v[118:119], v112 offset:880
	v_cmp_lt_u32_e32 vcc, 52, v0
	s_waitcnt vmcnt(2) lgkmcnt(0)
	v_fma_f64 v[114:115], v[114:115], v[118:119], 0
	s_waitcnt vmcnt(0)
	v_add_f64 v[114:115], v[116:117], -v[114:115]
	buffer_store_dword v114, off, s[0:3], 0 offset:424
	buffer_store_dword v115, off, s[0:3], 0 offset:428
	s_and_saveexec_b64 s[4:5], vcc
	s_cbranch_execz .LBB118_233
; %bb.232:
	buffer_load_dword v114, off, s[0:3], 0 offset:416
	buffer_load_dword v115, off, s[0:3], 0 offset:420
	s_waitcnt vmcnt(0)
	ds_write_b64 v1, v[114:115]
	buffer_store_dword v112, off, s[0:3], 0 offset:416
	buffer_store_dword v112, off, s[0:3], 0 offset:420
.LBB118_233:
	s_or_b64 exec, exec, s[4:5]
	s_waitcnt lgkmcnt(0)
	; wave barrier
	s_waitcnt lgkmcnt(0)
	buffer_load_dword v116, off, s[0:3], 0 offset:424
	buffer_load_dword v117, off, s[0:3], 0 offset:428
	;; [unrolled: 1-line block ×6, first 2 shown]
	ds_read2_b64 v[112:115], v112 offset0:109 offset1:110
	v_cmp_lt_u32_e32 vcc, 51, v0
	s_waitcnt vmcnt(4) lgkmcnt(0)
	v_fma_f64 v[112:113], v[116:117], v[112:113], 0
	s_waitcnt vmcnt(2)
	v_fmac_f64_e32 v[112:113], v[118:119], v[114:115]
	s_waitcnt vmcnt(0)
	v_add_f64 v[112:113], v[120:121], -v[112:113]
	buffer_store_dword v112, off, s[0:3], 0 offset:416
	buffer_store_dword v113, off, s[0:3], 0 offset:420
	s_and_saveexec_b64 s[4:5], vcc
	s_cbranch_execz .LBB118_235
; %bb.234:
	buffer_load_dword v112, off, s[0:3], 0 offset:408
	buffer_load_dword v113, off, s[0:3], 0 offset:412
	v_mov_b32_e32 v114, 0
	buffer_store_dword v114, off, s[0:3], 0 offset:408
	buffer_store_dword v114, off, s[0:3], 0 offset:412
	s_waitcnt vmcnt(2)
	ds_write_b64 v1, v[112:113]
.LBB118_235:
	s_or_b64 exec, exec, s[4:5]
	s_waitcnt lgkmcnt(0)
	; wave barrier
	s_waitcnt lgkmcnt(0)
	buffer_load_dword v118, off, s[0:3], 0 offset:416
	buffer_load_dword v119, off, s[0:3], 0 offset:420
	;; [unrolled: 1-line block ×8, first 2 shown]
	v_mov_b32_e32 v112, 0
	ds_read_b128 v[114:117], v112 offset:864
	ds_read_b64 v[126:127], v112 offset:880
	v_cmp_lt_u32_e32 vcc, 50, v0
	s_waitcnt vmcnt(6) lgkmcnt(1)
	v_fma_f64 v[114:115], v[118:119], v[114:115], 0
	s_waitcnt vmcnt(4)
	v_fmac_f64_e32 v[114:115], v[120:121], v[116:117]
	s_waitcnt vmcnt(2) lgkmcnt(0)
	v_fmac_f64_e32 v[114:115], v[122:123], v[126:127]
	s_waitcnt vmcnt(0)
	v_add_f64 v[114:115], v[124:125], -v[114:115]
	buffer_store_dword v114, off, s[0:3], 0 offset:408
	buffer_store_dword v115, off, s[0:3], 0 offset:412
	s_and_saveexec_b64 s[4:5], vcc
	s_cbranch_execz .LBB118_237
; %bb.236:
	buffer_load_dword v114, off, s[0:3], 0 offset:400
	buffer_load_dword v115, off, s[0:3], 0 offset:404
	s_waitcnt vmcnt(0)
	ds_write_b64 v1, v[114:115]
	buffer_store_dword v112, off, s[0:3], 0 offset:400
	buffer_store_dword v112, off, s[0:3], 0 offset:404
.LBB118_237:
	s_or_b64 exec, exec, s[4:5]
	s_waitcnt lgkmcnt(0)
	; wave barrier
	s_waitcnt lgkmcnt(0)
	buffer_load_dword v122, off, s[0:3], 0 offset:408
	buffer_load_dword v123, off, s[0:3], 0 offset:412
	;; [unrolled: 1-line block ×10, first 2 shown]
	ds_read2_b64 v[114:117], v112 offset0:107 offset1:108
	ds_read2_b64 v[118:121], v112 offset0:109 offset1:110
	v_cmp_lt_u32_e32 vcc, 49, v0
	s_waitcnt vmcnt(8) lgkmcnt(1)
	v_fma_f64 v[112:113], v[122:123], v[114:115], 0
	s_waitcnt vmcnt(6)
	v_fmac_f64_e32 v[112:113], v[124:125], v[116:117]
	s_waitcnt vmcnt(4) lgkmcnt(0)
	v_fmac_f64_e32 v[112:113], v[126:127], v[118:119]
	s_waitcnt vmcnt(2)
	v_fmac_f64_e32 v[112:113], v[128:129], v[120:121]
	s_waitcnt vmcnt(0)
	v_add_f64 v[112:113], v[130:131], -v[112:113]
	buffer_store_dword v112, off, s[0:3], 0 offset:400
	buffer_store_dword v113, off, s[0:3], 0 offset:404
	s_and_saveexec_b64 s[4:5], vcc
	s_cbranch_execz .LBB118_239
; %bb.238:
	buffer_load_dword v112, off, s[0:3], 0 offset:392
	buffer_load_dword v113, off, s[0:3], 0 offset:396
	v_mov_b32_e32 v114, 0
	buffer_store_dword v114, off, s[0:3], 0 offset:392
	buffer_store_dword v114, off, s[0:3], 0 offset:396
	s_waitcnt vmcnt(2)
	ds_write_b64 v1, v[112:113]
.LBB118_239:
	s_or_b64 exec, exec, s[4:5]
	s_waitcnt lgkmcnt(0)
	; wave barrier
	s_waitcnt lgkmcnt(0)
	buffer_load_dword v122, off, s[0:3], 0 offset:400
	buffer_load_dword v123, off, s[0:3], 0 offset:404
	;; [unrolled: 1-line block ×12, first 2 shown]
	v_mov_b32_e32 v112, 0
	ds_read_b128 v[114:117], v112 offset:848
	ds_read_b128 v[118:121], v112 offset:864
	ds_read_b64 v[134:135], v112 offset:880
	v_cmp_lt_u32_e32 vcc, 48, v0
	s_waitcnt vmcnt(10) lgkmcnt(2)
	v_fma_f64 v[114:115], v[122:123], v[114:115], 0
	s_waitcnt vmcnt(8)
	v_fmac_f64_e32 v[114:115], v[124:125], v[116:117]
	s_waitcnt vmcnt(6) lgkmcnt(1)
	v_fmac_f64_e32 v[114:115], v[126:127], v[118:119]
	s_waitcnt vmcnt(4)
	v_fmac_f64_e32 v[114:115], v[128:129], v[120:121]
	s_waitcnt vmcnt(2) lgkmcnt(0)
	v_fmac_f64_e32 v[114:115], v[130:131], v[134:135]
	s_waitcnt vmcnt(0)
	v_add_f64 v[114:115], v[132:133], -v[114:115]
	buffer_store_dword v114, off, s[0:3], 0 offset:392
	buffer_store_dword v115, off, s[0:3], 0 offset:396
	s_and_saveexec_b64 s[4:5], vcc
	s_cbranch_execz .LBB118_241
; %bb.240:
	buffer_load_dword v114, off, s[0:3], 0 offset:384
	buffer_load_dword v115, off, s[0:3], 0 offset:388
	s_waitcnt vmcnt(0)
	ds_write_b64 v1, v[114:115]
	buffer_store_dword v112, off, s[0:3], 0 offset:384
	buffer_store_dword v112, off, s[0:3], 0 offset:388
.LBB118_241:
	s_or_b64 exec, exec, s[4:5]
	s_waitcnt lgkmcnt(0)
	; wave barrier
	s_waitcnt lgkmcnt(0)
	buffer_load_dword v126, off, s[0:3], 0 offset:392
	buffer_load_dword v127, off, s[0:3], 0 offset:396
	;; [unrolled: 1-line block ×14, first 2 shown]
	ds_read2_b64 v[114:117], v112 offset0:105 offset1:106
	ds_read2_b64 v[118:121], v112 offset0:107 offset1:108
	;; [unrolled: 1-line block ×3, first 2 shown]
	v_cmp_lt_u32_e32 vcc, 47, v0
	s_waitcnt vmcnt(12) lgkmcnt(2)
	v_fma_f64 v[112:113], v[126:127], v[114:115], 0
	s_waitcnt vmcnt(10)
	v_fmac_f64_e32 v[112:113], v[128:129], v[116:117]
	s_waitcnt vmcnt(8) lgkmcnt(1)
	v_fmac_f64_e32 v[112:113], v[130:131], v[118:119]
	s_waitcnt vmcnt(6)
	v_fmac_f64_e32 v[112:113], v[132:133], v[120:121]
	s_waitcnt vmcnt(4) lgkmcnt(0)
	v_fmac_f64_e32 v[112:113], v[134:135], v[122:123]
	s_waitcnt vmcnt(2)
	v_fmac_f64_e32 v[112:113], v[136:137], v[124:125]
	s_waitcnt vmcnt(0)
	v_add_f64 v[112:113], v[138:139], -v[112:113]
	buffer_store_dword v112, off, s[0:3], 0 offset:384
	buffer_store_dword v113, off, s[0:3], 0 offset:388
	s_and_saveexec_b64 s[4:5], vcc
	s_cbranch_execz .LBB118_243
; %bb.242:
	buffer_load_dword v112, off, s[0:3], 0 offset:376
	buffer_load_dword v113, off, s[0:3], 0 offset:380
	v_mov_b32_e32 v114, 0
	buffer_store_dword v114, off, s[0:3], 0 offset:376
	buffer_store_dword v114, off, s[0:3], 0 offset:380
	s_waitcnt vmcnt(2)
	ds_write_b64 v1, v[112:113]
.LBB118_243:
	s_or_b64 exec, exec, s[4:5]
	s_waitcnt lgkmcnt(0)
	; wave barrier
	s_waitcnt lgkmcnt(0)
	buffer_load_dword v126, off, s[0:3], 0 offset:384
	buffer_load_dword v127, off, s[0:3], 0 offset:388
	;; [unrolled: 1-line block ×16, first 2 shown]
	v_mov_b32_e32 v112, 0
	ds_read_b128 v[114:117], v112 offset:832
	ds_read_b128 v[118:121], v112 offset:848
	;; [unrolled: 1-line block ×3, first 2 shown]
	ds_read_b64 v[142:143], v112 offset:880
	v_cmp_lt_u32_e32 vcc, 46, v0
	s_waitcnt vmcnt(14) lgkmcnt(3)
	v_fma_f64 v[114:115], v[126:127], v[114:115], 0
	s_waitcnt vmcnt(12)
	v_fmac_f64_e32 v[114:115], v[128:129], v[116:117]
	s_waitcnt vmcnt(10) lgkmcnt(2)
	v_fmac_f64_e32 v[114:115], v[130:131], v[118:119]
	s_waitcnt vmcnt(8)
	v_fmac_f64_e32 v[114:115], v[132:133], v[120:121]
	s_waitcnt vmcnt(6) lgkmcnt(1)
	v_fmac_f64_e32 v[114:115], v[134:135], v[122:123]
	;; [unrolled: 4-line block ×3, first 2 shown]
	s_waitcnt vmcnt(0)
	v_add_f64 v[114:115], v[140:141], -v[114:115]
	buffer_store_dword v114, off, s[0:3], 0 offset:376
	buffer_store_dword v115, off, s[0:3], 0 offset:380
	s_and_saveexec_b64 s[4:5], vcc
	s_cbranch_execz .LBB118_245
; %bb.244:
	buffer_load_dword v114, off, s[0:3], 0 offset:368
	buffer_load_dword v115, off, s[0:3], 0 offset:372
	s_waitcnt vmcnt(0)
	ds_write_b64 v1, v[114:115]
	buffer_store_dword v112, off, s[0:3], 0 offset:368
	buffer_store_dword v112, off, s[0:3], 0 offset:372
.LBB118_245:
	s_or_b64 exec, exec, s[4:5]
	s_waitcnt lgkmcnt(0)
	; wave barrier
	s_waitcnt lgkmcnt(0)
	buffer_load_dword v130, off, s[0:3], 0 offset:376
	buffer_load_dword v131, off, s[0:3], 0 offset:380
	;; [unrolled: 1-line block ×18, first 2 shown]
	ds_read2_b64 v[114:117], v112 offset0:103 offset1:104
	ds_read2_b64 v[118:121], v112 offset0:105 offset1:106
	;; [unrolled: 1-line block ×4, first 2 shown]
	v_cmp_lt_u32_e32 vcc, 45, v0
	s_waitcnt vmcnt(16) lgkmcnt(3)
	v_fma_f64 v[112:113], v[130:131], v[114:115], 0
	s_waitcnt vmcnt(14)
	v_fmac_f64_e32 v[112:113], v[132:133], v[116:117]
	s_waitcnt vmcnt(12) lgkmcnt(2)
	v_fmac_f64_e32 v[112:113], v[134:135], v[118:119]
	s_waitcnt vmcnt(10)
	v_fmac_f64_e32 v[112:113], v[136:137], v[120:121]
	s_waitcnt vmcnt(8) lgkmcnt(1)
	v_fmac_f64_e32 v[112:113], v[138:139], v[122:123]
	;; [unrolled: 4-line block ×3, first 2 shown]
	s_waitcnt vmcnt(2)
	v_fmac_f64_e32 v[112:113], v[144:145], v[128:129]
	s_waitcnt vmcnt(0)
	v_add_f64 v[112:113], v[146:147], -v[112:113]
	buffer_store_dword v112, off, s[0:3], 0 offset:368
	buffer_store_dword v113, off, s[0:3], 0 offset:372
	s_and_saveexec_b64 s[4:5], vcc
	s_cbranch_execz .LBB118_247
; %bb.246:
	buffer_load_dword v112, off, s[0:3], 0 offset:360
	buffer_load_dword v113, off, s[0:3], 0 offset:364
	v_mov_b32_e32 v114, 0
	buffer_store_dword v114, off, s[0:3], 0 offset:360
	buffer_store_dword v114, off, s[0:3], 0 offset:364
	s_waitcnt vmcnt(2)
	ds_write_b64 v1, v[112:113]
.LBB118_247:
	s_or_b64 exec, exec, s[4:5]
	s_waitcnt lgkmcnt(0)
	; wave barrier
	s_waitcnt lgkmcnt(0)
	buffer_load_dword v130, off, s[0:3], 0 offset:368
	buffer_load_dword v131, off, s[0:3], 0 offset:372
	;; [unrolled: 1-line block ×20, first 2 shown]
	v_mov_b32_e32 v112, 0
	ds_read_b128 v[114:117], v112 offset:816
	ds_read_b128 v[118:121], v112 offset:832
	;; [unrolled: 1-line block ×4, first 2 shown]
	ds_read_b64 v[150:151], v112 offset:880
	v_cmp_lt_u32_e32 vcc, 44, v0
	s_waitcnt vmcnt(18) lgkmcnt(4)
	v_fma_f64 v[114:115], v[130:131], v[114:115], 0
	s_waitcnt vmcnt(16)
	v_fmac_f64_e32 v[114:115], v[132:133], v[116:117]
	s_waitcnt vmcnt(14) lgkmcnt(3)
	v_fmac_f64_e32 v[114:115], v[134:135], v[118:119]
	s_waitcnt vmcnt(12)
	v_fmac_f64_e32 v[114:115], v[136:137], v[120:121]
	s_waitcnt vmcnt(10) lgkmcnt(2)
	v_fmac_f64_e32 v[114:115], v[138:139], v[122:123]
	;; [unrolled: 4-line block ×3, first 2 shown]
	s_waitcnt vmcnt(2)
	v_fmac_f64_e32 v[114:115], v[146:147], v[128:129]
	s_waitcnt lgkmcnt(0)
	v_fmac_f64_e32 v[114:115], v[144:145], v[150:151]
	s_waitcnt vmcnt(0)
	v_add_f64 v[114:115], v[148:149], -v[114:115]
	buffer_store_dword v114, off, s[0:3], 0 offset:360
	buffer_store_dword v115, off, s[0:3], 0 offset:364
	s_and_saveexec_b64 s[4:5], vcc
	s_cbranch_execz .LBB118_249
; %bb.248:
	buffer_load_dword v114, off, s[0:3], 0 offset:352
	buffer_load_dword v115, off, s[0:3], 0 offset:356
	s_waitcnt vmcnt(0)
	ds_write_b64 v1, v[114:115]
	buffer_store_dword v112, off, s[0:3], 0 offset:352
	buffer_store_dword v112, off, s[0:3], 0 offset:356
.LBB118_249:
	s_or_b64 exec, exec, s[4:5]
	s_waitcnt lgkmcnt(0)
	; wave barrier
	s_waitcnt lgkmcnt(0)
	buffer_load_dword v134, off, s[0:3], 0 offset:360
	buffer_load_dword v135, off, s[0:3], 0 offset:364
	;; [unrolled: 1-line block ×22, first 2 shown]
	ds_read2_b64 v[114:117], v112 offset0:101 offset1:102
	ds_read2_b64 v[118:121], v112 offset0:103 offset1:104
	ds_read2_b64 v[122:125], v112 offset0:105 offset1:106
	ds_read2_b64 v[126:129], v112 offset0:107 offset1:108
	ds_read2_b64 v[130:133], v112 offset0:109 offset1:110
	v_cmp_lt_u32_e32 vcc, 43, v0
	s_waitcnt vmcnt(20) lgkmcnt(4)
	v_fma_f64 v[112:113], v[134:135], v[114:115], 0
	s_waitcnt vmcnt(18)
	v_fmac_f64_e32 v[112:113], v[136:137], v[116:117]
	s_waitcnt vmcnt(16) lgkmcnt(3)
	v_fmac_f64_e32 v[112:113], v[138:139], v[118:119]
	s_waitcnt vmcnt(14)
	v_fmac_f64_e32 v[112:113], v[140:141], v[120:121]
	s_waitcnt vmcnt(12) lgkmcnt(2)
	v_fmac_f64_e32 v[112:113], v[142:143], v[122:123]
	s_waitcnt vmcnt(10)
	v_fmac_f64_e32 v[112:113], v[144:145], v[124:125]
	s_waitcnt vmcnt(8) lgkmcnt(1)
	v_fmac_f64_e32 v[112:113], v[146:147], v[126:127]
	s_waitcnt vmcnt(3)
	v_fmac_f64_e32 v[112:113], v[152:153], v[128:129]
	s_waitcnt lgkmcnt(0)
	v_fmac_f64_e32 v[112:113], v[150:151], v[130:131]
	s_waitcnt vmcnt(2)
	v_fmac_f64_e32 v[112:113], v[148:149], v[132:133]
	s_waitcnt vmcnt(0)
	v_add_f64 v[112:113], v[154:155], -v[112:113]
	buffer_store_dword v112, off, s[0:3], 0 offset:352
	buffer_store_dword v113, off, s[0:3], 0 offset:356
	s_and_saveexec_b64 s[4:5], vcc
	s_cbranch_execz .LBB118_251
; %bb.250:
	buffer_load_dword v112, off, s[0:3], 0 offset:344
	buffer_load_dword v113, off, s[0:3], 0 offset:348
	v_mov_b32_e32 v114, 0
	buffer_store_dword v114, off, s[0:3], 0 offset:344
	buffer_store_dword v114, off, s[0:3], 0 offset:348
	s_waitcnt vmcnt(2)
	ds_write_b64 v1, v[112:113]
.LBB118_251:
	s_or_b64 exec, exec, s[4:5]
	s_waitcnt lgkmcnt(0)
	; wave barrier
	s_waitcnt lgkmcnt(0)
	buffer_load_dword v134, off, s[0:3], 0 offset:352
	buffer_load_dword v135, off, s[0:3], 0 offset:356
	;; [unrolled: 1-line block ×24, first 2 shown]
	v_mov_b32_e32 v112, 0
	ds_read_b128 v[114:117], v112 offset:800
	ds_read_b128 v[118:121], v112 offset:816
	;; [unrolled: 1-line block ×5, first 2 shown]
	ds_read_b64 v[158:159], v112 offset:880
	v_cmp_lt_u32_e32 vcc, 42, v0
	s_waitcnt vmcnt(22) lgkmcnt(5)
	v_fma_f64 v[114:115], v[134:135], v[114:115], 0
	s_waitcnt vmcnt(20)
	v_fmac_f64_e32 v[114:115], v[136:137], v[116:117]
	s_waitcnt vmcnt(18) lgkmcnt(4)
	v_fmac_f64_e32 v[114:115], v[138:139], v[118:119]
	s_waitcnt vmcnt(16)
	v_fmac_f64_e32 v[114:115], v[140:141], v[120:121]
	s_waitcnt vmcnt(14) lgkmcnt(3)
	v_fmac_f64_e32 v[114:115], v[142:143], v[122:123]
	;; [unrolled: 4-line block ×3, first 2 shown]
	s_waitcnt vmcnt(4)
	v_fmac_f64_e32 v[114:115], v[154:155], v[128:129]
	s_waitcnt lgkmcnt(1)
	v_fmac_f64_e32 v[114:115], v[152:153], v[130:131]
	s_waitcnt vmcnt(3)
	v_fmac_f64_e32 v[114:115], v[150:151], v[132:133]
	s_waitcnt vmcnt(2) lgkmcnt(0)
	v_fmac_f64_e32 v[114:115], v[148:149], v[158:159]
	s_waitcnt vmcnt(0)
	v_add_f64 v[114:115], v[156:157], -v[114:115]
	buffer_store_dword v115, off, s[0:3], 0 offset:348
	buffer_store_dword v114, off, s[0:3], 0 offset:344
	s_and_saveexec_b64 s[4:5], vcc
	s_cbranch_execz .LBB118_253
; %bb.252:
	buffer_load_dword v114, off, s[0:3], 0 offset:336
	buffer_load_dword v115, off, s[0:3], 0 offset:340
	s_waitcnt vmcnt(0)
	ds_write_b64 v1, v[114:115]
	buffer_store_dword v112, off, s[0:3], 0 offset:336
	buffer_store_dword v112, off, s[0:3], 0 offset:340
.LBB118_253:
	s_or_b64 exec, exec, s[4:5]
	s_waitcnt lgkmcnt(0)
	; wave barrier
	s_waitcnt lgkmcnt(0)
	buffer_load_dword v138, off, s[0:3], 0 offset:344
	buffer_load_dword v139, off, s[0:3], 0 offset:348
	;; [unrolled: 1-line block ×26, first 2 shown]
	ds_read2_b64 v[114:117], v112 offset0:99 offset1:100
	ds_read2_b64 v[118:121], v112 offset0:101 offset1:102
	;; [unrolled: 1-line block ×6, first 2 shown]
	v_cmp_lt_u32_e32 vcc, 41, v0
	s_waitcnt vmcnt(24) lgkmcnt(5)
	v_fma_f64 v[112:113], v[138:139], v[114:115], 0
	s_waitcnt vmcnt(22)
	v_fmac_f64_e32 v[112:113], v[140:141], v[116:117]
	s_waitcnt vmcnt(20) lgkmcnt(4)
	v_fmac_f64_e32 v[112:113], v[142:143], v[118:119]
	s_waitcnt vmcnt(18)
	v_fmac_f64_e32 v[112:113], v[144:145], v[120:121]
	s_waitcnt vmcnt(16) lgkmcnt(3)
	v_fmac_f64_e32 v[112:113], v[146:147], v[122:123]
	;; [unrolled: 4-line block ×3, first 2 shown]
	s_waitcnt vmcnt(5)
	v_fmac_f64_e32 v[112:113], v[158:159], v[128:129]
	s_waitcnt lgkmcnt(1)
	v_fmac_f64_e32 v[112:113], v[156:157], v[130:131]
	v_fmac_f64_e32 v[112:113], v[154:155], v[132:133]
	s_waitcnt vmcnt(4) lgkmcnt(0)
	v_fmac_f64_e32 v[112:113], v[152:153], v[134:135]
	s_waitcnt vmcnt(2)
	v_fmac_f64_e32 v[112:113], v[160:161], v[136:137]
	s_waitcnt vmcnt(0)
	v_add_f64 v[112:113], v[162:163], -v[112:113]
	buffer_store_dword v113, off, s[0:3], 0 offset:340
	buffer_store_dword v112, off, s[0:3], 0 offset:336
	s_and_saveexec_b64 s[4:5], vcc
	s_cbranch_execz .LBB118_255
; %bb.254:
	buffer_load_dword v112, off, s[0:3], 0 offset:328
	buffer_load_dword v113, off, s[0:3], 0 offset:332
	v_mov_b32_e32 v114, 0
	buffer_store_dword v114, off, s[0:3], 0 offset:328
	buffer_store_dword v114, off, s[0:3], 0 offset:332
	s_waitcnt vmcnt(2)
	ds_write_b64 v1, v[112:113]
.LBB118_255:
	s_or_b64 exec, exec, s[4:5]
	s_waitcnt lgkmcnt(0)
	; wave barrier
	s_waitcnt lgkmcnt(0)
	buffer_load_dword v130, off, s[0:3], 0 offset:328
	buffer_load_dword v131, off, s[0:3], 0 offset:332
	;; [unrolled: 1-line block ×16, first 2 shown]
	v_mov_b32_e32 v112, 0
	ds_read_b128 v[114:117], v112 offset:784
	ds_read_b128 v[118:121], v112 offset:800
	;; [unrolled: 1-line block ×4, first 2 shown]
	v_cmp_lt_u32_e32 vcc, 40, v0
	s_waitcnt vmcnt(12) lgkmcnt(3)
	v_fma_f64 v[132:133], v[132:133], v[114:115], 0
	buffer_load_dword v115, off, s[0:3], 0 offset:396
	buffer_load_dword v114, off, s[0:3], 0 offset:392
	s_waitcnt vmcnt(12)
	v_fmac_f64_e32 v[132:133], v[134:135], v[116:117]
	s_waitcnt vmcnt(10) lgkmcnt(2)
	v_fmac_f64_e32 v[132:133], v[136:137], v[118:119]
	buffer_load_dword v119, off, s[0:3], 0 offset:404
	buffer_load_dword v118, off, s[0:3], 0 offset:400
	s_waitcnt vmcnt(10)
	v_fmac_f64_e32 v[132:133], v[138:139], v[120:121]
	s_waitcnt vmcnt(8) lgkmcnt(1)
	v_fmac_f64_e32 v[132:133], v[140:141], v[122:123]
	s_waitcnt vmcnt(6)
	v_fmac_f64_e32 v[132:133], v[142:143], v[124:125]
	s_waitcnt vmcnt(4) lgkmcnt(0)
	v_fmac_f64_e32 v[132:133], v[144:145], v[126:127]
	s_waitcnt vmcnt(2)
	v_fmac_f64_e32 v[132:133], v[114:115], v[128:129]
	ds_read_b128 v[114:117], v112 offset:848
	s_waitcnt vmcnt(0) lgkmcnt(0)
	v_fmac_f64_e32 v[132:133], v[118:119], v[114:115]
	buffer_load_dword v115, off, s[0:3], 0 offset:412
	buffer_load_dword v114, off, s[0:3], 0 offset:408
	;; [unrolled: 1-line block ×4, first 2 shown]
	s_waitcnt vmcnt(2)
	v_fmac_f64_e32 v[132:133], v[114:115], v[116:117]
	ds_read_b128 v[114:117], v112 offset:864
	s_waitcnt vmcnt(0) lgkmcnt(0)
	v_fmac_f64_e32 v[132:133], v[118:119], v[114:115]
	buffer_load_dword v115, off, s[0:3], 0 offset:428
	buffer_load_dword v114, off, s[0:3], 0 offset:424
	s_waitcnt vmcnt(0)
	v_fmac_f64_e32 v[132:133], v[114:115], v[116:117]
	buffer_load_dword v115, off, s[0:3], 0 offset:436
	buffer_load_dword v114, off, s[0:3], 0 offset:432
	ds_read_b64 v[116:117], v112 offset:880
	s_waitcnt vmcnt(0) lgkmcnt(0)
	v_fmac_f64_e32 v[132:133], v[114:115], v[116:117]
	v_add_f64 v[114:115], v[130:131], -v[132:133]
	buffer_store_dword v115, off, s[0:3], 0 offset:332
	buffer_store_dword v114, off, s[0:3], 0 offset:328
	s_and_saveexec_b64 s[4:5], vcc
	s_cbranch_execz .LBB118_257
; %bb.256:
	buffer_load_dword v114, off, s[0:3], 0 offset:320
	buffer_load_dword v115, off, s[0:3], 0 offset:324
	s_waitcnt vmcnt(0)
	ds_write_b64 v1, v[114:115]
	buffer_store_dword v112, off, s[0:3], 0 offset:320
	buffer_store_dword v112, off, s[0:3], 0 offset:324
.LBB118_257:
	s_or_b64 exec, exec, s[4:5]
	s_waitcnt lgkmcnt(0)
	; wave barrier
	s_waitcnt lgkmcnt(0)
	buffer_load_dword v118, off, s[0:3], 0 offset:320
	buffer_load_dword v119, off, s[0:3], 0 offset:324
	;; [unrolled: 1-line block ×16, first 2 shown]
	ds_read2_b64 v[114:117], v112 offset0:97 offset1:98
	v_cmp_lt_u32_e32 vcc, 39, v0
	s_waitcnt vmcnt(12) lgkmcnt(0)
	v_fma_f64 v[120:121], v[120:121], v[114:115], 0
	s_waitcnt vmcnt(10)
	v_fmac_f64_e32 v[120:121], v[122:123], v[116:117]
	ds_read2_b64 v[114:117], v112 offset0:99 offset1:100
	s_waitcnt vmcnt(8) lgkmcnt(0)
	v_fmac_f64_e32 v[120:121], v[124:125], v[114:115]
	s_waitcnt vmcnt(6)
	v_fmac_f64_e32 v[120:121], v[126:127], v[116:117]
	ds_read2_b64 v[114:117], v112 offset0:101 offset1:102
	s_waitcnt vmcnt(4) lgkmcnt(0)
	v_fmac_f64_e32 v[120:121], v[128:129], v[114:115]
	s_waitcnt vmcnt(2)
	v_fmac_f64_e32 v[120:121], v[130:131], v[116:117]
	ds_read2_b64 v[114:117], v112 offset0:103 offset1:104
	s_waitcnt vmcnt(0) lgkmcnt(0)
	v_fmac_f64_e32 v[120:121], v[132:133], v[114:115]
	buffer_load_dword v115, off, s[0:3], 0 offset:388
	buffer_load_dword v114, off, s[0:3], 0 offset:384
	;; [unrolled: 1-line block ×4, first 2 shown]
	s_waitcnt vmcnt(2)
	v_fmac_f64_e32 v[120:121], v[114:115], v[116:117]
	ds_read2_b64 v[114:117], v112 offset0:105 offset1:106
	s_waitcnt vmcnt(0) lgkmcnt(0)
	v_fmac_f64_e32 v[120:121], v[122:123], v[114:115]
	buffer_load_dword v115, off, s[0:3], 0 offset:404
	buffer_load_dword v114, off, s[0:3], 0 offset:400
	;; [unrolled: 1-line block ×4, first 2 shown]
	s_waitcnt vmcnt(2)
	v_fmac_f64_e32 v[120:121], v[114:115], v[116:117]
	ds_read2_b64 v[114:117], v112 offset0:107 offset1:108
	s_waitcnt vmcnt(0) lgkmcnt(0)
	v_fmac_f64_e32 v[120:121], v[122:123], v[114:115]
	buffer_load_dword v115, off, s[0:3], 0 offset:420
	buffer_load_dword v114, off, s[0:3], 0 offset:416
	s_waitcnt vmcnt(0)
	v_fmac_f64_e32 v[120:121], v[114:115], v[116:117]
	buffer_load_dword v117, off, s[0:3], 0 offset:428
	buffer_load_dword v116, off, s[0:3], 0 offset:424
	ds_read2_b64 v[112:115], v112 offset0:109 offset1:110
	s_waitcnt vmcnt(0) lgkmcnt(0)
	v_fmac_f64_e32 v[120:121], v[116:117], v[112:113]
	buffer_load_dword v113, off, s[0:3], 0 offset:436
	buffer_load_dword v112, off, s[0:3], 0 offset:432
	s_waitcnt vmcnt(0)
	v_fmac_f64_e32 v[120:121], v[112:113], v[114:115]
	v_add_f64 v[112:113], v[118:119], -v[120:121]
	buffer_store_dword v113, off, s[0:3], 0 offset:324
	buffer_store_dword v112, off, s[0:3], 0 offset:320
	s_and_saveexec_b64 s[4:5], vcc
	s_cbranch_execz .LBB118_259
; %bb.258:
	buffer_load_dword v112, off, s[0:3], 0 offset:312
	buffer_load_dword v113, off, s[0:3], 0 offset:316
	v_mov_b32_e32 v114, 0
	buffer_store_dword v114, off, s[0:3], 0 offset:312
	buffer_store_dword v114, off, s[0:3], 0 offset:316
	s_waitcnt vmcnt(2)
	ds_write_b64 v1, v[112:113]
.LBB118_259:
	s_or_b64 exec, exec, s[4:5]
	s_waitcnt lgkmcnt(0)
	; wave barrier
	s_waitcnt lgkmcnt(0)
	buffer_load_dword v130, off, s[0:3], 0 offset:312
	buffer_load_dword v131, off, s[0:3], 0 offset:316
	;; [unrolled: 1-line block ×16, first 2 shown]
	v_mov_b32_e32 v112, 0
	ds_read_b128 v[114:117], v112 offset:768
	ds_read_b128 v[118:121], v112 offset:784
	;; [unrolled: 1-line block ×4, first 2 shown]
	v_cmp_lt_u32_e32 vcc, 38, v0
	s_waitcnt vmcnt(12) lgkmcnt(3)
	v_fma_f64 v[132:133], v[132:133], v[114:115], 0
	buffer_load_dword v115, off, s[0:3], 0 offset:380
	buffer_load_dword v114, off, s[0:3], 0 offset:376
	s_waitcnt vmcnt(12)
	v_fmac_f64_e32 v[132:133], v[134:135], v[116:117]
	s_waitcnt vmcnt(10) lgkmcnt(2)
	v_fmac_f64_e32 v[132:133], v[136:137], v[118:119]
	buffer_load_dword v119, off, s[0:3], 0 offset:388
	buffer_load_dword v118, off, s[0:3], 0 offset:384
	s_waitcnt vmcnt(10)
	v_fmac_f64_e32 v[132:133], v[138:139], v[120:121]
	s_waitcnt vmcnt(8) lgkmcnt(1)
	v_fmac_f64_e32 v[132:133], v[140:141], v[122:123]
	s_waitcnt vmcnt(6)
	v_fmac_f64_e32 v[132:133], v[142:143], v[124:125]
	s_waitcnt vmcnt(4) lgkmcnt(0)
	v_fmac_f64_e32 v[132:133], v[144:145], v[126:127]
	s_waitcnt vmcnt(2)
	v_fmac_f64_e32 v[132:133], v[114:115], v[128:129]
	ds_read_b128 v[114:117], v112 offset:832
	s_waitcnt vmcnt(0) lgkmcnt(0)
	v_fmac_f64_e32 v[132:133], v[118:119], v[114:115]
	buffer_load_dword v115, off, s[0:3], 0 offset:396
	buffer_load_dword v114, off, s[0:3], 0 offset:392
	;; [unrolled: 1-line block ×4, first 2 shown]
	s_waitcnt vmcnt(2)
	v_fmac_f64_e32 v[132:133], v[114:115], v[116:117]
	ds_read_b128 v[114:117], v112 offset:848
	s_waitcnt vmcnt(0) lgkmcnt(0)
	v_fmac_f64_e32 v[132:133], v[118:119], v[114:115]
	buffer_load_dword v115, off, s[0:3], 0 offset:412
	buffer_load_dword v114, off, s[0:3], 0 offset:408
	;; [unrolled: 1-line block ×4, first 2 shown]
	s_waitcnt vmcnt(2)
	v_fmac_f64_e32 v[132:133], v[114:115], v[116:117]
	ds_read_b128 v[114:117], v112 offset:864
	s_waitcnt vmcnt(0) lgkmcnt(0)
	v_fmac_f64_e32 v[132:133], v[118:119], v[114:115]
	buffer_load_dword v115, off, s[0:3], 0 offset:428
	buffer_load_dword v114, off, s[0:3], 0 offset:424
	s_waitcnt vmcnt(0)
	v_fmac_f64_e32 v[132:133], v[114:115], v[116:117]
	buffer_load_dword v115, off, s[0:3], 0 offset:436
	buffer_load_dword v114, off, s[0:3], 0 offset:432
	ds_read_b64 v[116:117], v112 offset:880
	s_waitcnt vmcnt(0) lgkmcnt(0)
	v_fmac_f64_e32 v[132:133], v[114:115], v[116:117]
	v_add_f64 v[114:115], v[130:131], -v[132:133]
	buffer_store_dword v115, off, s[0:3], 0 offset:316
	buffer_store_dword v114, off, s[0:3], 0 offset:312
	s_and_saveexec_b64 s[4:5], vcc
	s_cbranch_execz .LBB118_261
; %bb.260:
	buffer_load_dword v114, off, s[0:3], 0 offset:304
	buffer_load_dword v115, off, s[0:3], 0 offset:308
	s_waitcnt vmcnt(0)
	ds_write_b64 v1, v[114:115]
	buffer_store_dword v112, off, s[0:3], 0 offset:304
	buffer_store_dword v112, off, s[0:3], 0 offset:308
.LBB118_261:
	s_or_b64 exec, exec, s[4:5]
	s_waitcnt lgkmcnt(0)
	; wave barrier
	s_waitcnt lgkmcnt(0)
	buffer_load_dword v118, off, s[0:3], 0 offset:304
	buffer_load_dword v119, off, s[0:3], 0 offset:308
	;; [unrolled: 1-line block ×16, first 2 shown]
	ds_read2_b64 v[114:117], v112 offset0:95 offset1:96
	v_cmp_lt_u32_e32 vcc, 37, v0
	s_waitcnt vmcnt(12) lgkmcnt(0)
	v_fma_f64 v[120:121], v[120:121], v[114:115], 0
	s_waitcnt vmcnt(10)
	v_fmac_f64_e32 v[120:121], v[122:123], v[116:117]
	ds_read2_b64 v[114:117], v112 offset0:97 offset1:98
	s_waitcnt vmcnt(8) lgkmcnt(0)
	v_fmac_f64_e32 v[120:121], v[124:125], v[114:115]
	s_waitcnt vmcnt(6)
	v_fmac_f64_e32 v[120:121], v[126:127], v[116:117]
	ds_read2_b64 v[114:117], v112 offset0:99 offset1:100
	s_waitcnt vmcnt(4) lgkmcnt(0)
	v_fmac_f64_e32 v[120:121], v[128:129], v[114:115]
	;; [unrolled: 5-line block ×3, first 2 shown]
	buffer_load_dword v115, off, s[0:3], 0 offset:372
	buffer_load_dword v114, off, s[0:3], 0 offset:368
	buffer_load_dword v123, off, s[0:3], 0 offset:380
	buffer_load_dword v122, off, s[0:3], 0 offset:376
	s_waitcnt vmcnt(2)
	v_fmac_f64_e32 v[120:121], v[114:115], v[116:117]
	ds_read2_b64 v[114:117], v112 offset0:103 offset1:104
	s_waitcnt vmcnt(0) lgkmcnt(0)
	v_fmac_f64_e32 v[120:121], v[122:123], v[114:115]
	buffer_load_dword v115, off, s[0:3], 0 offset:388
	buffer_load_dword v114, off, s[0:3], 0 offset:384
	buffer_load_dword v123, off, s[0:3], 0 offset:396
	buffer_load_dword v122, off, s[0:3], 0 offset:392
	s_waitcnt vmcnt(2)
	v_fmac_f64_e32 v[120:121], v[114:115], v[116:117]
	ds_read2_b64 v[114:117], v112 offset0:105 offset1:106
	s_waitcnt vmcnt(0) lgkmcnt(0)
	v_fmac_f64_e32 v[120:121], v[122:123], v[114:115]
	;; [unrolled: 9-line block ×3, first 2 shown]
	buffer_load_dword v115, off, s[0:3], 0 offset:420
	buffer_load_dword v114, off, s[0:3], 0 offset:416
	s_waitcnt vmcnt(0)
	v_fmac_f64_e32 v[120:121], v[114:115], v[116:117]
	buffer_load_dword v117, off, s[0:3], 0 offset:428
	buffer_load_dword v116, off, s[0:3], 0 offset:424
	ds_read2_b64 v[112:115], v112 offset0:109 offset1:110
	s_waitcnt vmcnt(0) lgkmcnt(0)
	v_fmac_f64_e32 v[120:121], v[116:117], v[112:113]
	buffer_load_dword v113, off, s[0:3], 0 offset:436
	buffer_load_dword v112, off, s[0:3], 0 offset:432
	s_waitcnt vmcnt(0)
	v_fmac_f64_e32 v[120:121], v[112:113], v[114:115]
	v_add_f64 v[112:113], v[118:119], -v[120:121]
	buffer_store_dword v113, off, s[0:3], 0 offset:308
	buffer_store_dword v112, off, s[0:3], 0 offset:304
	s_and_saveexec_b64 s[4:5], vcc
	s_cbranch_execz .LBB118_263
; %bb.262:
	buffer_load_dword v112, off, s[0:3], 0 offset:296
	buffer_load_dword v113, off, s[0:3], 0 offset:300
	v_mov_b32_e32 v114, 0
	buffer_store_dword v114, off, s[0:3], 0 offset:296
	buffer_store_dword v114, off, s[0:3], 0 offset:300
	s_waitcnt vmcnt(2)
	ds_write_b64 v1, v[112:113]
.LBB118_263:
	s_or_b64 exec, exec, s[4:5]
	s_waitcnt lgkmcnt(0)
	; wave barrier
	s_waitcnt lgkmcnt(0)
	buffer_load_dword v112, off, s[0:3], 0 offset:296
	buffer_load_dword v113, off, s[0:3], 0 offset:300
	;; [unrolled: 1-line block ×16, first 2 shown]
	v_mov_b32_e32 v116, 0
	ds_read_b128 v[118:121], v116 offset:752
	ds_read_b128 v[122:125], v116 offset:768
	;; [unrolled: 1-line block ×4, first 2 shown]
	v_cmp_lt_u32_e32 vcc, 36, v0
	s_waitcnt vmcnt(12) lgkmcnt(3)
	v_fma_f64 v[114:115], v[114:115], v[118:119], 0
	buffer_load_dword v119, off, s[0:3], 0 offset:364
	buffer_load_dword v118, off, s[0:3], 0 offset:360
	s_waitcnt vmcnt(12)
	v_fmac_f64_e32 v[114:115], v[134:135], v[120:121]
	s_waitcnt vmcnt(10) lgkmcnt(2)
	v_fmac_f64_e32 v[114:115], v[136:137], v[122:123]
	buffer_load_dword v123, off, s[0:3], 0 offset:372
	buffer_load_dword v122, off, s[0:3], 0 offset:368
	s_waitcnt vmcnt(10)
	v_fmac_f64_e32 v[114:115], v[138:139], v[124:125]
	s_waitcnt vmcnt(8) lgkmcnt(1)
	v_fmac_f64_e32 v[114:115], v[140:141], v[126:127]
	s_waitcnt vmcnt(6)
	v_fmac_f64_e32 v[114:115], v[142:143], v[128:129]
	s_waitcnt vmcnt(4) lgkmcnt(0)
	v_fmac_f64_e32 v[114:115], v[144:145], v[130:131]
	s_waitcnt vmcnt(2)
	v_fmac_f64_e32 v[114:115], v[118:119], v[132:133]
	ds_read_b128 v[118:121], v116 offset:816
	s_waitcnt vmcnt(0) lgkmcnt(0)
	v_fmac_f64_e32 v[114:115], v[122:123], v[118:119]
	buffer_load_dword v119, off, s[0:3], 0 offset:380
	buffer_load_dword v118, off, s[0:3], 0 offset:376
	buffer_load_dword v123, off, s[0:3], 0 offset:388
	buffer_load_dword v122, off, s[0:3], 0 offset:384
	s_waitcnt vmcnt(2)
	v_fmac_f64_e32 v[114:115], v[118:119], v[120:121]
	ds_read_b128 v[118:121], v116 offset:832
	s_waitcnt vmcnt(0) lgkmcnt(0)
	v_fmac_f64_e32 v[114:115], v[122:123], v[118:119]
	buffer_load_dword v119, off, s[0:3], 0 offset:396
	buffer_load_dword v118, off, s[0:3], 0 offset:392
	buffer_load_dword v123, off, s[0:3], 0 offset:404
	buffer_load_dword v122, off, s[0:3], 0 offset:400
	;; [unrolled: 9-line block ×3, first 2 shown]
	s_waitcnt vmcnt(2)
	v_fmac_f64_e32 v[114:115], v[118:119], v[120:121]
	ds_read_b128 v[118:121], v116 offset:864
	s_waitcnt vmcnt(0) lgkmcnt(0)
	v_fmac_f64_e32 v[114:115], v[122:123], v[118:119]
	buffer_load_dword v119, off, s[0:3], 0 offset:428
	buffer_load_dword v118, off, s[0:3], 0 offset:424
	s_waitcnt vmcnt(0)
	v_fmac_f64_e32 v[114:115], v[118:119], v[120:121]
	buffer_load_dword v119, off, s[0:3], 0 offset:436
	buffer_load_dword v118, off, s[0:3], 0 offset:432
	ds_read_b64 v[120:121], v116 offset:880
	s_waitcnt vmcnt(0) lgkmcnt(0)
	v_fmac_f64_e32 v[114:115], v[118:119], v[120:121]
	v_add_f64 v[112:113], v[112:113], -v[114:115]
	buffer_store_dword v113, off, s[0:3], 0 offset:300
	buffer_store_dword v112, off, s[0:3], 0 offset:296
	s_and_saveexec_b64 s[4:5], vcc
	s_cbranch_execz .LBB118_265
; %bb.264:
	buffer_load_dword v112, off, s[0:3], 0 offset:288
	buffer_load_dword v113, off, s[0:3], 0 offset:292
	s_waitcnt vmcnt(0)
	ds_write_b64 v1, v[112:113]
	buffer_store_dword v116, off, s[0:3], 0 offset:288
	buffer_store_dword v116, off, s[0:3], 0 offset:292
.LBB118_265:
	s_or_b64 exec, exec, s[4:5]
	s_waitcnt lgkmcnt(0)
	; wave barrier
	s_waitcnt lgkmcnt(0)
	buffer_load_dword v112, off, s[0:3], 0 offset:288
	buffer_load_dword v113, off, s[0:3], 0 offset:292
	;; [unrolled: 1-line block ×16, first 2 shown]
	ds_read2_b64 v[118:121], v116 offset0:93 offset1:94
	v_cmp_lt_u32_e32 vcc, 35, v0
	s_waitcnt vmcnt(12) lgkmcnt(0)
	v_fma_f64 v[114:115], v[114:115], v[118:119], 0
	s_waitcnt vmcnt(10)
	v_fmac_f64_e32 v[114:115], v[122:123], v[120:121]
	ds_read2_b64 v[118:121], v116 offset0:95 offset1:96
	s_waitcnt vmcnt(8) lgkmcnt(0)
	v_fmac_f64_e32 v[114:115], v[124:125], v[118:119]
	s_waitcnt vmcnt(6)
	v_fmac_f64_e32 v[114:115], v[126:127], v[120:121]
	ds_read2_b64 v[118:121], v116 offset0:97 offset1:98
	s_waitcnt vmcnt(4) lgkmcnt(0)
	v_fmac_f64_e32 v[114:115], v[128:129], v[118:119]
	;; [unrolled: 5-line block ×3, first 2 shown]
	buffer_load_dword v119, off, s[0:3], 0 offset:356
	buffer_load_dword v118, off, s[0:3], 0 offset:352
	buffer_load_dword v123, off, s[0:3], 0 offset:364
	buffer_load_dword v122, off, s[0:3], 0 offset:360
	s_waitcnt vmcnt(2)
	v_fmac_f64_e32 v[114:115], v[118:119], v[120:121]
	ds_read2_b64 v[118:121], v116 offset0:101 offset1:102
	s_waitcnt vmcnt(0) lgkmcnt(0)
	v_fmac_f64_e32 v[114:115], v[122:123], v[118:119]
	buffer_load_dword v119, off, s[0:3], 0 offset:372
	buffer_load_dword v118, off, s[0:3], 0 offset:368
	buffer_load_dword v123, off, s[0:3], 0 offset:380
	buffer_load_dword v122, off, s[0:3], 0 offset:376
	s_waitcnt vmcnt(2)
	v_fmac_f64_e32 v[114:115], v[118:119], v[120:121]
	ds_read2_b64 v[118:121], v116 offset0:103 offset1:104
	s_waitcnt vmcnt(0) lgkmcnt(0)
	v_fmac_f64_e32 v[114:115], v[122:123], v[118:119]
	;; [unrolled: 9-line block ×4, first 2 shown]
	buffer_load_dword v119, off, s[0:3], 0 offset:420
	buffer_load_dword v118, off, s[0:3], 0 offset:416
	s_waitcnt vmcnt(0)
	v_fmac_f64_e32 v[114:115], v[118:119], v[120:121]
	buffer_load_dword v121, off, s[0:3], 0 offset:428
	buffer_load_dword v120, off, s[0:3], 0 offset:424
	ds_read2_b64 v[116:119], v116 offset0:109 offset1:110
	s_waitcnt vmcnt(0) lgkmcnt(0)
	v_fmac_f64_e32 v[114:115], v[120:121], v[116:117]
	buffer_load_dword v117, off, s[0:3], 0 offset:436
	buffer_load_dword v116, off, s[0:3], 0 offset:432
	s_waitcnt vmcnt(0)
	v_fmac_f64_e32 v[114:115], v[116:117], v[118:119]
	v_add_f64 v[112:113], v[112:113], -v[114:115]
	buffer_store_dword v113, off, s[0:3], 0 offset:292
	buffer_store_dword v112, off, s[0:3], 0 offset:288
	s_and_saveexec_b64 s[4:5], vcc
	s_cbranch_execz .LBB118_267
; %bb.266:
	buffer_load_dword v112, off, s[0:3], 0 offset:280
	buffer_load_dword v113, off, s[0:3], 0 offset:284
	v_mov_b32_e32 v114, 0
	buffer_store_dword v114, off, s[0:3], 0 offset:280
	buffer_store_dword v114, off, s[0:3], 0 offset:284
	s_waitcnt vmcnt(2)
	ds_write_b64 v1, v[112:113]
.LBB118_267:
	s_or_b64 exec, exec, s[4:5]
	s_waitcnt lgkmcnt(0)
	; wave barrier
	s_waitcnt lgkmcnt(0)
	buffer_load_dword v112, off, s[0:3], 0 offset:280
	buffer_load_dword v113, off, s[0:3], 0 offset:284
	buffer_load_dword v114, off, s[0:3], 0 offset:288
	buffer_load_dword v115, off, s[0:3], 0 offset:292
	buffer_load_dword v134, off, s[0:3], 0 offset:296
	buffer_load_dword v135, off, s[0:3], 0 offset:300
	buffer_load_dword v136, off, s[0:3], 0 offset:304
	buffer_load_dword v137, off, s[0:3], 0 offset:308
	buffer_load_dword v138, off, s[0:3], 0 offset:312
	buffer_load_dword v139, off, s[0:3], 0 offset:316
	buffer_load_dword v140, off, s[0:3], 0 offset:320
	buffer_load_dword v141, off, s[0:3], 0 offset:324
	buffer_load_dword v142, off, s[0:3], 0 offset:328
	buffer_load_dword v143, off, s[0:3], 0 offset:332
	buffer_load_dword v144, off, s[0:3], 0 offset:336
	buffer_load_dword v145, off, s[0:3], 0 offset:340
	v_mov_b32_e32 v116, 0
	ds_read_b128 v[118:121], v116 offset:736
	ds_read_b128 v[122:125], v116 offset:752
	;; [unrolled: 1-line block ×4, first 2 shown]
	v_cmp_lt_u32_e32 vcc, 34, v0
	s_waitcnt vmcnt(12) lgkmcnt(3)
	v_fma_f64 v[114:115], v[114:115], v[118:119], 0
	buffer_load_dword v119, off, s[0:3], 0 offset:348
	buffer_load_dword v118, off, s[0:3], 0 offset:344
	s_waitcnt vmcnt(12)
	v_fmac_f64_e32 v[114:115], v[134:135], v[120:121]
	s_waitcnt vmcnt(10) lgkmcnt(2)
	v_fmac_f64_e32 v[114:115], v[136:137], v[122:123]
	buffer_load_dword v123, off, s[0:3], 0 offset:356
	buffer_load_dword v122, off, s[0:3], 0 offset:352
	s_waitcnt vmcnt(10)
	v_fmac_f64_e32 v[114:115], v[138:139], v[124:125]
	s_waitcnt vmcnt(8) lgkmcnt(1)
	v_fmac_f64_e32 v[114:115], v[140:141], v[126:127]
	s_waitcnt vmcnt(6)
	v_fmac_f64_e32 v[114:115], v[142:143], v[128:129]
	s_waitcnt vmcnt(4) lgkmcnt(0)
	v_fmac_f64_e32 v[114:115], v[144:145], v[130:131]
	s_waitcnt vmcnt(2)
	v_fmac_f64_e32 v[114:115], v[118:119], v[132:133]
	ds_read_b128 v[118:121], v116 offset:800
	s_waitcnt vmcnt(0) lgkmcnt(0)
	v_fmac_f64_e32 v[114:115], v[122:123], v[118:119]
	buffer_load_dword v119, off, s[0:3], 0 offset:364
	buffer_load_dword v118, off, s[0:3], 0 offset:360
	buffer_load_dword v123, off, s[0:3], 0 offset:372
	buffer_load_dword v122, off, s[0:3], 0 offset:368
	s_waitcnt vmcnt(2)
	v_fmac_f64_e32 v[114:115], v[118:119], v[120:121]
	ds_read_b128 v[118:121], v116 offset:816
	s_waitcnt vmcnt(0) lgkmcnt(0)
	v_fmac_f64_e32 v[114:115], v[122:123], v[118:119]
	buffer_load_dword v119, off, s[0:3], 0 offset:380
	buffer_load_dword v118, off, s[0:3], 0 offset:376
	buffer_load_dword v123, off, s[0:3], 0 offset:388
	buffer_load_dword v122, off, s[0:3], 0 offset:384
	;; [unrolled: 9-line block ×4, first 2 shown]
	s_waitcnt vmcnt(2)
	v_fmac_f64_e32 v[114:115], v[118:119], v[120:121]
	ds_read_b128 v[118:121], v116 offset:864
	s_waitcnt vmcnt(0) lgkmcnt(0)
	v_fmac_f64_e32 v[114:115], v[122:123], v[118:119]
	buffer_load_dword v119, off, s[0:3], 0 offset:428
	buffer_load_dword v118, off, s[0:3], 0 offset:424
	s_waitcnt vmcnt(0)
	v_fmac_f64_e32 v[114:115], v[118:119], v[120:121]
	buffer_load_dword v119, off, s[0:3], 0 offset:436
	buffer_load_dword v118, off, s[0:3], 0 offset:432
	ds_read_b64 v[120:121], v116 offset:880
	s_waitcnt vmcnt(0) lgkmcnt(0)
	v_fmac_f64_e32 v[114:115], v[118:119], v[120:121]
	v_add_f64 v[112:113], v[112:113], -v[114:115]
	buffer_store_dword v113, off, s[0:3], 0 offset:284
	buffer_store_dword v112, off, s[0:3], 0 offset:280
	s_and_saveexec_b64 s[4:5], vcc
	s_cbranch_execz .LBB118_269
; %bb.268:
	buffer_load_dword v112, off, s[0:3], 0 offset:272
	buffer_load_dword v113, off, s[0:3], 0 offset:276
	s_waitcnt vmcnt(0)
	ds_write_b64 v1, v[112:113]
	buffer_store_dword v116, off, s[0:3], 0 offset:272
	buffer_store_dword v116, off, s[0:3], 0 offset:276
.LBB118_269:
	s_or_b64 exec, exec, s[4:5]
	s_waitcnt lgkmcnt(0)
	; wave barrier
	s_waitcnt lgkmcnt(0)
	buffer_load_dword v112, off, s[0:3], 0 offset:272
	buffer_load_dword v113, off, s[0:3], 0 offset:276
	;; [unrolled: 1-line block ×16, first 2 shown]
	ds_read2_b64 v[118:121], v116 offset0:91 offset1:92
	v_cmp_lt_u32_e32 vcc, 33, v0
	s_waitcnt vmcnt(12) lgkmcnt(0)
	v_fma_f64 v[114:115], v[114:115], v[118:119], 0
	s_waitcnt vmcnt(10)
	v_fmac_f64_e32 v[114:115], v[122:123], v[120:121]
	ds_read2_b64 v[118:121], v116 offset0:93 offset1:94
	s_waitcnt vmcnt(8) lgkmcnt(0)
	v_fmac_f64_e32 v[114:115], v[124:125], v[118:119]
	s_waitcnt vmcnt(6)
	v_fmac_f64_e32 v[114:115], v[126:127], v[120:121]
	ds_read2_b64 v[118:121], v116 offset0:95 offset1:96
	s_waitcnt vmcnt(4) lgkmcnt(0)
	v_fmac_f64_e32 v[114:115], v[128:129], v[118:119]
	;; [unrolled: 5-line block ×3, first 2 shown]
	buffer_load_dword v119, off, s[0:3], 0 offset:340
	buffer_load_dword v118, off, s[0:3], 0 offset:336
	buffer_load_dword v123, off, s[0:3], 0 offset:348
	buffer_load_dword v122, off, s[0:3], 0 offset:344
	s_waitcnt vmcnt(2)
	v_fmac_f64_e32 v[114:115], v[118:119], v[120:121]
	ds_read2_b64 v[118:121], v116 offset0:99 offset1:100
	s_waitcnt vmcnt(0) lgkmcnt(0)
	v_fmac_f64_e32 v[114:115], v[122:123], v[118:119]
	buffer_load_dword v119, off, s[0:3], 0 offset:356
	buffer_load_dword v118, off, s[0:3], 0 offset:352
	buffer_load_dword v123, off, s[0:3], 0 offset:364
	buffer_load_dword v122, off, s[0:3], 0 offset:360
	s_waitcnt vmcnt(2)
	v_fmac_f64_e32 v[114:115], v[118:119], v[120:121]
	ds_read2_b64 v[118:121], v116 offset0:101 offset1:102
	s_waitcnt vmcnt(0) lgkmcnt(0)
	v_fmac_f64_e32 v[114:115], v[122:123], v[118:119]
	;; [unrolled: 9-line block ×5, first 2 shown]
	buffer_load_dword v119, off, s[0:3], 0 offset:420
	buffer_load_dword v118, off, s[0:3], 0 offset:416
	s_waitcnt vmcnt(0)
	v_fmac_f64_e32 v[114:115], v[118:119], v[120:121]
	buffer_load_dword v121, off, s[0:3], 0 offset:428
	buffer_load_dword v120, off, s[0:3], 0 offset:424
	ds_read2_b64 v[116:119], v116 offset0:109 offset1:110
	s_waitcnt vmcnt(0) lgkmcnt(0)
	v_fmac_f64_e32 v[114:115], v[120:121], v[116:117]
	buffer_load_dword v117, off, s[0:3], 0 offset:436
	buffer_load_dword v116, off, s[0:3], 0 offset:432
	s_waitcnt vmcnt(0)
	v_fmac_f64_e32 v[114:115], v[116:117], v[118:119]
	v_add_f64 v[112:113], v[112:113], -v[114:115]
	buffer_store_dword v113, off, s[0:3], 0 offset:276
	buffer_store_dword v112, off, s[0:3], 0 offset:272
	s_and_saveexec_b64 s[4:5], vcc
	s_cbranch_execz .LBB118_271
; %bb.270:
	buffer_load_dword v112, off, s[0:3], 0 offset:264
	buffer_load_dword v113, off, s[0:3], 0 offset:268
	v_mov_b32_e32 v114, 0
	buffer_store_dword v114, off, s[0:3], 0 offset:264
	buffer_store_dword v114, off, s[0:3], 0 offset:268
	s_waitcnt vmcnt(2)
	ds_write_b64 v1, v[112:113]
.LBB118_271:
	s_or_b64 exec, exec, s[4:5]
	s_waitcnt lgkmcnt(0)
	; wave barrier
	s_waitcnt lgkmcnt(0)
	buffer_load_dword v112, off, s[0:3], 0 offset:264
	buffer_load_dword v113, off, s[0:3], 0 offset:268
	;; [unrolled: 1-line block ×16, first 2 shown]
	v_mov_b32_e32 v116, 0
	ds_read_b128 v[118:121], v116 offset:720
	ds_read_b128 v[122:125], v116 offset:736
	;; [unrolled: 1-line block ×4, first 2 shown]
	v_cmp_lt_u32_e32 vcc, 32, v0
	s_waitcnt vmcnt(12) lgkmcnt(3)
	v_fma_f64 v[114:115], v[114:115], v[118:119], 0
	buffer_load_dword v119, off, s[0:3], 0 offset:332
	buffer_load_dword v118, off, s[0:3], 0 offset:328
	s_waitcnt vmcnt(12)
	v_fmac_f64_e32 v[114:115], v[134:135], v[120:121]
	s_waitcnt vmcnt(10) lgkmcnt(2)
	v_fmac_f64_e32 v[114:115], v[136:137], v[122:123]
	buffer_load_dword v123, off, s[0:3], 0 offset:340
	buffer_load_dword v122, off, s[0:3], 0 offset:336
	s_waitcnt vmcnt(10)
	v_fmac_f64_e32 v[114:115], v[138:139], v[124:125]
	s_waitcnt vmcnt(8) lgkmcnt(1)
	v_fmac_f64_e32 v[114:115], v[140:141], v[126:127]
	s_waitcnt vmcnt(6)
	v_fmac_f64_e32 v[114:115], v[142:143], v[128:129]
	s_waitcnt vmcnt(4) lgkmcnt(0)
	v_fmac_f64_e32 v[114:115], v[144:145], v[130:131]
	s_waitcnt vmcnt(2)
	v_fmac_f64_e32 v[114:115], v[118:119], v[132:133]
	ds_read_b128 v[118:121], v116 offset:784
	s_waitcnt vmcnt(0) lgkmcnt(0)
	v_fmac_f64_e32 v[114:115], v[122:123], v[118:119]
	buffer_load_dword v119, off, s[0:3], 0 offset:348
	buffer_load_dword v118, off, s[0:3], 0 offset:344
	buffer_load_dword v123, off, s[0:3], 0 offset:356
	buffer_load_dword v122, off, s[0:3], 0 offset:352
	s_waitcnt vmcnt(2)
	v_fmac_f64_e32 v[114:115], v[118:119], v[120:121]
	ds_read_b128 v[118:121], v116 offset:800
	s_waitcnt vmcnt(0) lgkmcnt(0)
	v_fmac_f64_e32 v[114:115], v[122:123], v[118:119]
	buffer_load_dword v119, off, s[0:3], 0 offset:364
	buffer_load_dword v118, off, s[0:3], 0 offset:360
	buffer_load_dword v123, off, s[0:3], 0 offset:372
	buffer_load_dword v122, off, s[0:3], 0 offset:368
	;; [unrolled: 9-line block ×5, first 2 shown]
	s_waitcnt vmcnt(2)
	v_fmac_f64_e32 v[114:115], v[118:119], v[120:121]
	ds_read_b128 v[118:121], v116 offset:864
	s_waitcnt vmcnt(0) lgkmcnt(0)
	v_fmac_f64_e32 v[114:115], v[122:123], v[118:119]
	buffer_load_dword v119, off, s[0:3], 0 offset:428
	buffer_load_dword v118, off, s[0:3], 0 offset:424
	s_waitcnt vmcnt(0)
	v_fmac_f64_e32 v[114:115], v[118:119], v[120:121]
	buffer_load_dword v119, off, s[0:3], 0 offset:436
	buffer_load_dword v118, off, s[0:3], 0 offset:432
	ds_read_b64 v[120:121], v116 offset:880
	s_waitcnt vmcnt(0) lgkmcnt(0)
	v_fmac_f64_e32 v[114:115], v[118:119], v[120:121]
	v_add_f64 v[112:113], v[112:113], -v[114:115]
	buffer_store_dword v113, off, s[0:3], 0 offset:268
	buffer_store_dword v112, off, s[0:3], 0 offset:264
	s_and_saveexec_b64 s[4:5], vcc
	s_cbranch_execz .LBB118_273
; %bb.272:
	buffer_load_dword v112, off, s[0:3], 0 offset:256
	buffer_load_dword v113, off, s[0:3], 0 offset:260
	s_waitcnt vmcnt(0)
	ds_write_b64 v1, v[112:113]
	buffer_store_dword v116, off, s[0:3], 0 offset:256
	buffer_store_dword v116, off, s[0:3], 0 offset:260
.LBB118_273:
	s_or_b64 exec, exec, s[4:5]
	s_waitcnt lgkmcnt(0)
	; wave barrier
	s_waitcnt lgkmcnt(0)
	buffer_load_dword v112, off, s[0:3], 0 offset:256
	buffer_load_dword v113, off, s[0:3], 0 offset:260
	;; [unrolled: 1-line block ×16, first 2 shown]
	ds_read2_b64 v[118:121], v116 offset0:89 offset1:90
	v_cmp_lt_u32_e32 vcc, 31, v0
	s_waitcnt vmcnt(12) lgkmcnt(0)
	v_fma_f64 v[114:115], v[114:115], v[118:119], 0
	s_waitcnt vmcnt(10)
	v_fmac_f64_e32 v[114:115], v[122:123], v[120:121]
	ds_read2_b64 v[118:121], v116 offset0:91 offset1:92
	s_waitcnt vmcnt(8) lgkmcnt(0)
	v_fmac_f64_e32 v[114:115], v[124:125], v[118:119]
	s_waitcnt vmcnt(6)
	v_fmac_f64_e32 v[114:115], v[126:127], v[120:121]
	ds_read2_b64 v[118:121], v116 offset0:93 offset1:94
	s_waitcnt vmcnt(4) lgkmcnt(0)
	v_fmac_f64_e32 v[114:115], v[128:129], v[118:119]
	;; [unrolled: 5-line block ×3, first 2 shown]
	buffer_load_dword v119, off, s[0:3], 0 offset:324
	buffer_load_dword v118, off, s[0:3], 0 offset:320
	buffer_load_dword v123, off, s[0:3], 0 offset:332
	buffer_load_dword v122, off, s[0:3], 0 offset:328
	s_waitcnt vmcnt(2)
	v_fmac_f64_e32 v[114:115], v[118:119], v[120:121]
	ds_read2_b64 v[118:121], v116 offset0:97 offset1:98
	s_waitcnt vmcnt(0) lgkmcnt(0)
	v_fmac_f64_e32 v[114:115], v[122:123], v[118:119]
	buffer_load_dword v119, off, s[0:3], 0 offset:340
	buffer_load_dword v118, off, s[0:3], 0 offset:336
	buffer_load_dword v123, off, s[0:3], 0 offset:348
	buffer_load_dword v122, off, s[0:3], 0 offset:344
	s_waitcnt vmcnt(2)
	v_fmac_f64_e32 v[114:115], v[118:119], v[120:121]
	ds_read2_b64 v[118:121], v116 offset0:99 offset1:100
	s_waitcnt vmcnt(0) lgkmcnt(0)
	v_fmac_f64_e32 v[114:115], v[122:123], v[118:119]
	;; [unrolled: 9-line block ×6, first 2 shown]
	buffer_load_dword v119, off, s[0:3], 0 offset:420
	buffer_load_dword v118, off, s[0:3], 0 offset:416
	s_waitcnt vmcnt(0)
	v_fmac_f64_e32 v[114:115], v[118:119], v[120:121]
	buffer_load_dword v121, off, s[0:3], 0 offset:428
	buffer_load_dword v120, off, s[0:3], 0 offset:424
	ds_read2_b64 v[116:119], v116 offset0:109 offset1:110
	s_waitcnt vmcnt(0) lgkmcnt(0)
	v_fmac_f64_e32 v[114:115], v[120:121], v[116:117]
	buffer_load_dword v117, off, s[0:3], 0 offset:436
	buffer_load_dword v116, off, s[0:3], 0 offset:432
	s_waitcnt vmcnt(0)
	v_fmac_f64_e32 v[114:115], v[116:117], v[118:119]
	v_add_f64 v[112:113], v[112:113], -v[114:115]
	buffer_store_dword v113, off, s[0:3], 0 offset:260
	buffer_store_dword v112, off, s[0:3], 0 offset:256
	s_and_saveexec_b64 s[4:5], vcc
	s_cbranch_execz .LBB118_275
; %bb.274:
	buffer_load_dword v112, off, s[0:3], 0 offset:248
	buffer_load_dword v113, off, s[0:3], 0 offset:252
	v_mov_b32_e32 v114, 0
	buffer_store_dword v114, off, s[0:3], 0 offset:248
	buffer_store_dword v114, off, s[0:3], 0 offset:252
	s_waitcnt vmcnt(2)
	ds_write_b64 v1, v[112:113]
.LBB118_275:
	s_or_b64 exec, exec, s[4:5]
	s_waitcnt lgkmcnt(0)
	; wave barrier
	s_waitcnt lgkmcnt(0)
	buffer_load_dword v112, off, s[0:3], 0 offset:248
	buffer_load_dword v113, off, s[0:3], 0 offset:252
	;; [unrolled: 1-line block ×16, first 2 shown]
	v_mov_b32_e32 v116, 0
	ds_read_b128 v[118:121], v116 offset:704
	ds_read_b128 v[122:125], v116 offset:720
	;; [unrolled: 1-line block ×4, first 2 shown]
	v_cmp_lt_u32_e32 vcc, 30, v0
	s_waitcnt vmcnt(12) lgkmcnt(3)
	v_fma_f64 v[114:115], v[114:115], v[118:119], 0
	buffer_load_dword v119, off, s[0:3], 0 offset:316
	buffer_load_dword v118, off, s[0:3], 0 offset:312
	s_waitcnt vmcnt(12)
	v_fmac_f64_e32 v[114:115], v[134:135], v[120:121]
	s_waitcnt vmcnt(10) lgkmcnt(2)
	v_fmac_f64_e32 v[114:115], v[136:137], v[122:123]
	buffer_load_dword v123, off, s[0:3], 0 offset:324
	buffer_load_dword v122, off, s[0:3], 0 offset:320
	s_waitcnt vmcnt(10)
	v_fmac_f64_e32 v[114:115], v[138:139], v[124:125]
	s_waitcnt vmcnt(8) lgkmcnt(1)
	v_fmac_f64_e32 v[114:115], v[140:141], v[126:127]
	s_waitcnt vmcnt(6)
	v_fmac_f64_e32 v[114:115], v[142:143], v[128:129]
	s_waitcnt vmcnt(4) lgkmcnt(0)
	v_fmac_f64_e32 v[114:115], v[144:145], v[130:131]
	s_waitcnt vmcnt(2)
	v_fmac_f64_e32 v[114:115], v[118:119], v[132:133]
	ds_read_b128 v[118:121], v116 offset:768
	s_waitcnt vmcnt(0) lgkmcnt(0)
	v_fmac_f64_e32 v[114:115], v[122:123], v[118:119]
	buffer_load_dword v119, off, s[0:3], 0 offset:332
	buffer_load_dword v118, off, s[0:3], 0 offset:328
	buffer_load_dword v123, off, s[0:3], 0 offset:340
	buffer_load_dword v122, off, s[0:3], 0 offset:336
	s_waitcnt vmcnt(2)
	v_fmac_f64_e32 v[114:115], v[118:119], v[120:121]
	ds_read_b128 v[118:121], v116 offset:784
	s_waitcnt vmcnt(0) lgkmcnt(0)
	v_fmac_f64_e32 v[114:115], v[122:123], v[118:119]
	buffer_load_dword v119, off, s[0:3], 0 offset:348
	buffer_load_dword v118, off, s[0:3], 0 offset:344
	buffer_load_dword v123, off, s[0:3], 0 offset:356
	buffer_load_dword v122, off, s[0:3], 0 offset:352
	;; [unrolled: 9-line block ×6, first 2 shown]
	s_waitcnt vmcnt(2)
	v_fmac_f64_e32 v[114:115], v[118:119], v[120:121]
	ds_read_b128 v[118:121], v116 offset:864
	s_waitcnt vmcnt(0) lgkmcnt(0)
	v_fmac_f64_e32 v[114:115], v[122:123], v[118:119]
	buffer_load_dword v119, off, s[0:3], 0 offset:428
	buffer_load_dword v118, off, s[0:3], 0 offset:424
	s_waitcnt vmcnt(0)
	v_fmac_f64_e32 v[114:115], v[118:119], v[120:121]
	buffer_load_dword v119, off, s[0:3], 0 offset:436
	buffer_load_dword v118, off, s[0:3], 0 offset:432
	ds_read_b64 v[120:121], v116 offset:880
	s_waitcnt vmcnt(0) lgkmcnt(0)
	v_fmac_f64_e32 v[114:115], v[118:119], v[120:121]
	v_add_f64 v[112:113], v[112:113], -v[114:115]
	buffer_store_dword v113, off, s[0:3], 0 offset:252
	buffer_store_dword v112, off, s[0:3], 0 offset:248
	s_and_saveexec_b64 s[4:5], vcc
	s_cbranch_execz .LBB118_277
; %bb.276:
	buffer_load_dword v112, off, s[0:3], 0 offset:240
	buffer_load_dword v113, off, s[0:3], 0 offset:244
	s_waitcnt vmcnt(0)
	ds_write_b64 v1, v[112:113]
	buffer_store_dword v116, off, s[0:3], 0 offset:240
	buffer_store_dword v116, off, s[0:3], 0 offset:244
.LBB118_277:
	s_or_b64 exec, exec, s[4:5]
	s_waitcnt lgkmcnt(0)
	; wave barrier
	s_waitcnt lgkmcnt(0)
	buffer_load_dword v112, off, s[0:3], 0 offset:240
	buffer_load_dword v113, off, s[0:3], 0 offset:244
	;; [unrolled: 1-line block ×16, first 2 shown]
	ds_read2_b64 v[118:121], v116 offset0:87 offset1:88
	v_cmp_lt_u32_e32 vcc, 29, v0
	s_waitcnt vmcnt(12) lgkmcnt(0)
	v_fma_f64 v[114:115], v[114:115], v[118:119], 0
	s_waitcnt vmcnt(10)
	v_fmac_f64_e32 v[114:115], v[122:123], v[120:121]
	ds_read2_b64 v[118:121], v116 offset0:89 offset1:90
	s_waitcnt vmcnt(8) lgkmcnt(0)
	v_fmac_f64_e32 v[114:115], v[124:125], v[118:119]
	s_waitcnt vmcnt(6)
	v_fmac_f64_e32 v[114:115], v[126:127], v[120:121]
	ds_read2_b64 v[118:121], v116 offset0:91 offset1:92
	s_waitcnt vmcnt(4) lgkmcnt(0)
	v_fmac_f64_e32 v[114:115], v[128:129], v[118:119]
	;; [unrolled: 5-line block ×3, first 2 shown]
	buffer_load_dword v119, off, s[0:3], 0 offset:308
	buffer_load_dword v118, off, s[0:3], 0 offset:304
	buffer_load_dword v123, off, s[0:3], 0 offset:316
	buffer_load_dword v122, off, s[0:3], 0 offset:312
	s_waitcnt vmcnt(2)
	v_fmac_f64_e32 v[114:115], v[118:119], v[120:121]
	ds_read2_b64 v[118:121], v116 offset0:95 offset1:96
	s_waitcnt vmcnt(0) lgkmcnt(0)
	v_fmac_f64_e32 v[114:115], v[122:123], v[118:119]
	buffer_load_dword v119, off, s[0:3], 0 offset:324
	buffer_load_dword v118, off, s[0:3], 0 offset:320
	buffer_load_dword v123, off, s[0:3], 0 offset:332
	buffer_load_dword v122, off, s[0:3], 0 offset:328
	s_waitcnt vmcnt(2)
	v_fmac_f64_e32 v[114:115], v[118:119], v[120:121]
	ds_read2_b64 v[118:121], v116 offset0:97 offset1:98
	s_waitcnt vmcnt(0) lgkmcnt(0)
	v_fmac_f64_e32 v[114:115], v[122:123], v[118:119]
	;; [unrolled: 9-line block ×7, first 2 shown]
	buffer_load_dword v119, off, s[0:3], 0 offset:420
	buffer_load_dword v118, off, s[0:3], 0 offset:416
	s_waitcnt vmcnt(0)
	v_fmac_f64_e32 v[114:115], v[118:119], v[120:121]
	buffer_load_dword v121, off, s[0:3], 0 offset:428
	buffer_load_dword v120, off, s[0:3], 0 offset:424
	ds_read2_b64 v[116:119], v116 offset0:109 offset1:110
	s_waitcnt vmcnt(0) lgkmcnt(0)
	v_fmac_f64_e32 v[114:115], v[120:121], v[116:117]
	buffer_load_dword v117, off, s[0:3], 0 offset:436
	buffer_load_dword v116, off, s[0:3], 0 offset:432
	s_waitcnt vmcnt(0)
	v_fmac_f64_e32 v[114:115], v[116:117], v[118:119]
	v_add_f64 v[112:113], v[112:113], -v[114:115]
	buffer_store_dword v113, off, s[0:3], 0 offset:244
	buffer_store_dword v112, off, s[0:3], 0 offset:240
	s_and_saveexec_b64 s[4:5], vcc
	s_cbranch_execz .LBB118_279
; %bb.278:
	buffer_load_dword v112, off, s[0:3], 0 offset:232
	buffer_load_dword v113, off, s[0:3], 0 offset:236
	v_mov_b32_e32 v114, 0
	buffer_store_dword v114, off, s[0:3], 0 offset:232
	buffer_store_dword v114, off, s[0:3], 0 offset:236
	s_waitcnt vmcnt(2)
	ds_write_b64 v1, v[112:113]
.LBB118_279:
	s_or_b64 exec, exec, s[4:5]
	s_waitcnt lgkmcnt(0)
	; wave barrier
	s_waitcnt lgkmcnt(0)
	buffer_load_dword v112, off, s[0:3], 0 offset:232
	buffer_load_dword v113, off, s[0:3], 0 offset:236
	;; [unrolled: 1-line block ×16, first 2 shown]
	v_mov_b32_e32 v116, 0
	ds_read_b128 v[118:121], v116 offset:688
	ds_read_b128 v[122:125], v116 offset:704
	;; [unrolled: 1-line block ×4, first 2 shown]
	v_cmp_lt_u32_e32 vcc, 28, v0
	s_waitcnt vmcnt(12) lgkmcnt(3)
	v_fma_f64 v[114:115], v[114:115], v[118:119], 0
	buffer_load_dword v119, off, s[0:3], 0 offset:300
	buffer_load_dword v118, off, s[0:3], 0 offset:296
	s_waitcnt vmcnt(12)
	v_fmac_f64_e32 v[114:115], v[134:135], v[120:121]
	s_waitcnt vmcnt(10) lgkmcnt(2)
	v_fmac_f64_e32 v[114:115], v[136:137], v[122:123]
	buffer_load_dword v123, off, s[0:3], 0 offset:308
	buffer_load_dword v122, off, s[0:3], 0 offset:304
	s_waitcnt vmcnt(10)
	v_fmac_f64_e32 v[114:115], v[138:139], v[124:125]
	s_waitcnt vmcnt(8) lgkmcnt(1)
	v_fmac_f64_e32 v[114:115], v[140:141], v[126:127]
	s_waitcnt vmcnt(6)
	v_fmac_f64_e32 v[114:115], v[142:143], v[128:129]
	s_waitcnt vmcnt(4) lgkmcnt(0)
	v_fmac_f64_e32 v[114:115], v[144:145], v[130:131]
	s_waitcnt vmcnt(2)
	v_fmac_f64_e32 v[114:115], v[118:119], v[132:133]
	ds_read_b128 v[118:121], v116 offset:752
	s_waitcnt vmcnt(0) lgkmcnt(0)
	v_fmac_f64_e32 v[114:115], v[122:123], v[118:119]
	buffer_load_dword v119, off, s[0:3], 0 offset:316
	buffer_load_dword v118, off, s[0:3], 0 offset:312
	buffer_load_dword v123, off, s[0:3], 0 offset:324
	buffer_load_dword v122, off, s[0:3], 0 offset:320
	s_waitcnt vmcnt(2)
	v_fmac_f64_e32 v[114:115], v[118:119], v[120:121]
	ds_read_b128 v[118:121], v116 offset:768
	s_waitcnt vmcnt(0) lgkmcnt(0)
	v_fmac_f64_e32 v[114:115], v[122:123], v[118:119]
	buffer_load_dword v119, off, s[0:3], 0 offset:332
	buffer_load_dword v118, off, s[0:3], 0 offset:328
	buffer_load_dword v123, off, s[0:3], 0 offset:340
	buffer_load_dword v122, off, s[0:3], 0 offset:336
	;; [unrolled: 9-line block ×7, first 2 shown]
	s_waitcnt vmcnt(2)
	v_fmac_f64_e32 v[114:115], v[118:119], v[120:121]
	ds_read_b128 v[118:121], v116 offset:864
	s_waitcnt vmcnt(0) lgkmcnt(0)
	v_fmac_f64_e32 v[114:115], v[122:123], v[118:119]
	buffer_load_dword v119, off, s[0:3], 0 offset:428
	buffer_load_dword v118, off, s[0:3], 0 offset:424
	s_waitcnt vmcnt(0)
	v_fmac_f64_e32 v[114:115], v[118:119], v[120:121]
	buffer_load_dword v119, off, s[0:3], 0 offset:436
	buffer_load_dword v118, off, s[0:3], 0 offset:432
	ds_read_b64 v[120:121], v116 offset:880
	s_waitcnt vmcnt(0) lgkmcnt(0)
	v_fmac_f64_e32 v[114:115], v[118:119], v[120:121]
	v_add_f64 v[112:113], v[112:113], -v[114:115]
	buffer_store_dword v113, off, s[0:3], 0 offset:236
	buffer_store_dword v112, off, s[0:3], 0 offset:232
	s_and_saveexec_b64 s[4:5], vcc
	s_cbranch_execz .LBB118_281
; %bb.280:
	buffer_load_dword v112, off, s[0:3], 0 offset:224
	buffer_load_dword v113, off, s[0:3], 0 offset:228
	s_waitcnt vmcnt(0)
	ds_write_b64 v1, v[112:113]
	buffer_store_dword v116, off, s[0:3], 0 offset:224
	buffer_store_dword v116, off, s[0:3], 0 offset:228
.LBB118_281:
	s_or_b64 exec, exec, s[4:5]
	s_waitcnt lgkmcnt(0)
	; wave barrier
	s_waitcnt lgkmcnt(0)
	buffer_load_dword v112, off, s[0:3], 0 offset:224
	buffer_load_dword v113, off, s[0:3], 0 offset:228
	;; [unrolled: 1-line block ×16, first 2 shown]
	ds_read2_b64 v[118:121], v116 offset0:85 offset1:86
	v_cmp_lt_u32_e32 vcc, 27, v0
	s_waitcnt vmcnt(12) lgkmcnt(0)
	v_fma_f64 v[114:115], v[114:115], v[118:119], 0
	s_waitcnt vmcnt(10)
	v_fmac_f64_e32 v[114:115], v[122:123], v[120:121]
	ds_read2_b64 v[118:121], v116 offset0:87 offset1:88
	s_waitcnt vmcnt(8) lgkmcnt(0)
	v_fmac_f64_e32 v[114:115], v[124:125], v[118:119]
	s_waitcnt vmcnt(6)
	v_fmac_f64_e32 v[114:115], v[126:127], v[120:121]
	ds_read2_b64 v[118:121], v116 offset0:89 offset1:90
	s_waitcnt vmcnt(4) lgkmcnt(0)
	v_fmac_f64_e32 v[114:115], v[128:129], v[118:119]
	;; [unrolled: 5-line block ×3, first 2 shown]
	buffer_load_dword v119, off, s[0:3], 0 offset:292
	buffer_load_dword v118, off, s[0:3], 0 offset:288
	buffer_load_dword v123, off, s[0:3], 0 offset:300
	buffer_load_dword v122, off, s[0:3], 0 offset:296
	s_waitcnt vmcnt(2)
	v_fmac_f64_e32 v[114:115], v[118:119], v[120:121]
	ds_read2_b64 v[118:121], v116 offset0:93 offset1:94
	s_waitcnt vmcnt(0) lgkmcnt(0)
	v_fmac_f64_e32 v[114:115], v[122:123], v[118:119]
	buffer_load_dword v119, off, s[0:3], 0 offset:308
	buffer_load_dword v118, off, s[0:3], 0 offset:304
	buffer_load_dword v123, off, s[0:3], 0 offset:316
	buffer_load_dword v122, off, s[0:3], 0 offset:312
	s_waitcnt vmcnt(2)
	v_fmac_f64_e32 v[114:115], v[118:119], v[120:121]
	ds_read2_b64 v[118:121], v116 offset0:95 offset1:96
	s_waitcnt vmcnt(0) lgkmcnt(0)
	v_fmac_f64_e32 v[114:115], v[122:123], v[118:119]
	;; [unrolled: 9-line block ×8, first 2 shown]
	buffer_load_dword v119, off, s[0:3], 0 offset:420
	buffer_load_dword v118, off, s[0:3], 0 offset:416
	s_waitcnt vmcnt(0)
	v_fmac_f64_e32 v[114:115], v[118:119], v[120:121]
	buffer_load_dword v121, off, s[0:3], 0 offset:428
	buffer_load_dword v120, off, s[0:3], 0 offset:424
	ds_read2_b64 v[116:119], v116 offset0:109 offset1:110
	s_waitcnt vmcnt(0) lgkmcnt(0)
	v_fmac_f64_e32 v[114:115], v[120:121], v[116:117]
	buffer_load_dword v117, off, s[0:3], 0 offset:436
	buffer_load_dword v116, off, s[0:3], 0 offset:432
	s_waitcnt vmcnt(0)
	v_fmac_f64_e32 v[114:115], v[116:117], v[118:119]
	v_add_f64 v[112:113], v[112:113], -v[114:115]
	buffer_store_dword v113, off, s[0:3], 0 offset:228
	buffer_store_dword v112, off, s[0:3], 0 offset:224
	s_and_saveexec_b64 s[4:5], vcc
	s_cbranch_execz .LBB118_283
; %bb.282:
	buffer_load_dword v112, off, s[0:3], 0 offset:216
	buffer_load_dword v113, off, s[0:3], 0 offset:220
	v_mov_b32_e32 v114, 0
	buffer_store_dword v114, off, s[0:3], 0 offset:216
	buffer_store_dword v114, off, s[0:3], 0 offset:220
	s_waitcnt vmcnt(2)
	ds_write_b64 v1, v[112:113]
.LBB118_283:
	s_or_b64 exec, exec, s[4:5]
	s_waitcnt lgkmcnt(0)
	; wave barrier
	s_waitcnt lgkmcnt(0)
	buffer_load_dword v112, off, s[0:3], 0 offset:216
	buffer_load_dword v113, off, s[0:3], 0 offset:220
	;; [unrolled: 1-line block ×16, first 2 shown]
	v_mov_b32_e32 v116, 0
	ds_read_b128 v[118:121], v116 offset:672
	ds_read_b128 v[122:125], v116 offset:688
	;; [unrolled: 1-line block ×4, first 2 shown]
	v_cmp_lt_u32_e32 vcc, 26, v0
	s_waitcnt vmcnt(12) lgkmcnt(3)
	v_fma_f64 v[114:115], v[114:115], v[118:119], 0
	buffer_load_dword v119, off, s[0:3], 0 offset:284
	buffer_load_dword v118, off, s[0:3], 0 offset:280
	s_waitcnt vmcnt(12)
	v_fmac_f64_e32 v[114:115], v[134:135], v[120:121]
	s_waitcnt vmcnt(10) lgkmcnt(2)
	v_fmac_f64_e32 v[114:115], v[136:137], v[122:123]
	buffer_load_dword v123, off, s[0:3], 0 offset:292
	buffer_load_dword v122, off, s[0:3], 0 offset:288
	s_waitcnt vmcnt(10)
	v_fmac_f64_e32 v[114:115], v[138:139], v[124:125]
	s_waitcnt vmcnt(8) lgkmcnt(1)
	v_fmac_f64_e32 v[114:115], v[140:141], v[126:127]
	s_waitcnt vmcnt(6)
	v_fmac_f64_e32 v[114:115], v[142:143], v[128:129]
	s_waitcnt vmcnt(4) lgkmcnt(0)
	v_fmac_f64_e32 v[114:115], v[144:145], v[130:131]
	s_waitcnt vmcnt(2)
	v_fmac_f64_e32 v[114:115], v[118:119], v[132:133]
	ds_read_b128 v[118:121], v116 offset:736
	s_waitcnt vmcnt(0) lgkmcnt(0)
	v_fmac_f64_e32 v[114:115], v[122:123], v[118:119]
	buffer_load_dword v119, off, s[0:3], 0 offset:300
	buffer_load_dword v118, off, s[0:3], 0 offset:296
	buffer_load_dword v123, off, s[0:3], 0 offset:308
	buffer_load_dword v122, off, s[0:3], 0 offset:304
	s_waitcnt vmcnt(2)
	v_fmac_f64_e32 v[114:115], v[118:119], v[120:121]
	ds_read_b128 v[118:121], v116 offset:752
	s_waitcnt vmcnt(0) lgkmcnt(0)
	v_fmac_f64_e32 v[114:115], v[122:123], v[118:119]
	buffer_load_dword v119, off, s[0:3], 0 offset:316
	buffer_load_dword v118, off, s[0:3], 0 offset:312
	buffer_load_dword v123, off, s[0:3], 0 offset:324
	buffer_load_dword v122, off, s[0:3], 0 offset:320
	;; [unrolled: 9-line block ×8, first 2 shown]
	s_waitcnt vmcnt(2)
	v_fmac_f64_e32 v[114:115], v[118:119], v[120:121]
	ds_read_b128 v[118:121], v116 offset:864
	s_waitcnt vmcnt(0) lgkmcnt(0)
	v_fmac_f64_e32 v[114:115], v[122:123], v[118:119]
	buffer_load_dword v119, off, s[0:3], 0 offset:428
	buffer_load_dword v118, off, s[0:3], 0 offset:424
	s_waitcnt vmcnt(0)
	v_fmac_f64_e32 v[114:115], v[118:119], v[120:121]
	buffer_load_dword v119, off, s[0:3], 0 offset:436
	buffer_load_dword v118, off, s[0:3], 0 offset:432
	ds_read_b64 v[120:121], v116 offset:880
	s_waitcnt vmcnt(0) lgkmcnt(0)
	v_fmac_f64_e32 v[114:115], v[118:119], v[120:121]
	v_add_f64 v[112:113], v[112:113], -v[114:115]
	buffer_store_dword v113, off, s[0:3], 0 offset:220
	buffer_store_dword v112, off, s[0:3], 0 offset:216
	s_and_saveexec_b64 s[4:5], vcc
	s_cbranch_execz .LBB118_285
; %bb.284:
	buffer_load_dword v112, off, s[0:3], 0 offset:208
	buffer_load_dword v113, off, s[0:3], 0 offset:212
	s_waitcnt vmcnt(0)
	ds_write_b64 v1, v[112:113]
	buffer_store_dword v116, off, s[0:3], 0 offset:208
	buffer_store_dword v116, off, s[0:3], 0 offset:212
.LBB118_285:
	s_or_b64 exec, exec, s[4:5]
	s_waitcnt lgkmcnt(0)
	; wave barrier
	s_waitcnt lgkmcnt(0)
	buffer_load_dword v112, off, s[0:3], 0 offset:208
	buffer_load_dword v113, off, s[0:3], 0 offset:212
	;; [unrolled: 1-line block ×16, first 2 shown]
	ds_read2_b64 v[118:121], v116 offset0:83 offset1:84
	v_cmp_lt_u32_e32 vcc, 25, v0
	s_waitcnt vmcnt(12) lgkmcnt(0)
	v_fma_f64 v[114:115], v[114:115], v[118:119], 0
	s_waitcnt vmcnt(10)
	v_fmac_f64_e32 v[114:115], v[122:123], v[120:121]
	ds_read2_b64 v[118:121], v116 offset0:85 offset1:86
	s_waitcnt vmcnt(8) lgkmcnt(0)
	v_fmac_f64_e32 v[114:115], v[124:125], v[118:119]
	s_waitcnt vmcnt(6)
	v_fmac_f64_e32 v[114:115], v[126:127], v[120:121]
	ds_read2_b64 v[118:121], v116 offset0:87 offset1:88
	s_waitcnt vmcnt(4) lgkmcnt(0)
	v_fmac_f64_e32 v[114:115], v[128:129], v[118:119]
	;; [unrolled: 5-line block ×3, first 2 shown]
	buffer_load_dword v119, off, s[0:3], 0 offset:276
	buffer_load_dword v118, off, s[0:3], 0 offset:272
	buffer_load_dword v123, off, s[0:3], 0 offset:284
	buffer_load_dword v122, off, s[0:3], 0 offset:280
	s_waitcnt vmcnt(2)
	v_fmac_f64_e32 v[114:115], v[118:119], v[120:121]
	ds_read2_b64 v[118:121], v116 offset0:91 offset1:92
	s_waitcnt vmcnt(0) lgkmcnt(0)
	v_fmac_f64_e32 v[114:115], v[122:123], v[118:119]
	buffer_load_dword v119, off, s[0:3], 0 offset:292
	buffer_load_dword v118, off, s[0:3], 0 offset:288
	buffer_load_dword v123, off, s[0:3], 0 offset:300
	buffer_load_dword v122, off, s[0:3], 0 offset:296
	s_waitcnt vmcnt(2)
	v_fmac_f64_e32 v[114:115], v[118:119], v[120:121]
	ds_read2_b64 v[118:121], v116 offset0:93 offset1:94
	s_waitcnt vmcnt(0) lgkmcnt(0)
	v_fmac_f64_e32 v[114:115], v[122:123], v[118:119]
	buffer_load_dword v119, off, s[0:3], 0 offset:308
	buffer_load_dword v118, off, s[0:3], 0 offset:304
	buffer_load_dword v123, off, s[0:3], 0 offset:316
	buffer_load_dword v122, off, s[0:3], 0 offset:312
	s_waitcnt vmcnt(2)
	v_fmac_f64_e32 v[114:115], v[118:119], v[120:121]
	ds_read2_b64 v[118:121], v116 offset0:95 offset1:96
	s_waitcnt vmcnt(0) lgkmcnt(0)
	v_fmac_f64_e32 v[114:115], v[122:123], v[118:119]
	buffer_load_dword v119, off, s[0:3], 0 offset:324
	buffer_load_dword v118, off, s[0:3], 0 offset:320
	buffer_load_dword v123, off, s[0:3], 0 offset:332
	buffer_load_dword v122, off, s[0:3], 0 offset:328
	s_waitcnt vmcnt(2)
	v_fmac_f64_e32 v[114:115], v[118:119], v[120:121]
	ds_read2_b64 v[118:121], v116 offset0:97 offset1:98
	s_waitcnt vmcnt(0) lgkmcnt(0)
	v_fmac_f64_e32 v[114:115], v[122:123], v[118:119]
	buffer_load_dword v119, off, s[0:3], 0 offset:340
	buffer_load_dword v118, off, s[0:3], 0 offset:336
	buffer_load_dword v123, off, s[0:3], 0 offset:348
	buffer_load_dword v122, off, s[0:3], 0 offset:344
	s_waitcnt vmcnt(2)
	v_fmac_f64_e32 v[114:115], v[118:119], v[120:121]
	ds_read2_b64 v[118:121], v116 offset0:99 offset1:100
	s_waitcnt vmcnt(0) lgkmcnt(0)
	v_fmac_f64_e32 v[114:115], v[122:123], v[118:119]
	buffer_load_dword v119, off, s[0:3], 0 offset:356
	buffer_load_dword v118, off, s[0:3], 0 offset:352
	buffer_load_dword v123, off, s[0:3], 0 offset:364
	buffer_load_dword v122, off, s[0:3], 0 offset:360
	s_waitcnt vmcnt(2)
	v_fmac_f64_e32 v[114:115], v[118:119], v[120:121]
	ds_read2_b64 v[118:121], v116 offset0:101 offset1:102
	s_waitcnt vmcnt(0) lgkmcnt(0)
	v_fmac_f64_e32 v[114:115], v[122:123], v[118:119]
	buffer_load_dword v119, off, s[0:3], 0 offset:372
	buffer_load_dword v118, off, s[0:3], 0 offset:368
	buffer_load_dword v123, off, s[0:3], 0 offset:380
	buffer_load_dword v122, off, s[0:3], 0 offset:376
	s_waitcnt vmcnt(2)
	v_fmac_f64_e32 v[114:115], v[118:119], v[120:121]
	ds_read2_b64 v[118:121], v116 offset0:103 offset1:104
	s_waitcnt vmcnt(0) lgkmcnt(0)
	v_fmac_f64_e32 v[114:115], v[122:123], v[118:119]
	buffer_load_dword v119, off, s[0:3], 0 offset:388
	buffer_load_dword v118, off, s[0:3], 0 offset:384
	buffer_load_dword v123, off, s[0:3], 0 offset:396
	buffer_load_dword v122, off, s[0:3], 0 offset:392
	s_waitcnt vmcnt(2)
	v_fmac_f64_e32 v[114:115], v[118:119], v[120:121]
	ds_read2_b64 v[118:121], v116 offset0:105 offset1:106
	s_waitcnt vmcnt(0) lgkmcnt(0)
	v_fmac_f64_e32 v[114:115], v[122:123], v[118:119]
	buffer_load_dword v119, off, s[0:3], 0 offset:404
	buffer_load_dword v118, off, s[0:3], 0 offset:400
	buffer_load_dword v123, off, s[0:3], 0 offset:412
	buffer_load_dword v122, off, s[0:3], 0 offset:408
	s_waitcnt vmcnt(2)
	v_fmac_f64_e32 v[114:115], v[118:119], v[120:121]
	ds_read2_b64 v[118:121], v116 offset0:107 offset1:108
	s_waitcnt vmcnt(0) lgkmcnt(0)
	v_fmac_f64_e32 v[114:115], v[122:123], v[118:119]
	buffer_load_dword v119, off, s[0:3], 0 offset:420
	buffer_load_dword v118, off, s[0:3], 0 offset:416
	s_waitcnt vmcnt(0)
	v_fmac_f64_e32 v[114:115], v[118:119], v[120:121]
	buffer_load_dword v121, off, s[0:3], 0 offset:428
	buffer_load_dword v120, off, s[0:3], 0 offset:424
	ds_read2_b64 v[116:119], v116 offset0:109 offset1:110
	s_waitcnt vmcnt(0) lgkmcnt(0)
	v_fmac_f64_e32 v[114:115], v[120:121], v[116:117]
	buffer_load_dword v117, off, s[0:3], 0 offset:436
	buffer_load_dword v116, off, s[0:3], 0 offset:432
	s_waitcnt vmcnt(0)
	v_fmac_f64_e32 v[114:115], v[116:117], v[118:119]
	v_add_f64 v[112:113], v[112:113], -v[114:115]
	buffer_store_dword v113, off, s[0:3], 0 offset:212
	buffer_store_dword v112, off, s[0:3], 0 offset:208
	s_and_saveexec_b64 s[4:5], vcc
	s_cbranch_execz .LBB118_287
; %bb.286:
	buffer_load_dword v112, off, s[0:3], 0 offset:200
	buffer_load_dword v113, off, s[0:3], 0 offset:204
	v_mov_b32_e32 v114, 0
	buffer_store_dword v114, off, s[0:3], 0 offset:200
	buffer_store_dword v114, off, s[0:3], 0 offset:204
	s_waitcnt vmcnt(2)
	ds_write_b64 v1, v[112:113]
.LBB118_287:
	s_or_b64 exec, exec, s[4:5]
	s_waitcnt lgkmcnt(0)
	; wave barrier
	s_waitcnt lgkmcnt(0)
	buffer_load_dword v112, off, s[0:3], 0 offset:200
	buffer_load_dword v113, off, s[0:3], 0 offset:204
	;; [unrolled: 1-line block ×16, first 2 shown]
	v_mov_b32_e32 v116, 0
	ds_read_b128 v[118:121], v116 offset:656
	ds_read_b128 v[122:125], v116 offset:672
	;; [unrolled: 1-line block ×4, first 2 shown]
	v_cmp_lt_u32_e32 vcc, 24, v0
	s_waitcnt vmcnt(12) lgkmcnt(3)
	v_fma_f64 v[114:115], v[114:115], v[118:119], 0
	buffer_load_dword v119, off, s[0:3], 0 offset:268
	buffer_load_dword v118, off, s[0:3], 0 offset:264
	s_waitcnt vmcnt(12)
	v_fmac_f64_e32 v[114:115], v[134:135], v[120:121]
	s_waitcnt vmcnt(10) lgkmcnt(2)
	v_fmac_f64_e32 v[114:115], v[136:137], v[122:123]
	buffer_load_dword v123, off, s[0:3], 0 offset:276
	buffer_load_dword v122, off, s[0:3], 0 offset:272
	s_waitcnt vmcnt(10)
	v_fmac_f64_e32 v[114:115], v[138:139], v[124:125]
	s_waitcnt vmcnt(8) lgkmcnt(1)
	v_fmac_f64_e32 v[114:115], v[140:141], v[126:127]
	s_waitcnt vmcnt(6)
	v_fmac_f64_e32 v[114:115], v[142:143], v[128:129]
	s_waitcnt vmcnt(4) lgkmcnt(0)
	v_fmac_f64_e32 v[114:115], v[144:145], v[130:131]
	s_waitcnt vmcnt(2)
	v_fmac_f64_e32 v[114:115], v[118:119], v[132:133]
	ds_read_b128 v[118:121], v116 offset:720
	s_waitcnt vmcnt(0) lgkmcnt(0)
	v_fmac_f64_e32 v[114:115], v[122:123], v[118:119]
	buffer_load_dword v119, off, s[0:3], 0 offset:284
	buffer_load_dword v118, off, s[0:3], 0 offset:280
	buffer_load_dword v123, off, s[0:3], 0 offset:292
	buffer_load_dword v122, off, s[0:3], 0 offset:288
	s_waitcnt vmcnt(2)
	v_fmac_f64_e32 v[114:115], v[118:119], v[120:121]
	ds_read_b128 v[118:121], v116 offset:736
	s_waitcnt vmcnt(0) lgkmcnt(0)
	v_fmac_f64_e32 v[114:115], v[122:123], v[118:119]
	buffer_load_dword v119, off, s[0:3], 0 offset:300
	buffer_load_dword v118, off, s[0:3], 0 offset:296
	buffer_load_dword v123, off, s[0:3], 0 offset:308
	buffer_load_dword v122, off, s[0:3], 0 offset:304
	;; [unrolled: 9-line block ×9, first 2 shown]
	s_waitcnt vmcnt(2)
	v_fmac_f64_e32 v[114:115], v[118:119], v[120:121]
	ds_read_b128 v[118:121], v116 offset:864
	s_waitcnt vmcnt(0) lgkmcnt(0)
	v_fmac_f64_e32 v[114:115], v[122:123], v[118:119]
	buffer_load_dword v119, off, s[0:3], 0 offset:428
	buffer_load_dword v118, off, s[0:3], 0 offset:424
	s_waitcnt vmcnt(0)
	v_fmac_f64_e32 v[114:115], v[118:119], v[120:121]
	buffer_load_dword v119, off, s[0:3], 0 offset:436
	buffer_load_dword v118, off, s[0:3], 0 offset:432
	ds_read_b64 v[120:121], v116 offset:880
	s_waitcnt vmcnt(0) lgkmcnt(0)
	v_fmac_f64_e32 v[114:115], v[118:119], v[120:121]
	v_add_f64 v[112:113], v[112:113], -v[114:115]
	buffer_store_dword v113, off, s[0:3], 0 offset:204
	buffer_store_dword v112, off, s[0:3], 0 offset:200
	s_and_saveexec_b64 s[4:5], vcc
	s_cbranch_execz .LBB118_289
; %bb.288:
	buffer_load_dword v112, off, s[0:3], 0 offset:192
	buffer_load_dword v113, off, s[0:3], 0 offset:196
	s_waitcnt vmcnt(0)
	ds_write_b64 v1, v[112:113]
	buffer_store_dword v116, off, s[0:3], 0 offset:192
	buffer_store_dword v116, off, s[0:3], 0 offset:196
.LBB118_289:
	s_or_b64 exec, exec, s[4:5]
	s_waitcnt lgkmcnt(0)
	; wave barrier
	s_waitcnt lgkmcnt(0)
	buffer_load_dword v112, off, s[0:3], 0 offset:192
	buffer_load_dword v113, off, s[0:3], 0 offset:196
	;; [unrolled: 1-line block ×16, first 2 shown]
	ds_read2_b64 v[118:121], v116 offset0:81 offset1:82
	v_cmp_lt_u32_e32 vcc, 23, v0
	s_waitcnt vmcnt(12) lgkmcnt(0)
	v_fma_f64 v[114:115], v[114:115], v[118:119], 0
	s_waitcnt vmcnt(10)
	v_fmac_f64_e32 v[114:115], v[122:123], v[120:121]
	ds_read2_b64 v[118:121], v116 offset0:83 offset1:84
	s_waitcnt vmcnt(8) lgkmcnt(0)
	v_fmac_f64_e32 v[114:115], v[124:125], v[118:119]
	s_waitcnt vmcnt(6)
	v_fmac_f64_e32 v[114:115], v[126:127], v[120:121]
	ds_read2_b64 v[118:121], v116 offset0:85 offset1:86
	s_waitcnt vmcnt(4) lgkmcnt(0)
	v_fmac_f64_e32 v[114:115], v[128:129], v[118:119]
	;; [unrolled: 5-line block ×3, first 2 shown]
	buffer_load_dword v119, off, s[0:3], 0 offset:260
	buffer_load_dword v118, off, s[0:3], 0 offset:256
	buffer_load_dword v123, off, s[0:3], 0 offset:268
	buffer_load_dword v122, off, s[0:3], 0 offset:264
	s_waitcnt vmcnt(2)
	v_fmac_f64_e32 v[114:115], v[118:119], v[120:121]
	ds_read2_b64 v[118:121], v116 offset0:89 offset1:90
	s_waitcnt vmcnt(0) lgkmcnt(0)
	v_fmac_f64_e32 v[114:115], v[122:123], v[118:119]
	buffer_load_dword v119, off, s[0:3], 0 offset:276
	buffer_load_dword v118, off, s[0:3], 0 offset:272
	buffer_load_dword v123, off, s[0:3], 0 offset:284
	buffer_load_dword v122, off, s[0:3], 0 offset:280
	s_waitcnt vmcnt(2)
	v_fmac_f64_e32 v[114:115], v[118:119], v[120:121]
	ds_read2_b64 v[118:121], v116 offset0:91 offset1:92
	s_waitcnt vmcnt(0) lgkmcnt(0)
	v_fmac_f64_e32 v[114:115], v[122:123], v[118:119]
	;; [unrolled: 9-line block ×10, first 2 shown]
	buffer_load_dword v119, off, s[0:3], 0 offset:420
	buffer_load_dword v118, off, s[0:3], 0 offset:416
	s_waitcnt vmcnt(0)
	v_fmac_f64_e32 v[114:115], v[118:119], v[120:121]
	buffer_load_dword v121, off, s[0:3], 0 offset:428
	buffer_load_dword v120, off, s[0:3], 0 offset:424
	ds_read2_b64 v[116:119], v116 offset0:109 offset1:110
	s_waitcnt vmcnt(0) lgkmcnt(0)
	v_fmac_f64_e32 v[114:115], v[120:121], v[116:117]
	buffer_load_dword v117, off, s[0:3], 0 offset:436
	buffer_load_dword v116, off, s[0:3], 0 offset:432
	s_waitcnt vmcnt(0)
	v_fmac_f64_e32 v[114:115], v[116:117], v[118:119]
	v_add_f64 v[112:113], v[112:113], -v[114:115]
	buffer_store_dword v113, off, s[0:3], 0 offset:196
	buffer_store_dword v112, off, s[0:3], 0 offset:192
	s_and_saveexec_b64 s[4:5], vcc
	s_cbranch_execz .LBB118_291
; %bb.290:
	buffer_load_dword v112, off, s[0:3], 0 offset:184
	buffer_load_dword v113, off, s[0:3], 0 offset:188
	v_mov_b32_e32 v114, 0
	buffer_store_dword v114, off, s[0:3], 0 offset:184
	buffer_store_dword v114, off, s[0:3], 0 offset:188
	s_waitcnt vmcnt(2)
	ds_write_b64 v1, v[112:113]
.LBB118_291:
	s_or_b64 exec, exec, s[4:5]
	s_waitcnt lgkmcnt(0)
	; wave barrier
	s_waitcnt lgkmcnt(0)
	buffer_load_dword v112, off, s[0:3], 0 offset:184
	buffer_load_dword v113, off, s[0:3], 0 offset:188
	;; [unrolled: 1-line block ×16, first 2 shown]
	v_mov_b32_e32 v116, 0
	ds_read_b128 v[118:121], v116 offset:640
	ds_read_b128 v[122:125], v116 offset:656
	;; [unrolled: 1-line block ×4, first 2 shown]
	v_cmp_lt_u32_e32 vcc, 22, v0
	s_waitcnt vmcnt(12) lgkmcnt(3)
	v_fma_f64 v[114:115], v[114:115], v[118:119], 0
	buffer_load_dword v119, off, s[0:3], 0 offset:252
	buffer_load_dword v118, off, s[0:3], 0 offset:248
	s_waitcnt vmcnt(12)
	v_fmac_f64_e32 v[114:115], v[134:135], v[120:121]
	s_waitcnt vmcnt(10) lgkmcnt(2)
	v_fmac_f64_e32 v[114:115], v[136:137], v[122:123]
	buffer_load_dword v123, off, s[0:3], 0 offset:260
	buffer_load_dword v122, off, s[0:3], 0 offset:256
	s_waitcnt vmcnt(10)
	v_fmac_f64_e32 v[114:115], v[138:139], v[124:125]
	s_waitcnt vmcnt(8) lgkmcnt(1)
	v_fmac_f64_e32 v[114:115], v[140:141], v[126:127]
	s_waitcnt vmcnt(6)
	v_fmac_f64_e32 v[114:115], v[142:143], v[128:129]
	s_waitcnt vmcnt(4) lgkmcnt(0)
	v_fmac_f64_e32 v[114:115], v[144:145], v[130:131]
	s_waitcnt vmcnt(2)
	v_fmac_f64_e32 v[114:115], v[118:119], v[132:133]
	ds_read_b128 v[118:121], v116 offset:704
	s_waitcnt vmcnt(0) lgkmcnt(0)
	v_fmac_f64_e32 v[114:115], v[122:123], v[118:119]
	buffer_load_dword v119, off, s[0:3], 0 offset:268
	buffer_load_dword v118, off, s[0:3], 0 offset:264
	buffer_load_dword v123, off, s[0:3], 0 offset:276
	buffer_load_dword v122, off, s[0:3], 0 offset:272
	s_waitcnt vmcnt(2)
	v_fmac_f64_e32 v[114:115], v[118:119], v[120:121]
	ds_read_b128 v[118:121], v116 offset:720
	s_waitcnt vmcnt(0) lgkmcnt(0)
	v_fmac_f64_e32 v[114:115], v[122:123], v[118:119]
	buffer_load_dword v119, off, s[0:3], 0 offset:284
	buffer_load_dword v118, off, s[0:3], 0 offset:280
	buffer_load_dword v123, off, s[0:3], 0 offset:292
	buffer_load_dword v122, off, s[0:3], 0 offset:288
	;; [unrolled: 9-line block ×10, first 2 shown]
	s_waitcnt vmcnt(2)
	v_fmac_f64_e32 v[114:115], v[118:119], v[120:121]
	ds_read_b128 v[118:121], v116 offset:864
	s_waitcnt vmcnt(0) lgkmcnt(0)
	v_fmac_f64_e32 v[114:115], v[122:123], v[118:119]
	buffer_load_dword v119, off, s[0:3], 0 offset:428
	buffer_load_dword v118, off, s[0:3], 0 offset:424
	s_waitcnt vmcnt(0)
	v_fmac_f64_e32 v[114:115], v[118:119], v[120:121]
	buffer_load_dword v119, off, s[0:3], 0 offset:436
	buffer_load_dword v118, off, s[0:3], 0 offset:432
	ds_read_b64 v[120:121], v116 offset:880
	s_waitcnt vmcnt(0) lgkmcnt(0)
	v_fmac_f64_e32 v[114:115], v[118:119], v[120:121]
	v_add_f64 v[112:113], v[112:113], -v[114:115]
	buffer_store_dword v113, off, s[0:3], 0 offset:188
	buffer_store_dword v112, off, s[0:3], 0 offset:184
	s_and_saveexec_b64 s[4:5], vcc
	s_cbranch_execz .LBB118_293
; %bb.292:
	buffer_load_dword v112, off, s[0:3], 0 offset:176
	buffer_load_dword v113, off, s[0:3], 0 offset:180
	s_waitcnt vmcnt(0)
	ds_write_b64 v1, v[112:113]
	buffer_store_dword v116, off, s[0:3], 0 offset:176
	buffer_store_dword v116, off, s[0:3], 0 offset:180
.LBB118_293:
	s_or_b64 exec, exec, s[4:5]
	s_waitcnt lgkmcnt(0)
	; wave barrier
	s_waitcnt lgkmcnt(0)
	buffer_load_dword v112, off, s[0:3], 0 offset:176
	buffer_load_dword v113, off, s[0:3], 0 offset:180
	;; [unrolled: 1-line block ×16, first 2 shown]
	ds_read2_b64 v[118:121], v116 offset0:79 offset1:80
	v_cmp_lt_u32_e32 vcc, 21, v0
	s_waitcnt vmcnt(12) lgkmcnt(0)
	v_fma_f64 v[114:115], v[114:115], v[118:119], 0
	s_waitcnt vmcnt(10)
	v_fmac_f64_e32 v[114:115], v[122:123], v[120:121]
	ds_read2_b64 v[118:121], v116 offset0:81 offset1:82
	s_waitcnt vmcnt(8) lgkmcnt(0)
	v_fmac_f64_e32 v[114:115], v[124:125], v[118:119]
	s_waitcnt vmcnt(6)
	v_fmac_f64_e32 v[114:115], v[126:127], v[120:121]
	ds_read2_b64 v[118:121], v116 offset0:83 offset1:84
	s_waitcnt vmcnt(4) lgkmcnt(0)
	v_fmac_f64_e32 v[114:115], v[128:129], v[118:119]
	;; [unrolled: 5-line block ×3, first 2 shown]
	buffer_load_dword v119, off, s[0:3], 0 offset:244
	buffer_load_dword v118, off, s[0:3], 0 offset:240
	buffer_load_dword v123, off, s[0:3], 0 offset:252
	buffer_load_dword v122, off, s[0:3], 0 offset:248
	s_waitcnt vmcnt(2)
	v_fmac_f64_e32 v[114:115], v[118:119], v[120:121]
	ds_read2_b64 v[118:121], v116 offset0:87 offset1:88
	s_waitcnt vmcnt(0) lgkmcnt(0)
	v_fmac_f64_e32 v[114:115], v[122:123], v[118:119]
	buffer_load_dword v119, off, s[0:3], 0 offset:260
	buffer_load_dword v118, off, s[0:3], 0 offset:256
	buffer_load_dword v123, off, s[0:3], 0 offset:268
	buffer_load_dword v122, off, s[0:3], 0 offset:264
	s_waitcnt vmcnt(2)
	v_fmac_f64_e32 v[114:115], v[118:119], v[120:121]
	ds_read2_b64 v[118:121], v116 offset0:89 offset1:90
	s_waitcnt vmcnt(0) lgkmcnt(0)
	v_fmac_f64_e32 v[114:115], v[122:123], v[118:119]
	;; [unrolled: 9-line block ×11, first 2 shown]
	buffer_load_dword v119, off, s[0:3], 0 offset:420
	buffer_load_dword v118, off, s[0:3], 0 offset:416
	s_waitcnt vmcnt(0)
	v_fmac_f64_e32 v[114:115], v[118:119], v[120:121]
	buffer_load_dword v121, off, s[0:3], 0 offset:428
	buffer_load_dword v120, off, s[0:3], 0 offset:424
	ds_read2_b64 v[116:119], v116 offset0:109 offset1:110
	s_waitcnt vmcnt(0) lgkmcnt(0)
	v_fmac_f64_e32 v[114:115], v[120:121], v[116:117]
	buffer_load_dword v117, off, s[0:3], 0 offset:436
	buffer_load_dword v116, off, s[0:3], 0 offset:432
	s_waitcnt vmcnt(0)
	v_fmac_f64_e32 v[114:115], v[116:117], v[118:119]
	v_add_f64 v[112:113], v[112:113], -v[114:115]
	buffer_store_dword v113, off, s[0:3], 0 offset:180
	buffer_store_dword v112, off, s[0:3], 0 offset:176
	s_and_saveexec_b64 s[4:5], vcc
	s_cbranch_execz .LBB118_295
; %bb.294:
	buffer_load_dword v112, off, s[0:3], 0 offset:168
	buffer_load_dword v113, off, s[0:3], 0 offset:172
	v_mov_b32_e32 v114, 0
	buffer_store_dword v114, off, s[0:3], 0 offset:168
	buffer_store_dword v114, off, s[0:3], 0 offset:172
	s_waitcnt vmcnt(2)
	ds_write_b64 v1, v[112:113]
.LBB118_295:
	s_or_b64 exec, exec, s[4:5]
	s_waitcnt lgkmcnt(0)
	; wave barrier
	s_waitcnt lgkmcnt(0)
	buffer_load_dword v112, off, s[0:3], 0 offset:168
	buffer_load_dword v113, off, s[0:3], 0 offset:172
	;; [unrolled: 1-line block ×16, first 2 shown]
	v_mov_b32_e32 v116, 0
	ds_read_b128 v[118:121], v116 offset:624
	ds_read_b128 v[122:125], v116 offset:640
	;; [unrolled: 1-line block ×4, first 2 shown]
	v_cmp_lt_u32_e32 vcc, 20, v0
	s_waitcnt vmcnt(12) lgkmcnt(3)
	v_fma_f64 v[114:115], v[114:115], v[118:119], 0
	buffer_load_dword v119, off, s[0:3], 0 offset:236
	buffer_load_dword v118, off, s[0:3], 0 offset:232
	s_waitcnt vmcnt(12)
	v_fmac_f64_e32 v[114:115], v[134:135], v[120:121]
	s_waitcnt vmcnt(10) lgkmcnt(2)
	v_fmac_f64_e32 v[114:115], v[136:137], v[122:123]
	buffer_load_dword v123, off, s[0:3], 0 offset:244
	buffer_load_dword v122, off, s[0:3], 0 offset:240
	s_waitcnt vmcnt(10)
	v_fmac_f64_e32 v[114:115], v[138:139], v[124:125]
	s_waitcnt vmcnt(8) lgkmcnt(1)
	v_fmac_f64_e32 v[114:115], v[140:141], v[126:127]
	s_waitcnt vmcnt(6)
	v_fmac_f64_e32 v[114:115], v[142:143], v[128:129]
	s_waitcnt vmcnt(4) lgkmcnt(0)
	v_fmac_f64_e32 v[114:115], v[144:145], v[130:131]
	s_waitcnt vmcnt(2)
	v_fmac_f64_e32 v[114:115], v[118:119], v[132:133]
	ds_read_b128 v[118:121], v116 offset:688
	s_waitcnt vmcnt(0) lgkmcnt(0)
	v_fmac_f64_e32 v[114:115], v[122:123], v[118:119]
	buffer_load_dword v119, off, s[0:3], 0 offset:252
	buffer_load_dword v118, off, s[0:3], 0 offset:248
	buffer_load_dword v123, off, s[0:3], 0 offset:260
	buffer_load_dword v122, off, s[0:3], 0 offset:256
	s_waitcnt vmcnt(2)
	v_fmac_f64_e32 v[114:115], v[118:119], v[120:121]
	ds_read_b128 v[118:121], v116 offset:704
	s_waitcnt vmcnt(0) lgkmcnt(0)
	v_fmac_f64_e32 v[114:115], v[122:123], v[118:119]
	buffer_load_dword v119, off, s[0:3], 0 offset:268
	buffer_load_dword v118, off, s[0:3], 0 offset:264
	buffer_load_dword v123, off, s[0:3], 0 offset:276
	buffer_load_dword v122, off, s[0:3], 0 offset:272
	;; [unrolled: 9-line block ×11, first 2 shown]
	s_waitcnt vmcnt(2)
	v_fmac_f64_e32 v[114:115], v[118:119], v[120:121]
	ds_read_b128 v[118:121], v116 offset:864
	s_waitcnt vmcnt(0) lgkmcnt(0)
	v_fmac_f64_e32 v[114:115], v[122:123], v[118:119]
	buffer_load_dword v119, off, s[0:3], 0 offset:428
	buffer_load_dword v118, off, s[0:3], 0 offset:424
	s_waitcnt vmcnt(0)
	v_fmac_f64_e32 v[114:115], v[118:119], v[120:121]
	buffer_load_dword v119, off, s[0:3], 0 offset:436
	buffer_load_dword v118, off, s[0:3], 0 offset:432
	ds_read_b64 v[120:121], v116 offset:880
	s_waitcnt vmcnt(0) lgkmcnt(0)
	v_fmac_f64_e32 v[114:115], v[118:119], v[120:121]
	v_add_f64 v[112:113], v[112:113], -v[114:115]
	buffer_store_dword v113, off, s[0:3], 0 offset:172
	buffer_store_dword v112, off, s[0:3], 0 offset:168
	s_and_saveexec_b64 s[4:5], vcc
	s_cbranch_execz .LBB118_297
; %bb.296:
	buffer_load_dword v112, off, s[0:3], 0 offset:160
	buffer_load_dword v113, off, s[0:3], 0 offset:164
	s_waitcnt vmcnt(0)
	ds_write_b64 v1, v[112:113]
	buffer_store_dword v116, off, s[0:3], 0 offset:160
	buffer_store_dword v116, off, s[0:3], 0 offset:164
.LBB118_297:
	s_or_b64 exec, exec, s[4:5]
	s_waitcnt lgkmcnt(0)
	; wave barrier
	s_waitcnt lgkmcnt(0)
	buffer_load_dword v112, off, s[0:3], 0 offset:160
	buffer_load_dword v113, off, s[0:3], 0 offset:164
	;; [unrolled: 1-line block ×16, first 2 shown]
	ds_read2_b64 v[118:121], v116 offset0:77 offset1:78
	v_cmp_lt_u32_e32 vcc, 19, v0
	s_waitcnt vmcnt(12) lgkmcnt(0)
	v_fma_f64 v[114:115], v[114:115], v[118:119], 0
	s_waitcnt vmcnt(10)
	v_fmac_f64_e32 v[114:115], v[122:123], v[120:121]
	ds_read2_b64 v[118:121], v116 offset0:79 offset1:80
	s_waitcnt vmcnt(8) lgkmcnt(0)
	v_fmac_f64_e32 v[114:115], v[124:125], v[118:119]
	s_waitcnt vmcnt(6)
	v_fmac_f64_e32 v[114:115], v[126:127], v[120:121]
	ds_read2_b64 v[118:121], v116 offset0:81 offset1:82
	s_waitcnt vmcnt(4) lgkmcnt(0)
	v_fmac_f64_e32 v[114:115], v[128:129], v[118:119]
	;; [unrolled: 5-line block ×3, first 2 shown]
	buffer_load_dword v119, off, s[0:3], 0 offset:228
	buffer_load_dword v118, off, s[0:3], 0 offset:224
	buffer_load_dword v123, off, s[0:3], 0 offset:236
	buffer_load_dword v122, off, s[0:3], 0 offset:232
	s_waitcnt vmcnt(2)
	v_fmac_f64_e32 v[114:115], v[118:119], v[120:121]
	ds_read2_b64 v[118:121], v116 offset0:85 offset1:86
	s_waitcnt vmcnt(0) lgkmcnt(0)
	v_fmac_f64_e32 v[114:115], v[122:123], v[118:119]
	buffer_load_dword v119, off, s[0:3], 0 offset:244
	buffer_load_dword v118, off, s[0:3], 0 offset:240
	buffer_load_dword v123, off, s[0:3], 0 offset:252
	buffer_load_dword v122, off, s[0:3], 0 offset:248
	s_waitcnt vmcnt(2)
	v_fmac_f64_e32 v[114:115], v[118:119], v[120:121]
	ds_read2_b64 v[118:121], v116 offset0:87 offset1:88
	s_waitcnt vmcnt(0) lgkmcnt(0)
	v_fmac_f64_e32 v[114:115], v[122:123], v[118:119]
	;; [unrolled: 9-line block ×12, first 2 shown]
	buffer_load_dword v119, off, s[0:3], 0 offset:420
	buffer_load_dword v118, off, s[0:3], 0 offset:416
	s_waitcnt vmcnt(0)
	v_fmac_f64_e32 v[114:115], v[118:119], v[120:121]
	buffer_load_dword v121, off, s[0:3], 0 offset:428
	buffer_load_dword v120, off, s[0:3], 0 offset:424
	ds_read2_b64 v[116:119], v116 offset0:109 offset1:110
	s_waitcnt vmcnt(0) lgkmcnt(0)
	v_fmac_f64_e32 v[114:115], v[120:121], v[116:117]
	buffer_load_dword v117, off, s[0:3], 0 offset:436
	buffer_load_dword v116, off, s[0:3], 0 offset:432
	s_waitcnt vmcnt(0)
	v_fmac_f64_e32 v[114:115], v[116:117], v[118:119]
	v_add_f64 v[112:113], v[112:113], -v[114:115]
	buffer_store_dword v113, off, s[0:3], 0 offset:164
	buffer_store_dword v112, off, s[0:3], 0 offset:160
	s_and_saveexec_b64 s[4:5], vcc
	s_cbranch_execz .LBB118_299
; %bb.298:
	buffer_load_dword v112, off, s[0:3], 0 offset:152
	buffer_load_dword v113, off, s[0:3], 0 offset:156
	v_mov_b32_e32 v114, 0
	buffer_store_dword v114, off, s[0:3], 0 offset:152
	buffer_store_dword v114, off, s[0:3], 0 offset:156
	s_waitcnt vmcnt(2)
	ds_write_b64 v1, v[112:113]
.LBB118_299:
	s_or_b64 exec, exec, s[4:5]
	s_waitcnt lgkmcnt(0)
	; wave barrier
	s_waitcnt lgkmcnt(0)
	buffer_load_dword v112, off, s[0:3], 0 offset:152
	buffer_load_dword v113, off, s[0:3], 0 offset:156
	;; [unrolled: 1-line block ×16, first 2 shown]
	v_mov_b32_e32 v116, 0
	ds_read_b128 v[118:121], v116 offset:608
	ds_read_b128 v[122:125], v116 offset:624
	;; [unrolled: 1-line block ×4, first 2 shown]
	v_cmp_lt_u32_e32 vcc, 18, v0
	s_waitcnt vmcnt(12) lgkmcnt(3)
	v_fma_f64 v[114:115], v[114:115], v[118:119], 0
	buffer_load_dword v119, off, s[0:3], 0 offset:220
	buffer_load_dword v118, off, s[0:3], 0 offset:216
	s_waitcnt vmcnt(12)
	v_fmac_f64_e32 v[114:115], v[134:135], v[120:121]
	s_waitcnt vmcnt(10) lgkmcnt(2)
	v_fmac_f64_e32 v[114:115], v[136:137], v[122:123]
	buffer_load_dword v123, off, s[0:3], 0 offset:228
	buffer_load_dword v122, off, s[0:3], 0 offset:224
	s_waitcnt vmcnt(10)
	v_fmac_f64_e32 v[114:115], v[138:139], v[124:125]
	s_waitcnt vmcnt(8) lgkmcnt(1)
	v_fmac_f64_e32 v[114:115], v[140:141], v[126:127]
	s_waitcnt vmcnt(6)
	v_fmac_f64_e32 v[114:115], v[142:143], v[128:129]
	s_waitcnt vmcnt(4) lgkmcnt(0)
	v_fmac_f64_e32 v[114:115], v[144:145], v[130:131]
	s_waitcnt vmcnt(2)
	v_fmac_f64_e32 v[114:115], v[118:119], v[132:133]
	ds_read_b128 v[118:121], v116 offset:672
	s_waitcnt vmcnt(0) lgkmcnt(0)
	v_fmac_f64_e32 v[114:115], v[122:123], v[118:119]
	buffer_load_dword v119, off, s[0:3], 0 offset:236
	buffer_load_dword v118, off, s[0:3], 0 offset:232
	buffer_load_dword v123, off, s[0:3], 0 offset:244
	buffer_load_dword v122, off, s[0:3], 0 offset:240
	s_waitcnt vmcnt(2)
	v_fmac_f64_e32 v[114:115], v[118:119], v[120:121]
	ds_read_b128 v[118:121], v116 offset:688
	s_waitcnt vmcnt(0) lgkmcnt(0)
	v_fmac_f64_e32 v[114:115], v[122:123], v[118:119]
	buffer_load_dword v119, off, s[0:3], 0 offset:252
	buffer_load_dword v118, off, s[0:3], 0 offset:248
	buffer_load_dword v123, off, s[0:3], 0 offset:260
	buffer_load_dword v122, off, s[0:3], 0 offset:256
	;; [unrolled: 9-line block ×12, first 2 shown]
	s_waitcnt vmcnt(2)
	v_fmac_f64_e32 v[114:115], v[118:119], v[120:121]
	ds_read_b128 v[118:121], v116 offset:864
	s_waitcnt vmcnt(0) lgkmcnt(0)
	v_fmac_f64_e32 v[114:115], v[122:123], v[118:119]
	buffer_load_dword v119, off, s[0:3], 0 offset:428
	buffer_load_dword v118, off, s[0:3], 0 offset:424
	s_waitcnt vmcnt(0)
	v_fmac_f64_e32 v[114:115], v[118:119], v[120:121]
	buffer_load_dword v119, off, s[0:3], 0 offset:436
	buffer_load_dword v118, off, s[0:3], 0 offset:432
	ds_read_b64 v[120:121], v116 offset:880
	s_waitcnt vmcnt(0) lgkmcnt(0)
	v_fmac_f64_e32 v[114:115], v[118:119], v[120:121]
	v_add_f64 v[112:113], v[112:113], -v[114:115]
	buffer_store_dword v113, off, s[0:3], 0 offset:156
	buffer_store_dword v112, off, s[0:3], 0 offset:152
	s_and_saveexec_b64 s[4:5], vcc
	s_cbranch_execz .LBB118_301
; %bb.300:
	buffer_load_dword v112, off, s[0:3], 0 offset:144
	buffer_load_dword v113, off, s[0:3], 0 offset:148
	s_waitcnt vmcnt(0)
	ds_write_b64 v1, v[112:113]
	buffer_store_dword v116, off, s[0:3], 0 offset:144
	buffer_store_dword v116, off, s[0:3], 0 offset:148
.LBB118_301:
	s_or_b64 exec, exec, s[4:5]
	s_waitcnt lgkmcnt(0)
	; wave barrier
	s_waitcnt lgkmcnt(0)
	buffer_load_dword v112, off, s[0:3], 0 offset:144
	buffer_load_dword v113, off, s[0:3], 0 offset:148
	;; [unrolled: 1-line block ×16, first 2 shown]
	ds_read2_b64 v[118:121], v116 offset0:75 offset1:76
	v_cmp_lt_u32_e32 vcc, 17, v0
	s_waitcnt vmcnt(12) lgkmcnt(0)
	v_fma_f64 v[114:115], v[114:115], v[118:119], 0
	s_waitcnt vmcnt(10)
	v_fmac_f64_e32 v[114:115], v[122:123], v[120:121]
	ds_read2_b64 v[118:121], v116 offset0:77 offset1:78
	s_waitcnt vmcnt(8) lgkmcnt(0)
	v_fmac_f64_e32 v[114:115], v[124:125], v[118:119]
	s_waitcnt vmcnt(6)
	v_fmac_f64_e32 v[114:115], v[126:127], v[120:121]
	ds_read2_b64 v[118:121], v116 offset0:79 offset1:80
	s_waitcnt vmcnt(4) lgkmcnt(0)
	v_fmac_f64_e32 v[114:115], v[128:129], v[118:119]
	;; [unrolled: 5-line block ×3, first 2 shown]
	buffer_load_dword v119, off, s[0:3], 0 offset:212
	buffer_load_dword v118, off, s[0:3], 0 offset:208
	buffer_load_dword v123, off, s[0:3], 0 offset:220
	buffer_load_dword v122, off, s[0:3], 0 offset:216
	s_waitcnt vmcnt(2)
	v_fmac_f64_e32 v[114:115], v[118:119], v[120:121]
	ds_read2_b64 v[118:121], v116 offset0:83 offset1:84
	s_waitcnt vmcnt(0) lgkmcnt(0)
	v_fmac_f64_e32 v[114:115], v[122:123], v[118:119]
	buffer_load_dword v119, off, s[0:3], 0 offset:228
	buffer_load_dword v118, off, s[0:3], 0 offset:224
	buffer_load_dword v123, off, s[0:3], 0 offset:236
	buffer_load_dword v122, off, s[0:3], 0 offset:232
	s_waitcnt vmcnt(2)
	v_fmac_f64_e32 v[114:115], v[118:119], v[120:121]
	ds_read2_b64 v[118:121], v116 offset0:85 offset1:86
	s_waitcnt vmcnt(0) lgkmcnt(0)
	v_fmac_f64_e32 v[114:115], v[122:123], v[118:119]
	;; [unrolled: 9-line block ×13, first 2 shown]
	buffer_load_dword v119, off, s[0:3], 0 offset:420
	buffer_load_dword v118, off, s[0:3], 0 offset:416
	s_waitcnt vmcnt(0)
	v_fmac_f64_e32 v[114:115], v[118:119], v[120:121]
	buffer_load_dword v121, off, s[0:3], 0 offset:428
	buffer_load_dword v120, off, s[0:3], 0 offset:424
	ds_read2_b64 v[116:119], v116 offset0:109 offset1:110
	s_waitcnt vmcnt(0) lgkmcnt(0)
	v_fmac_f64_e32 v[114:115], v[120:121], v[116:117]
	buffer_load_dword v117, off, s[0:3], 0 offset:436
	buffer_load_dword v116, off, s[0:3], 0 offset:432
	s_waitcnt vmcnt(0)
	v_fmac_f64_e32 v[114:115], v[116:117], v[118:119]
	v_add_f64 v[112:113], v[112:113], -v[114:115]
	buffer_store_dword v113, off, s[0:3], 0 offset:148
	buffer_store_dword v112, off, s[0:3], 0 offset:144
	s_and_saveexec_b64 s[4:5], vcc
	s_cbranch_execz .LBB118_303
; %bb.302:
	buffer_load_dword v112, off, s[0:3], 0 offset:136
	buffer_load_dword v113, off, s[0:3], 0 offset:140
	v_mov_b32_e32 v114, 0
	buffer_store_dword v114, off, s[0:3], 0 offset:136
	buffer_store_dword v114, off, s[0:3], 0 offset:140
	s_waitcnt vmcnt(2)
	ds_write_b64 v1, v[112:113]
.LBB118_303:
	s_or_b64 exec, exec, s[4:5]
	s_waitcnt lgkmcnt(0)
	; wave barrier
	s_waitcnt lgkmcnt(0)
	buffer_load_dword v112, off, s[0:3], 0 offset:136
	buffer_load_dword v113, off, s[0:3], 0 offset:140
	;; [unrolled: 1-line block ×16, first 2 shown]
	v_mov_b32_e32 v116, 0
	ds_read_b128 v[118:121], v116 offset:592
	ds_read_b128 v[122:125], v116 offset:608
	ds_read_b128 v[126:129], v116 offset:624
	ds_read_b128 v[130:133], v116 offset:640
	v_cmp_lt_u32_e32 vcc, 16, v0
	s_waitcnt vmcnt(12) lgkmcnt(3)
	v_fma_f64 v[114:115], v[114:115], v[118:119], 0
	buffer_load_dword v119, off, s[0:3], 0 offset:204
	buffer_load_dword v118, off, s[0:3], 0 offset:200
	s_waitcnt vmcnt(12)
	v_fmac_f64_e32 v[114:115], v[134:135], v[120:121]
	s_waitcnt vmcnt(10) lgkmcnt(2)
	v_fmac_f64_e32 v[114:115], v[136:137], v[122:123]
	buffer_load_dword v123, off, s[0:3], 0 offset:212
	buffer_load_dword v122, off, s[0:3], 0 offset:208
	s_waitcnt vmcnt(10)
	v_fmac_f64_e32 v[114:115], v[138:139], v[124:125]
	s_waitcnt vmcnt(8) lgkmcnt(1)
	v_fmac_f64_e32 v[114:115], v[140:141], v[126:127]
	s_waitcnt vmcnt(6)
	v_fmac_f64_e32 v[114:115], v[142:143], v[128:129]
	s_waitcnt vmcnt(4) lgkmcnt(0)
	v_fmac_f64_e32 v[114:115], v[144:145], v[130:131]
	s_waitcnt vmcnt(2)
	v_fmac_f64_e32 v[114:115], v[118:119], v[132:133]
	ds_read_b128 v[118:121], v116 offset:656
	s_waitcnt vmcnt(0) lgkmcnt(0)
	v_fmac_f64_e32 v[114:115], v[122:123], v[118:119]
	buffer_load_dword v119, off, s[0:3], 0 offset:220
	buffer_load_dword v118, off, s[0:3], 0 offset:216
	buffer_load_dword v123, off, s[0:3], 0 offset:228
	buffer_load_dword v122, off, s[0:3], 0 offset:224
	s_waitcnt vmcnt(2)
	v_fmac_f64_e32 v[114:115], v[118:119], v[120:121]
	ds_read_b128 v[118:121], v116 offset:672
	s_waitcnt vmcnt(0) lgkmcnt(0)
	v_fmac_f64_e32 v[114:115], v[122:123], v[118:119]
	buffer_load_dword v119, off, s[0:3], 0 offset:236
	buffer_load_dword v118, off, s[0:3], 0 offset:232
	buffer_load_dword v123, off, s[0:3], 0 offset:244
	buffer_load_dword v122, off, s[0:3], 0 offset:240
	;; [unrolled: 9-line block ×13, first 2 shown]
	s_waitcnt vmcnt(2)
	v_fmac_f64_e32 v[114:115], v[118:119], v[120:121]
	ds_read_b128 v[118:121], v116 offset:864
	s_waitcnt vmcnt(0) lgkmcnt(0)
	v_fmac_f64_e32 v[114:115], v[122:123], v[118:119]
	buffer_load_dword v119, off, s[0:3], 0 offset:428
	buffer_load_dword v118, off, s[0:3], 0 offset:424
	s_waitcnt vmcnt(0)
	v_fmac_f64_e32 v[114:115], v[118:119], v[120:121]
	buffer_load_dword v119, off, s[0:3], 0 offset:436
	buffer_load_dword v118, off, s[0:3], 0 offset:432
	ds_read_b64 v[120:121], v116 offset:880
	s_waitcnt vmcnt(0) lgkmcnt(0)
	v_fmac_f64_e32 v[114:115], v[118:119], v[120:121]
	v_add_f64 v[112:113], v[112:113], -v[114:115]
	buffer_store_dword v113, off, s[0:3], 0 offset:140
	buffer_store_dword v112, off, s[0:3], 0 offset:136
	s_and_saveexec_b64 s[4:5], vcc
	s_cbranch_execz .LBB118_305
; %bb.304:
	buffer_load_dword v112, off, s[0:3], 0 offset:128
	buffer_load_dword v113, off, s[0:3], 0 offset:132
	s_waitcnt vmcnt(0)
	ds_write_b64 v1, v[112:113]
	buffer_store_dword v116, off, s[0:3], 0 offset:128
	buffer_store_dword v116, off, s[0:3], 0 offset:132
.LBB118_305:
	s_or_b64 exec, exec, s[4:5]
	s_waitcnt lgkmcnt(0)
	; wave barrier
	s_waitcnt lgkmcnt(0)
	buffer_load_dword v112, off, s[0:3], 0 offset:128
	buffer_load_dword v113, off, s[0:3], 0 offset:132
	;; [unrolled: 1-line block ×16, first 2 shown]
	ds_read2_b64 v[118:121], v116 offset0:73 offset1:74
	v_cmp_lt_u32_e32 vcc, 15, v0
	s_waitcnt vmcnt(12) lgkmcnt(0)
	v_fma_f64 v[114:115], v[114:115], v[118:119], 0
	s_waitcnt vmcnt(10)
	v_fmac_f64_e32 v[114:115], v[122:123], v[120:121]
	ds_read2_b64 v[118:121], v116 offset0:75 offset1:76
	s_waitcnt vmcnt(8) lgkmcnt(0)
	v_fmac_f64_e32 v[114:115], v[124:125], v[118:119]
	s_waitcnt vmcnt(6)
	v_fmac_f64_e32 v[114:115], v[126:127], v[120:121]
	ds_read2_b64 v[118:121], v116 offset0:77 offset1:78
	s_waitcnt vmcnt(4) lgkmcnt(0)
	v_fmac_f64_e32 v[114:115], v[128:129], v[118:119]
	;; [unrolled: 5-line block ×3, first 2 shown]
	buffer_load_dword v119, off, s[0:3], 0 offset:196
	buffer_load_dword v118, off, s[0:3], 0 offset:192
	buffer_load_dword v123, off, s[0:3], 0 offset:204
	buffer_load_dword v122, off, s[0:3], 0 offset:200
	s_waitcnt vmcnt(2)
	v_fmac_f64_e32 v[114:115], v[118:119], v[120:121]
	ds_read2_b64 v[118:121], v116 offset0:81 offset1:82
	s_waitcnt vmcnt(0) lgkmcnt(0)
	v_fmac_f64_e32 v[114:115], v[122:123], v[118:119]
	buffer_load_dword v119, off, s[0:3], 0 offset:212
	buffer_load_dword v118, off, s[0:3], 0 offset:208
	buffer_load_dword v123, off, s[0:3], 0 offset:220
	buffer_load_dword v122, off, s[0:3], 0 offset:216
	s_waitcnt vmcnt(2)
	v_fmac_f64_e32 v[114:115], v[118:119], v[120:121]
	ds_read2_b64 v[118:121], v116 offset0:83 offset1:84
	s_waitcnt vmcnt(0) lgkmcnt(0)
	v_fmac_f64_e32 v[114:115], v[122:123], v[118:119]
	;; [unrolled: 9-line block ×14, first 2 shown]
	buffer_load_dword v119, off, s[0:3], 0 offset:420
	buffer_load_dword v118, off, s[0:3], 0 offset:416
	s_waitcnt vmcnt(0)
	v_fmac_f64_e32 v[114:115], v[118:119], v[120:121]
	buffer_load_dword v121, off, s[0:3], 0 offset:428
	buffer_load_dword v120, off, s[0:3], 0 offset:424
	ds_read2_b64 v[116:119], v116 offset0:109 offset1:110
	s_waitcnt vmcnt(0) lgkmcnt(0)
	v_fmac_f64_e32 v[114:115], v[120:121], v[116:117]
	buffer_load_dword v117, off, s[0:3], 0 offset:436
	buffer_load_dword v116, off, s[0:3], 0 offset:432
	s_waitcnt vmcnt(0)
	v_fmac_f64_e32 v[114:115], v[116:117], v[118:119]
	v_add_f64 v[112:113], v[112:113], -v[114:115]
	buffer_store_dword v113, off, s[0:3], 0 offset:132
	buffer_store_dword v112, off, s[0:3], 0 offset:128
	s_and_saveexec_b64 s[4:5], vcc
	s_cbranch_execz .LBB118_307
; %bb.306:
	buffer_load_dword v112, off, s[0:3], 0 offset:120
	buffer_load_dword v113, off, s[0:3], 0 offset:124
	v_mov_b32_e32 v114, 0
	buffer_store_dword v114, off, s[0:3], 0 offset:120
	buffer_store_dword v114, off, s[0:3], 0 offset:124
	s_waitcnt vmcnt(2)
	ds_write_b64 v1, v[112:113]
.LBB118_307:
	s_or_b64 exec, exec, s[4:5]
	s_waitcnt lgkmcnt(0)
	; wave barrier
	s_waitcnt lgkmcnt(0)
	buffer_load_dword v112, off, s[0:3], 0 offset:120
	buffer_load_dword v113, off, s[0:3], 0 offset:124
	;; [unrolled: 1-line block ×16, first 2 shown]
	v_mov_b32_e32 v116, 0
	ds_read_b128 v[118:121], v116 offset:576
	ds_read_b128 v[122:125], v116 offset:592
	;; [unrolled: 1-line block ×4, first 2 shown]
	v_cmp_lt_u32_e32 vcc, 14, v0
	s_waitcnt vmcnt(12) lgkmcnt(3)
	v_fma_f64 v[114:115], v[114:115], v[118:119], 0
	buffer_load_dword v119, off, s[0:3], 0 offset:188
	buffer_load_dword v118, off, s[0:3], 0 offset:184
	s_waitcnt vmcnt(12)
	v_fmac_f64_e32 v[114:115], v[134:135], v[120:121]
	s_waitcnt vmcnt(10) lgkmcnt(2)
	v_fmac_f64_e32 v[114:115], v[136:137], v[122:123]
	buffer_load_dword v123, off, s[0:3], 0 offset:196
	buffer_load_dword v122, off, s[0:3], 0 offset:192
	s_waitcnt vmcnt(10)
	v_fmac_f64_e32 v[114:115], v[138:139], v[124:125]
	s_waitcnt vmcnt(8) lgkmcnt(1)
	v_fmac_f64_e32 v[114:115], v[140:141], v[126:127]
	s_waitcnt vmcnt(6)
	v_fmac_f64_e32 v[114:115], v[142:143], v[128:129]
	s_waitcnt vmcnt(4) lgkmcnt(0)
	v_fmac_f64_e32 v[114:115], v[144:145], v[130:131]
	s_waitcnt vmcnt(2)
	v_fmac_f64_e32 v[114:115], v[118:119], v[132:133]
	ds_read_b128 v[118:121], v116 offset:640
	s_waitcnt vmcnt(0) lgkmcnt(0)
	v_fmac_f64_e32 v[114:115], v[122:123], v[118:119]
	buffer_load_dword v119, off, s[0:3], 0 offset:204
	buffer_load_dword v118, off, s[0:3], 0 offset:200
	buffer_load_dword v123, off, s[0:3], 0 offset:212
	buffer_load_dword v122, off, s[0:3], 0 offset:208
	s_waitcnt vmcnt(2)
	v_fmac_f64_e32 v[114:115], v[118:119], v[120:121]
	ds_read_b128 v[118:121], v116 offset:656
	s_waitcnt vmcnt(0) lgkmcnt(0)
	v_fmac_f64_e32 v[114:115], v[122:123], v[118:119]
	buffer_load_dword v119, off, s[0:3], 0 offset:220
	buffer_load_dword v118, off, s[0:3], 0 offset:216
	buffer_load_dword v123, off, s[0:3], 0 offset:228
	buffer_load_dword v122, off, s[0:3], 0 offset:224
	;; [unrolled: 9-line block ×14, first 2 shown]
	s_waitcnt vmcnt(2)
	v_fmac_f64_e32 v[114:115], v[118:119], v[120:121]
	ds_read_b128 v[118:121], v116 offset:864
	s_waitcnt vmcnt(0) lgkmcnt(0)
	v_fmac_f64_e32 v[114:115], v[122:123], v[118:119]
	buffer_load_dword v119, off, s[0:3], 0 offset:428
	buffer_load_dword v118, off, s[0:3], 0 offset:424
	s_waitcnt vmcnt(0)
	v_fmac_f64_e32 v[114:115], v[118:119], v[120:121]
	buffer_load_dword v119, off, s[0:3], 0 offset:436
	buffer_load_dword v118, off, s[0:3], 0 offset:432
	ds_read_b64 v[120:121], v116 offset:880
	s_waitcnt vmcnt(0) lgkmcnt(0)
	v_fmac_f64_e32 v[114:115], v[118:119], v[120:121]
	v_add_f64 v[112:113], v[112:113], -v[114:115]
	buffer_store_dword v113, off, s[0:3], 0 offset:124
	buffer_store_dword v112, off, s[0:3], 0 offset:120
	s_and_saveexec_b64 s[4:5], vcc
	s_cbranch_execz .LBB118_309
; %bb.308:
	buffer_load_dword v112, off, s[0:3], 0 offset:112
	buffer_load_dword v113, off, s[0:3], 0 offset:116
	s_waitcnt vmcnt(0)
	ds_write_b64 v1, v[112:113]
	buffer_store_dword v116, off, s[0:3], 0 offset:112
	buffer_store_dword v116, off, s[0:3], 0 offset:116
.LBB118_309:
	s_or_b64 exec, exec, s[4:5]
	s_waitcnt lgkmcnt(0)
	; wave barrier
	s_waitcnt lgkmcnt(0)
	buffer_load_dword v112, off, s[0:3], 0 offset:112
	buffer_load_dword v113, off, s[0:3], 0 offset:116
	;; [unrolled: 1-line block ×16, first 2 shown]
	ds_read2_b64 v[118:121], v116 offset0:71 offset1:72
	v_cmp_lt_u32_e32 vcc, 13, v0
	s_waitcnt vmcnt(12) lgkmcnt(0)
	v_fma_f64 v[114:115], v[114:115], v[118:119], 0
	s_waitcnt vmcnt(10)
	v_fmac_f64_e32 v[114:115], v[122:123], v[120:121]
	ds_read2_b64 v[118:121], v116 offset0:73 offset1:74
	s_waitcnt vmcnt(8) lgkmcnt(0)
	v_fmac_f64_e32 v[114:115], v[124:125], v[118:119]
	s_waitcnt vmcnt(6)
	v_fmac_f64_e32 v[114:115], v[126:127], v[120:121]
	ds_read2_b64 v[118:121], v116 offset0:75 offset1:76
	s_waitcnt vmcnt(4) lgkmcnt(0)
	v_fmac_f64_e32 v[114:115], v[128:129], v[118:119]
	;; [unrolled: 5-line block ×3, first 2 shown]
	buffer_load_dword v119, off, s[0:3], 0 offset:180
	buffer_load_dword v118, off, s[0:3], 0 offset:176
	buffer_load_dword v123, off, s[0:3], 0 offset:188
	buffer_load_dword v122, off, s[0:3], 0 offset:184
	s_waitcnt vmcnt(2)
	v_fmac_f64_e32 v[114:115], v[118:119], v[120:121]
	ds_read2_b64 v[118:121], v116 offset0:79 offset1:80
	s_waitcnt vmcnt(0) lgkmcnt(0)
	v_fmac_f64_e32 v[114:115], v[122:123], v[118:119]
	buffer_load_dword v119, off, s[0:3], 0 offset:196
	buffer_load_dword v118, off, s[0:3], 0 offset:192
	buffer_load_dword v123, off, s[0:3], 0 offset:204
	buffer_load_dword v122, off, s[0:3], 0 offset:200
	s_waitcnt vmcnt(2)
	v_fmac_f64_e32 v[114:115], v[118:119], v[120:121]
	ds_read2_b64 v[118:121], v116 offset0:81 offset1:82
	s_waitcnt vmcnt(0) lgkmcnt(0)
	v_fmac_f64_e32 v[114:115], v[122:123], v[118:119]
	;; [unrolled: 9-line block ×15, first 2 shown]
	buffer_load_dword v119, off, s[0:3], 0 offset:420
	buffer_load_dword v118, off, s[0:3], 0 offset:416
	s_waitcnt vmcnt(0)
	v_fmac_f64_e32 v[114:115], v[118:119], v[120:121]
	buffer_load_dword v121, off, s[0:3], 0 offset:428
	buffer_load_dword v120, off, s[0:3], 0 offset:424
	ds_read2_b64 v[116:119], v116 offset0:109 offset1:110
	s_waitcnt vmcnt(0) lgkmcnt(0)
	v_fmac_f64_e32 v[114:115], v[120:121], v[116:117]
	buffer_load_dword v117, off, s[0:3], 0 offset:436
	buffer_load_dword v116, off, s[0:3], 0 offset:432
	s_waitcnt vmcnt(0)
	v_fmac_f64_e32 v[114:115], v[116:117], v[118:119]
	v_add_f64 v[112:113], v[112:113], -v[114:115]
	buffer_store_dword v113, off, s[0:3], 0 offset:116
	buffer_store_dword v112, off, s[0:3], 0 offset:112
	s_and_saveexec_b64 s[4:5], vcc
	s_cbranch_execz .LBB118_311
; %bb.310:
	buffer_load_dword v112, off, s[0:3], 0 offset:104
	buffer_load_dword v113, off, s[0:3], 0 offset:108
	v_mov_b32_e32 v114, 0
	buffer_store_dword v114, off, s[0:3], 0 offset:104
	buffer_store_dword v114, off, s[0:3], 0 offset:108
	s_waitcnt vmcnt(2)
	ds_write_b64 v1, v[112:113]
.LBB118_311:
	s_or_b64 exec, exec, s[4:5]
	s_waitcnt lgkmcnt(0)
	; wave barrier
	s_waitcnt lgkmcnt(0)
	buffer_load_dword v112, off, s[0:3], 0 offset:104
	buffer_load_dword v113, off, s[0:3], 0 offset:108
	;; [unrolled: 1-line block ×16, first 2 shown]
	v_mov_b32_e32 v116, 0
	ds_read_b128 v[118:121], v116 offset:560
	ds_read_b128 v[122:125], v116 offset:576
	;; [unrolled: 1-line block ×4, first 2 shown]
	v_cmp_lt_u32_e32 vcc, 12, v0
	s_waitcnt vmcnt(12) lgkmcnt(3)
	v_fma_f64 v[114:115], v[114:115], v[118:119], 0
	buffer_load_dword v119, off, s[0:3], 0 offset:172
	buffer_load_dword v118, off, s[0:3], 0 offset:168
	s_waitcnt vmcnt(12)
	v_fmac_f64_e32 v[114:115], v[134:135], v[120:121]
	s_waitcnt vmcnt(10) lgkmcnt(2)
	v_fmac_f64_e32 v[114:115], v[136:137], v[122:123]
	buffer_load_dword v123, off, s[0:3], 0 offset:180
	buffer_load_dword v122, off, s[0:3], 0 offset:176
	s_waitcnt vmcnt(10)
	v_fmac_f64_e32 v[114:115], v[138:139], v[124:125]
	s_waitcnt vmcnt(8) lgkmcnt(1)
	v_fmac_f64_e32 v[114:115], v[140:141], v[126:127]
	s_waitcnt vmcnt(6)
	v_fmac_f64_e32 v[114:115], v[142:143], v[128:129]
	s_waitcnt vmcnt(4) lgkmcnt(0)
	v_fmac_f64_e32 v[114:115], v[144:145], v[130:131]
	s_waitcnt vmcnt(2)
	v_fmac_f64_e32 v[114:115], v[118:119], v[132:133]
	ds_read_b128 v[118:121], v116 offset:624
	s_waitcnt vmcnt(0) lgkmcnt(0)
	v_fmac_f64_e32 v[114:115], v[122:123], v[118:119]
	buffer_load_dword v119, off, s[0:3], 0 offset:188
	buffer_load_dword v118, off, s[0:3], 0 offset:184
	buffer_load_dword v123, off, s[0:3], 0 offset:196
	buffer_load_dword v122, off, s[0:3], 0 offset:192
	s_waitcnt vmcnt(2)
	v_fmac_f64_e32 v[114:115], v[118:119], v[120:121]
	ds_read_b128 v[118:121], v116 offset:640
	s_waitcnt vmcnt(0) lgkmcnt(0)
	v_fmac_f64_e32 v[114:115], v[122:123], v[118:119]
	buffer_load_dword v119, off, s[0:3], 0 offset:204
	buffer_load_dword v118, off, s[0:3], 0 offset:200
	buffer_load_dword v123, off, s[0:3], 0 offset:212
	buffer_load_dword v122, off, s[0:3], 0 offset:208
	;; [unrolled: 9-line block ×15, first 2 shown]
	s_waitcnt vmcnt(2)
	v_fmac_f64_e32 v[114:115], v[118:119], v[120:121]
	ds_read_b128 v[118:121], v116 offset:864
	s_waitcnt vmcnt(0) lgkmcnt(0)
	v_fmac_f64_e32 v[114:115], v[122:123], v[118:119]
	buffer_load_dword v119, off, s[0:3], 0 offset:428
	buffer_load_dword v118, off, s[0:3], 0 offset:424
	s_waitcnt vmcnt(0)
	v_fmac_f64_e32 v[114:115], v[118:119], v[120:121]
	buffer_load_dword v119, off, s[0:3], 0 offset:436
	buffer_load_dword v118, off, s[0:3], 0 offset:432
	ds_read_b64 v[120:121], v116 offset:880
	s_waitcnt vmcnt(0) lgkmcnt(0)
	v_fmac_f64_e32 v[114:115], v[118:119], v[120:121]
	v_add_f64 v[112:113], v[112:113], -v[114:115]
	buffer_store_dword v113, off, s[0:3], 0 offset:108
	buffer_store_dword v112, off, s[0:3], 0 offset:104
	s_and_saveexec_b64 s[4:5], vcc
	s_cbranch_execz .LBB118_313
; %bb.312:
	buffer_load_dword v112, off, s[0:3], 0 offset:96
	buffer_load_dword v113, off, s[0:3], 0 offset:100
	s_waitcnt vmcnt(0)
	ds_write_b64 v1, v[112:113]
	buffer_store_dword v116, off, s[0:3], 0 offset:96
	buffer_store_dword v116, off, s[0:3], 0 offset:100
.LBB118_313:
	s_or_b64 exec, exec, s[4:5]
	s_waitcnt lgkmcnt(0)
	; wave barrier
	s_waitcnt lgkmcnt(0)
	buffer_load_dword v112, off, s[0:3], 0 offset:96
	buffer_load_dword v113, off, s[0:3], 0 offset:100
	;; [unrolled: 1-line block ×16, first 2 shown]
	ds_read2_b64 v[118:121], v116 offset0:69 offset1:70
	v_cmp_lt_u32_e32 vcc, 11, v0
	s_waitcnt vmcnt(12) lgkmcnt(0)
	v_fma_f64 v[114:115], v[114:115], v[118:119], 0
	s_waitcnt vmcnt(10)
	v_fmac_f64_e32 v[114:115], v[122:123], v[120:121]
	ds_read2_b64 v[118:121], v116 offset0:71 offset1:72
	s_waitcnt vmcnt(8) lgkmcnt(0)
	v_fmac_f64_e32 v[114:115], v[124:125], v[118:119]
	s_waitcnt vmcnt(6)
	v_fmac_f64_e32 v[114:115], v[126:127], v[120:121]
	ds_read2_b64 v[118:121], v116 offset0:73 offset1:74
	s_waitcnt vmcnt(4) lgkmcnt(0)
	v_fmac_f64_e32 v[114:115], v[128:129], v[118:119]
	;; [unrolled: 5-line block ×3, first 2 shown]
	buffer_load_dword v119, off, s[0:3], 0 offset:164
	buffer_load_dword v118, off, s[0:3], 0 offset:160
	buffer_load_dword v123, off, s[0:3], 0 offset:172
	buffer_load_dword v122, off, s[0:3], 0 offset:168
	s_waitcnt vmcnt(2)
	v_fmac_f64_e32 v[114:115], v[118:119], v[120:121]
	ds_read2_b64 v[118:121], v116 offset0:77 offset1:78
	s_waitcnt vmcnt(0) lgkmcnt(0)
	v_fmac_f64_e32 v[114:115], v[122:123], v[118:119]
	buffer_load_dword v119, off, s[0:3], 0 offset:180
	buffer_load_dword v118, off, s[0:3], 0 offset:176
	buffer_load_dword v123, off, s[0:3], 0 offset:188
	buffer_load_dword v122, off, s[0:3], 0 offset:184
	s_waitcnt vmcnt(2)
	v_fmac_f64_e32 v[114:115], v[118:119], v[120:121]
	ds_read2_b64 v[118:121], v116 offset0:79 offset1:80
	s_waitcnt vmcnt(0) lgkmcnt(0)
	v_fmac_f64_e32 v[114:115], v[122:123], v[118:119]
	buffer_load_dword v119, off, s[0:3], 0 offset:196
	buffer_load_dword v118, off, s[0:3], 0 offset:192
	buffer_load_dword v123, off, s[0:3], 0 offset:204
	buffer_load_dword v122, off, s[0:3], 0 offset:200
	s_waitcnt vmcnt(2)
	v_fmac_f64_e32 v[114:115], v[118:119], v[120:121]
	ds_read2_b64 v[118:121], v116 offset0:81 offset1:82
	s_waitcnt vmcnt(0) lgkmcnt(0)
	v_fmac_f64_e32 v[114:115], v[122:123], v[118:119]
	buffer_load_dword v119, off, s[0:3], 0 offset:212
	buffer_load_dword v118, off, s[0:3], 0 offset:208
	buffer_load_dword v123, off, s[0:3], 0 offset:220
	buffer_load_dword v122, off, s[0:3], 0 offset:216
	s_waitcnt vmcnt(2)
	v_fmac_f64_e32 v[114:115], v[118:119], v[120:121]
	ds_read2_b64 v[118:121], v116 offset0:83 offset1:84
	s_waitcnt vmcnt(0) lgkmcnt(0)
	v_fmac_f64_e32 v[114:115], v[122:123], v[118:119]
	buffer_load_dword v119, off, s[0:3], 0 offset:228
	buffer_load_dword v118, off, s[0:3], 0 offset:224
	buffer_load_dword v123, off, s[0:3], 0 offset:236
	buffer_load_dword v122, off, s[0:3], 0 offset:232
	s_waitcnt vmcnt(2)
	v_fmac_f64_e32 v[114:115], v[118:119], v[120:121]
	ds_read2_b64 v[118:121], v116 offset0:85 offset1:86
	s_waitcnt vmcnt(0) lgkmcnt(0)
	v_fmac_f64_e32 v[114:115], v[122:123], v[118:119]
	buffer_load_dword v119, off, s[0:3], 0 offset:244
	buffer_load_dword v118, off, s[0:3], 0 offset:240
	buffer_load_dword v123, off, s[0:3], 0 offset:252
	buffer_load_dword v122, off, s[0:3], 0 offset:248
	s_waitcnt vmcnt(2)
	v_fmac_f64_e32 v[114:115], v[118:119], v[120:121]
	ds_read2_b64 v[118:121], v116 offset0:87 offset1:88
	s_waitcnt vmcnt(0) lgkmcnt(0)
	v_fmac_f64_e32 v[114:115], v[122:123], v[118:119]
	buffer_load_dword v119, off, s[0:3], 0 offset:260
	buffer_load_dword v118, off, s[0:3], 0 offset:256
	buffer_load_dword v123, off, s[0:3], 0 offset:268
	buffer_load_dword v122, off, s[0:3], 0 offset:264
	s_waitcnt vmcnt(2)
	v_fmac_f64_e32 v[114:115], v[118:119], v[120:121]
	ds_read2_b64 v[118:121], v116 offset0:89 offset1:90
	s_waitcnt vmcnt(0) lgkmcnt(0)
	v_fmac_f64_e32 v[114:115], v[122:123], v[118:119]
	buffer_load_dword v119, off, s[0:3], 0 offset:276
	buffer_load_dword v118, off, s[0:3], 0 offset:272
	buffer_load_dword v123, off, s[0:3], 0 offset:284
	buffer_load_dword v122, off, s[0:3], 0 offset:280
	s_waitcnt vmcnt(2)
	v_fmac_f64_e32 v[114:115], v[118:119], v[120:121]
	ds_read2_b64 v[118:121], v116 offset0:91 offset1:92
	s_waitcnt vmcnt(0) lgkmcnt(0)
	v_fmac_f64_e32 v[114:115], v[122:123], v[118:119]
	buffer_load_dword v119, off, s[0:3], 0 offset:292
	buffer_load_dword v118, off, s[0:3], 0 offset:288
	buffer_load_dword v123, off, s[0:3], 0 offset:300
	buffer_load_dword v122, off, s[0:3], 0 offset:296
	s_waitcnt vmcnt(2)
	v_fmac_f64_e32 v[114:115], v[118:119], v[120:121]
	ds_read2_b64 v[118:121], v116 offset0:93 offset1:94
	s_waitcnt vmcnt(0) lgkmcnt(0)
	v_fmac_f64_e32 v[114:115], v[122:123], v[118:119]
	buffer_load_dword v119, off, s[0:3], 0 offset:308
	buffer_load_dword v118, off, s[0:3], 0 offset:304
	buffer_load_dword v123, off, s[0:3], 0 offset:316
	buffer_load_dword v122, off, s[0:3], 0 offset:312
	s_waitcnt vmcnt(2)
	v_fmac_f64_e32 v[114:115], v[118:119], v[120:121]
	ds_read2_b64 v[118:121], v116 offset0:95 offset1:96
	s_waitcnt vmcnt(0) lgkmcnt(0)
	v_fmac_f64_e32 v[114:115], v[122:123], v[118:119]
	buffer_load_dword v119, off, s[0:3], 0 offset:324
	buffer_load_dword v118, off, s[0:3], 0 offset:320
	buffer_load_dword v123, off, s[0:3], 0 offset:332
	buffer_load_dword v122, off, s[0:3], 0 offset:328
	s_waitcnt vmcnt(2)
	v_fmac_f64_e32 v[114:115], v[118:119], v[120:121]
	ds_read2_b64 v[118:121], v116 offset0:97 offset1:98
	s_waitcnt vmcnt(0) lgkmcnt(0)
	v_fmac_f64_e32 v[114:115], v[122:123], v[118:119]
	buffer_load_dword v119, off, s[0:3], 0 offset:340
	buffer_load_dword v118, off, s[0:3], 0 offset:336
	buffer_load_dword v123, off, s[0:3], 0 offset:348
	buffer_load_dword v122, off, s[0:3], 0 offset:344
	s_waitcnt vmcnt(2)
	v_fmac_f64_e32 v[114:115], v[118:119], v[120:121]
	ds_read2_b64 v[118:121], v116 offset0:99 offset1:100
	s_waitcnt vmcnt(0) lgkmcnt(0)
	v_fmac_f64_e32 v[114:115], v[122:123], v[118:119]
	buffer_load_dword v119, off, s[0:3], 0 offset:356
	buffer_load_dword v118, off, s[0:3], 0 offset:352
	buffer_load_dword v123, off, s[0:3], 0 offset:364
	buffer_load_dword v122, off, s[0:3], 0 offset:360
	s_waitcnt vmcnt(2)
	v_fmac_f64_e32 v[114:115], v[118:119], v[120:121]
	ds_read2_b64 v[118:121], v116 offset0:101 offset1:102
	s_waitcnt vmcnt(0) lgkmcnt(0)
	v_fmac_f64_e32 v[114:115], v[122:123], v[118:119]
	buffer_load_dword v119, off, s[0:3], 0 offset:372
	buffer_load_dword v118, off, s[0:3], 0 offset:368
	buffer_load_dword v123, off, s[0:3], 0 offset:380
	buffer_load_dword v122, off, s[0:3], 0 offset:376
	s_waitcnt vmcnt(2)
	v_fmac_f64_e32 v[114:115], v[118:119], v[120:121]
	ds_read2_b64 v[118:121], v116 offset0:103 offset1:104
	s_waitcnt vmcnt(0) lgkmcnt(0)
	v_fmac_f64_e32 v[114:115], v[122:123], v[118:119]
	buffer_load_dword v119, off, s[0:3], 0 offset:388
	buffer_load_dword v118, off, s[0:3], 0 offset:384
	buffer_load_dword v123, off, s[0:3], 0 offset:396
	buffer_load_dword v122, off, s[0:3], 0 offset:392
	s_waitcnt vmcnt(2)
	v_fmac_f64_e32 v[114:115], v[118:119], v[120:121]
	ds_read2_b64 v[118:121], v116 offset0:105 offset1:106
	s_waitcnt vmcnt(0) lgkmcnt(0)
	v_fmac_f64_e32 v[114:115], v[122:123], v[118:119]
	buffer_load_dword v119, off, s[0:3], 0 offset:404
	buffer_load_dword v118, off, s[0:3], 0 offset:400
	buffer_load_dword v123, off, s[0:3], 0 offset:412
	buffer_load_dword v122, off, s[0:3], 0 offset:408
	s_waitcnt vmcnt(2)
	v_fmac_f64_e32 v[114:115], v[118:119], v[120:121]
	ds_read2_b64 v[118:121], v116 offset0:107 offset1:108
	s_waitcnt vmcnt(0) lgkmcnt(0)
	v_fmac_f64_e32 v[114:115], v[122:123], v[118:119]
	buffer_load_dword v119, off, s[0:3], 0 offset:420
	buffer_load_dword v118, off, s[0:3], 0 offset:416
	s_waitcnt vmcnt(0)
	v_fmac_f64_e32 v[114:115], v[118:119], v[120:121]
	buffer_load_dword v121, off, s[0:3], 0 offset:428
	buffer_load_dword v120, off, s[0:3], 0 offset:424
	ds_read2_b64 v[116:119], v116 offset0:109 offset1:110
	s_waitcnt vmcnt(0) lgkmcnt(0)
	v_fmac_f64_e32 v[114:115], v[120:121], v[116:117]
	buffer_load_dword v117, off, s[0:3], 0 offset:436
	buffer_load_dword v116, off, s[0:3], 0 offset:432
	s_waitcnt vmcnt(0)
	v_fmac_f64_e32 v[114:115], v[116:117], v[118:119]
	v_add_f64 v[112:113], v[112:113], -v[114:115]
	buffer_store_dword v113, off, s[0:3], 0 offset:100
	buffer_store_dword v112, off, s[0:3], 0 offset:96
	s_and_saveexec_b64 s[4:5], vcc
	s_cbranch_execz .LBB118_315
; %bb.314:
	buffer_load_dword v112, off, s[0:3], 0 offset:88
	buffer_load_dword v113, off, s[0:3], 0 offset:92
	v_mov_b32_e32 v114, 0
	buffer_store_dword v114, off, s[0:3], 0 offset:88
	buffer_store_dword v114, off, s[0:3], 0 offset:92
	s_waitcnt vmcnt(2)
	ds_write_b64 v1, v[112:113]
.LBB118_315:
	s_or_b64 exec, exec, s[4:5]
	s_waitcnt lgkmcnt(0)
	; wave barrier
	s_waitcnt lgkmcnt(0)
	buffer_load_dword v112, off, s[0:3], 0 offset:88
	buffer_load_dword v113, off, s[0:3], 0 offset:92
	;; [unrolled: 1-line block ×16, first 2 shown]
	v_mov_b32_e32 v116, 0
	ds_read_b128 v[118:121], v116 offset:544
	ds_read_b128 v[122:125], v116 offset:560
	;; [unrolled: 1-line block ×4, first 2 shown]
	v_cmp_lt_u32_e32 vcc, 10, v0
	s_waitcnt vmcnt(12) lgkmcnt(3)
	v_fma_f64 v[114:115], v[114:115], v[118:119], 0
	buffer_load_dword v119, off, s[0:3], 0 offset:156
	buffer_load_dword v118, off, s[0:3], 0 offset:152
	s_waitcnt vmcnt(12)
	v_fmac_f64_e32 v[114:115], v[134:135], v[120:121]
	s_waitcnt vmcnt(10) lgkmcnt(2)
	v_fmac_f64_e32 v[114:115], v[136:137], v[122:123]
	buffer_load_dword v123, off, s[0:3], 0 offset:164
	buffer_load_dword v122, off, s[0:3], 0 offset:160
	s_waitcnt vmcnt(10)
	v_fmac_f64_e32 v[114:115], v[138:139], v[124:125]
	s_waitcnt vmcnt(8) lgkmcnt(1)
	v_fmac_f64_e32 v[114:115], v[140:141], v[126:127]
	s_waitcnt vmcnt(6)
	v_fmac_f64_e32 v[114:115], v[142:143], v[128:129]
	s_waitcnt vmcnt(4) lgkmcnt(0)
	v_fmac_f64_e32 v[114:115], v[144:145], v[130:131]
	s_waitcnt vmcnt(2)
	v_fmac_f64_e32 v[114:115], v[118:119], v[132:133]
	ds_read_b128 v[118:121], v116 offset:608
	s_waitcnt vmcnt(0) lgkmcnt(0)
	v_fmac_f64_e32 v[114:115], v[122:123], v[118:119]
	buffer_load_dword v119, off, s[0:3], 0 offset:172
	buffer_load_dword v118, off, s[0:3], 0 offset:168
	buffer_load_dword v123, off, s[0:3], 0 offset:180
	buffer_load_dword v122, off, s[0:3], 0 offset:176
	s_waitcnt vmcnt(2)
	v_fmac_f64_e32 v[114:115], v[118:119], v[120:121]
	ds_read_b128 v[118:121], v116 offset:624
	s_waitcnt vmcnt(0) lgkmcnt(0)
	v_fmac_f64_e32 v[114:115], v[122:123], v[118:119]
	buffer_load_dword v119, off, s[0:3], 0 offset:188
	buffer_load_dword v118, off, s[0:3], 0 offset:184
	buffer_load_dword v123, off, s[0:3], 0 offset:196
	buffer_load_dword v122, off, s[0:3], 0 offset:192
	;; [unrolled: 9-line block ×16, first 2 shown]
	s_waitcnt vmcnt(2)
	v_fmac_f64_e32 v[114:115], v[118:119], v[120:121]
	ds_read_b128 v[118:121], v116 offset:864
	s_waitcnt vmcnt(0) lgkmcnt(0)
	v_fmac_f64_e32 v[114:115], v[122:123], v[118:119]
	buffer_load_dword v119, off, s[0:3], 0 offset:428
	buffer_load_dword v118, off, s[0:3], 0 offset:424
	s_waitcnt vmcnt(0)
	v_fmac_f64_e32 v[114:115], v[118:119], v[120:121]
	buffer_load_dword v119, off, s[0:3], 0 offset:436
	buffer_load_dword v118, off, s[0:3], 0 offset:432
	ds_read_b64 v[120:121], v116 offset:880
	s_waitcnt vmcnt(0) lgkmcnt(0)
	v_fmac_f64_e32 v[114:115], v[118:119], v[120:121]
	v_add_f64 v[112:113], v[112:113], -v[114:115]
	buffer_store_dword v113, off, s[0:3], 0 offset:92
	buffer_store_dword v112, off, s[0:3], 0 offset:88
	s_and_saveexec_b64 s[4:5], vcc
	s_cbranch_execz .LBB118_317
; %bb.316:
	buffer_load_dword v112, off, s[0:3], 0 offset:80
	buffer_load_dword v113, off, s[0:3], 0 offset:84
	s_waitcnt vmcnt(0)
	ds_write_b64 v1, v[112:113]
	buffer_store_dword v116, off, s[0:3], 0 offset:80
	buffer_store_dword v116, off, s[0:3], 0 offset:84
.LBB118_317:
	s_or_b64 exec, exec, s[4:5]
	s_waitcnt lgkmcnt(0)
	; wave barrier
	s_waitcnt lgkmcnt(0)
	buffer_load_dword v112, off, s[0:3], 0 offset:80
	buffer_load_dword v113, off, s[0:3], 0 offset:84
	;; [unrolled: 1-line block ×16, first 2 shown]
	ds_read2_b64 v[118:121], v116 offset0:67 offset1:68
	v_cmp_lt_u32_e32 vcc, 9, v0
	s_waitcnt vmcnt(12) lgkmcnt(0)
	v_fma_f64 v[114:115], v[114:115], v[118:119], 0
	s_waitcnt vmcnt(10)
	v_fmac_f64_e32 v[114:115], v[122:123], v[120:121]
	ds_read2_b64 v[118:121], v116 offset0:69 offset1:70
	s_waitcnt vmcnt(8) lgkmcnt(0)
	v_fmac_f64_e32 v[114:115], v[124:125], v[118:119]
	s_waitcnt vmcnt(6)
	v_fmac_f64_e32 v[114:115], v[126:127], v[120:121]
	ds_read2_b64 v[118:121], v116 offset0:71 offset1:72
	s_waitcnt vmcnt(4) lgkmcnt(0)
	v_fmac_f64_e32 v[114:115], v[128:129], v[118:119]
	;; [unrolled: 5-line block ×3, first 2 shown]
	buffer_load_dword v119, off, s[0:3], 0 offset:148
	buffer_load_dword v118, off, s[0:3], 0 offset:144
	buffer_load_dword v123, off, s[0:3], 0 offset:156
	buffer_load_dword v122, off, s[0:3], 0 offset:152
	s_waitcnt vmcnt(2)
	v_fmac_f64_e32 v[114:115], v[118:119], v[120:121]
	ds_read2_b64 v[118:121], v116 offset0:75 offset1:76
	s_waitcnt vmcnt(0) lgkmcnt(0)
	v_fmac_f64_e32 v[114:115], v[122:123], v[118:119]
	buffer_load_dword v119, off, s[0:3], 0 offset:164
	buffer_load_dword v118, off, s[0:3], 0 offset:160
	buffer_load_dword v123, off, s[0:3], 0 offset:172
	buffer_load_dword v122, off, s[0:3], 0 offset:168
	s_waitcnt vmcnt(2)
	v_fmac_f64_e32 v[114:115], v[118:119], v[120:121]
	ds_read2_b64 v[118:121], v116 offset0:77 offset1:78
	s_waitcnt vmcnt(0) lgkmcnt(0)
	v_fmac_f64_e32 v[114:115], v[122:123], v[118:119]
	;; [unrolled: 9-line block ×17, first 2 shown]
	buffer_load_dword v119, off, s[0:3], 0 offset:420
	buffer_load_dword v118, off, s[0:3], 0 offset:416
	s_waitcnt vmcnt(0)
	v_fmac_f64_e32 v[114:115], v[118:119], v[120:121]
	buffer_load_dword v121, off, s[0:3], 0 offset:428
	buffer_load_dword v120, off, s[0:3], 0 offset:424
	ds_read2_b64 v[116:119], v116 offset0:109 offset1:110
	s_waitcnt vmcnt(0) lgkmcnt(0)
	v_fmac_f64_e32 v[114:115], v[120:121], v[116:117]
	buffer_load_dword v117, off, s[0:3], 0 offset:436
	buffer_load_dword v116, off, s[0:3], 0 offset:432
	s_waitcnt vmcnt(0)
	v_fmac_f64_e32 v[114:115], v[116:117], v[118:119]
	v_add_f64 v[112:113], v[112:113], -v[114:115]
	buffer_store_dword v113, off, s[0:3], 0 offset:84
	buffer_store_dword v112, off, s[0:3], 0 offset:80
	s_and_saveexec_b64 s[4:5], vcc
	s_cbranch_execz .LBB118_319
; %bb.318:
	buffer_load_dword v112, off, s[0:3], 0 offset:72
	buffer_load_dword v113, off, s[0:3], 0 offset:76
	v_mov_b32_e32 v114, 0
	buffer_store_dword v114, off, s[0:3], 0 offset:72
	buffer_store_dword v114, off, s[0:3], 0 offset:76
	s_waitcnt vmcnt(2)
	ds_write_b64 v1, v[112:113]
.LBB118_319:
	s_or_b64 exec, exec, s[4:5]
	s_waitcnt lgkmcnt(0)
	; wave barrier
	s_waitcnt lgkmcnt(0)
	buffer_load_dword v112, off, s[0:3], 0 offset:72
	buffer_load_dword v113, off, s[0:3], 0 offset:76
	;; [unrolled: 1-line block ×16, first 2 shown]
	v_mov_b32_e32 v116, 0
	ds_read_b128 v[118:121], v116 offset:528
	ds_read_b128 v[122:125], v116 offset:544
	;; [unrolled: 1-line block ×4, first 2 shown]
	v_cmp_lt_u32_e32 vcc, 8, v0
	s_waitcnt vmcnt(12) lgkmcnt(3)
	v_fma_f64 v[114:115], v[114:115], v[118:119], 0
	buffer_load_dword v119, off, s[0:3], 0 offset:140
	buffer_load_dword v118, off, s[0:3], 0 offset:136
	s_waitcnt vmcnt(12)
	v_fmac_f64_e32 v[114:115], v[134:135], v[120:121]
	s_waitcnt vmcnt(10) lgkmcnt(2)
	v_fmac_f64_e32 v[114:115], v[136:137], v[122:123]
	buffer_load_dword v123, off, s[0:3], 0 offset:148
	buffer_load_dword v122, off, s[0:3], 0 offset:144
	s_waitcnt vmcnt(10)
	v_fmac_f64_e32 v[114:115], v[138:139], v[124:125]
	s_waitcnt vmcnt(8) lgkmcnt(1)
	v_fmac_f64_e32 v[114:115], v[140:141], v[126:127]
	s_waitcnt vmcnt(6)
	v_fmac_f64_e32 v[114:115], v[142:143], v[128:129]
	s_waitcnt vmcnt(4) lgkmcnt(0)
	v_fmac_f64_e32 v[114:115], v[144:145], v[130:131]
	s_waitcnt vmcnt(2)
	v_fmac_f64_e32 v[114:115], v[118:119], v[132:133]
	ds_read_b128 v[118:121], v116 offset:592
	s_waitcnt vmcnt(0) lgkmcnt(0)
	v_fmac_f64_e32 v[114:115], v[122:123], v[118:119]
	buffer_load_dword v119, off, s[0:3], 0 offset:156
	buffer_load_dword v118, off, s[0:3], 0 offset:152
	buffer_load_dword v123, off, s[0:3], 0 offset:164
	buffer_load_dword v122, off, s[0:3], 0 offset:160
	s_waitcnt vmcnt(2)
	v_fmac_f64_e32 v[114:115], v[118:119], v[120:121]
	ds_read_b128 v[118:121], v116 offset:608
	s_waitcnt vmcnt(0) lgkmcnt(0)
	v_fmac_f64_e32 v[114:115], v[122:123], v[118:119]
	buffer_load_dword v119, off, s[0:3], 0 offset:172
	buffer_load_dword v118, off, s[0:3], 0 offset:168
	buffer_load_dword v123, off, s[0:3], 0 offset:180
	buffer_load_dword v122, off, s[0:3], 0 offset:176
	;; [unrolled: 9-line block ×17, first 2 shown]
	s_waitcnt vmcnt(2)
	v_fmac_f64_e32 v[114:115], v[118:119], v[120:121]
	ds_read_b128 v[118:121], v116 offset:864
	s_waitcnt vmcnt(0) lgkmcnt(0)
	v_fmac_f64_e32 v[114:115], v[122:123], v[118:119]
	buffer_load_dword v119, off, s[0:3], 0 offset:428
	buffer_load_dword v118, off, s[0:3], 0 offset:424
	s_waitcnt vmcnt(0)
	v_fmac_f64_e32 v[114:115], v[118:119], v[120:121]
	buffer_load_dword v119, off, s[0:3], 0 offset:436
	buffer_load_dword v118, off, s[0:3], 0 offset:432
	ds_read_b64 v[120:121], v116 offset:880
	s_waitcnt vmcnt(0) lgkmcnt(0)
	v_fmac_f64_e32 v[114:115], v[118:119], v[120:121]
	v_add_f64 v[112:113], v[112:113], -v[114:115]
	buffer_store_dword v113, off, s[0:3], 0 offset:76
	buffer_store_dword v112, off, s[0:3], 0 offset:72
	s_and_saveexec_b64 s[4:5], vcc
	s_cbranch_execz .LBB118_321
; %bb.320:
	buffer_load_dword v112, off, s[0:3], 0 offset:64
	buffer_load_dword v113, off, s[0:3], 0 offset:68
	s_waitcnt vmcnt(0)
	ds_write_b64 v1, v[112:113]
	buffer_store_dword v116, off, s[0:3], 0 offset:64
	buffer_store_dword v116, off, s[0:3], 0 offset:68
.LBB118_321:
	s_or_b64 exec, exec, s[4:5]
	s_waitcnt lgkmcnt(0)
	; wave barrier
	s_waitcnt lgkmcnt(0)
	buffer_load_dword v112, off, s[0:3], 0 offset:64
	buffer_load_dword v113, off, s[0:3], 0 offset:68
	;; [unrolled: 1-line block ×16, first 2 shown]
	ds_read2_b64 v[118:121], v116 offset0:65 offset1:66
	v_cmp_lt_u32_e32 vcc, 7, v0
	s_waitcnt vmcnt(12) lgkmcnt(0)
	v_fma_f64 v[114:115], v[114:115], v[118:119], 0
	s_waitcnt vmcnt(10)
	v_fmac_f64_e32 v[114:115], v[122:123], v[120:121]
	ds_read2_b64 v[118:121], v116 offset0:67 offset1:68
	s_waitcnt vmcnt(8) lgkmcnt(0)
	v_fmac_f64_e32 v[114:115], v[124:125], v[118:119]
	s_waitcnt vmcnt(6)
	v_fmac_f64_e32 v[114:115], v[126:127], v[120:121]
	ds_read2_b64 v[118:121], v116 offset0:69 offset1:70
	s_waitcnt vmcnt(4) lgkmcnt(0)
	v_fmac_f64_e32 v[114:115], v[128:129], v[118:119]
	;; [unrolled: 5-line block ×3, first 2 shown]
	buffer_load_dword v119, off, s[0:3], 0 offset:132
	buffer_load_dword v118, off, s[0:3], 0 offset:128
	buffer_load_dword v123, off, s[0:3], 0 offset:140
	buffer_load_dword v122, off, s[0:3], 0 offset:136
	s_waitcnt vmcnt(2)
	v_fmac_f64_e32 v[114:115], v[118:119], v[120:121]
	ds_read2_b64 v[118:121], v116 offset0:73 offset1:74
	s_waitcnt vmcnt(0) lgkmcnt(0)
	v_fmac_f64_e32 v[114:115], v[122:123], v[118:119]
	buffer_load_dword v119, off, s[0:3], 0 offset:148
	buffer_load_dword v118, off, s[0:3], 0 offset:144
	buffer_load_dword v123, off, s[0:3], 0 offset:156
	buffer_load_dword v122, off, s[0:3], 0 offset:152
	s_waitcnt vmcnt(2)
	v_fmac_f64_e32 v[114:115], v[118:119], v[120:121]
	ds_read2_b64 v[118:121], v116 offset0:75 offset1:76
	s_waitcnt vmcnt(0) lgkmcnt(0)
	v_fmac_f64_e32 v[114:115], v[122:123], v[118:119]
	;; [unrolled: 9-line block ×18, first 2 shown]
	buffer_load_dword v119, off, s[0:3], 0 offset:420
	buffer_load_dword v118, off, s[0:3], 0 offset:416
	s_waitcnt vmcnt(0)
	v_fmac_f64_e32 v[114:115], v[118:119], v[120:121]
	buffer_load_dword v121, off, s[0:3], 0 offset:428
	buffer_load_dword v120, off, s[0:3], 0 offset:424
	ds_read2_b64 v[116:119], v116 offset0:109 offset1:110
	s_waitcnt vmcnt(0) lgkmcnt(0)
	v_fmac_f64_e32 v[114:115], v[120:121], v[116:117]
	buffer_load_dword v117, off, s[0:3], 0 offset:436
	buffer_load_dword v116, off, s[0:3], 0 offset:432
	s_waitcnt vmcnt(0)
	v_fmac_f64_e32 v[114:115], v[116:117], v[118:119]
	v_add_f64 v[112:113], v[112:113], -v[114:115]
	buffer_store_dword v113, off, s[0:3], 0 offset:68
	buffer_store_dword v112, off, s[0:3], 0 offset:64
	s_and_saveexec_b64 s[4:5], vcc
	s_cbranch_execz .LBB118_323
; %bb.322:
	buffer_load_dword v112, off, s[0:3], 0 offset:56
	buffer_load_dword v113, off, s[0:3], 0 offset:60
	v_mov_b32_e32 v114, 0
	buffer_store_dword v114, off, s[0:3], 0 offset:56
	buffer_store_dword v114, off, s[0:3], 0 offset:60
	s_waitcnt vmcnt(2)
	ds_write_b64 v1, v[112:113]
.LBB118_323:
	s_or_b64 exec, exec, s[4:5]
	s_waitcnt lgkmcnt(0)
	; wave barrier
	s_waitcnt lgkmcnt(0)
	buffer_load_dword v112, off, s[0:3], 0 offset:56
	buffer_load_dword v113, off, s[0:3], 0 offset:60
	buffer_load_dword v114, off, s[0:3], 0 offset:64
	buffer_load_dword v115, off, s[0:3], 0 offset:68
	buffer_load_dword v134, off, s[0:3], 0 offset:72
	buffer_load_dword v135, off, s[0:3], 0 offset:76
	buffer_load_dword v136, off, s[0:3], 0 offset:80
	buffer_load_dword v137, off, s[0:3], 0 offset:84
	buffer_load_dword v138, off, s[0:3], 0 offset:88
	buffer_load_dword v139, off, s[0:3], 0 offset:92
	buffer_load_dword v140, off, s[0:3], 0 offset:96
	buffer_load_dword v141, off, s[0:3], 0 offset:100
	buffer_load_dword v142, off, s[0:3], 0 offset:104
	buffer_load_dword v143, off, s[0:3], 0 offset:108
	buffer_load_dword v144, off, s[0:3], 0 offset:112
	buffer_load_dword v145, off, s[0:3], 0 offset:116
	v_mov_b32_e32 v116, 0
	ds_read_b128 v[118:121], v116 offset:512
	ds_read_b128 v[122:125], v116 offset:528
	;; [unrolled: 1-line block ×4, first 2 shown]
	v_cmp_lt_u32_e32 vcc, 6, v0
	s_waitcnt vmcnt(12) lgkmcnt(3)
	v_fma_f64 v[114:115], v[114:115], v[118:119], 0
	buffer_load_dword v119, off, s[0:3], 0 offset:124
	buffer_load_dword v118, off, s[0:3], 0 offset:120
	s_waitcnt vmcnt(12)
	v_fmac_f64_e32 v[114:115], v[134:135], v[120:121]
	s_waitcnt vmcnt(10) lgkmcnt(2)
	v_fmac_f64_e32 v[114:115], v[136:137], v[122:123]
	buffer_load_dword v123, off, s[0:3], 0 offset:132
	buffer_load_dword v122, off, s[0:3], 0 offset:128
	s_waitcnt vmcnt(10)
	v_fmac_f64_e32 v[114:115], v[138:139], v[124:125]
	s_waitcnt vmcnt(8) lgkmcnt(1)
	v_fmac_f64_e32 v[114:115], v[140:141], v[126:127]
	s_waitcnt vmcnt(6)
	v_fmac_f64_e32 v[114:115], v[142:143], v[128:129]
	s_waitcnt vmcnt(4) lgkmcnt(0)
	v_fmac_f64_e32 v[114:115], v[144:145], v[130:131]
	s_waitcnt vmcnt(2)
	v_fmac_f64_e32 v[114:115], v[118:119], v[132:133]
	ds_read_b128 v[118:121], v116 offset:576
	s_waitcnt vmcnt(0) lgkmcnt(0)
	v_fmac_f64_e32 v[114:115], v[122:123], v[118:119]
	buffer_load_dword v119, off, s[0:3], 0 offset:140
	buffer_load_dword v118, off, s[0:3], 0 offset:136
	buffer_load_dword v123, off, s[0:3], 0 offset:148
	buffer_load_dword v122, off, s[0:3], 0 offset:144
	s_waitcnt vmcnt(2)
	v_fmac_f64_e32 v[114:115], v[118:119], v[120:121]
	ds_read_b128 v[118:121], v116 offset:592
	s_waitcnt vmcnt(0) lgkmcnt(0)
	v_fmac_f64_e32 v[114:115], v[122:123], v[118:119]
	buffer_load_dword v119, off, s[0:3], 0 offset:156
	buffer_load_dword v118, off, s[0:3], 0 offset:152
	buffer_load_dword v123, off, s[0:3], 0 offset:164
	buffer_load_dword v122, off, s[0:3], 0 offset:160
	;; [unrolled: 9-line block ×18, first 2 shown]
	s_waitcnt vmcnt(2)
	v_fmac_f64_e32 v[114:115], v[118:119], v[120:121]
	ds_read_b128 v[118:121], v116 offset:864
	s_waitcnt vmcnt(0) lgkmcnt(0)
	v_fmac_f64_e32 v[114:115], v[122:123], v[118:119]
	buffer_load_dword v119, off, s[0:3], 0 offset:428
	buffer_load_dword v118, off, s[0:3], 0 offset:424
	s_waitcnt vmcnt(0)
	v_fmac_f64_e32 v[114:115], v[118:119], v[120:121]
	buffer_load_dword v119, off, s[0:3], 0 offset:436
	buffer_load_dword v118, off, s[0:3], 0 offset:432
	ds_read_b64 v[120:121], v116 offset:880
	s_waitcnt vmcnt(0) lgkmcnt(0)
	v_fmac_f64_e32 v[114:115], v[118:119], v[120:121]
	v_add_f64 v[112:113], v[112:113], -v[114:115]
	buffer_store_dword v113, off, s[0:3], 0 offset:60
	buffer_store_dword v112, off, s[0:3], 0 offset:56
	s_and_saveexec_b64 s[4:5], vcc
	s_cbranch_execz .LBB118_325
; %bb.324:
	buffer_load_dword v112, off, s[0:3], 0 offset:48
	buffer_load_dword v113, off, s[0:3], 0 offset:52
	s_waitcnt vmcnt(0)
	ds_write_b64 v1, v[112:113]
	buffer_store_dword v116, off, s[0:3], 0 offset:48
	buffer_store_dword v116, off, s[0:3], 0 offset:52
.LBB118_325:
	s_or_b64 exec, exec, s[4:5]
	s_waitcnt lgkmcnt(0)
	; wave barrier
	s_waitcnt lgkmcnt(0)
	buffer_load_dword v112, off, s[0:3], 0 offset:48
	buffer_load_dword v113, off, s[0:3], 0 offset:52
	;; [unrolled: 1-line block ×16, first 2 shown]
	ds_read2_b64 v[118:121], v116 offset0:63 offset1:64
	v_cmp_lt_u32_e32 vcc, 5, v0
	s_waitcnt vmcnt(12) lgkmcnt(0)
	v_fma_f64 v[114:115], v[114:115], v[118:119], 0
	s_waitcnt vmcnt(10)
	v_fmac_f64_e32 v[114:115], v[122:123], v[120:121]
	ds_read2_b64 v[118:121], v116 offset0:65 offset1:66
	s_waitcnt vmcnt(8) lgkmcnt(0)
	v_fmac_f64_e32 v[114:115], v[124:125], v[118:119]
	s_waitcnt vmcnt(6)
	v_fmac_f64_e32 v[114:115], v[126:127], v[120:121]
	ds_read2_b64 v[118:121], v116 offset0:67 offset1:68
	s_waitcnt vmcnt(4) lgkmcnt(0)
	v_fmac_f64_e32 v[114:115], v[128:129], v[118:119]
	;; [unrolled: 5-line block ×3, first 2 shown]
	buffer_load_dword v119, off, s[0:3], 0 offset:116
	buffer_load_dword v118, off, s[0:3], 0 offset:112
	buffer_load_dword v123, off, s[0:3], 0 offset:124
	buffer_load_dword v122, off, s[0:3], 0 offset:120
	s_waitcnt vmcnt(2)
	v_fmac_f64_e32 v[114:115], v[118:119], v[120:121]
	ds_read2_b64 v[118:121], v116 offset0:71 offset1:72
	s_waitcnt vmcnt(0) lgkmcnt(0)
	v_fmac_f64_e32 v[114:115], v[122:123], v[118:119]
	buffer_load_dword v119, off, s[0:3], 0 offset:132
	buffer_load_dword v118, off, s[0:3], 0 offset:128
	buffer_load_dword v123, off, s[0:3], 0 offset:140
	buffer_load_dword v122, off, s[0:3], 0 offset:136
	s_waitcnt vmcnt(2)
	v_fmac_f64_e32 v[114:115], v[118:119], v[120:121]
	ds_read2_b64 v[118:121], v116 offset0:73 offset1:74
	s_waitcnt vmcnt(0) lgkmcnt(0)
	v_fmac_f64_e32 v[114:115], v[122:123], v[118:119]
	;; [unrolled: 9-line block ×19, first 2 shown]
	buffer_load_dword v119, off, s[0:3], 0 offset:420
	buffer_load_dword v118, off, s[0:3], 0 offset:416
	s_waitcnt vmcnt(0)
	v_fmac_f64_e32 v[114:115], v[118:119], v[120:121]
	buffer_load_dword v121, off, s[0:3], 0 offset:428
	buffer_load_dword v120, off, s[0:3], 0 offset:424
	ds_read2_b64 v[116:119], v116 offset0:109 offset1:110
	s_waitcnt vmcnt(0) lgkmcnt(0)
	v_fmac_f64_e32 v[114:115], v[120:121], v[116:117]
	buffer_load_dword v117, off, s[0:3], 0 offset:436
	buffer_load_dword v116, off, s[0:3], 0 offset:432
	s_waitcnt vmcnt(0)
	v_fmac_f64_e32 v[114:115], v[116:117], v[118:119]
	v_add_f64 v[112:113], v[112:113], -v[114:115]
	buffer_store_dword v113, off, s[0:3], 0 offset:52
	buffer_store_dword v112, off, s[0:3], 0 offset:48
	s_and_saveexec_b64 s[4:5], vcc
	s_cbranch_execz .LBB118_327
; %bb.326:
	buffer_load_dword v112, off, s[0:3], 0 offset:40
	buffer_load_dword v113, off, s[0:3], 0 offset:44
	v_mov_b32_e32 v114, 0
	buffer_store_dword v114, off, s[0:3], 0 offset:40
	buffer_store_dword v114, off, s[0:3], 0 offset:44
	s_waitcnt vmcnt(2)
	ds_write_b64 v1, v[112:113]
.LBB118_327:
	s_or_b64 exec, exec, s[4:5]
	s_waitcnt lgkmcnt(0)
	; wave barrier
	s_waitcnt lgkmcnt(0)
	buffer_load_dword v112, off, s[0:3], 0 offset:40
	buffer_load_dword v113, off, s[0:3], 0 offset:44
	;; [unrolled: 1-line block ×16, first 2 shown]
	v_mov_b32_e32 v116, 0
	ds_read_b128 v[118:121], v116 offset:496
	v_cmp_lt_u32_e32 vcc, 4, v0
	s_waitcnt vmcnt(12) lgkmcnt(0)
	v_fma_f64 v[114:115], v[114:115], v[118:119], 0
	s_waitcnt vmcnt(10)
	v_fmac_f64_e32 v[114:115], v[122:123], v[120:121]
	ds_read_b128 v[118:121], v116 offset:512
	s_waitcnt vmcnt(8) lgkmcnt(0)
	v_fmac_f64_e32 v[114:115], v[124:125], v[118:119]
	s_waitcnt vmcnt(6)
	v_fmac_f64_e32 v[114:115], v[126:127], v[120:121]
	ds_read_b128 v[118:121], v116 offset:528
	s_waitcnt vmcnt(4) lgkmcnt(0)
	v_fmac_f64_e32 v[114:115], v[128:129], v[118:119]
	;; [unrolled: 5-line block ×3, first 2 shown]
	buffer_load_dword v119, off, s[0:3], 0 offset:108
	buffer_load_dword v118, off, s[0:3], 0 offset:104
	buffer_load_dword v123, off, s[0:3], 0 offset:116
	buffer_load_dword v122, off, s[0:3], 0 offset:112
	s_waitcnt vmcnt(2)
	v_fmac_f64_e32 v[114:115], v[118:119], v[120:121]
	ds_read_b128 v[118:121], v116 offset:560
	s_waitcnt vmcnt(0) lgkmcnt(0)
	v_fmac_f64_e32 v[114:115], v[122:123], v[118:119]
	buffer_load_dword v119, off, s[0:3], 0 offset:124
	buffer_load_dword v118, off, s[0:3], 0 offset:120
	buffer_load_dword v123, off, s[0:3], 0 offset:132
	buffer_load_dword v122, off, s[0:3], 0 offset:128
	s_waitcnt vmcnt(2)
	v_fmac_f64_e32 v[114:115], v[118:119], v[120:121]
	ds_read_b128 v[118:121], v116 offset:576
	s_waitcnt vmcnt(0) lgkmcnt(0)
	v_fmac_f64_e32 v[114:115], v[122:123], v[118:119]
	;; [unrolled: 9-line block ×20, first 2 shown]
	buffer_load_dword v119, off, s[0:3], 0 offset:428
	buffer_load_dword v118, off, s[0:3], 0 offset:424
	s_waitcnt vmcnt(0)
	v_fmac_f64_e32 v[114:115], v[118:119], v[120:121]
	buffer_load_dword v119, off, s[0:3], 0 offset:436
	buffer_load_dword v118, off, s[0:3], 0 offset:432
	ds_read_b64 v[120:121], v116 offset:880
	s_waitcnt vmcnt(0) lgkmcnt(0)
	v_fmac_f64_e32 v[114:115], v[118:119], v[120:121]
	v_add_f64 v[112:113], v[112:113], -v[114:115]
	buffer_store_dword v113, off, s[0:3], 0 offset:44
	buffer_store_dword v112, off, s[0:3], 0 offset:40
	s_and_saveexec_b64 s[4:5], vcc
	s_cbranch_execz .LBB118_329
; %bb.328:
	buffer_load_dword v112, off, s[0:3], 0 offset:32
	buffer_load_dword v113, off, s[0:3], 0 offset:36
	s_waitcnt vmcnt(0)
	ds_write_b64 v1, v[112:113]
	buffer_store_dword v116, off, s[0:3], 0 offset:32
	buffer_store_dword v116, off, s[0:3], 0 offset:36
.LBB118_329:
	s_or_b64 exec, exec, s[4:5]
	s_waitcnt lgkmcnt(0)
	; wave barrier
	s_waitcnt lgkmcnt(0)
	buffer_load_dword v112, off, s[0:3], 0 offset:32
	buffer_load_dword v113, off, s[0:3], 0 offset:36
	;; [unrolled: 1-line block ×16, first 2 shown]
	ds_read2_b64 v[118:121], v116 offset0:61 offset1:62
	v_cmp_lt_u32_e32 vcc, 3, v0
	s_waitcnt vmcnt(12) lgkmcnt(0)
	v_fma_f64 v[114:115], v[114:115], v[118:119], 0
	s_waitcnt vmcnt(10)
	v_fmac_f64_e32 v[114:115], v[122:123], v[120:121]
	ds_read2_b64 v[118:121], v116 offset0:63 offset1:64
	s_waitcnt vmcnt(8) lgkmcnt(0)
	v_fmac_f64_e32 v[114:115], v[124:125], v[118:119]
	s_waitcnt vmcnt(6)
	v_fmac_f64_e32 v[114:115], v[126:127], v[120:121]
	ds_read2_b64 v[118:121], v116 offset0:65 offset1:66
	s_waitcnt vmcnt(4) lgkmcnt(0)
	v_fmac_f64_e32 v[114:115], v[128:129], v[118:119]
	s_waitcnt vmcnt(2)
	v_fmac_f64_e32 v[114:115], v[130:131], v[120:121]
	ds_read2_b64 v[118:121], v116 offset0:67 offset1:68
	s_waitcnt vmcnt(0) lgkmcnt(0)
	v_fmac_f64_e32 v[114:115], v[132:133], v[118:119]
	buffer_load_dword v119, off, s[0:3], 0 offset:100
	buffer_load_dword v118, off, s[0:3], 0 offset:96
	buffer_load_dword v123, off, s[0:3], 0 offset:108
	buffer_load_dword v122, off, s[0:3], 0 offset:104
	s_waitcnt vmcnt(2)
	v_fmac_f64_e32 v[114:115], v[118:119], v[120:121]
	ds_read2_b64 v[118:121], v116 offset0:69 offset1:70
	s_waitcnt vmcnt(0) lgkmcnt(0)
	v_fmac_f64_e32 v[114:115], v[122:123], v[118:119]
	buffer_load_dword v119, off, s[0:3], 0 offset:116
	buffer_load_dword v118, off, s[0:3], 0 offset:112
	buffer_load_dword v123, off, s[0:3], 0 offset:124
	buffer_load_dword v122, off, s[0:3], 0 offset:120
	s_waitcnt vmcnt(2)
	v_fmac_f64_e32 v[114:115], v[118:119], v[120:121]
	ds_read2_b64 v[118:121], v116 offset0:71 offset1:72
	s_waitcnt vmcnt(0) lgkmcnt(0)
	v_fmac_f64_e32 v[114:115], v[122:123], v[118:119]
	;; [unrolled: 9-line block ×20, first 2 shown]
	buffer_load_dword v119, off, s[0:3], 0 offset:420
	buffer_load_dword v118, off, s[0:3], 0 offset:416
	s_waitcnt vmcnt(0)
	v_fmac_f64_e32 v[114:115], v[118:119], v[120:121]
	buffer_load_dword v121, off, s[0:3], 0 offset:428
	buffer_load_dword v120, off, s[0:3], 0 offset:424
	ds_read2_b64 v[116:119], v116 offset0:109 offset1:110
	s_waitcnt vmcnt(0) lgkmcnt(0)
	v_fmac_f64_e32 v[114:115], v[120:121], v[116:117]
	buffer_load_dword v117, off, s[0:3], 0 offset:436
	buffer_load_dword v116, off, s[0:3], 0 offset:432
	s_waitcnt vmcnt(0)
	v_fmac_f64_e32 v[114:115], v[116:117], v[118:119]
	v_add_f64 v[112:113], v[112:113], -v[114:115]
	buffer_store_dword v113, off, s[0:3], 0 offset:36
	buffer_store_dword v112, off, s[0:3], 0 offset:32
	s_and_saveexec_b64 s[4:5], vcc
	s_cbranch_execz .LBB118_331
; %bb.330:
	buffer_load_dword v112, off, s[0:3], 0 offset:24
	buffer_load_dword v113, off, s[0:3], 0 offset:28
	v_mov_b32_e32 v114, 0
	buffer_store_dword v114, off, s[0:3], 0 offset:24
	buffer_store_dword v114, off, s[0:3], 0 offset:28
	s_waitcnt vmcnt(2)
	ds_write_b64 v1, v[112:113]
.LBB118_331:
	s_or_b64 exec, exec, s[4:5]
	s_waitcnt lgkmcnt(0)
	; wave barrier
	s_waitcnt lgkmcnt(0)
	buffer_load_dword v112, off, s[0:3], 0 offset:24
	buffer_load_dword v113, off, s[0:3], 0 offset:28
	;; [unrolled: 1-line block ×16, first 2 shown]
	v_mov_b32_e32 v116, 0
	ds_read_b128 v[118:121], v116 offset:480
	v_cmp_lt_u32_e32 vcc, 2, v0
	s_waitcnt vmcnt(12) lgkmcnt(0)
	v_fma_f64 v[114:115], v[114:115], v[118:119], 0
	s_waitcnt vmcnt(10)
	v_fmac_f64_e32 v[114:115], v[122:123], v[120:121]
	ds_read_b128 v[118:121], v116 offset:496
	s_waitcnt vmcnt(8) lgkmcnt(0)
	v_fmac_f64_e32 v[114:115], v[124:125], v[118:119]
	s_waitcnt vmcnt(6)
	v_fmac_f64_e32 v[114:115], v[126:127], v[120:121]
	ds_read_b128 v[118:121], v116 offset:512
	s_waitcnt vmcnt(4) lgkmcnt(0)
	v_fmac_f64_e32 v[114:115], v[128:129], v[118:119]
	;; [unrolled: 5-line block ×3, first 2 shown]
	buffer_load_dword v119, off, s[0:3], 0 offset:92
	buffer_load_dword v118, off, s[0:3], 0 offset:88
	buffer_load_dword v123, off, s[0:3], 0 offset:100
	buffer_load_dword v122, off, s[0:3], 0 offset:96
	s_waitcnt vmcnt(2)
	v_fmac_f64_e32 v[114:115], v[118:119], v[120:121]
	ds_read_b128 v[118:121], v116 offset:544
	s_waitcnt vmcnt(0) lgkmcnt(0)
	v_fmac_f64_e32 v[114:115], v[122:123], v[118:119]
	buffer_load_dword v119, off, s[0:3], 0 offset:108
	buffer_load_dword v118, off, s[0:3], 0 offset:104
	buffer_load_dword v123, off, s[0:3], 0 offset:116
	buffer_load_dword v122, off, s[0:3], 0 offset:112
	s_waitcnt vmcnt(2)
	v_fmac_f64_e32 v[114:115], v[118:119], v[120:121]
	ds_read_b128 v[118:121], v116 offset:560
	s_waitcnt vmcnt(0) lgkmcnt(0)
	v_fmac_f64_e32 v[114:115], v[122:123], v[118:119]
	;; [unrolled: 9-line block ×21, first 2 shown]
	buffer_load_dword v119, off, s[0:3], 0 offset:428
	buffer_load_dword v118, off, s[0:3], 0 offset:424
	s_waitcnt vmcnt(0)
	v_fmac_f64_e32 v[114:115], v[118:119], v[120:121]
	buffer_load_dword v119, off, s[0:3], 0 offset:436
	buffer_load_dword v118, off, s[0:3], 0 offset:432
	ds_read_b64 v[120:121], v116 offset:880
	s_waitcnt vmcnt(0) lgkmcnt(0)
	v_fmac_f64_e32 v[114:115], v[118:119], v[120:121]
	v_add_f64 v[112:113], v[112:113], -v[114:115]
	buffer_store_dword v113, off, s[0:3], 0 offset:28
	buffer_store_dword v112, off, s[0:3], 0 offset:24
	s_and_saveexec_b64 s[4:5], vcc
	s_cbranch_execz .LBB118_333
; %bb.332:
	buffer_load_dword v112, off, s[0:3], 0 offset:16
	buffer_load_dword v113, off, s[0:3], 0 offset:20
	s_waitcnt vmcnt(0)
	ds_write_b64 v1, v[112:113]
	buffer_store_dword v116, off, s[0:3], 0 offset:16
	buffer_store_dword v116, off, s[0:3], 0 offset:20
.LBB118_333:
	s_or_b64 exec, exec, s[4:5]
	s_waitcnt lgkmcnt(0)
	; wave barrier
	s_waitcnt lgkmcnt(0)
	buffer_load_dword v112, off, s[0:3], 0 offset:16
	buffer_load_dword v113, off, s[0:3], 0 offset:20
	;; [unrolled: 1-line block ×16, first 2 shown]
	ds_read2_b64 v[118:121], v116 offset0:59 offset1:60
	v_cmp_lt_u32_e32 vcc, 1, v0
	s_waitcnt vmcnt(12) lgkmcnt(0)
	v_fma_f64 v[114:115], v[114:115], v[118:119], 0
	s_waitcnt vmcnt(10)
	v_fmac_f64_e32 v[114:115], v[122:123], v[120:121]
	ds_read2_b64 v[118:121], v116 offset0:61 offset1:62
	s_waitcnt vmcnt(8) lgkmcnt(0)
	v_fmac_f64_e32 v[114:115], v[124:125], v[118:119]
	s_waitcnt vmcnt(6)
	v_fmac_f64_e32 v[114:115], v[126:127], v[120:121]
	ds_read2_b64 v[118:121], v116 offset0:63 offset1:64
	s_waitcnt vmcnt(4) lgkmcnt(0)
	v_fmac_f64_e32 v[114:115], v[128:129], v[118:119]
	;; [unrolled: 5-line block ×3, first 2 shown]
	buffer_load_dword v119, off, s[0:3], 0 offset:84
	buffer_load_dword v118, off, s[0:3], 0 offset:80
	buffer_load_dword v123, off, s[0:3], 0 offset:92
	buffer_load_dword v122, off, s[0:3], 0 offset:88
	s_waitcnt vmcnt(2)
	v_fmac_f64_e32 v[114:115], v[118:119], v[120:121]
	ds_read2_b64 v[118:121], v116 offset0:67 offset1:68
	s_waitcnt vmcnt(0) lgkmcnt(0)
	v_fmac_f64_e32 v[114:115], v[122:123], v[118:119]
	buffer_load_dword v119, off, s[0:3], 0 offset:100
	buffer_load_dword v118, off, s[0:3], 0 offset:96
	buffer_load_dword v123, off, s[0:3], 0 offset:108
	buffer_load_dword v122, off, s[0:3], 0 offset:104
	s_waitcnt vmcnt(2)
	v_fmac_f64_e32 v[114:115], v[118:119], v[120:121]
	ds_read2_b64 v[118:121], v116 offset0:69 offset1:70
	s_waitcnt vmcnt(0) lgkmcnt(0)
	v_fmac_f64_e32 v[114:115], v[122:123], v[118:119]
	;; [unrolled: 9-line block ×21, first 2 shown]
	buffer_load_dword v119, off, s[0:3], 0 offset:420
	buffer_load_dword v118, off, s[0:3], 0 offset:416
	s_waitcnt vmcnt(0)
	v_fmac_f64_e32 v[114:115], v[118:119], v[120:121]
	buffer_load_dword v121, off, s[0:3], 0 offset:428
	buffer_load_dword v120, off, s[0:3], 0 offset:424
	ds_read2_b64 v[116:119], v116 offset0:109 offset1:110
	s_waitcnt vmcnt(0) lgkmcnt(0)
	v_fmac_f64_e32 v[114:115], v[120:121], v[116:117]
	buffer_load_dword v117, off, s[0:3], 0 offset:436
	buffer_load_dword v116, off, s[0:3], 0 offset:432
	s_waitcnt vmcnt(0)
	v_fmac_f64_e32 v[114:115], v[116:117], v[118:119]
	v_add_f64 v[112:113], v[112:113], -v[114:115]
	buffer_store_dword v113, off, s[0:3], 0 offset:20
	buffer_store_dword v112, off, s[0:3], 0 offset:16
	s_and_saveexec_b64 s[4:5], vcc
	s_cbranch_execz .LBB118_335
; %bb.334:
	buffer_load_dword v112, off, s[0:3], 0 offset:8
	buffer_load_dword v113, off, s[0:3], 0 offset:12
	v_mov_b32_e32 v114, 0
	buffer_store_dword v114, off, s[0:3], 0 offset:8
	buffer_store_dword v114, off, s[0:3], 0 offset:12
	s_waitcnt vmcnt(2)
	ds_write_b64 v1, v[112:113]
.LBB118_335:
	s_or_b64 exec, exec, s[4:5]
	s_waitcnt lgkmcnt(0)
	; wave barrier
	s_waitcnt lgkmcnt(0)
	buffer_load_dword v112, off, s[0:3], 0 offset:8
	buffer_load_dword v113, off, s[0:3], 0 offset:12
	buffer_load_dword v114, off, s[0:3], 0 offset:16
	buffer_load_dword v115, off, s[0:3], 0 offset:20
	buffer_load_dword v122, off, s[0:3], 0 offset:24
	buffer_load_dword v123, off, s[0:3], 0 offset:28
	buffer_load_dword v124, off, s[0:3], 0 offset:32
	buffer_load_dword v125, off, s[0:3], 0 offset:36
	buffer_load_dword v126, off, s[0:3], 0 offset:40
	buffer_load_dword v127, off, s[0:3], 0 offset:44
	buffer_load_dword v128, off, s[0:3], 0 offset:48
	buffer_load_dword v129, off, s[0:3], 0 offset:52
	buffer_load_dword v130, off, s[0:3], 0 offset:56
	buffer_load_dword v131, off, s[0:3], 0 offset:60
	buffer_load_dword v132, off, s[0:3], 0 offset:64
	buffer_load_dword v133, off, s[0:3], 0 offset:68
	v_mov_b32_e32 v116, 0
	ds_read_b128 v[118:121], v116 offset:464
	v_cmp_ne_u32_e32 vcc, 0, v0
	s_waitcnt vmcnt(12) lgkmcnt(0)
	v_fma_f64 v[114:115], v[114:115], v[118:119], 0
	s_waitcnt vmcnt(10)
	v_fmac_f64_e32 v[114:115], v[122:123], v[120:121]
	ds_read_b128 v[118:121], v116 offset:480
	s_waitcnt vmcnt(8) lgkmcnt(0)
	v_fmac_f64_e32 v[114:115], v[124:125], v[118:119]
	s_waitcnt vmcnt(6)
	v_fmac_f64_e32 v[114:115], v[126:127], v[120:121]
	ds_read_b128 v[118:121], v116 offset:496
	s_waitcnt vmcnt(4) lgkmcnt(0)
	v_fmac_f64_e32 v[114:115], v[128:129], v[118:119]
	;; [unrolled: 5-line block ×3, first 2 shown]
	buffer_load_dword v119, off, s[0:3], 0 offset:76
	buffer_load_dword v118, off, s[0:3], 0 offset:72
	buffer_load_dword v123, off, s[0:3], 0 offset:84
	buffer_load_dword v122, off, s[0:3], 0 offset:80
	s_waitcnt vmcnt(2)
	v_fmac_f64_e32 v[114:115], v[118:119], v[120:121]
	ds_read_b128 v[118:121], v116 offset:528
	s_waitcnt vmcnt(0) lgkmcnt(0)
	v_fmac_f64_e32 v[114:115], v[122:123], v[118:119]
	buffer_load_dword v119, off, s[0:3], 0 offset:92
	buffer_load_dword v118, off, s[0:3], 0 offset:88
	buffer_load_dword v123, off, s[0:3], 0 offset:100
	buffer_load_dword v122, off, s[0:3], 0 offset:96
	s_waitcnt vmcnt(2)
	v_fmac_f64_e32 v[114:115], v[118:119], v[120:121]
	ds_read_b128 v[118:121], v116 offset:544
	s_waitcnt vmcnt(0) lgkmcnt(0)
	v_fmac_f64_e32 v[114:115], v[122:123], v[118:119]
	buffer_load_dword v119, off, s[0:3], 0 offset:108
	buffer_load_dword v118, off, s[0:3], 0 offset:104
	buffer_load_dword v123, off, s[0:3], 0 offset:116
	buffer_load_dword v122, off, s[0:3], 0 offset:112
	s_waitcnt vmcnt(2)
	v_fmac_f64_e32 v[114:115], v[118:119], v[120:121]
	ds_read_b128 v[118:121], v116 offset:560
	s_waitcnt vmcnt(0) lgkmcnt(0)
	v_fmac_f64_e32 v[114:115], v[122:123], v[118:119]
	buffer_load_dword v119, off, s[0:3], 0 offset:124
	buffer_load_dword v118, off, s[0:3], 0 offset:120
	buffer_load_dword v123, off, s[0:3], 0 offset:132
	buffer_load_dword v122, off, s[0:3], 0 offset:128
	s_waitcnt vmcnt(2)
	v_fmac_f64_e32 v[114:115], v[118:119], v[120:121]
	ds_read_b128 v[118:121], v116 offset:576
	s_waitcnt vmcnt(0) lgkmcnt(0)
	v_fmac_f64_e32 v[114:115], v[122:123], v[118:119]
	buffer_load_dword v119, off, s[0:3], 0 offset:140
	buffer_load_dword v118, off, s[0:3], 0 offset:136
	buffer_load_dword v123, off, s[0:3], 0 offset:148
	buffer_load_dword v122, off, s[0:3], 0 offset:144
	s_waitcnt vmcnt(2)
	v_fmac_f64_e32 v[114:115], v[118:119], v[120:121]
	ds_read_b128 v[118:121], v116 offset:592
	s_waitcnt vmcnt(0) lgkmcnt(0)
	v_fmac_f64_e32 v[114:115], v[122:123], v[118:119]
	buffer_load_dword v119, off, s[0:3], 0 offset:156
	buffer_load_dword v118, off, s[0:3], 0 offset:152
	buffer_load_dword v123, off, s[0:3], 0 offset:164
	buffer_load_dword v122, off, s[0:3], 0 offset:160
	s_waitcnt vmcnt(2)
	v_fmac_f64_e32 v[114:115], v[118:119], v[120:121]
	ds_read_b128 v[118:121], v116 offset:608
	s_waitcnt vmcnt(0) lgkmcnt(0)
	v_fmac_f64_e32 v[114:115], v[122:123], v[118:119]
	buffer_load_dword v119, off, s[0:3], 0 offset:172
	buffer_load_dword v118, off, s[0:3], 0 offset:168
	buffer_load_dword v123, off, s[0:3], 0 offset:180
	buffer_load_dword v122, off, s[0:3], 0 offset:176
	s_waitcnt vmcnt(2)
	v_fmac_f64_e32 v[114:115], v[118:119], v[120:121]
	ds_read_b128 v[118:121], v116 offset:624
	s_waitcnt vmcnt(0) lgkmcnt(0)
	v_fmac_f64_e32 v[114:115], v[122:123], v[118:119]
	buffer_load_dword v119, off, s[0:3], 0 offset:188
	buffer_load_dword v118, off, s[0:3], 0 offset:184
	buffer_load_dword v123, off, s[0:3], 0 offset:196
	buffer_load_dword v122, off, s[0:3], 0 offset:192
	s_waitcnt vmcnt(2)
	v_fmac_f64_e32 v[114:115], v[118:119], v[120:121]
	ds_read_b128 v[118:121], v116 offset:640
	s_waitcnt vmcnt(0) lgkmcnt(0)
	v_fmac_f64_e32 v[114:115], v[122:123], v[118:119]
	buffer_load_dword v119, off, s[0:3], 0 offset:204
	buffer_load_dword v118, off, s[0:3], 0 offset:200
	buffer_load_dword v123, off, s[0:3], 0 offset:212
	buffer_load_dword v122, off, s[0:3], 0 offset:208
	s_waitcnt vmcnt(2)
	v_fmac_f64_e32 v[114:115], v[118:119], v[120:121]
	ds_read_b128 v[118:121], v116 offset:656
	s_waitcnt vmcnt(0) lgkmcnt(0)
	v_fmac_f64_e32 v[114:115], v[122:123], v[118:119]
	buffer_load_dword v119, off, s[0:3], 0 offset:220
	buffer_load_dword v118, off, s[0:3], 0 offset:216
	buffer_load_dword v123, off, s[0:3], 0 offset:228
	buffer_load_dword v122, off, s[0:3], 0 offset:224
	s_waitcnt vmcnt(2)
	v_fmac_f64_e32 v[114:115], v[118:119], v[120:121]
	ds_read_b128 v[118:121], v116 offset:672
	s_waitcnt vmcnt(0) lgkmcnt(0)
	v_fmac_f64_e32 v[114:115], v[122:123], v[118:119]
	buffer_load_dword v119, off, s[0:3], 0 offset:236
	buffer_load_dword v118, off, s[0:3], 0 offset:232
	buffer_load_dword v123, off, s[0:3], 0 offset:244
	buffer_load_dword v122, off, s[0:3], 0 offset:240
	s_waitcnt vmcnt(2)
	v_fmac_f64_e32 v[114:115], v[118:119], v[120:121]
	ds_read_b128 v[118:121], v116 offset:688
	s_waitcnt vmcnt(0) lgkmcnt(0)
	v_fmac_f64_e32 v[114:115], v[122:123], v[118:119]
	buffer_load_dword v119, off, s[0:3], 0 offset:252
	buffer_load_dword v118, off, s[0:3], 0 offset:248
	buffer_load_dword v123, off, s[0:3], 0 offset:260
	buffer_load_dword v122, off, s[0:3], 0 offset:256
	s_waitcnt vmcnt(2)
	v_fmac_f64_e32 v[114:115], v[118:119], v[120:121]
	ds_read_b128 v[118:121], v116 offset:704
	s_waitcnt vmcnt(0) lgkmcnt(0)
	v_fmac_f64_e32 v[114:115], v[122:123], v[118:119]
	buffer_load_dword v119, off, s[0:3], 0 offset:268
	buffer_load_dword v118, off, s[0:3], 0 offset:264
	buffer_load_dword v123, off, s[0:3], 0 offset:276
	buffer_load_dword v122, off, s[0:3], 0 offset:272
	s_waitcnt vmcnt(2)
	v_fmac_f64_e32 v[114:115], v[118:119], v[120:121]
	ds_read_b128 v[118:121], v116 offset:720
	s_waitcnt vmcnt(0) lgkmcnt(0)
	v_fmac_f64_e32 v[114:115], v[122:123], v[118:119]
	buffer_load_dword v119, off, s[0:3], 0 offset:284
	buffer_load_dword v118, off, s[0:3], 0 offset:280
	buffer_load_dword v123, off, s[0:3], 0 offset:292
	buffer_load_dword v122, off, s[0:3], 0 offset:288
	s_waitcnt vmcnt(2)
	v_fmac_f64_e32 v[114:115], v[118:119], v[120:121]
	ds_read_b128 v[118:121], v116 offset:736
	s_waitcnt vmcnt(0) lgkmcnt(0)
	v_fmac_f64_e32 v[114:115], v[122:123], v[118:119]
	buffer_load_dword v119, off, s[0:3], 0 offset:300
	buffer_load_dword v118, off, s[0:3], 0 offset:296
	buffer_load_dword v123, off, s[0:3], 0 offset:308
	buffer_load_dword v122, off, s[0:3], 0 offset:304
	s_waitcnt vmcnt(2)
	v_fmac_f64_e32 v[114:115], v[118:119], v[120:121]
	ds_read_b128 v[118:121], v116 offset:752
	s_waitcnt vmcnt(0) lgkmcnt(0)
	v_fmac_f64_e32 v[114:115], v[122:123], v[118:119]
	buffer_load_dword v119, off, s[0:3], 0 offset:316
	buffer_load_dword v118, off, s[0:3], 0 offset:312
	buffer_load_dword v123, off, s[0:3], 0 offset:324
	buffer_load_dword v122, off, s[0:3], 0 offset:320
	s_waitcnt vmcnt(2)
	v_fmac_f64_e32 v[114:115], v[118:119], v[120:121]
	ds_read_b128 v[118:121], v116 offset:768
	s_waitcnt vmcnt(0) lgkmcnt(0)
	v_fmac_f64_e32 v[114:115], v[122:123], v[118:119]
	buffer_load_dword v119, off, s[0:3], 0 offset:332
	buffer_load_dword v118, off, s[0:3], 0 offset:328
	buffer_load_dword v123, off, s[0:3], 0 offset:340
	buffer_load_dword v122, off, s[0:3], 0 offset:336
	s_waitcnt vmcnt(2)
	v_fmac_f64_e32 v[114:115], v[118:119], v[120:121]
	ds_read_b128 v[118:121], v116 offset:784
	s_waitcnt vmcnt(0) lgkmcnt(0)
	v_fmac_f64_e32 v[114:115], v[122:123], v[118:119]
	buffer_load_dword v119, off, s[0:3], 0 offset:348
	buffer_load_dword v118, off, s[0:3], 0 offset:344
	buffer_load_dword v123, off, s[0:3], 0 offset:356
	buffer_load_dword v122, off, s[0:3], 0 offset:352
	s_waitcnt vmcnt(2)
	v_fmac_f64_e32 v[114:115], v[118:119], v[120:121]
	ds_read_b128 v[118:121], v116 offset:800
	s_waitcnt vmcnt(0) lgkmcnt(0)
	v_fmac_f64_e32 v[114:115], v[122:123], v[118:119]
	buffer_load_dword v119, off, s[0:3], 0 offset:364
	buffer_load_dword v118, off, s[0:3], 0 offset:360
	buffer_load_dword v123, off, s[0:3], 0 offset:372
	buffer_load_dword v122, off, s[0:3], 0 offset:368
	s_waitcnt vmcnt(2)
	v_fmac_f64_e32 v[114:115], v[118:119], v[120:121]
	ds_read_b128 v[118:121], v116 offset:816
	s_waitcnt vmcnt(0) lgkmcnt(0)
	v_fmac_f64_e32 v[114:115], v[122:123], v[118:119]
	buffer_load_dword v119, off, s[0:3], 0 offset:380
	buffer_load_dword v118, off, s[0:3], 0 offset:376
	buffer_load_dword v123, off, s[0:3], 0 offset:388
	buffer_load_dword v122, off, s[0:3], 0 offset:384
	s_waitcnt vmcnt(2)
	v_fmac_f64_e32 v[114:115], v[118:119], v[120:121]
	ds_read_b128 v[118:121], v116 offset:832
	s_waitcnt vmcnt(0) lgkmcnt(0)
	v_fmac_f64_e32 v[114:115], v[122:123], v[118:119]
	buffer_load_dword v119, off, s[0:3], 0 offset:396
	buffer_load_dword v118, off, s[0:3], 0 offset:392
	buffer_load_dword v123, off, s[0:3], 0 offset:404
	buffer_load_dword v122, off, s[0:3], 0 offset:400
	s_waitcnt vmcnt(2)
	v_fmac_f64_e32 v[114:115], v[118:119], v[120:121]
	ds_read_b128 v[118:121], v116 offset:848
	s_waitcnt vmcnt(0) lgkmcnt(0)
	v_fmac_f64_e32 v[114:115], v[122:123], v[118:119]
	buffer_load_dword v119, off, s[0:3], 0 offset:412
	buffer_load_dword v118, off, s[0:3], 0 offset:408
	buffer_load_dword v123, off, s[0:3], 0 offset:420
	buffer_load_dword v122, off, s[0:3], 0 offset:416
	s_waitcnt vmcnt(2)
	v_fmac_f64_e32 v[114:115], v[118:119], v[120:121]
	ds_read_b128 v[118:121], v116 offset:864
	s_waitcnt vmcnt(0) lgkmcnt(0)
	v_fmac_f64_e32 v[114:115], v[122:123], v[118:119]
	buffer_load_dword v119, off, s[0:3], 0 offset:428
	buffer_load_dword v118, off, s[0:3], 0 offset:424
	s_waitcnt vmcnt(0)
	v_fmac_f64_e32 v[114:115], v[118:119], v[120:121]
	buffer_load_dword v119, off, s[0:3], 0 offset:436
	buffer_load_dword v118, off, s[0:3], 0 offset:432
	ds_read_b64 v[120:121], v116 offset:880
	s_waitcnt vmcnt(0) lgkmcnt(0)
	v_fmac_f64_e32 v[114:115], v[118:119], v[120:121]
	v_add_f64 v[112:113], v[112:113], -v[114:115]
	buffer_store_dword v113, off, s[0:3], 0 offset:12
	buffer_store_dword v112, off, s[0:3], 0 offset:8
	s_and_saveexec_b64 s[4:5], vcc
	s_cbranch_execz .LBB118_337
; %bb.336:
	buffer_load_dword v112, off, s[0:3], 0
	buffer_load_dword v113, off, s[0:3], 0 offset:4
	s_waitcnt vmcnt(0)
	ds_write_b64 v1, v[112:113]
	buffer_store_dword v116, off, s[0:3], 0
	buffer_store_dword v116, off, s[0:3], 0 offset:4
.LBB118_337:
	s_or_b64 exec, exec, s[4:5]
	s_waitcnt lgkmcnt(0)
	; wave barrier
	s_waitcnt lgkmcnt(0)
	buffer_load_dword v0, off, s[0:3], 0
	buffer_load_dword v1, off, s[0:3], 0 offset:4
	buffer_load_dword v118, off, s[0:3], 0 offset:8
	;; [unrolled: 1-line block ×15, first 2 shown]
	ds_read2_b64 v[112:115], v116 offset0:57 offset1:58
	s_and_b64 vcc, exec, s[16:17]
	s_waitcnt vmcnt(12) lgkmcnt(0)
	v_fma_f64 v[112:113], v[118:119], v[112:113], 0
	s_waitcnt vmcnt(10)
	v_fmac_f64_e32 v[112:113], v[120:121], v[114:115]
	ds_read2_b64 v[118:121], v116 offset0:59 offset1:60
	s_waitcnt vmcnt(8) lgkmcnt(0)
	v_fmac_f64_e32 v[112:113], v[122:123], v[118:119]
	s_waitcnt vmcnt(6)
	v_fmac_f64_e32 v[112:113], v[124:125], v[120:121]
	ds_read2_b64 v[118:121], v116 offset0:61 offset1:62
	s_waitcnt vmcnt(4) lgkmcnt(0)
	v_fmac_f64_e32 v[112:113], v[126:127], v[118:119]
	s_waitcnt vmcnt(2)
	v_fmac_f64_e32 v[112:113], v[128:129], v[120:121]
	ds_read2_b64 v[118:121], v116 offset0:63 offset1:64
	buffer_load_dword v115, off, s[0:3], 0 offset:68
	buffer_load_dword v114, off, s[0:3], 0 offset:64
	s_waitcnt vmcnt(2) lgkmcnt(0)
	v_fmac_f64_e32 v[112:113], v[130:131], v[118:119]
	s_waitcnt vmcnt(0)
	v_fmac_f64_e32 v[112:113], v[114:115], v[120:121]
	buffer_load_dword v115, off, s[0:3], 0 offset:76
	buffer_load_dword v114, off, s[0:3], 0 offset:72
	ds_read2_b64 v[118:121], v116 offset0:65 offset1:66
	s_waitcnt vmcnt(0) lgkmcnt(0)
	v_fmac_f64_e32 v[112:113], v[114:115], v[118:119]
	buffer_load_dword v115, off, s[0:3], 0 offset:84
	buffer_load_dword v114, off, s[0:3], 0 offset:80
	s_waitcnt vmcnt(0)
	v_fmac_f64_e32 v[112:113], v[114:115], v[120:121]
	buffer_load_dword v115, off, s[0:3], 0 offset:92
	buffer_load_dword v114, off, s[0:3], 0 offset:88
	ds_read2_b64 v[118:121], v116 offset0:67 offset1:68
	s_waitcnt vmcnt(0) lgkmcnt(0)
	v_fmac_f64_e32 v[112:113], v[114:115], v[118:119]
	buffer_load_dword v115, off, s[0:3], 0 offset:100
	buffer_load_dword v114, off, s[0:3], 0 offset:96
	;; [unrolled: 9-line block ×23, first 2 shown]
	s_waitcnt vmcnt(0)
	v_fmac_f64_e32 v[112:113], v[116:117], v[118:119]
	v_add_f64 v[0:1], v[0:1], -v[112:113]
	buffer_store_dword v1, off, s[0:3], 0 offset:4
	buffer_store_dword v0, off, s[0:3], 0
	s_cbranch_vccz .LBB118_447
; %bb.338:
	v_pk_mov_b32 v[0:1], s[10:11], s[10:11] op_sel:[0,1]
	flat_load_dword v0, v[0:1] offset:212
	s_waitcnt vmcnt(0) lgkmcnt(0)
	v_add_u32_e32 v0, -1, v0
	v_cmp_ne_u32_e32 vcc, 53, v0
	s_and_saveexec_b64 s[4:5], vcc
	s_cbranch_execz .LBB118_340
; %bb.339:
	v_mov_b32_e32 v1, 0
	v_lshl_add_u32 v0, v0, 3, v1
	buffer_load_dword v1, v0, s[0:3], 0 offen
	buffer_load_dword v112, v0, s[0:3], 0 offen offset:4
	s_waitcnt vmcnt(1)
	buffer_store_dword v1, off, s[0:3], 0 offset:424
	s_waitcnt vmcnt(1)
	buffer_store_dword v112, off, s[0:3], 0 offset:428
	buffer_store_dword v114, v0, s[0:3], 0 offen
	buffer_store_dword v115, v0, s[0:3], 0 offen offset:4
.LBB118_340:
	s_or_b64 exec, exec, s[4:5]
	v_pk_mov_b32 v[0:1], s[10:11], s[10:11] op_sel:[0,1]
	flat_load_dword v0, v[0:1] offset:208
	s_waitcnt vmcnt(0) lgkmcnt(0)
	v_add_u32_e32 v0, -1, v0
	v_cmp_ne_u32_e32 vcc, 52, v0
	s_and_saveexec_b64 s[4:5], vcc
	s_cbranch_execz .LBB118_342
; %bb.341:
	v_mov_b32_e32 v1, 0
	v_lshl_add_u32 v0, v0, 3, v1
	buffer_load_dword v1, v0, s[0:3], 0 offen
	buffer_load_dword v112, v0, s[0:3], 0 offen offset:4
	buffer_load_dword v113, off, s[0:3], 0 offset:420
	buffer_load_dword v114, off, s[0:3], 0 offset:416
	s_waitcnt vmcnt(3)
	buffer_store_dword v1, off, s[0:3], 0 offset:416
	s_waitcnt vmcnt(3)
	buffer_store_dword v112, off, s[0:3], 0 offset:420
	s_waitcnt vmcnt(3)
	buffer_store_dword v113, v0, s[0:3], 0 offen offset:4
	s_waitcnt vmcnt(3)
	buffer_store_dword v114, v0, s[0:3], 0 offen
.LBB118_342:
	s_or_b64 exec, exec, s[4:5]
	v_pk_mov_b32 v[0:1], s[10:11], s[10:11] op_sel:[0,1]
	flat_load_dword v0, v[0:1] offset:204
	s_waitcnt vmcnt(0) lgkmcnt(0)
	v_add_u32_e32 v0, -1, v0
	v_cmp_ne_u32_e32 vcc, 51, v0
	s_and_saveexec_b64 s[4:5], vcc
	s_cbranch_execz .LBB118_344
; %bb.343:
	v_mov_b32_e32 v1, 0
	v_lshl_add_u32 v0, v0, 3, v1
	buffer_load_dword v1, v0, s[0:3], 0 offen
	buffer_load_dword v112, v0, s[0:3], 0 offen offset:4
	buffer_load_dword v113, off, s[0:3], 0 offset:408
	buffer_load_dword v114, off, s[0:3], 0 offset:412
	s_waitcnt vmcnt(3)
	buffer_store_dword v1, off, s[0:3], 0 offset:408
	s_waitcnt vmcnt(3)
	buffer_store_dword v112, off, s[0:3], 0 offset:412
	s_waitcnt vmcnt(3)
	buffer_store_dword v113, v0, s[0:3], 0 offen
	s_waitcnt vmcnt(3)
	buffer_store_dword v114, v0, s[0:3], 0 offen offset:4
.LBB118_344:
	s_or_b64 exec, exec, s[4:5]
	v_pk_mov_b32 v[0:1], s[10:11], s[10:11] op_sel:[0,1]
	flat_load_dword v0, v[0:1] offset:200
	s_waitcnt vmcnt(0) lgkmcnt(0)
	v_add_u32_e32 v0, -1, v0
	v_cmp_ne_u32_e32 vcc, 50, v0
	s_and_saveexec_b64 s[4:5], vcc
	s_cbranch_execz .LBB118_346
; %bb.345:
	v_mov_b32_e32 v1, 0
	v_lshl_add_u32 v0, v0, 3, v1
	buffer_load_dword v1, v0, s[0:3], 0 offen
	buffer_load_dword v112, v0, s[0:3], 0 offen offset:4
	buffer_load_dword v113, off, s[0:3], 0 offset:404
	buffer_load_dword v114, off, s[0:3], 0 offset:400
	s_waitcnt vmcnt(3)
	buffer_store_dword v1, off, s[0:3], 0 offset:400
	s_waitcnt vmcnt(3)
	buffer_store_dword v112, off, s[0:3], 0 offset:404
	s_waitcnt vmcnt(3)
	buffer_store_dword v113, v0, s[0:3], 0 offen offset:4
	s_waitcnt vmcnt(3)
	buffer_store_dword v114, v0, s[0:3], 0 offen
.LBB118_346:
	s_or_b64 exec, exec, s[4:5]
	v_pk_mov_b32 v[0:1], s[10:11], s[10:11] op_sel:[0,1]
	flat_load_dword v0, v[0:1] offset:196
	s_waitcnt vmcnt(0) lgkmcnt(0)
	v_add_u32_e32 v0, -1, v0
	v_cmp_ne_u32_e32 vcc, 49, v0
	s_and_saveexec_b64 s[4:5], vcc
	s_cbranch_execz .LBB118_348
; %bb.347:
	v_mov_b32_e32 v1, 0
	v_lshl_add_u32 v0, v0, 3, v1
	buffer_load_dword v1, v0, s[0:3], 0 offen
	buffer_load_dword v112, v0, s[0:3], 0 offen offset:4
	buffer_load_dword v113, off, s[0:3], 0 offset:392
	buffer_load_dword v114, off, s[0:3], 0 offset:396
	s_waitcnt vmcnt(3)
	buffer_store_dword v1, off, s[0:3], 0 offset:392
	s_waitcnt vmcnt(3)
	buffer_store_dword v112, off, s[0:3], 0 offset:396
	s_waitcnt vmcnt(3)
	buffer_store_dword v113, v0, s[0:3], 0 offen
	s_waitcnt vmcnt(3)
	buffer_store_dword v114, v0, s[0:3], 0 offen offset:4
.LBB118_348:
	;; [unrolled: 48-line block ×26, first 2 shown]
	s_or_b64 exec, exec, s[4:5]
	v_pk_mov_b32 v[0:1], s[10:11], s[10:11] op_sel:[0,1]
	flat_load_dword v112, v[0:1]
	s_nop 0
	buffer_load_dword v0, off, s[0:3], 0
	buffer_load_dword v1, off, s[0:3], 0 offset:4
	s_waitcnt vmcnt(0) lgkmcnt(0)
	v_add_u32_e32 v112, -1, v112
	v_cmp_ne_u32_e32 vcc, 0, v112
	s_and_saveexec_b64 s[4:5], vcc
	s_cbranch_execz .LBB118_446
; %bb.445:
	v_mov_b32_e32 v113, 0
	v_lshl_add_u32 v112, v112, 3, v113
	buffer_load_dword v113, v112, s[0:3], 0 offen offset:4
	buffer_load_dword v114, v112, s[0:3], 0 offen
	s_waitcnt vmcnt(1)
	buffer_store_dword v113, off, s[0:3], 0 offset:4
	s_waitcnt vmcnt(1)
	buffer_store_dword v114, off, s[0:3], 0
	buffer_store_dword v1, v112, s[0:3], 0 offen offset:4
	buffer_store_dword v0, v112, s[0:3], 0 offen
	buffer_load_dword v0, off, s[0:3], 0
	s_nop 0
	buffer_load_dword v1, off, s[0:3], 0 offset:4
.LBB118_446:
	s_or_b64 exec, exec, s[4:5]
.LBB118_447:
	s_waitcnt vmcnt(0)
	global_store_dwordx2 v[110:111], v[0:1], off
	buffer_load_dword v0, off, s[0:3], 0 offset:8
	s_nop 0
	buffer_load_dword v1, off, s[0:3], 0 offset:12
	buffer_load_dword v110, off, s[0:3], 0 offset:16
	;; [unrolled: 1-line block ×15, first 2 shown]
	s_waitcnt vmcnt(14)
	global_store_dwordx2 v[108:109], v[0:1], off
	s_waitcnt vmcnt(13)
	global_store_dwordx2 v[2:3], v[110:111], off
	;; [unrolled: 2-line block ×8, first 2 shown]
	buffer_load_dword v0, off, s[0:3], 0 offset:72
	buffer_load_dword v1, off, s[0:3], 0 offset:76
	s_waitcnt vmcnt(0)
	global_store_dwordx2 v[14:15], v[0:1], off
	buffer_load_dword v0, off, s[0:3], 0 offset:80
	s_nop 0
	buffer_load_dword v1, off, s[0:3], 0 offset:84
	s_waitcnt vmcnt(0)
	global_store_dwordx2 v[16:17], v[0:1], off
	buffer_load_dword v0, off, s[0:3], 0 offset:88
	s_nop 0
	;; [unrolled: 5-line block ×45, first 2 shown]
	buffer_load_dword v1, off, s[0:3], 0 offset:436
	s_waitcnt vmcnt(0)
	global_store_dwordx2 v[98:99], v[0:1], off
	s_endpgm
	.section	.rodata,"a",@progbits
	.p2align	6, 0x0
	.amdhsa_kernel _ZN9rocsolver6v33100L18getri_kernel_smallILi55EdPKPdEEvT1_iilPiilS6_bb
		.amdhsa_group_segment_fixed_size 888
		.amdhsa_private_segment_fixed_size 448
		.amdhsa_kernarg_size 60
		.amdhsa_user_sgpr_count 8
		.amdhsa_user_sgpr_private_segment_buffer 1
		.amdhsa_user_sgpr_dispatch_ptr 0
		.amdhsa_user_sgpr_queue_ptr 0
		.amdhsa_user_sgpr_kernarg_segment_ptr 1
		.amdhsa_user_sgpr_dispatch_id 0
		.amdhsa_user_sgpr_flat_scratch_init 1
		.amdhsa_user_sgpr_kernarg_preload_length 0
		.amdhsa_user_sgpr_kernarg_preload_offset 0
		.amdhsa_user_sgpr_private_segment_size 0
		.amdhsa_uses_dynamic_stack 0
		.amdhsa_system_sgpr_private_segment_wavefront_offset 1
		.amdhsa_system_sgpr_workgroup_id_x 1
		.amdhsa_system_sgpr_workgroup_id_y 0
		.amdhsa_system_sgpr_workgroup_id_z 0
		.amdhsa_system_sgpr_workgroup_info 0
		.amdhsa_system_vgpr_workitem_id 0
		.amdhsa_next_free_vgpr 164
		.amdhsa_next_free_sgpr 22
		.amdhsa_accum_offset 164
		.amdhsa_reserve_vcc 1
		.amdhsa_reserve_flat_scratch 1
		.amdhsa_float_round_mode_32 0
		.amdhsa_float_round_mode_16_64 0
		.amdhsa_float_denorm_mode_32 3
		.amdhsa_float_denorm_mode_16_64 3
		.amdhsa_dx10_clamp 1
		.amdhsa_ieee_mode 1
		.amdhsa_fp16_overflow 0
		.amdhsa_tg_split 0
		.amdhsa_exception_fp_ieee_invalid_op 0
		.amdhsa_exception_fp_denorm_src 0
		.amdhsa_exception_fp_ieee_div_zero 0
		.amdhsa_exception_fp_ieee_overflow 0
		.amdhsa_exception_fp_ieee_underflow 0
		.amdhsa_exception_fp_ieee_inexact 0
		.amdhsa_exception_int_div_zero 0
	.end_amdhsa_kernel
	.section	.text._ZN9rocsolver6v33100L18getri_kernel_smallILi55EdPKPdEEvT1_iilPiilS6_bb,"axG",@progbits,_ZN9rocsolver6v33100L18getri_kernel_smallILi55EdPKPdEEvT1_iilPiilS6_bb,comdat
.Lfunc_end118:
	.size	_ZN9rocsolver6v33100L18getri_kernel_smallILi55EdPKPdEEvT1_iilPiilS6_bb, .Lfunc_end118-_ZN9rocsolver6v33100L18getri_kernel_smallILi55EdPKPdEEvT1_iilPiilS6_bb
                                        ; -- End function
	.section	.AMDGPU.csdata,"",@progbits
; Kernel info:
; codeLenInByte = 70460
; NumSgprs: 28
; NumVgprs: 164
; NumAgprs: 0
; TotalNumVgprs: 164
; ScratchSize: 448
; MemoryBound: 1
; FloatMode: 240
; IeeeMode: 1
; LDSByteSize: 888 bytes/workgroup (compile time only)
; SGPRBlocks: 3
; VGPRBlocks: 20
; NumSGPRsForWavesPerEU: 28
; NumVGPRsForWavesPerEU: 164
; AccumOffset: 164
; Occupancy: 3
; WaveLimiterHint : 1
; COMPUTE_PGM_RSRC2:SCRATCH_EN: 1
; COMPUTE_PGM_RSRC2:USER_SGPR: 8
; COMPUTE_PGM_RSRC2:TRAP_HANDLER: 0
; COMPUTE_PGM_RSRC2:TGID_X_EN: 1
; COMPUTE_PGM_RSRC2:TGID_Y_EN: 0
; COMPUTE_PGM_RSRC2:TGID_Z_EN: 0
; COMPUTE_PGM_RSRC2:TIDIG_COMP_CNT: 0
; COMPUTE_PGM_RSRC3_GFX90A:ACCUM_OFFSET: 40
; COMPUTE_PGM_RSRC3_GFX90A:TG_SPLIT: 0
	.section	.text._ZN9rocsolver6v33100L18getri_kernel_smallILi56EdPKPdEEvT1_iilPiilS6_bb,"axG",@progbits,_ZN9rocsolver6v33100L18getri_kernel_smallILi56EdPKPdEEvT1_iilPiilS6_bb,comdat
	.globl	_ZN9rocsolver6v33100L18getri_kernel_smallILi56EdPKPdEEvT1_iilPiilS6_bb ; -- Begin function _ZN9rocsolver6v33100L18getri_kernel_smallILi56EdPKPdEEvT1_iilPiilS6_bb
	.p2align	8
	.type	_ZN9rocsolver6v33100L18getri_kernel_smallILi56EdPKPdEEvT1_iilPiilS6_bb,@function
_ZN9rocsolver6v33100L18getri_kernel_smallILi56EdPKPdEEvT1_iilPiilS6_bb: ; @_ZN9rocsolver6v33100L18getri_kernel_smallILi56EdPKPdEEvT1_iilPiilS6_bb
; %bb.0:
	s_add_u32 flat_scratch_lo, s6, s9
	s_addc_u32 flat_scratch_hi, s7, 0
	s_add_u32 s0, s0, s9
	s_addc_u32 s1, s1, 0
	v_cmp_gt_u32_e32 vcc, 56, v0
	s_and_saveexec_b64 s[6:7], vcc
	s_cbranch_execz .LBB119_232
; %bb.1:
	s_load_dword s20, s[4:5], 0x38
	s_load_dwordx2 s[6:7], s[4:5], 0x0
	s_load_dwordx4 s[12:15], s[4:5], 0x28
	s_waitcnt lgkmcnt(0)
	s_bitcmp1_b32 s20, 8
	s_cselect_b64 s[16:17], -1, 0
	s_ashr_i32 s9, s8, 31
	s_lshl_b64 s[10:11], s[8:9], 3
	s_add_u32 s6, s6, s10
	s_addc_u32 s7, s7, s11
	s_load_dwordx2 s[18:19], s[6:7], 0x0
	s_bfe_u32 s6, s20, 0x10008
	s_cmp_eq_u32 s6, 0
                                        ; implicit-def: $sgpr10_sgpr11
	s_cbranch_scc1 .LBB119_3
; %bb.2:
	s_load_dword s6, s[4:5], 0x20
	s_load_dwordx2 s[10:11], s[4:5], 0x18
	s_mul_i32 s7, s8, s13
	s_mul_hi_u32 s13, s8, s12
	s_add_i32 s13, s13, s7
	s_mul_i32 s21, s9, s12
	s_add_i32 s13, s13, s21
	s_mul_i32 s12, s8, s12
	s_waitcnt lgkmcnt(0)
	s_ashr_i32 s7, s6, 31
	s_lshl_b64 s[12:13], s[12:13], 2
	s_add_u32 s10, s10, s12
	s_addc_u32 s11, s11, s13
	s_lshl_b64 s[6:7], s[6:7], 2
	s_add_u32 s10, s10, s6
	s_addc_u32 s11, s11, s7
.LBB119_3:
	s_load_dwordx2 s[6:7], s[4:5], 0x8
	s_waitcnt lgkmcnt(0)
	s_ashr_i32 s5, s6, 31
	s_mov_b32 s4, s6
	s_lshl_b64 s[4:5], s[4:5], 3
	s_add_u32 s4, s18, s4
	s_addc_u32 s5, s19, s5
	s_add_i32 s6, s7, s7
	v_add_u32_e32 v4, s6, v0
	v_ashrrev_i32_e32 v5, 31, v4
	v_lshlrev_b64 v[2:3], 3, v[4:5]
	v_add_u32_e32 v6, s7, v4
	v_mov_b32_e32 v1, s5
	v_add_co_u32_e32 v2, vcc, s4, v2
	v_ashrrev_i32_e32 v7, 31, v6
	v_addc_co_u32_e32 v3, vcc, v1, v3, vcc
	v_lshlrev_b64 v[4:5], 3, v[6:7]
	v_add_u32_e32 v8, s7, v6
	v_add_co_u32_e32 v4, vcc, s4, v4
	v_ashrrev_i32_e32 v9, 31, v8
	v_addc_co_u32_e32 v5, vcc, v1, v5, vcc
	v_lshlrev_b64 v[6:7], 3, v[8:9]
	v_add_u32_e32 v10, s7, v8
	;; [unrolled: 5-line block ×5, first 2 shown]
	v_add_co_u32_e32 v12, vcc, s4, v12
	v_ashrrev_i32_e32 v15, 31, v14
	v_addc_co_u32_e32 v13, vcc, v1, v13, vcc
	v_lshlrev_b64 v[16:17], 3, v[14:15]
	v_add_co_u32_e32 v18, vcc, s4, v16
	v_add_u32_e32 v16, s7, v14
	v_addc_co_u32_e32 v19, vcc, v1, v17, vcc
	v_ashrrev_i32_e32 v17, 31, v16
	v_lshlrev_b64 v[14:15], 3, v[16:17]
	v_add_u32_e32 v20, s7, v16
	v_add_co_u32_e32 v14, vcc, s4, v14
	v_ashrrev_i32_e32 v21, 31, v20
	v_addc_co_u32_e32 v15, vcc, v1, v15, vcc
	v_lshlrev_b64 v[16:17], 3, v[20:21]
	v_add_u32_e32 v22, s7, v20
	v_add_co_u32_e32 v16, vcc, s4, v16
	v_ashrrev_i32_e32 v23, 31, v22
	v_addc_co_u32_e32 v17, vcc, v1, v17, vcc
	;; [unrolled: 5-line block ×39, first 2 shown]
	v_lshlrev_b64 v[94:95], 3, v[96:97]
	v_add_co_u32_e32 v94, vcc, s4, v94
	v_addc_co_u32_e32 v95, vcc, v1, v95, vcc
	v_add_u32_e32 v98, s7, v96
	v_lshlrev_b32_e32 v1, 3, v0
	v_ashrrev_i32_e32 v99, 31, v98
	global_load_dwordx2 v[114:115], v1, s[4:5]
	v_lshlrev_b64 v[96:97], 3, v[98:99]
	v_mov_b32_e32 v99, s5
	v_add_co_u32_e32 v112, vcc, s4, v1
	s_ashr_i32 s13, s7, 31
	s_mov_b32 s12, s7
	v_addc_co_u32_e32 v113, vcc, 0, v99, vcc
	s_lshl_b64 s[12:13], s[12:13], 3
	v_mov_b32_e32 v99, s13
	v_add_co_u32_e32 v110, vcc, s12, v112
	v_addc_co_u32_e32 v111, vcc, v113, v99, vcc
	global_load_dwordx2 v[116:117], v[110:111], off
	global_load_dwordx2 v[118:119], v[2:3], off
	;; [unrolled: 1-line block ×20, first 2 shown]
	v_mov_b32_e32 v100, s5
	v_add_co_u32_e32 v96, vcc, s4, v96
	v_addc_co_u32_e32 v97, vcc, v100, v97, vcc
	v_add_u32_e32 v100, s7, v98
	v_ashrrev_i32_e32 v101, 31, v100
	v_lshlrev_b64 v[98:99], 3, v[100:101]
	v_add_u32_e32 v100, s7, v100
	v_mov_b32_e32 v102, s5
	v_add_co_u32_e32 v98, vcc, s4, v98
	v_ashrrev_i32_e32 v101, 31, v100
	v_addc_co_u32_e32 v99, vcc, v102, v99, vcc
	v_lshlrev_b64 v[102:103], 3, v[100:101]
	v_add_u32_e32 v100, s7, v100
	v_mov_b32_e32 v104, s5
	v_add_co_u32_e32 v102, vcc, s4, v102
	v_ashrrev_i32_e32 v101, 31, v100
	v_addc_co_u32_e32 v103, vcc, v104, v103, vcc
	;; [unrolled: 6-line block ×5, first 2 shown]
	v_lshlrev_b64 v[100:101], 3, v[100:101]
	v_mov_b32_e32 v160, s5
	v_add_co_u32_e32 v100, vcc, s4, v100
	global_load_dwordx2 v[156:157], v[40:41], off
	global_load_dwordx2 v[158:159], v[42:43], off
	v_addc_co_u32_e32 v101, vcc, v160, v101, vcc
	global_load_dwordx2 v[160:161], v[44:45], off
	global_load_dwordx2 v[162:163], v[100:101], off
	s_waitcnt vmcnt(24)
	buffer_store_dword v115, off, s[0:3], 0 offset:4
	buffer_store_dword v114, off, s[0:3], 0
	global_load_dwordx2 v[114:115], v[46:47], off
	s_waitcnt vmcnt(26)
	buffer_store_dword v117, off, s[0:3], 0 offset:12
	buffer_store_dword v116, off, s[0:3], 0 offset:8
	global_load_dwordx2 v[116:117], v[48:49], off
	s_waitcnt vmcnt(28)
	buffer_store_dword v119, off, s[0:3], 0 offset:20
	buffer_store_dword v118, off, s[0:3], 0 offset:16
	;; [unrolled: 4-line block ×7, first 2 shown]
	s_waitcnt vmcnt(37)
	buffer_store_dword v131, off, s[0:3], 0 offset:68
	buffer_store_dword v130, off, s[0:3], 0 offset:64
	;; [unrolled: 1-line block ×6, first 2 shown]
	s_waitcnt vmcnt(42)
	buffer_store_dword v136, off, s[0:3], 0 offset:88
	buffer_store_dword v137, off, s[0:3], 0 offset:92
	s_waitcnt vmcnt(43)
	buffer_store_dword v138, off, s[0:3], 0 offset:96
	buffer_store_dword v139, off, s[0:3], 0 offset:100
	;; [unrolled: 3-line block ×8, first 2 shown]
	s_waitcnt vmcnt(50)
	buffer_store_dword v153, off, s[0:3], 0 offset:156
	global_load_dwordx2 v[128:129], v[60:61], off
	global_load_dwordx2 v[130:131], v[62:63], off
	;; [unrolled: 1-line block ×12, first 2 shown]
	s_bitcmp0_b32 s20, 0
	buffer_store_dword v152, off, s[0:3], 0 offset:152
	global_load_dwordx2 v[152:153], v[88:89], off
	s_mov_b64 s[6:7], -1
	s_waitcnt vmcnt(62)
	buffer_store_dword v155, off, s[0:3], 0 offset:164
	buffer_store_dword v154, off, s[0:3], 0 offset:160
	global_load_dwordx2 v[154:155], v[92:93], off
	s_nop 0
	buffer_store_dword v156, off, s[0:3], 0 offset:168
	buffer_store_dword v157, off, s[0:3], 0 offset:172
	global_load_dwordx2 v[156:157], v[96:97], off
	s_nop 0
	buffer_store_dword v158, off, s[0:3], 0 offset:176
	buffer_store_dword v159, off, s[0:3], 0 offset:180
	s_waitcnt vmcnt(62)
	buffer_store_dword v114, off, s[0:3], 0 offset:192
	buffer_store_dword v115, off, s[0:3], 0 offset:196
	global_load_dwordx2 v[114:115], v[82:83], off
	s_nop 0
	global_load_dwordx2 v[158:159], v[102:103], off
	s_nop 0
	buffer_store_dword v160, off, s[0:3], 0 offset:184
	buffer_store_dword v161, off, s[0:3], 0 offset:188
	;; [unrolled: 1-line block ×4, first 2 shown]
	global_load_dwordx2 v[116:117], v[86:87], off
	s_waitcnt vmcnt(62)
	buffer_store_dword v119, off, s[0:3], 0 offset:212
	buffer_store_dword v118, off, s[0:3], 0 offset:208
	global_load_dwordx2 v[118:119], v[90:91], off
	s_nop 0
	buffer_store_dword v120, off, s[0:3], 0 offset:216
	buffer_store_dword v121, off, s[0:3], 0 offset:220
	global_load_dwordx2 v[120:121], v[94:95], off
	s_nop 0
	buffer_store_dword v122, off, s[0:3], 0 offset:224
	buffer_store_dword v123, off, s[0:3], 0 offset:228
	global_load_dwordx2 v[122:123], v[98:99], off
	s_waitcnt vmcnt(62)
	buffer_store_dword v124, off, s[0:3], 0 offset:232
	buffer_store_dword v125, off, s[0:3], 0 offset:236
	global_load_dwordx2 v[124:125], v[104:105], off
	s_nop 0
	global_load_dwordx2 v[160:161], v[106:107], off
	s_nop 0
	buffer_store_dword v126, off, s[0:3], 0 offset:240
	buffer_store_dword v127, off, s[0:3], 0 offset:244
	global_load_dwordx2 v[126:127], v[108:109], off
	s_waitcnt vmcnt(46)
	buffer_store_dword v129, off, s[0:3], 0 offset:252
	buffer_store_dword v128, off, s[0:3], 0 offset:248
	s_waitcnt vmcnt(47)
	buffer_store_dword v131, off, s[0:3], 0 offset:260
	buffer_store_dword v130, off, s[0:3], 0 offset:256
	;; [unrolled: 3-line block ×12, first 2 shown]
	buffer_store_dword v151, off, s[0:3], 0 offset:348
	buffer_store_dword v150, off, s[0:3], 0 offset:344
	s_waitcnt vmcnt(42)
	buffer_store_dword v117, off, s[0:3], 0 offset:356
	buffer_store_dword v116, off, s[0:3], 0 offset:352
	buffer_store_dword v152, off, s[0:3], 0 offset:360
	buffer_store_dword v153, off, s[0:3], 0 offset:364
	s_waitcnt vmcnt(43)
	buffer_store_dword v118, off, s[0:3], 0 offset:368
	buffer_store_dword v119, off, s[0:3], 0 offset:372
	buffer_store_dword v154, off, s[0:3], 0 offset:376
	buffer_store_dword v155, off, s[0:3], 0 offset:380
	s_waitcnt vmcnt(44)
	buffer_store_dword v120, off, s[0:3], 0 offset:384
	buffer_store_dword v121, off, s[0:3], 0 offset:388
	buffer_store_dword v157, off, s[0:3], 0 offset:396
	buffer_store_dword v156, off, s[0:3], 0 offset:392
	s_waitcnt vmcnt(45)
	buffer_store_dword v123, off, s[0:3], 0 offset:404
	buffer_store_dword v122, off, s[0:3], 0 offset:400
	buffer_store_dword v158, off, s[0:3], 0 offset:408
	buffer_store_dword v159, off, s[0:3], 0 offset:412
	s_waitcnt vmcnt(46)
	buffer_store_dword v124, off, s[0:3], 0 offset:416
	buffer_store_dword v125, off, s[0:3], 0 offset:420
	s_waitcnt vmcnt(47)
	buffer_store_dword v160, off, s[0:3], 0 offset:424
	buffer_store_dword v161, off, s[0:3], 0 offset:428
	s_waitcnt vmcnt(46)
	buffer_store_dword v126, off, s[0:3], 0 offset:432
	buffer_store_dword v127, off, s[0:3], 0 offset:436
	buffer_store_dword v163, off, s[0:3], 0 offset:444
	buffer_store_dword v162, off, s[0:3], 0 offset:440
	s_cbranch_scc1 .LBB119_230
; %bb.4:
	v_cmp_eq_u32_e64 s[4:5], 0, v0
	s_and_saveexec_b64 s[6:7], s[4:5]
	s_cbranch_execz .LBB119_6
; %bb.5:
	v_mov_b32_e32 v114, 0
	ds_write_b32 v114, v114 offset:896
.LBB119_6:
	s_or_b64 exec, exec, s[6:7]
	v_mov_b32_e32 v114, 0
	v_lshl_add_u32 v114, v0, 3, v114
	s_waitcnt lgkmcnt(0)
	; wave barrier
	s_waitcnt lgkmcnt(0)
	buffer_load_dword v116, v114, s[0:3], 0 offen
	buffer_load_dword v117, v114, s[0:3], 0 offen offset:4
	s_waitcnt vmcnt(0)
	v_cmp_eq_f64_e32 vcc, 0, v[116:117]
	s_and_saveexec_b64 s[12:13], vcc
	s_cbranch_execz .LBB119_10
; %bb.7:
	v_mov_b32_e32 v115, 0
	ds_read_b32 v117, v115 offset:896
	v_add_u32_e32 v116, 1, v0
	s_waitcnt lgkmcnt(0)
	v_readfirstlane_b32 s6, v117
	s_cmp_eq_u32 s6, 0
	s_cselect_b64 s[18:19], -1, 0
	v_cmp_gt_i32_e32 vcc, s6, v116
	s_or_b64 s[18:19], s[18:19], vcc
	s_and_b64 exec, exec, s[18:19]
	s_cbranch_execz .LBB119_10
; %bb.8:
	s_mov_b64 s[18:19], 0
	v_mov_b32_e32 v117, s6
.LBB119_9:                              ; =>This Inner Loop Header: Depth=1
	ds_cmpst_rtn_b32 v117, v115, v117, v116 offset:896
	s_waitcnt lgkmcnt(0)
	v_cmp_ne_u32_e32 vcc, 0, v117
	v_cmp_le_i32_e64 s[6:7], v117, v116
	s_and_b64 s[6:7], vcc, s[6:7]
	s_and_b64 s[6:7], exec, s[6:7]
	s_or_b64 s[18:19], s[6:7], s[18:19]
	s_andn2_b64 exec, exec, s[18:19]
	s_cbranch_execnz .LBB119_9
.LBB119_10:
	s_or_b64 exec, exec, s[12:13]
	v_mov_b32_e32 v116, 0
	s_waitcnt lgkmcnt(0)
	; wave barrier
	ds_read_b32 v115, v116 offset:896
	s_and_saveexec_b64 s[6:7], s[4:5]
	s_cbranch_execz .LBB119_12
; %bb.11:
	s_lshl_b64 s[12:13], s[8:9], 2
	s_add_u32 s12, s14, s12
	s_addc_u32 s13, s15, s13
	s_waitcnt lgkmcnt(0)
	global_store_dword v116, v115, s[12:13]
.LBB119_12:
	s_or_b64 exec, exec, s[6:7]
	s_waitcnt lgkmcnt(0)
	v_cmp_ne_u32_e32 vcc, 0, v115
	s_mov_b64 s[6:7], 0
	s_cbranch_vccnz .LBB119_230
; %bb.13:
	buffer_load_dword v116, v114, s[0:3], 0 offen
	buffer_load_dword v117, v114, s[0:3], 0 offen offset:4
	s_waitcnt vmcnt(0)
	v_div_scale_f64 v[118:119], s[6:7], v[116:117], v[116:117], 1.0
	v_rcp_f64_e32 v[120:121], v[118:119]
	v_div_scale_f64 v[122:123], vcc, 1.0, v[116:117], 1.0
	v_fma_f64 v[124:125], -v[118:119], v[120:121], 1.0
	v_fmac_f64_e32 v[120:121], v[120:121], v[124:125]
	v_fma_f64 v[124:125], -v[118:119], v[120:121], 1.0
	v_fmac_f64_e32 v[120:121], v[120:121], v[124:125]
	v_mul_f64 v[124:125], v[122:123], v[120:121]
	v_fma_f64 v[118:119], -v[118:119], v[124:125], v[122:123]
	v_div_fmas_f64 v[118:119], v[118:119], v[120:121], v[124:125]
	v_div_fixup_f64 v[118:119], v[118:119], v[116:117], 1.0
	buffer_store_dword v119, v114, s[0:3], 0 offen offset:4
	buffer_store_dword v118, v114, s[0:3], 0 offen
	buffer_load_dword v121, off, s[0:3], 0 offset:12
	buffer_load_dword v120, off, s[0:3], 0 offset:8
	v_add_u32_e32 v116, 0x1c0, v1
	v_xor_b32_e32 v119, 0x80000000, v119
	s_waitcnt vmcnt(0)
	ds_write2_b64 v1, v[118:119], v[120:121] offset1:56
	s_waitcnt lgkmcnt(0)
	; wave barrier
	s_waitcnt lgkmcnt(0)
	s_and_saveexec_b64 s[6:7], s[4:5]
	s_cbranch_execz .LBB119_15
; %bb.14:
	buffer_load_dword v118, v114, s[0:3], 0 offen
	buffer_load_dword v119, v114, s[0:3], 0 offen offset:4
	v_mov_b32_e32 v115, 0
	ds_read_b64 v[120:121], v116
	ds_read_b64 v[122:123], v115 offset:8
	s_waitcnt vmcnt(0) lgkmcnt(1)
	v_fma_f64 v[118:119], v[118:119], v[120:121], 0
	s_waitcnt lgkmcnt(0)
	v_mul_f64 v[118:119], v[118:119], v[122:123]
	buffer_store_dword v118, off, s[0:3], 0 offset:8
	buffer_store_dword v119, off, s[0:3], 0 offset:12
.LBB119_15:
	s_or_b64 exec, exec, s[6:7]
	s_waitcnt lgkmcnt(0)
	; wave barrier
	buffer_load_dword v118, off, s[0:3], 0 offset:16
	buffer_load_dword v119, off, s[0:3], 0 offset:20
	v_cmp_gt_u32_e32 vcc, 2, v0
	s_waitcnt vmcnt(0)
	ds_write_b64 v116, v[118:119]
	s_waitcnt lgkmcnt(0)
	; wave barrier
	s_waitcnt lgkmcnt(0)
	s_and_saveexec_b64 s[6:7], vcc
	s_cbranch_execz .LBB119_17
; %bb.16:
	buffer_load_dword v115, v114, s[0:3], 0 offen offset:4
	buffer_load_dword v122, off, s[0:3], 0 offset:8
	s_nop 0
	buffer_load_dword v114, v114, s[0:3], 0 offen
	s_nop 0
	buffer_load_dword v123, off, s[0:3], 0 offset:12
	ds_read_b64 v[124:125], v116
	v_mov_b32_e32 v117, 0
	ds_read2_b64 v[118:121], v117 offset0:2 offset1:57
	s_waitcnt vmcnt(1) lgkmcnt(1)
	v_fma_f64 v[114:115], v[114:115], v[124:125], 0
	s_waitcnt vmcnt(0) lgkmcnt(0)
	v_fma_f64 v[120:121], v[122:123], v[120:121], v[114:115]
	v_cndmask_b32_e64 v115, v115, v121, s[4:5]
	v_cndmask_b32_e64 v114, v114, v120, s[4:5]
	v_mul_f64 v[114:115], v[114:115], v[118:119]
	buffer_store_dword v115, off, s[0:3], 0 offset:20
	buffer_store_dword v114, off, s[0:3], 0 offset:16
.LBB119_17:
	s_or_b64 exec, exec, s[6:7]
	s_waitcnt lgkmcnt(0)
	; wave barrier
	buffer_load_dword v114, off, s[0:3], 0 offset:24
	buffer_load_dword v115, off, s[0:3], 0 offset:28
	v_cmp_gt_u32_e32 vcc, 3, v0
	v_add_u32_e32 v117, -1, v0
	s_waitcnt vmcnt(0)
	ds_write_b64 v116, v[114:115]
	s_waitcnt lgkmcnt(0)
	; wave barrier
	s_waitcnt lgkmcnt(0)
	s_and_saveexec_b64 s[4:5], vcc
	s_cbranch_execz .LBB119_21
; %bb.18:
	v_add_u32_e32 v118, -1, v0
	v_add_u32_e32 v119, 0x1c0, v1
	v_add_u32_e32 v120, 0, v1
	s_mov_b64 s[6:7], 0
	v_pk_mov_b32 v[114:115], 0, 0
.LBB119_19:                             ; =>This Inner Loop Header: Depth=1
	buffer_load_dword v122, v120, s[0:3], 0 offen
	buffer_load_dword v123, v120, s[0:3], 0 offen offset:4
	ds_read_b64 v[124:125], v119
	v_add_u32_e32 v118, 1, v118
	v_cmp_lt_u32_e32 vcc, 1, v118
	v_add_u32_e32 v119, 8, v119
	v_add_u32_e32 v120, 8, v120
	s_or_b64 s[6:7], vcc, s[6:7]
	s_waitcnt vmcnt(0) lgkmcnt(0)
	v_fmac_f64_e32 v[114:115], v[122:123], v[124:125]
	s_andn2_b64 exec, exec, s[6:7]
	s_cbranch_execnz .LBB119_19
; %bb.20:
	s_or_b64 exec, exec, s[6:7]
	v_mov_b32_e32 v118, 0
	ds_read_b64 v[118:119], v118 offset:24
	s_waitcnt lgkmcnt(0)
	v_mul_f64 v[114:115], v[114:115], v[118:119]
	buffer_store_dword v115, off, s[0:3], 0 offset:28
	buffer_store_dword v114, off, s[0:3], 0 offset:24
.LBB119_21:
	s_or_b64 exec, exec, s[4:5]
	s_waitcnt lgkmcnt(0)
	; wave barrier
	buffer_load_dword v114, off, s[0:3], 0 offset:32
	buffer_load_dword v115, off, s[0:3], 0 offset:36
	v_cmp_gt_u32_e32 vcc, 4, v0
	s_waitcnt vmcnt(0)
	ds_write_b64 v116, v[114:115]
	s_waitcnt lgkmcnt(0)
	; wave barrier
	s_waitcnt lgkmcnt(0)
	s_and_saveexec_b64 s[4:5], vcc
	s_cbranch_execz .LBB119_25
; %bb.22:
	v_add_u32_e32 v118, -1, v0
	v_add_u32_e32 v119, 0x1c0, v1
	v_add_u32_e32 v120, 0, v1
	s_mov_b64 s[6:7], 0
	v_pk_mov_b32 v[114:115], 0, 0
.LBB119_23:                             ; =>This Inner Loop Header: Depth=1
	buffer_load_dword v122, v120, s[0:3], 0 offen
	buffer_load_dword v123, v120, s[0:3], 0 offen offset:4
	ds_read_b64 v[124:125], v119
	v_add_u32_e32 v118, 1, v118
	v_cmp_lt_u32_e32 vcc, 2, v118
	v_add_u32_e32 v119, 8, v119
	v_add_u32_e32 v120, 8, v120
	s_or_b64 s[6:7], vcc, s[6:7]
	s_waitcnt vmcnt(0) lgkmcnt(0)
	v_fmac_f64_e32 v[114:115], v[122:123], v[124:125]
	s_andn2_b64 exec, exec, s[6:7]
	s_cbranch_execnz .LBB119_23
; %bb.24:
	s_or_b64 exec, exec, s[6:7]
	v_mov_b32_e32 v118, 0
	ds_read_b64 v[118:119], v118 offset:32
	s_waitcnt lgkmcnt(0)
	v_mul_f64 v[114:115], v[114:115], v[118:119]
	buffer_store_dword v115, off, s[0:3], 0 offset:36
	buffer_store_dword v114, off, s[0:3], 0 offset:32
.LBB119_25:
	s_or_b64 exec, exec, s[4:5]
	s_waitcnt lgkmcnt(0)
	; wave barrier
	buffer_load_dword v114, off, s[0:3], 0 offset:40
	buffer_load_dword v115, off, s[0:3], 0 offset:44
	v_cmp_gt_u32_e32 vcc, 5, v0
	;; [unrolled: 41-line block ×21, first 2 shown]
	s_waitcnt vmcnt(0)
	ds_write_b64 v116, v[114:115]
	s_waitcnt lgkmcnt(0)
	; wave barrier
	s_waitcnt lgkmcnt(0)
	s_and_saveexec_b64 s[4:5], vcc
	s_cbranch_execz .LBB119_105
; %bb.102:
	v_add_u32_e32 v118, -1, v0
	v_add_u32_e32 v119, 0x1c0, v1
	v_add_u32_e32 v120, 0, v1
	s_mov_b64 s[6:7], 0
	v_pk_mov_b32 v[114:115], 0, 0
.LBB119_103:                            ; =>This Inner Loop Header: Depth=1
	buffer_load_dword v122, v120, s[0:3], 0 offen
	buffer_load_dword v123, v120, s[0:3], 0 offen offset:4
	ds_read_b64 v[124:125], v119
	v_add_u32_e32 v118, 1, v118
	v_cmp_lt_u32_e32 vcc, 22, v118
	v_add_u32_e32 v119, 8, v119
	v_add_u32_e32 v120, 8, v120
	s_or_b64 s[6:7], vcc, s[6:7]
	s_waitcnt vmcnt(0) lgkmcnt(0)
	v_fmac_f64_e32 v[114:115], v[122:123], v[124:125]
	s_andn2_b64 exec, exec, s[6:7]
	s_cbranch_execnz .LBB119_103
; %bb.104:
	s_or_b64 exec, exec, s[6:7]
	v_mov_b32_e32 v118, 0
	ds_read_b64 v[118:119], v118 offset:192
	s_waitcnt lgkmcnt(0)
	v_mul_f64 v[114:115], v[114:115], v[118:119]
	buffer_store_dword v115, off, s[0:3], 0 offset:196
	buffer_store_dword v114, off, s[0:3], 0 offset:192
.LBB119_105:
	s_or_b64 exec, exec, s[4:5]
	s_waitcnt lgkmcnt(0)
	; wave barrier
	buffer_load_dword v114, off, s[0:3], 0 offset:200
	buffer_load_dword v115, off, s[0:3], 0 offset:204
	v_cmp_gt_u32_e32 vcc, 25, v0
	s_waitcnt vmcnt(0)
	ds_write_b64 v116, v[114:115]
	s_waitcnt lgkmcnt(0)
	; wave barrier
	s_waitcnt lgkmcnt(0)
	s_and_saveexec_b64 s[4:5], vcc
	s_cbranch_execz .LBB119_109
; %bb.106:
	v_add_u32_e32 v118, -1, v0
	v_add_u32_e32 v119, 0x1c0, v1
	v_add_u32_e32 v120, 0, v1
	s_mov_b64 s[6:7], 0
	v_pk_mov_b32 v[114:115], 0, 0
.LBB119_107:                            ; =>This Inner Loop Header: Depth=1
	buffer_load_dword v122, v120, s[0:3], 0 offen
	buffer_load_dword v123, v120, s[0:3], 0 offen offset:4
	ds_read_b64 v[124:125], v119
	v_add_u32_e32 v118, 1, v118
	v_cmp_lt_u32_e32 vcc, 23, v118
	v_add_u32_e32 v119, 8, v119
	v_add_u32_e32 v120, 8, v120
	s_or_b64 s[6:7], vcc, s[6:7]
	s_waitcnt vmcnt(0) lgkmcnt(0)
	v_fmac_f64_e32 v[114:115], v[122:123], v[124:125]
	s_andn2_b64 exec, exec, s[6:7]
	s_cbranch_execnz .LBB119_107
; %bb.108:
	s_or_b64 exec, exec, s[6:7]
	v_mov_b32_e32 v118, 0
	ds_read_b64 v[118:119], v118 offset:200
	s_waitcnt lgkmcnt(0)
	v_mul_f64 v[114:115], v[114:115], v[118:119]
	buffer_store_dword v115, off, s[0:3], 0 offset:204
	buffer_store_dword v114, off, s[0:3], 0 offset:200
.LBB119_109:
	s_or_b64 exec, exec, s[4:5]
	s_waitcnt lgkmcnt(0)
	; wave barrier
	buffer_load_dword v114, off, s[0:3], 0 offset:208
	buffer_load_dword v115, off, s[0:3], 0 offset:212
	v_cmp_gt_u32_e32 vcc, 26, v0
	s_waitcnt vmcnt(0)
	ds_write_b64 v116, v[114:115]
	s_waitcnt lgkmcnt(0)
	; wave barrier
	s_waitcnt lgkmcnt(0)
	s_and_saveexec_b64 s[4:5], vcc
	s_cbranch_execz .LBB119_113
; %bb.110:
	v_add_u32_e32 v118, -1, v0
	v_add_u32_e32 v119, 0x1c0, v1
	v_add_u32_e32 v120, 0, v1
	s_mov_b64 s[6:7], 0
	v_pk_mov_b32 v[114:115], 0, 0
.LBB119_111:                            ; =>This Inner Loop Header: Depth=1
	buffer_load_dword v122, v120, s[0:3], 0 offen
	buffer_load_dword v123, v120, s[0:3], 0 offen offset:4
	ds_read_b64 v[124:125], v119
	v_add_u32_e32 v118, 1, v118
	v_cmp_lt_u32_e32 vcc, 24, v118
	v_add_u32_e32 v119, 8, v119
	v_add_u32_e32 v120, 8, v120
	s_or_b64 s[6:7], vcc, s[6:7]
	s_waitcnt vmcnt(0) lgkmcnt(0)
	v_fmac_f64_e32 v[114:115], v[122:123], v[124:125]
	s_andn2_b64 exec, exec, s[6:7]
	s_cbranch_execnz .LBB119_111
; %bb.112:
	s_or_b64 exec, exec, s[6:7]
	v_mov_b32_e32 v118, 0
	ds_read_b64 v[118:119], v118 offset:208
	s_waitcnt lgkmcnt(0)
	v_mul_f64 v[114:115], v[114:115], v[118:119]
	buffer_store_dword v115, off, s[0:3], 0 offset:212
	buffer_store_dword v114, off, s[0:3], 0 offset:208
.LBB119_113:
	s_or_b64 exec, exec, s[4:5]
	s_waitcnt lgkmcnt(0)
	; wave barrier
	buffer_load_dword v114, off, s[0:3], 0 offset:216
	buffer_load_dword v115, off, s[0:3], 0 offset:220
	v_cmp_gt_u32_e32 vcc, 27, v0
	s_waitcnt vmcnt(0)
	ds_write_b64 v116, v[114:115]
	s_waitcnt lgkmcnt(0)
	; wave barrier
	s_waitcnt lgkmcnt(0)
	s_and_saveexec_b64 s[4:5], vcc
	s_cbranch_execz .LBB119_117
; %bb.114:
	v_add_u32_e32 v118, -1, v0
	v_add_u32_e32 v119, 0x1c0, v1
	v_add_u32_e32 v120, 0, v1
	s_mov_b64 s[6:7], 0
	v_pk_mov_b32 v[114:115], 0, 0
.LBB119_115:                            ; =>This Inner Loop Header: Depth=1
	buffer_load_dword v122, v120, s[0:3], 0 offen
	buffer_load_dword v123, v120, s[0:3], 0 offen offset:4
	ds_read_b64 v[124:125], v119
	v_add_u32_e32 v118, 1, v118
	v_cmp_lt_u32_e32 vcc, 25, v118
	v_add_u32_e32 v119, 8, v119
	v_add_u32_e32 v120, 8, v120
	s_or_b64 s[6:7], vcc, s[6:7]
	s_waitcnt vmcnt(0) lgkmcnt(0)
	v_fmac_f64_e32 v[114:115], v[122:123], v[124:125]
	s_andn2_b64 exec, exec, s[6:7]
	s_cbranch_execnz .LBB119_115
; %bb.116:
	s_or_b64 exec, exec, s[6:7]
	v_mov_b32_e32 v118, 0
	ds_read_b64 v[118:119], v118 offset:216
	s_waitcnt lgkmcnt(0)
	v_mul_f64 v[114:115], v[114:115], v[118:119]
	buffer_store_dword v115, off, s[0:3], 0 offset:220
	buffer_store_dword v114, off, s[0:3], 0 offset:216
.LBB119_117:
	s_or_b64 exec, exec, s[4:5]
	s_waitcnt lgkmcnt(0)
	; wave barrier
	buffer_load_dword v114, off, s[0:3], 0 offset:224
	buffer_load_dword v115, off, s[0:3], 0 offset:228
	v_cmp_gt_u32_e32 vcc, 28, v0
	s_waitcnt vmcnt(0)
	ds_write_b64 v116, v[114:115]
	s_waitcnt lgkmcnt(0)
	; wave barrier
	s_waitcnt lgkmcnt(0)
	s_and_saveexec_b64 s[4:5], vcc
	s_cbranch_execz .LBB119_121
; %bb.118:
	v_add_u32_e32 v118, -1, v0
	v_add_u32_e32 v119, 0x1c0, v1
	v_add_u32_e32 v120, 0, v1
	s_mov_b64 s[6:7], 0
	v_pk_mov_b32 v[114:115], 0, 0
.LBB119_119:                            ; =>This Inner Loop Header: Depth=1
	buffer_load_dword v122, v120, s[0:3], 0 offen
	buffer_load_dword v123, v120, s[0:3], 0 offen offset:4
	ds_read_b64 v[124:125], v119
	v_add_u32_e32 v118, 1, v118
	v_cmp_lt_u32_e32 vcc, 26, v118
	v_add_u32_e32 v119, 8, v119
	v_add_u32_e32 v120, 8, v120
	s_or_b64 s[6:7], vcc, s[6:7]
	s_waitcnt vmcnt(0) lgkmcnt(0)
	v_fmac_f64_e32 v[114:115], v[122:123], v[124:125]
	s_andn2_b64 exec, exec, s[6:7]
	s_cbranch_execnz .LBB119_119
; %bb.120:
	s_or_b64 exec, exec, s[6:7]
	v_mov_b32_e32 v118, 0
	ds_read_b64 v[118:119], v118 offset:224
	s_waitcnt lgkmcnt(0)
	v_mul_f64 v[114:115], v[114:115], v[118:119]
	buffer_store_dword v115, off, s[0:3], 0 offset:228
	buffer_store_dword v114, off, s[0:3], 0 offset:224
.LBB119_121:
	s_or_b64 exec, exec, s[4:5]
	s_waitcnt lgkmcnt(0)
	; wave barrier
	buffer_load_dword v114, off, s[0:3], 0 offset:232
	buffer_load_dword v115, off, s[0:3], 0 offset:236
	v_cmp_gt_u32_e32 vcc, 29, v0
	s_waitcnt vmcnt(0)
	ds_write_b64 v116, v[114:115]
	s_waitcnt lgkmcnt(0)
	; wave barrier
	s_waitcnt lgkmcnt(0)
	s_and_saveexec_b64 s[4:5], vcc
	s_cbranch_execz .LBB119_125
; %bb.122:
	v_add_u32_e32 v118, -1, v0
	v_add_u32_e32 v119, 0x1c0, v1
	v_add_u32_e32 v120, 0, v1
	s_mov_b64 s[6:7], 0
	v_pk_mov_b32 v[114:115], 0, 0
.LBB119_123:                            ; =>This Inner Loop Header: Depth=1
	buffer_load_dword v122, v120, s[0:3], 0 offen
	buffer_load_dword v123, v120, s[0:3], 0 offen offset:4
	ds_read_b64 v[124:125], v119
	v_add_u32_e32 v118, 1, v118
	v_cmp_lt_u32_e32 vcc, 27, v118
	v_add_u32_e32 v119, 8, v119
	v_add_u32_e32 v120, 8, v120
	s_or_b64 s[6:7], vcc, s[6:7]
	s_waitcnt vmcnt(0) lgkmcnt(0)
	v_fmac_f64_e32 v[114:115], v[122:123], v[124:125]
	s_andn2_b64 exec, exec, s[6:7]
	s_cbranch_execnz .LBB119_123
; %bb.124:
	s_or_b64 exec, exec, s[6:7]
	v_mov_b32_e32 v118, 0
	ds_read_b64 v[118:119], v118 offset:232
	s_waitcnt lgkmcnt(0)
	v_mul_f64 v[114:115], v[114:115], v[118:119]
	buffer_store_dword v115, off, s[0:3], 0 offset:236
	buffer_store_dword v114, off, s[0:3], 0 offset:232
.LBB119_125:
	s_or_b64 exec, exec, s[4:5]
	s_waitcnt lgkmcnt(0)
	; wave barrier
	buffer_load_dword v114, off, s[0:3], 0 offset:240
	buffer_load_dword v115, off, s[0:3], 0 offset:244
	v_cmp_gt_u32_e32 vcc, 30, v0
	s_waitcnt vmcnt(0)
	ds_write_b64 v116, v[114:115]
	s_waitcnt lgkmcnt(0)
	; wave barrier
	s_waitcnt lgkmcnt(0)
	s_and_saveexec_b64 s[4:5], vcc
	s_cbranch_execz .LBB119_129
; %bb.126:
	v_add_u32_e32 v118, -1, v0
	v_add_u32_e32 v119, 0x1c0, v1
	v_add_u32_e32 v120, 0, v1
	s_mov_b64 s[6:7], 0
	v_pk_mov_b32 v[114:115], 0, 0
.LBB119_127:                            ; =>This Inner Loop Header: Depth=1
	buffer_load_dword v122, v120, s[0:3], 0 offen
	buffer_load_dword v123, v120, s[0:3], 0 offen offset:4
	ds_read_b64 v[124:125], v119
	v_add_u32_e32 v118, 1, v118
	v_cmp_lt_u32_e32 vcc, 28, v118
	v_add_u32_e32 v119, 8, v119
	v_add_u32_e32 v120, 8, v120
	s_or_b64 s[6:7], vcc, s[6:7]
	s_waitcnt vmcnt(0) lgkmcnt(0)
	v_fmac_f64_e32 v[114:115], v[122:123], v[124:125]
	s_andn2_b64 exec, exec, s[6:7]
	s_cbranch_execnz .LBB119_127
; %bb.128:
	s_or_b64 exec, exec, s[6:7]
	v_mov_b32_e32 v118, 0
	ds_read_b64 v[118:119], v118 offset:240
	s_waitcnt lgkmcnt(0)
	v_mul_f64 v[114:115], v[114:115], v[118:119]
	buffer_store_dword v115, off, s[0:3], 0 offset:244
	buffer_store_dword v114, off, s[0:3], 0 offset:240
.LBB119_129:
	s_or_b64 exec, exec, s[4:5]
	s_waitcnt lgkmcnt(0)
	; wave barrier
	buffer_load_dword v114, off, s[0:3], 0 offset:248
	buffer_load_dword v115, off, s[0:3], 0 offset:252
	v_cmp_gt_u32_e32 vcc, 31, v0
	s_waitcnt vmcnt(0)
	ds_write_b64 v116, v[114:115]
	s_waitcnt lgkmcnt(0)
	; wave barrier
	s_waitcnt lgkmcnt(0)
	s_and_saveexec_b64 s[4:5], vcc
	s_cbranch_execz .LBB119_133
; %bb.130:
	v_add_u32_e32 v118, -1, v0
	v_add_u32_e32 v119, 0x1c0, v1
	v_add_u32_e32 v120, 0, v1
	s_mov_b64 s[6:7], 0
	v_pk_mov_b32 v[114:115], 0, 0
.LBB119_131:                            ; =>This Inner Loop Header: Depth=1
	buffer_load_dword v122, v120, s[0:3], 0 offen
	buffer_load_dword v123, v120, s[0:3], 0 offen offset:4
	ds_read_b64 v[124:125], v119
	v_add_u32_e32 v118, 1, v118
	v_cmp_lt_u32_e32 vcc, 29, v118
	v_add_u32_e32 v119, 8, v119
	v_add_u32_e32 v120, 8, v120
	s_or_b64 s[6:7], vcc, s[6:7]
	s_waitcnt vmcnt(0) lgkmcnt(0)
	v_fmac_f64_e32 v[114:115], v[122:123], v[124:125]
	s_andn2_b64 exec, exec, s[6:7]
	s_cbranch_execnz .LBB119_131
; %bb.132:
	s_or_b64 exec, exec, s[6:7]
	v_mov_b32_e32 v118, 0
	ds_read_b64 v[118:119], v118 offset:248
	s_waitcnt lgkmcnt(0)
	v_mul_f64 v[114:115], v[114:115], v[118:119]
	buffer_store_dword v115, off, s[0:3], 0 offset:252
	buffer_store_dword v114, off, s[0:3], 0 offset:248
.LBB119_133:
	s_or_b64 exec, exec, s[4:5]
	s_waitcnt lgkmcnt(0)
	; wave barrier
	buffer_load_dword v114, off, s[0:3], 0 offset:256
	buffer_load_dword v115, off, s[0:3], 0 offset:260
	v_cmp_gt_u32_e32 vcc, 32, v0
	s_waitcnt vmcnt(0)
	ds_write_b64 v116, v[114:115]
	s_waitcnt lgkmcnt(0)
	; wave barrier
	s_waitcnt lgkmcnt(0)
	s_and_saveexec_b64 s[4:5], vcc
	s_cbranch_execz .LBB119_137
; %bb.134:
	v_add_u32_e32 v118, -1, v0
	v_add_u32_e32 v119, 0x1c0, v1
	v_add_u32_e32 v120, 0, v1
	s_mov_b64 s[6:7], 0
	v_pk_mov_b32 v[114:115], 0, 0
.LBB119_135:                            ; =>This Inner Loop Header: Depth=1
	buffer_load_dword v122, v120, s[0:3], 0 offen
	buffer_load_dword v123, v120, s[0:3], 0 offen offset:4
	ds_read_b64 v[124:125], v119
	v_add_u32_e32 v118, 1, v118
	v_cmp_lt_u32_e32 vcc, 30, v118
	v_add_u32_e32 v119, 8, v119
	v_add_u32_e32 v120, 8, v120
	s_or_b64 s[6:7], vcc, s[6:7]
	s_waitcnt vmcnt(0) lgkmcnt(0)
	v_fmac_f64_e32 v[114:115], v[122:123], v[124:125]
	s_andn2_b64 exec, exec, s[6:7]
	s_cbranch_execnz .LBB119_135
; %bb.136:
	s_or_b64 exec, exec, s[6:7]
	v_mov_b32_e32 v118, 0
	ds_read_b64 v[118:119], v118 offset:256
	s_waitcnt lgkmcnt(0)
	v_mul_f64 v[114:115], v[114:115], v[118:119]
	buffer_store_dword v115, off, s[0:3], 0 offset:260
	buffer_store_dword v114, off, s[0:3], 0 offset:256
.LBB119_137:
	s_or_b64 exec, exec, s[4:5]
	s_waitcnt lgkmcnt(0)
	; wave barrier
	buffer_load_dword v114, off, s[0:3], 0 offset:264
	buffer_load_dword v115, off, s[0:3], 0 offset:268
	v_cmp_gt_u32_e32 vcc, 33, v0
	s_waitcnt vmcnt(0)
	ds_write_b64 v116, v[114:115]
	s_waitcnt lgkmcnt(0)
	; wave barrier
	s_waitcnt lgkmcnt(0)
	s_and_saveexec_b64 s[4:5], vcc
	s_cbranch_execz .LBB119_141
; %bb.138:
	v_add_u32_e32 v118, -1, v0
	v_add_u32_e32 v119, 0x1c0, v1
	v_add_u32_e32 v120, 0, v1
	s_mov_b64 s[6:7], 0
	v_pk_mov_b32 v[114:115], 0, 0
.LBB119_139:                            ; =>This Inner Loop Header: Depth=1
	buffer_load_dword v122, v120, s[0:3], 0 offen
	buffer_load_dword v123, v120, s[0:3], 0 offen offset:4
	ds_read_b64 v[124:125], v119
	v_add_u32_e32 v118, 1, v118
	v_cmp_lt_u32_e32 vcc, 31, v118
	v_add_u32_e32 v119, 8, v119
	v_add_u32_e32 v120, 8, v120
	s_or_b64 s[6:7], vcc, s[6:7]
	s_waitcnt vmcnt(0) lgkmcnt(0)
	v_fmac_f64_e32 v[114:115], v[122:123], v[124:125]
	s_andn2_b64 exec, exec, s[6:7]
	s_cbranch_execnz .LBB119_139
; %bb.140:
	s_or_b64 exec, exec, s[6:7]
	v_mov_b32_e32 v118, 0
	ds_read_b64 v[118:119], v118 offset:264
	s_waitcnt lgkmcnt(0)
	v_mul_f64 v[114:115], v[114:115], v[118:119]
	buffer_store_dword v115, off, s[0:3], 0 offset:268
	buffer_store_dword v114, off, s[0:3], 0 offset:264
.LBB119_141:
	s_or_b64 exec, exec, s[4:5]
	s_waitcnt lgkmcnt(0)
	; wave barrier
	buffer_load_dword v114, off, s[0:3], 0 offset:272
	buffer_load_dword v115, off, s[0:3], 0 offset:276
	v_cmp_gt_u32_e32 vcc, 34, v0
	s_waitcnt vmcnt(0)
	ds_write_b64 v116, v[114:115]
	s_waitcnt lgkmcnt(0)
	; wave barrier
	s_waitcnt lgkmcnt(0)
	s_and_saveexec_b64 s[4:5], vcc
	s_cbranch_execz .LBB119_145
; %bb.142:
	v_add_u32_e32 v118, -1, v0
	v_add_u32_e32 v119, 0x1c0, v1
	v_add_u32_e32 v120, 0, v1
	s_mov_b64 s[6:7], 0
	v_pk_mov_b32 v[114:115], 0, 0
.LBB119_143:                            ; =>This Inner Loop Header: Depth=1
	buffer_load_dword v122, v120, s[0:3], 0 offen
	buffer_load_dword v123, v120, s[0:3], 0 offen offset:4
	ds_read_b64 v[124:125], v119
	v_add_u32_e32 v118, 1, v118
	v_cmp_lt_u32_e32 vcc, 32, v118
	v_add_u32_e32 v119, 8, v119
	v_add_u32_e32 v120, 8, v120
	s_or_b64 s[6:7], vcc, s[6:7]
	s_waitcnt vmcnt(0) lgkmcnt(0)
	v_fmac_f64_e32 v[114:115], v[122:123], v[124:125]
	s_andn2_b64 exec, exec, s[6:7]
	s_cbranch_execnz .LBB119_143
; %bb.144:
	s_or_b64 exec, exec, s[6:7]
	v_mov_b32_e32 v118, 0
	ds_read_b64 v[118:119], v118 offset:272
	s_waitcnt lgkmcnt(0)
	v_mul_f64 v[114:115], v[114:115], v[118:119]
	buffer_store_dword v115, off, s[0:3], 0 offset:276
	buffer_store_dword v114, off, s[0:3], 0 offset:272
.LBB119_145:
	s_or_b64 exec, exec, s[4:5]
	s_waitcnt lgkmcnt(0)
	; wave barrier
	buffer_load_dword v114, off, s[0:3], 0 offset:280
	buffer_load_dword v115, off, s[0:3], 0 offset:284
	v_cmp_gt_u32_e32 vcc, 35, v0
	s_waitcnt vmcnt(0)
	ds_write_b64 v116, v[114:115]
	s_waitcnt lgkmcnt(0)
	; wave barrier
	s_waitcnt lgkmcnt(0)
	s_and_saveexec_b64 s[4:5], vcc
	s_cbranch_execz .LBB119_149
; %bb.146:
	v_add_u32_e32 v118, -1, v0
	v_add_u32_e32 v119, 0x1c0, v1
	v_add_u32_e32 v120, 0, v1
	s_mov_b64 s[6:7], 0
	v_pk_mov_b32 v[114:115], 0, 0
.LBB119_147:                            ; =>This Inner Loop Header: Depth=1
	buffer_load_dword v122, v120, s[0:3], 0 offen
	buffer_load_dword v123, v120, s[0:3], 0 offen offset:4
	ds_read_b64 v[124:125], v119
	v_add_u32_e32 v118, 1, v118
	v_cmp_lt_u32_e32 vcc, 33, v118
	v_add_u32_e32 v119, 8, v119
	v_add_u32_e32 v120, 8, v120
	s_or_b64 s[6:7], vcc, s[6:7]
	s_waitcnt vmcnt(0) lgkmcnt(0)
	v_fmac_f64_e32 v[114:115], v[122:123], v[124:125]
	s_andn2_b64 exec, exec, s[6:7]
	s_cbranch_execnz .LBB119_147
; %bb.148:
	s_or_b64 exec, exec, s[6:7]
	v_mov_b32_e32 v118, 0
	ds_read_b64 v[118:119], v118 offset:280
	s_waitcnt lgkmcnt(0)
	v_mul_f64 v[114:115], v[114:115], v[118:119]
	buffer_store_dword v115, off, s[0:3], 0 offset:284
	buffer_store_dword v114, off, s[0:3], 0 offset:280
.LBB119_149:
	s_or_b64 exec, exec, s[4:5]
	s_waitcnt lgkmcnt(0)
	; wave barrier
	buffer_load_dword v114, off, s[0:3], 0 offset:288
	buffer_load_dword v115, off, s[0:3], 0 offset:292
	v_cmp_gt_u32_e32 vcc, 36, v0
	s_waitcnt vmcnt(0)
	ds_write_b64 v116, v[114:115]
	s_waitcnt lgkmcnt(0)
	; wave barrier
	s_waitcnt lgkmcnt(0)
	s_and_saveexec_b64 s[4:5], vcc
	s_cbranch_execz .LBB119_153
; %bb.150:
	v_add_u32_e32 v118, -1, v0
	v_add_u32_e32 v119, 0x1c0, v1
	v_add_u32_e32 v120, 0, v1
	s_mov_b64 s[6:7], 0
	v_pk_mov_b32 v[114:115], 0, 0
.LBB119_151:                            ; =>This Inner Loop Header: Depth=1
	buffer_load_dword v122, v120, s[0:3], 0 offen
	buffer_load_dword v123, v120, s[0:3], 0 offen offset:4
	ds_read_b64 v[124:125], v119
	v_add_u32_e32 v118, 1, v118
	v_cmp_lt_u32_e32 vcc, 34, v118
	v_add_u32_e32 v119, 8, v119
	v_add_u32_e32 v120, 8, v120
	s_or_b64 s[6:7], vcc, s[6:7]
	s_waitcnt vmcnt(0) lgkmcnt(0)
	v_fmac_f64_e32 v[114:115], v[122:123], v[124:125]
	s_andn2_b64 exec, exec, s[6:7]
	s_cbranch_execnz .LBB119_151
; %bb.152:
	s_or_b64 exec, exec, s[6:7]
	v_mov_b32_e32 v118, 0
	ds_read_b64 v[118:119], v118 offset:288
	s_waitcnt lgkmcnt(0)
	v_mul_f64 v[114:115], v[114:115], v[118:119]
	buffer_store_dword v115, off, s[0:3], 0 offset:292
	buffer_store_dword v114, off, s[0:3], 0 offset:288
.LBB119_153:
	s_or_b64 exec, exec, s[4:5]
	s_waitcnt lgkmcnt(0)
	; wave barrier
	buffer_load_dword v114, off, s[0:3], 0 offset:296
	buffer_load_dword v115, off, s[0:3], 0 offset:300
	v_cmp_gt_u32_e32 vcc, 37, v0
	s_waitcnt vmcnt(0)
	ds_write_b64 v116, v[114:115]
	s_waitcnt lgkmcnt(0)
	; wave barrier
	s_waitcnt lgkmcnt(0)
	s_and_saveexec_b64 s[4:5], vcc
	s_cbranch_execz .LBB119_157
; %bb.154:
	v_add_u32_e32 v118, -1, v0
	v_add_u32_e32 v119, 0x1c0, v1
	v_add_u32_e32 v120, 0, v1
	s_mov_b64 s[6:7], 0
	v_pk_mov_b32 v[114:115], 0, 0
.LBB119_155:                            ; =>This Inner Loop Header: Depth=1
	buffer_load_dword v122, v120, s[0:3], 0 offen
	buffer_load_dword v123, v120, s[0:3], 0 offen offset:4
	ds_read_b64 v[124:125], v119
	v_add_u32_e32 v118, 1, v118
	v_cmp_lt_u32_e32 vcc, 35, v118
	v_add_u32_e32 v119, 8, v119
	v_add_u32_e32 v120, 8, v120
	s_or_b64 s[6:7], vcc, s[6:7]
	s_waitcnt vmcnt(0) lgkmcnt(0)
	v_fmac_f64_e32 v[114:115], v[122:123], v[124:125]
	s_andn2_b64 exec, exec, s[6:7]
	s_cbranch_execnz .LBB119_155
; %bb.156:
	s_or_b64 exec, exec, s[6:7]
	v_mov_b32_e32 v118, 0
	ds_read_b64 v[118:119], v118 offset:296
	s_waitcnt lgkmcnt(0)
	v_mul_f64 v[114:115], v[114:115], v[118:119]
	buffer_store_dword v115, off, s[0:3], 0 offset:300
	buffer_store_dword v114, off, s[0:3], 0 offset:296
.LBB119_157:
	s_or_b64 exec, exec, s[4:5]
	s_waitcnt lgkmcnt(0)
	; wave barrier
	buffer_load_dword v114, off, s[0:3], 0 offset:304
	buffer_load_dword v115, off, s[0:3], 0 offset:308
	v_cmp_gt_u32_e32 vcc, 38, v0
	s_waitcnt vmcnt(0)
	ds_write_b64 v116, v[114:115]
	s_waitcnt lgkmcnt(0)
	; wave barrier
	s_waitcnt lgkmcnt(0)
	s_and_saveexec_b64 s[4:5], vcc
	s_cbranch_execz .LBB119_161
; %bb.158:
	v_add_u32_e32 v118, -1, v0
	v_add_u32_e32 v119, 0x1c0, v1
	v_add_u32_e32 v120, 0, v1
	s_mov_b64 s[6:7], 0
	v_pk_mov_b32 v[114:115], 0, 0
.LBB119_159:                            ; =>This Inner Loop Header: Depth=1
	buffer_load_dword v122, v120, s[0:3], 0 offen
	buffer_load_dword v123, v120, s[0:3], 0 offen offset:4
	ds_read_b64 v[124:125], v119
	v_add_u32_e32 v118, 1, v118
	v_cmp_lt_u32_e32 vcc, 36, v118
	v_add_u32_e32 v119, 8, v119
	v_add_u32_e32 v120, 8, v120
	s_or_b64 s[6:7], vcc, s[6:7]
	s_waitcnt vmcnt(0) lgkmcnt(0)
	v_fmac_f64_e32 v[114:115], v[122:123], v[124:125]
	s_andn2_b64 exec, exec, s[6:7]
	s_cbranch_execnz .LBB119_159
; %bb.160:
	s_or_b64 exec, exec, s[6:7]
	v_mov_b32_e32 v118, 0
	ds_read_b64 v[118:119], v118 offset:304
	s_waitcnt lgkmcnt(0)
	v_mul_f64 v[114:115], v[114:115], v[118:119]
	buffer_store_dword v115, off, s[0:3], 0 offset:308
	buffer_store_dword v114, off, s[0:3], 0 offset:304
.LBB119_161:
	s_or_b64 exec, exec, s[4:5]
	s_waitcnt lgkmcnt(0)
	; wave barrier
	buffer_load_dword v114, off, s[0:3], 0 offset:312
	buffer_load_dword v115, off, s[0:3], 0 offset:316
	v_cmp_gt_u32_e32 vcc, 39, v0
	s_waitcnt vmcnt(0)
	ds_write_b64 v116, v[114:115]
	s_waitcnt lgkmcnt(0)
	; wave barrier
	s_waitcnt lgkmcnt(0)
	s_and_saveexec_b64 s[4:5], vcc
	s_cbranch_execz .LBB119_165
; %bb.162:
	v_add_u32_e32 v118, -1, v0
	v_add_u32_e32 v119, 0x1c0, v1
	v_add_u32_e32 v120, 0, v1
	s_mov_b64 s[6:7], 0
	v_pk_mov_b32 v[114:115], 0, 0
.LBB119_163:                            ; =>This Inner Loop Header: Depth=1
	buffer_load_dword v122, v120, s[0:3], 0 offen
	buffer_load_dword v123, v120, s[0:3], 0 offen offset:4
	ds_read_b64 v[124:125], v119
	v_add_u32_e32 v118, 1, v118
	v_cmp_lt_u32_e32 vcc, 37, v118
	v_add_u32_e32 v119, 8, v119
	v_add_u32_e32 v120, 8, v120
	s_or_b64 s[6:7], vcc, s[6:7]
	s_waitcnt vmcnt(0) lgkmcnt(0)
	v_fmac_f64_e32 v[114:115], v[122:123], v[124:125]
	s_andn2_b64 exec, exec, s[6:7]
	s_cbranch_execnz .LBB119_163
; %bb.164:
	s_or_b64 exec, exec, s[6:7]
	v_mov_b32_e32 v118, 0
	ds_read_b64 v[118:119], v118 offset:312
	s_waitcnt lgkmcnt(0)
	v_mul_f64 v[114:115], v[114:115], v[118:119]
	buffer_store_dword v115, off, s[0:3], 0 offset:316
	buffer_store_dword v114, off, s[0:3], 0 offset:312
.LBB119_165:
	s_or_b64 exec, exec, s[4:5]
	s_waitcnt lgkmcnt(0)
	; wave barrier
	buffer_load_dword v114, off, s[0:3], 0 offset:320
	buffer_load_dword v115, off, s[0:3], 0 offset:324
	v_cmp_gt_u32_e32 vcc, 40, v0
	s_waitcnt vmcnt(0)
	ds_write_b64 v116, v[114:115]
	s_waitcnt lgkmcnt(0)
	; wave barrier
	s_waitcnt lgkmcnt(0)
	s_and_saveexec_b64 s[4:5], vcc
	s_cbranch_execz .LBB119_169
; %bb.166:
	v_add_u32_e32 v118, -1, v0
	v_add_u32_e32 v119, 0x1c0, v1
	v_add_u32_e32 v120, 0, v1
	s_mov_b64 s[6:7], 0
	v_pk_mov_b32 v[114:115], 0, 0
.LBB119_167:                            ; =>This Inner Loop Header: Depth=1
	buffer_load_dword v122, v120, s[0:3], 0 offen
	buffer_load_dword v123, v120, s[0:3], 0 offen offset:4
	ds_read_b64 v[124:125], v119
	v_add_u32_e32 v118, 1, v118
	v_cmp_lt_u32_e32 vcc, 38, v118
	v_add_u32_e32 v119, 8, v119
	v_add_u32_e32 v120, 8, v120
	s_or_b64 s[6:7], vcc, s[6:7]
	s_waitcnt vmcnt(0) lgkmcnt(0)
	v_fmac_f64_e32 v[114:115], v[122:123], v[124:125]
	s_andn2_b64 exec, exec, s[6:7]
	s_cbranch_execnz .LBB119_167
; %bb.168:
	s_or_b64 exec, exec, s[6:7]
	v_mov_b32_e32 v118, 0
	ds_read_b64 v[118:119], v118 offset:320
	s_waitcnt lgkmcnt(0)
	v_mul_f64 v[114:115], v[114:115], v[118:119]
	buffer_store_dword v115, off, s[0:3], 0 offset:324
	buffer_store_dword v114, off, s[0:3], 0 offset:320
.LBB119_169:
	s_or_b64 exec, exec, s[4:5]
	s_waitcnt lgkmcnt(0)
	; wave barrier
	buffer_load_dword v114, off, s[0:3], 0 offset:328
	buffer_load_dword v115, off, s[0:3], 0 offset:332
	v_cmp_gt_u32_e32 vcc, 41, v0
	s_waitcnt vmcnt(0)
	ds_write_b64 v116, v[114:115]
	s_waitcnt lgkmcnt(0)
	; wave barrier
	s_waitcnt lgkmcnt(0)
	s_and_saveexec_b64 s[4:5], vcc
	s_cbranch_execz .LBB119_173
; %bb.170:
	v_add_u32_e32 v118, -1, v0
	v_add_u32_e32 v119, 0x1c0, v1
	v_add_u32_e32 v120, 0, v1
	s_mov_b64 s[6:7], 0
	v_pk_mov_b32 v[114:115], 0, 0
.LBB119_171:                            ; =>This Inner Loop Header: Depth=1
	buffer_load_dword v122, v120, s[0:3], 0 offen
	buffer_load_dword v123, v120, s[0:3], 0 offen offset:4
	ds_read_b64 v[124:125], v119
	v_add_u32_e32 v118, 1, v118
	v_cmp_lt_u32_e32 vcc, 39, v118
	v_add_u32_e32 v119, 8, v119
	v_add_u32_e32 v120, 8, v120
	s_or_b64 s[6:7], vcc, s[6:7]
	s_waitcnt vmcnt(0) lgkmcnt(0)
	v_fmac_f64_e32 v[114:115], v[122:123], v[124:125]
	s_andn2_b64 exec, exec, s[6:7]
	s_cbranch_execnz .LBB119_171
; %bb.172:
	s_or_b64 exec, exec, s[6:7]
	v_mov_b32_e32 v118, 0
	ds_read_b64 v[118:119], v118 offset:328
	s_waitcnt lgkmcnt(0)
	v_mul_f64 v[114:115], v[114:115], v[118:119]
	buffer_store_dword v115, off, s[0:3], 0 offset:332
	buffer_store_dword v114, off, s[0:3], 0 offset:328
.LBB119_173:
	s_or_b64 exec, exec, s[4:5]
	s_waitcnt lgkmcnt(0)
	; wave barrier
	buffer_load_dword v114, off, s[0:3], 0 offset:336
	buffer_load_dword v115, off, s[0:3], 0 offset:340
	v_cmp_gt_u32_e32 vcc, 42, v0
	s_waitcnt vmcnt(0)
	ds_write_b64 v116, v[114:115]
	s_waitcnt lgkmcnt(0)
	; wave barrier
	s_waitcnt lgkmcnt(0)
	s_and_saveexec_b64 s[4:5], vcc
	s_cbranch_execz .LBB119_177
; %bb.174:
	v_add_u32_e32 v118, -1, v0
	v_add_u32_e32 v119, 0x1c0, v1
	v_add_u32_e32 v120, 0, v1
	s_mov_b64 s[6:7], 0
	v_pk_mov_b32 v[114:115], 0, 0
.LBB119_175:                            ; =>This Inner Loop Header: Depth=1
	buffer_load_dword v122, v120, s[0:3], 0 offen
	buffer_load_dword v123, v120, s[0:3], 0 offen offset:4
	ds_read_b64 v[124:125], v119
	v_add_u32_e32 v118, 1, v118
	v_cmp_lt_u32_e32 vcc, 40, v118
	v_add_u32_e32 v119, 8, v119
	v_add_u32_e32 v120, 8, v120
	s_or_b64 s[6:7], vcc, s[6:7]
	s_waitcnt vmcnt(0) lgkmcnt(0)
	v_fmac_f64_e32 v[114:115], v[122:123], v[124:125]
	s_andn2_b64 exec, exec, s[6:7]
	s_cbranch_execnz .LBB119_175
; %bb.176:
	s_or_b64 exec, exec, s[6:7]
	v_mov_b32_e32 v118, 0
	ds_read_b64 v[118:119], v118 offset:336
	s_waitcnt lgkmcnt(0)
	v_mul_f64 v[114:115], v[114:115], v[118:119]
	buffer_store_dword v115, off, s[0:3], 0 offset:340
	buffer_store_dword v114, off, s[0:3], 0 offset:336
.LBB119_177:
	s_or_b64 exec, exec, s[4:5]
	s_waitcnt lgkmcnt(0)
	; wave barrier
	buffer_load_dword v114, off, s[0:3], 0 offset:344
	buffer_load_dword v115, off, s[0:3], 0 offset:348
	v_cmp_gt_u32_e32 vcc, 43, v0
	s_waitcnt vmcnt(0)
	ds_write_b64 v116, v[114:115]
	s_waitcnt lgkmcnt(0)
	; wave barrier
	s_waitcnt lgkmcnt(0)
	s_and_saveexec_b64 s[4:5], vcc
	s_cbranch_execz .LBB119_181
; %bb.178:
	v_add_u32_e32 v118, -1, v0
	v_add_u32_e32 v119, 0x1c0, v1
	v_add_u32_e32 v120, 0, v1
	s_mov_b64 s[6:7], 0
	v_pk_mov_b32 v[114:115], 0, 0
.LBB119_179:                            ; =>This Inner Loop Header: Depth=1
	buffer_load_dword v122, v120, s[0:3], 0 offen
	buffer_load_dword v123, v120, s[0:3], 0 offen offset:4
	ds_read_b64 v[124:125], v119
	v_add_u32_e32 v118, 1, v118
	v_cmp_lt_u32_e32 vcc, 41, v118
	v_add_u32_e32 v119, 8, v119
	v_add_u32_e32 v120, 8, v120
	s_or_b64 s[6:7], vcc, s[6:7]
	s_waitcnt vmcnt(0) lgkmcnt(0)
	v_fmac_f64_e32 v[114:115], v[122:123], v[124:125]
	s_andn2_b64 exec, exec, s[6:7]
	s_cbranch_execnz .LBB119_179
; %bb.180:
	s_or_b64 exec, exec, s[6:7]
	v_mov_b32_e32 v118, 0
	ds_read_b64 v[118:119], v118 offset:344
	s_waitcnt lgkmcnt(0)
	v_mul_f64 v[114:115], v[114:115], v[118:119]
	buffer_store_dword v115, off, s[0:3], 0 offset:348
	buffer_store_dword v114, off, s[0:3], 0 offset:344
.LBB119_181:
	s_or_b64 exec, exec, s[4:5]
	s_waitcnt lgkmcnt(0)
	; wave barrier
	buffer_load_dword v114, off, s[0:3], 0 offset:352
	buffer_load_dword v115, off, s[0:3], 0 offset:356
	v_cmp_gt_u32_e32 vcc, 44, v0
	s_waitcnt vmcnt(0)
	ds_write_b64 v116, v[114:115]
	s_waitcnt lgkmcnt(0)
	; wave barrier
	s_waitcnt lgkmcnt(0)
	s_and_saveexec_b64 s[4:5], vcc
	s_cbranch_execz .LBB119_185
; %bb.182:
	v_add_u32_e32 v118, -1, v0
	v_add_u32_e32 v119, 0x1c0, v1
	v_add_u32_e32 v120, 0, v1
	s_mov_b64 s[6:7], 0
	v_pk_mov_b32 v[114:115], 0, 0
.LBB119_183:                            ; =>This Inner Loop Header: Depth=1
	buffer_load_dword v122, v120, s[0:3], 0 offen
	buffer_load_dword v123, v120, s[0:3], 0 offen offset:4
	ds_read_b64 v[124:125], v119
	v_add_u32_e32 v118, 1, v118
	v_cmp_lt_u32_e32 vcc, 42, v118
	v_add_u32_e32 v119, 8, v119
	v_add_u32_e32 v120, 8, v120
	s_or_b64 s[6:7], vcc, s[6:7]
	s_waitcnt vmcnt(0) lgkmcnt(0)
	v_fmac_f64_e32 v[114:115], v[122:123], v[124:125]
	s_andn2_b64 exec, exec, s[6:7]
	s_cbranch_execnz .LBB119_183
; %bb.184:
	s_or_b64 exec, exec, s[6:7]
	v_mov_b32_e32 v118, 0
	ds_read_b64 v[118:119], v118 offset:352
	s_waitcnt lgkmcnt(0)
	v_mul_f64 v[114:115], v[114:115], v[118:119]
	buffer_store_dword v115, off, s[0:3], 0 offset:356
	buffer_store_dword v114, off, s[0:3], 0 offset:352
.LBB119_185:
	s_or_b64 exec, exec, s[4:5]
	s_waitcnt lgkmcnt(0)
	; wave barrier
	buffer_load_dword v114, off, s[0:3], 0 offset:360
	buffer_load_dword v115, off, s[0:3], 0 offset:364
	v_cmp_gt_u32_e32 vcc, 45, v0
	s_waitcnt vmcnt(0)
	ds_write_b64 v116, v[114:115]
	s_waitcnt lgkmcnt(0)
	; wave barrier
	s_waitcnt lgkmcnt(0)
	s_and_saveexec_b64 s[4:5], vcc
	s_cbranch_execz .LBB119_189
; %bb.186:
	v_add_u32_e32 v118, -1, v0
	v_add_u32_e32 v119, 0x1c0, v1
	v_add_u32_e32 v120, 0, v1
	s_mov_b64 s[6:7], 0
	v_pk_mov_b32 v[114:115], 0, 0
.LBB119_187:                            ; =>This Inner Loop Header: Depth=1
	buffer_load_dword v122, v120, s[0:3], 0 offen
	buffer_load_dword v123, v120, s[0:3], 0 offen offset:4
	ds_read_b64 v[124:125], v119
	v_add_u32_e32 v118, 1, v118
	v_cmp_lt_u32_e32 vcc, 43, v118
	v_add_u32_e32 v119, 8, v119
	v_add_u32_e32 v120, 8, v120
	s_or_b64 s[6:7], vcc, s[6:7]
	s_waitcnt vmcnt(0) lgkmcnt(0)
	v_fmac_f64_e32 v[114:115], v[122:123], v[124:125]
	s_andn2_b64 exec, exec, s[6:7]
	s_cbranch_execnz .LBB119_187
; %bb.188:
	s_or_b64 exec, exec, s[6:7]
	v_mov_b32_e32 v118, 0
	ds_read_b64 v[118:119], v118 offset:360
	s_waitcnt lgkmcnt(0)
	v_mul_f64 v[114:115], v[114:115], v[118:119]
	buffer_store_dword v115, off, s[0:3], 0 offset:364
	buffer_store_dword v114, off, s[0:3], 0 offset:360
.LBB119_189:
	s_or_b64 exec, exec, s[4:5]
	s_waitcnt lgkmcnt(0)
	; wave barrier
	buffer_load_dword v114, off, s[0:3], 0 offset:368
	buffer_load_dword v115, off, s[0:3], 0 offset:372
	v_cmp_gt_u32_e32 vcc, 46, v0
	s_waitcnt vmcnt(0)
	ds_write_b64 v116, v[114:115]
	s_waitcnt lgkmcnt(0)
	; wave barrier
	s_waitcnt lgkmcnt(0)
	s_and_saveexec_b64 s[4:5], vcc
	s_cbranch_execz .LBB119_193
; %bb.190:
	v_add_u32_e32 v118, -1, v0
	v_add_u32_e32 v119, 0x1c0, v1
	v_add_u32_e32 v120, 0, v1
	s_mov_b64 s[6:7], 0
	v_pk_mov_b32 v[114:115], 0, 0
.LBB119_191:                            ; =>This Inner Loop Header: Depth=1
	buffer_load_dword v122, v120, s[0:3], 0 offen
	buffer_load_dword v123, v120, s[0:3], 0 offen offset:4
	ds_read_b64 v[124:125], v119
	v_add_u32_e32 v118, 1, v118
	v_cmp_lt_u32_e32 vcc, 44, v118
	v_add_u32_e32 v119, 8, v119
	v_add_u32_e32 v120, 8, v120
	s_or_b64 s[6:7], vcc, s[6:7]
	s_waitcnt vmcnt(0) lgkmcnt(0)
	v_fmac_f64_e32 v[114:115], v[122:123], v[124:125]
	s_andn2_b64 exec, exec, s[6:7]
	s_cbranch_execnz .LBB119_191
; %bb.192:
	s_or_b64 exec, exec, s[6:7]
	v_mov_b32_e32 v118, 0
	ds_read_b64 v[118:119], v118 offset:368
	s_waitcnt lgkmcnt(0)
	v_mul_f64 v[114:115], v[114:115], v[118:119]
	buffer_store_dword v115, off, s[0:3], 0 offset:372
	buffer_store_dword v114, off, s[0:3], 0 offset:368
.LBB119_193:
	s_or_b64 exec, exec, s[4:5]
	s_waitcnt lgkmcnt(0)
	; wave barrier
	buffer_load_dword v114, off, s[0:3], 0 offset:376
	buffer_load_dword v115, off, s[0:3], 0 offset:380
	v_cmp_gt_u32_e32 vcc, 47, v0
	s_waitcnt vmcnt(0)
	ds_write_b64 v116, v[114:115]
	s_waitcnt lgkmcnt(0)
	; wave barrier
	s_waitcnt lgkmcnt(0)
	s_and_saveexec_b64 s[4:5], vcc
	s_cbranch_execz .LBB119_197
; %bb.194:
	v_add_u32_e32 v118, -1, v0
	v_add_u32_e32 v119, 0x1c0, v1
	v_add_u32_e32 v120, 0, v1
	s_mov_b64 s[6:7], 0
	v_pk_mov_b32 v[114:115], 0, 0
.LBB119_195:                            ; =>This Inner Loop Header: Depth=1
	buffer_load_dword v122, v120, s[0:3], 0 offen
	buffer_load_dword v123, v120, s[0:3], 0 offen offset:4
	ds_read_b64 v[124:125], v119
	v_add_u32_e32 v118, 1, v118
	v_cmp_lt_u32_e32 vcc, 45, v118
	v_add_u32_e32 v119, 8, v119
	v_add_u32_e32 v120, 8, v120
	s_or_b64 s[6:7], vcc, s[6:7]
	s_waitcnt vmcnt(0) lgkmcnt(0)
	v_fmac_f64_e32 v[114:115], v[122:123], v[124:125]
	s_andn2_b64 exec, exec, s[6:7]
	s_cbranch_execnz .LBB119_195
; %bb.196:
	s_or_b64 exec, exec, s[6:7]
	v_mov_b32_e32 v118, 0
	ds_read_b64 v[118:119], v118 offset:376
	s_waitcnt lgkmcnt(0)
	v_mul_f64 v[114:115], v[114:115], v[118:119]
	buffer_store_dword v115, off, s[0:3], 0 offset:380
	buffer_store_dword v114, off, s[0:3], 0 offset:376
.LBB119_197:
	s_or_b64 exec, exec, s[4:5]
	s_waitcnt lgkmcnt(0)
	; wave barrier
	buffer_load_dword v114, off, s[0:3], 0 offset:384
	buffer_load_dword v115, off, s[0:3], 0 offset:388
	v_cmp_gt_u32_e32 vcc, 48, v0
	s_waitcnt vmcnt(0)
	ds_write_b64 v116, v[114:115]
	s_waitcnt lgkmcnt(0)
	; wave barrier
	s_waitcnt lgkmcnt(0)
	s_and_saveexec_b64 s[4:5], vcc
	s_cbranch_execz .LBB119_201
; %bb.198:
	v_add_u32_e32 v118, -1, v0
	v_add_u32_e32 v119, 0x1c0, v1
	v_add_u32_e32 v120, 0, v1
	s_mov_b64 s[6:7], 0
	v_pk_mov_b32 v[114:115], 0, 0
.LBB119_199:                            ; =>This Inner Loop Header: Depth=1
	buffer_load_dword v122, v120, s[0:3], 0 offen
	buffer_load_dword v123, v120, s[0:3], 0 offen offset:4
	ds_read_b64 v[124:125], v119
	v_add_u32_e32 v118, 1, v118
	v_cmp_lt_u32_e32 vcc, 46, v118
	v_add_u32_e32 v119, 8, v119
	v_add_u32_e32 v120, 8, v120
	s_or_b64 s[6:7], vcc, s[6:7]
	s_waitcnt vmcnt(0) lgkmcnt(0)
	v_fmac_f64_e32 v[114:115], v[122:123], v[124:125]
	s_andn2_b64 exec, exec, s[6:7]
	s_cbranch_execnz .LBB119_199
; %bb.200:
	s_or_b64 exec, exec, s[6:7]
	v_mov_b32_e32 v118, 0
	ds_read_b64 v[118:119], v118 offset:384
	s_waitcnt lgkmcnt(0)
	v_mul_f64 v[114:115], v[114:115], v[118:119]
	buffer_store_dword v115, off, s[0:3], 0 offset:388
	buffer_store_dword v114, off, s[0:3], 0 offset:384
.LBB119_201:
	s_or_b64 exec, exec, s[4:5]
	s_waitcnt lgkmcnt(0)
	; wave barrier
	buffer_load_dword v114, off, s[0:3], 0 offset:392
	buffer_load_dword v115, off, s[0:3], 0 offset:396
	v_cmp_gt_u32_e32 vcc, 49, v0
	s_waitcnt vmcnt(0)
	ds_write_b64 v116, v[114:115]
	s_waitcnt lgkmcnt(0)
	; wave barrier
	s_waitcnt lgkmcnt(0)
	s_and_saveexec_b64 s[4:5], vcc
	s_cbranch_execz .LBB119_205
; %bb.202:
	v_add_u32_e32 v118, -1, v0
	v_add_u32_e32 v119, 0x1c0, v1
	v_add_u32_e32 v120, 0, v1
	s_mov_b64 s[6:7], 0
	v_pk_mov_b32 v[114:115], 0, 0
.LBB119_203:                            ; =>This Inner Loop Header: Depth=1
	buffer_load_dword v122, v120, s[0:3], 0 offen
	buffer_load_dword v123, v120, s[0:3], 0 offen offset:4
	ds_read_b64 v[124:125], v119
	v_add_u32_e32 v118, 1, v118
	v_cmp_lt_u32_e32 vcc, 47, v118
	v_add_u32_e32 v119, 8, v119
	v_add_u32_e32 v120, 8, v120
	s_or_b64 s[6:7], vcc, s[6:7]
	s_waitcnt vmcnt(0) lgkmcnt(0)
	v_fmac_f64_e32 v[114:115], v[122:123], v[124:125]
	s_andn2_b64 exec, exec, s[6:7]
	s_cbranch_execnz .LBB119_203
; %bb.204:
	s_or_b64 exec, exec, s[6:7]
	v_mov_b32_e32 v118, 0
	ds_read_b64 v[118:119], v118 offset:392
	s_waitcnt lgkmcnt(0)
	v_mul_f64 v[114:115], v[114:115], v[118:119]
	buffer_store_dword v115, off, s[0:3], 0 offset:396
	buffer_store_dword v114, off, s[0:3], 0 offset:392
.LBB119_205:
	s_or_b64 exec, exec, s[4:5]
	s_waitcnt lgkmcnt(0)
	; wave barrier
	buffer_load_dword v114, off, s[0:3], 0 offset:400
	buffer_load_dword v115, off, s[0:3], 0 offset:404
	v_cmp_gt_u32_e32 vcc, 50, v0
	s_waitcnt vmcnt(0)
	ds_write_b64 v116, v[114:115]
	s_waitcnt lgkmcnt(0)
	; wave barrier
	s_waitcnt lgkmcnt(0)
	s_and_saveexec_b64 s[4:5], vcc
	s_cbranch_execz .LBB119_209
; %bb.206:
	v_add_u32_e32 v118, -1, v0
	v_add_u32_e32 v119, 0x1c0, v1
	v_add_u32_e32 v120, 0, v1
	s_mov_b64 s[6:7], 0
	v_pk_mov_b32 v[114:115], 0, 0
.LBB119_207:                            ; =>This Inner Loop Header: Depth=1
	buffer_load_dword v122, v120, s[0:3], 0 offen
	buffer_load_dword v123, v120, s[0:3], 0 offen offset:4
	ds_read_b64 v[124:125], v119
	v_add_u32_e32 v118, 1, v118
	v_cmp_lt_u32_e32 vcc, 48, v118
	v_add_u32_e32 v119, 8, v119
	v_add_u32_e32 v120, 8, v120
	s_or_b64 s[6:7], vcc, s[6:7]
	s_waitcnt vmcnt(0) lgkmcnt(0)
	v_fmac_f64_e32 v[114:115], v[122:123], v[124:125]
	s_andn2_b64 exec, exec, s[6:7]
	s_cbranch_execnz .LBB119_207
; %bb.208:
	s_or_b64 exec, exec, s[6:7]
	v_mov_b32_e32 v118, 0
	ds_read_b64 v[118:119], v118 offset:400
	s_waitcnt lgkmcnt(0)
	v_mul_f64 v[114:115], v[114:115], v[118:119]
	buffer_store_dword v115, off, s[0:3], 0 offset:404
	buffer_store_dword v114, off, s[0:3], 0 offset:400
.LBB119_209:
	s_or_b64 exec, exec, s[4:5]
	s_waitcnt lgkmcnt(0)
	; wave barrier
	buffer_load_dword v114, off, s[0:3], 0 offset:408
	buffer_load_dword v115, off, s[0:3], 0 offset:412
	v_cmp_gt_u32_e32 vcc, 51, v0
	s_waitcnt vmcnt(0)
	ds_write_b64 v116, v[114:115]
	s_waitcnt lgkmcnt(0)
	; wave barrier
	s_waitcnt lgkmcnt(0)
	s_and_saveexec_b64 s[4:5], vcc
	s_cbranch_execz .LBB119_213
; %bb.210:
	v_add_u32_e32 v118, -1, v0
	v_add_u32_e32 v119, 0x1c0, v1
	v_add_u32_e32 v120, 0, v1
	s_mov_b64 s[6:7], 0
	v_pk_mov_b32 v[114:115], 0, 0
.LBB119_211:                            ; =>This Inner Loop Header: Depth=1
	buffer_load_dword v122, v120, s[0:3], 0 offen
	buffer_load_dword v123, v120, s[0:3], 0 offen offset:4
	ds_read_b64 v[124:125], v119
	v_add_u32_e32 v118, 1, v118
	v_cmp_lt_u32_e32 vcc, 49, v118
	v_add_u32_e32 v119, 8, v119
	v_add_u32_e32 v120, 8, v120
	s_or_b64 s[6:7], vcc, s[6:7]
	s_waitcnt vmcnt(0) lgkmcnt(0)
	v_fmac_f64_e32 v[114:115], v[122:123], v[124:125]
	s_andn2_b64 exec, exec, s[6:7]
	s_cbranch_execnz .LBB119_211
; %bb.212:
	s_or_b64 exec, exec, s[6:7]
	v_mov_b32_e32 v118, 0
	ds_read_b64 v[118:119], v118 offset:408
	s_waitcnt lgkmcnt(0)
	v_mul_f64 v[114:115], v[114:115], v[118:119]
	buffer_store_dword v115, off, s[0:3], 0 offset:412
	buffer_store_dword v114, off, s[0:3], 0 offset:408
.LBB119_213:
	s_or_b64 exec, exec, s[4:5]
	s_waitcnt lgkmcnt(0)
	; wave barrier
	buffer_load_dword v114, off, s[0:3], 0 offset:416
	buffer_load_dword v115, off, s[0:3], 0 offset:420
	v_cmp_gt_u32_e32 vcc, 52, v0
	s_waitcnt vmcnt(0)
	ds_write_b64 v116, v[114:115]
	s_waitcnt lgkmcnt(0)
	; wave barrier
	s_waitcnt lgkmcnt(0)
	s_and_saveexec_b64 s[4:5], vcc
	s_cbranch_execz .LBB119_217
; %bb.214:
	v_add_u32_e32 v118, -1, v0
	v_add_u32_e32 v119, 0x1c0, v1
	v_add_u32_e32 v120, 0, v1
	s_mov_b64 s[6:7], 0
	v_pk_mov_b32 v[114:115], 0, 0
.LBB119_215:                            ; =>This Inner Loop Header: Depth=1
	buffer_load_dword v122, v120, s[0:3], 0 offen
	buffer_load_dword v123, v120, s[0:3], 0 offen offset:4
	ds_read_b64 v[124:125], v119
	v_add_u32_e32 v118, 1, v118
	v_cmp_lt_u32_e32 vcc, 50, v118
	v_add_u32_e32 v119, 8, v119
	v_add_u32_e32 v120, 8, v120
	s_or_b64 s[6:7], vcc, s[6:7]
	s_waitcnt vmcnt(0) lgkmcnt(0)
	v_fmac_f64_e32 v[114:115], v[122:123], v[124:125]
	s_andn2_b64 exec, exec, s[6:7]
	s_cbranch_execnz .LBB119_215
; %bb.216:
	s_or_b64 exec, exec, s[6:7]
	v_mov_b32_e32 v118, 0
	ds_read_b64 v[118:119], v118 offset:416
	s_waitcnt lgkmcnt(0)
	v_mul_f64 v[114:115], v[114:115], v[118:119]
	buffer_store_dword v115, off, s[0:3], 0 offset:420
	buffer_store_dword v114, off, s[0:3], 0 offset:416
.LBB119_217:
	s_or_b64 exec, exec, s[4:5]
	s_waitcnt lgkmcnt(0)
	; wave barrier
	buffer_load_dword v114, off, s[0:3], 0 offset:424
	buffer_load_dword v115, off, s[0:3], 0 offset:428
	v_cmp_gt_u32_e32 vcc, 53, v0
	s_waitcnt vmcnt(0)
	ds_write_b64 v116, v[114:115]
	s_waitcnt lgkmcnt(0)
	; wave barrier
	s_waitcnt lgkmcnt(0)
	s_and_saveexec_b64 s[4:5], vcc
	s_cbranch_execz .LBB119_221
; %bb.218:
	v_add_u32_e32 v118, -1, v0
	v_add_u32_e32 v119, 0x1c0, v1
	v_add_u32_e32 v120, 0, v1
	s_mov_b64 s[6:7], 0
	v_pk_mov_b32 v[114:115], 0, 0
.LBB119_219:                            ; =>This Inner Loop Header: Depth=1
	buffer_load_dword v122, v120, s[0:3], 0 offen
	buffer_load_dword v123, v120, s[0:3], 0 offen offset:4
	ds_read_b64 v[124:125], v119
	v_add_u32_e32 v118, 1, v118
	v_cmp_lt_u32_e32 vcc, 51, v118
	v_add_u32_e32 v119, 8, v119
	v_add_u32_e32 v120, 8, v120
	s_or_b64 s[6:7], vcc, s[6:7]
	s_waitcnt vmcnt(0) lgkmcnt(0)
	v_fmac_f64_e32 v[114:115], v[122:123], v[124:125]
	s_andn2_b64 exec, exec, s[6:7]
	s_cbranch_execnz .LBB119_219
; %bb.220:
	s_or_b64 exec, exec, s[6:7]
	v_mov_b32_e32 v118, 0
	ds_read_b64 v[118:119], v118 offset:424
	s_waitcnt lgkmcnt(0)
	v_mul_f64 v[114:115], v[114:115], v[118:119]
	buffer_store_dword v115, off, s[0:3], 0 offset:428
	buffer_store_dword v114, off, s[0:3], 0 offset:424
.LBB119_221:
	s_or_b64 exec, exec, s[4:5]
	s_waitcnt lgkmcnt(0)
	; wave barrier
	buffer_load_dword v114, off, s[0:3], 0 offset:432
	buffer_load_dword v115, off, s[0:3], 0 offset:436
	v_cmp_gt_u32_e32 vcc, 54, v0
	s_waitcnt vmcnt(0)
	ds_write_b64 v116, v[114:115]
	s_waitcnt lgkmcnt(0)
	; wave barrier
	s_waitcnt lgkmcnt(0)
	s_and_saveexec_b64 s[4:5], vcc
	s_cbranch_execz .LBB119_225
; %bb.222:
	v_add_u32_e32 v118, -1, v0
	v_add_u32_e32 v119, 0x1c0, v1
	v_add_u32_e32 v120, 0, v1
	s_mov_b64 s[6:7], 0
	v_pk_mov_b32 v[114:115], 0, 0
.LBB119_223:                            ; =>This Inner Loop Header: Depth=1
	buffer_load_dword v122, v120, s[0:3], 0 offen
	buffer_load_dword v123, v120, s[0:3], 0 offen offset:4
	ds_read_b64 v[124:125], v119
	v_add_u32_e32 v118, 1, v118
	v_cmp_lt_u32_e32 vcc, 52, v118
	v_add_u32_e32 v119, 8, v119
	v_add_u32_e32 v120, 8, v120
	s_or_b64 s[6:7], vcc, s[6:7]
	s_waitcnt vmcnt(0) lgkmcnt(0)
	v_fmac_f64_e32 v[114:115], v[122:123], v[124:125]
	s_andn2_b64 exec, exec, s[6:7]
	s_cbranch_execnz .LBB119_223
; %bb.224:
	s_or_b64 exec, exec, s[6:7]
	v_mov_b32_e32 v118, 0
	ds_read_b64 v[118:119], v118 offset:432
	s_waitcnt lgkmcnt(0)
	v_mul_f64 v[114:115], v[114:115], v[118:119]
	buffer_store_dword v115, off, s[0:3], 0 offset:436
	buffer_store_dword v114, off, s[0:3], 0 offset:432
.LBB119_225:
	s_or_b64 exec, exec, s[4:5]
	s_waitcnt lgkmcnt(0)
	; wave barrier
	buffer_load_dword v114, off, s[0:3], 0 offset:440
	buffer_load_dword v115, off, s[0:3], 0 offset:444
	v_cmp_ne_u32_e32 vcc, 55, v0
	s_waitcnt vmcnt(0)
	ds_write_b64 v116, v[114:115]
	s_waitcnt lgkmcnt(0)
	; wave barrier
	s_waitcnt lgkmcnt(0)
	s_and_saveexec_b64 s[4:5], vcc
	s_cbranch_execz .LBB119_229
; %bb.226:
	v_add_u32_e32 v116, 0x1c0, v1
	v_add_u32_e32 v1, 0, v1
	s_mov_b64 s[6:7], 0
	v_pk_mov_b32 v[114:115], 0, 0
.LBB119_227:                            ; =>This Inner Loop Header: Depth=1
	buffer_load_dword v118, v1, s[0:3], 0 offen
	buffer_load_dword v119, v1, s[0:3], 0 offen offset:4
	ds_read_b64 v[120:121], v116
	v_add_u32_e32 v117, 1, v117
	v_cmp_lt_u32_e32 vcc, 53, v117
	v_add_u32_e32 v116, 8, v116
	v_add_u32_e32 v1, 8, v1
	s_or_b64 s[6:7], vcc, s[6:7]
	s_waitcnt vmcnt(0) lgkmcnt(0)
	v_fmac_f64_e32 v[114:115], v[118:119], v[120:121]
	s_andn2_b64 exec, exec, s[6:7]
	s_cbranch_execnz .LBB119_227
; %bb.228:
	s_or_b64 exec, exec, s[6:7]
	v_mov_b32_e32 v1, 0
	ds_read_b64 v[116:117], v1 offset:440
	s_waitcnt lgkmcnt(0)
	v_mul_f64 v[114:115], v[114:115], v[116:117]
	buffer_store_dword v115, off, s[0:3], 0 offset:444
	buffer_store_dword v114, off, s[0:3], 0 offset:440
.LBB119_229:
	s_or_b64 exec, exec, s[4:5]
	s_mov_b64 s[6:7], -1
	s_waitcnt lgkmcnt(0)
	; wave barrier
.LBB119_230:
	s_and_b64 vcc, exec, s[6:7]
	s_cbranch_vccz .LBB119_232
; %bb.231:
	s_lshl_b64 s[4:5], s[8:9], 2
	s_add_u32 s4, s14, s4
	s_addc_u32 s5, s15, s5
	v_mov_b32_e32 v1, 0
	global_load_dword v1, v1, s[4:5]
	s_waitcnt vmcnt(0)
	v_cmp_ne_u32_e32 vcc, 0, v1
	s_cbranch_vccz .LBB119_233
.LBB119_232:
	s_endpgm
.LBB119_233:
	v_mov_b32_e32 v1, 0x1c0
	v_lshl_add_u32 v1, v0, 3, v1
	v_cmp_eq_u32_e32 vcc, 55, v0
	s_and_saveexec_b64 s[4:5], vcc
	s_cbranch_execz .LBB119_235
; %bb.234:
	buffer_load_dword v114, off, s[0:3], 0 offset:432
	buffer_load_dword v115, off, s[0:3], 0 offset:436
	v_mov_b32_e32 v116, 0
	buffer_store_dword v116, off, s[0:3], 0 offset:432
	buffer_store_dword v116, off, s[0:3], 0 offset:436
	s_waitcnt vmcnt(2)
	ds_write_b64 v1, v[114:115]
.LBB119_235:
	s_or_b64 exec, exec, s[4:5]
	s_waitcnt lgkmcnt(0)
	; wave barrier
	s_waitcnt lgkmcnt(0)
	buffer_load_dword v116, off, s[0:3], 0 offset:440
	buffer_load_dword v117, off, s[0:3], 0 offset:444
	;; [unrolled: 1-line block ×4, first 2 shown]
	v_mov_b32_e32 v114, 0
	ds_read_b64 v[120:121], v114 offset:888
	v_cmp_lt_u32_e32 vcc, 53, v0
	s_waitcnt vmcnt(2) lgkmcnt(0)
	v_fma_f64 v[116:117], v[116:117], v[120:121], 0
	s_waitcnt vmcnt(0)
	v_add_f64 v[116:117], v[118:119], -v[116:117]
	buffer_store_dword v116, off, s[0:3], 0 offset:432
	buffer_store_dword v117, off, s[0:3], 0 offset:436
	s_and_saveexec_b64 s[4:5], vcc
	s_cbranch_execz .LBB119_237
; %bb.236:
	buffer_load_dword v116, off, s[0:3], 0 offset:424
	buffer_load_dword v117, off, s[0:3], 0 offset:428
	s_waitcnt vmcnt(0)
	ds_write_b64 v1, v[116:117]
	buffer_store_dword v114, off, s[0:3], 0 offset:424
	buffer_store_dword v114, off, s[0:3], 0 offset:428
.LBB119_237:
	s_or_b64 exec, exec, s[4:5]
	s_waitcnt lgkmcnt(0)
	; wave barrier
	s_waitcnt lgkmcnt(0)
	buffer_load_dword v118, off, s[0:3], 0 offset:432
	buffer_load_dword v119, off, s[0:3], 0 offset:436
	;; [unrolled: 1-line block ×6, first 2 shown]
	ds_read_b128 v[114:117], v114 offset:880
	v_cmp_lt_u32_e32 vcc, 52, v0
	s_waitcnt vmcnt(4) lgkmcnt(0)
	v_fma_f64 v[114:115], v[118:119], v[114:115], 0
	s_waitcnt vmcnt(2)
	v_fmac_f64_e32 v[114:115], v[120:121], v[116:117]
	s_waitcnt vmcnt(0)
	v_add_f64 v[114:115], v[122:123], -v[114:115]
	buffer_store_dword v114, off, s[0:3], 0 offset:424
	buffer_store_dword v115, off, s[0:3], 0 offset:428
	s_and_saveexec_b64 s[4:5], vcc
	s_cbranch_execz .LBB119_239
; %bb.238:
	buffer_load_dword v114, off, s[0:3], 0 offset:416
	buffer_load_dword v115, off, s[0:3], 0 offset:420
	v_mov_b32_e32 v116, 0
	buffer_store_dword v116, off, s[0:3], 0 offset:416
	buffer_store_dword v116, off, s[0:3], 0 offset:420
	s_waitcnt vmcnt(2)
	ds_write_b64 v1, v[114:115]
.LBB119_239:
	s_or_b64 exec, exec, s[4:5]
	s_waitcnt lgkmcnt(0)
	; wave barrier
	s_waitcnt lgkmcnt(0)
	buffer_load_dword v120, off, s[0:3], 0 offset:424
	buffer_load_dword v121, off, s[0:3], 0 offset:428
	;; [unrolled: 1-line block ×8, first 2 shown]
	v_mov_b32_e32 v114, 0
	ds_read2_b64 v[116:119], v114 offset0:109 offset1:110
	ds_read_b64 v[128:129], v114 offset:888
	v_cmp_lt_u32_e32 vcc, 51, v0
	s_waitcnt vmcnt(6) lgkmcnt(1)
	v_fma_f64 v[116:117], v[120:121], v[116:117], 0
	s_waitcnt vmcnt(4)
	v_fmac_f64_e32 v[116:117], v[122:123], v[118:119]
	s_waitcnt vmcnt(2) lgkmcnt(0)
	v_fmac_f64_e32 v[116:117], v[124:125], v[128:129]
	s_waitcnt vmcnt(0)
	v_add_f64 v[116:117], v[126:127], -v[116:117]
	buffer_store_dword v116, off, s[0:3], 0 offset:416
	buffer_store_dword v117, off, s[0:3], 0 offset:420
	s_and_saveexec_b64 s[4:5], vcc
	s_cbranch_execz .LBB119_241
; %bb.240:
	buffer_load_dword v116, off, s[0:3], 0 offset:408
	buffer_load_dword v117, off, s[0:3], 0 offset:412
	s_waitcnt vmcnt(0)
	ds_write_b64 v1, v[116:117]
	buffer_store_dword v114, off, s[0:3], 0 offset:408
	buffer_store_dword v114, off, s[0:3], 0 offset:412
.LBB119_241:
	s_or_b64 exec, exec, s[4:5]
	s_waitcnt lgkmcnt(0)
	; wave barrier
	s_waitcnt lgkmcnt(0)
	buffer_load_dword v124, off, s[0:3], 0 offset:416
	buffer_load_dword v125, off, s[0:3], 0 offset:420
	;; [unrolled: 1-line block ×10, first 2 shown]
	ds_read_b128 v[116:119], v114 offset:864
	ds_read_b128 v[120:123], v114 offset:880
	v_cmp_lt_u32_e32 vcc, 50, v0
	s_waitcnt vmcnt(8) lgkmcnt(1)
	v_fma_f64 v[114:115], v[124:125], v[116:117], 0
	s_waitcnt vmcnt(6)
	v_fmac_f64_e32 v[114:115], v[126:127], v[118:119]
	s_waitcnt vmcnt(4) lgkmcnt(0)
	v_fmac_f64_e32 v[114:115], v[128:129], v[120:121]
	s_waitcnt vmcnt(2)
	v_fmac_f64_e32 v[114:115], v[130:131], v[122:123]
	s_waitcnt vmcnt(0)
	v_add_f64 v[114:115], v[132:133], -v[114:115]
	buffer_store_dword v114, off, s[0:3], 0 offset:408
	buffer_store_dword v115, off, s[0:3], 0 offset:412
	s_and_saveexec_b64 s[4:5], vcc
	s_cbranch_execz .LBB119_243
; %bb.242:
	buffer_load_dword v114, off, s[0:3], 0 offset:400
	buffer_load_dword v115, off, s[0:3], 0 offset:404
	v_mov_b32_e32 v116, 0
	buffer_store_dword v116, off, s[0:3], 0 offset:400
	buffer_store_dword v116, off, s[0:3], 0 offset:404
	s_waitcnt vmcnt(2)
	ds_write_b64 v1, v[114:115]
.LBB119_243:
	s_or_b64 exec, exec, s[4:5]
	s_waitcnt lgkmcnt(0)
	; wave barrier
	s_waitcnt lgkmcnt(0)
	buffer_load_dword v124, off, s[0:3], 0 offset:408
	buffer_load_dword v125, off, s[0:3], 0 offset:412
	;; [unrolled: 1-line block ×12, first 2 shown]
	v_mov_b32_e32 v114, 0
	ds_read2_b64 v[116:119], v114 offset0:107 offset1:108
	ds_read2_b64 v[120:123], v114 offset0:109 offset1:110
	ds_read_b64 v[136:137], v114 offset:888
	v_cmp_lt_u32_e32 vcc, 49, v0
	s_waitcnt vmcnt(10) lgkmcnt(2)
	v_fma_f64 v[116:117], v[124:125], v[116:117], 0
	s_waitcnt vmcnt(8)
	v_fmac_f64_e32 v[116:117], v[126:127], v[118:119]
	s_waitcnt vmcnt(6) lgkmcnt(1)
	v_fmac_f64_e32 v[116:117], v[128:129], v[120:121]
	s_waitcnt vmcnt(4)
	v_fmac_f64_e32 v[116:117], v[130:131], v[122:123]
	s_waitcnt vmcnt(2) lgkmcnt(0)
	v_fmac_f64_e32 v[116:117], v[132:133], v[136:137]
	s_waitcnt vmcnt(0)
	v_add_f64 v[116:117], v[134:135], -v[116:117]
	buffer_store_dword v116, off, s[0:3], 0 offset:400
	buffer_store_dword v117, off, s[0:3], 0 offset:404
	s_and_saveexec_b64 s[4:5], vcc
	s_cbranch_execz .LBB119_245
; %bb.244:
	buffer_load_dword v116, off, s[0:3], 0 offset:392
	buffer_load_dword v117, off, s[0:3], 0 offset:396
	s_waitcnt vmcnt(0)
	ds_write_b64 v1, v[116:117]
	buffer_store_dword v114, off, s[0:3], 0 offset:392
	buffer_store_dword v114, off, s[0:3], 0 offset:396
.LBB119_245:
	s_or_b64 exec, exec, s[4:5]
	s_waitcnt lgkmcnt(0)
	; wave barrier
	s_waitcnt lgkmcnt(0)
	buffer_load_dword v128, off, s[0:3], 0 offset:400
	buffer_load_dword v129, off, s[0:3], 0 offset:404
	;; [unrolled: 1-line block ×14, first 2 shown]
	ds_read_b128 v[116:119], v114 offset:848
	ds_read_b128 v[120:123], v114 offset:864
	;; [unrolled: 1-line block ×3, first 2 shown]
	v_cmp_lt_u32_e32 vcc, 48, v0
	s_waitcnt vmcnt(12) lgkmcnt(2)
	v_fma_f64 v[114:115], v[128:129], v[116:117], 0
	s_waitcnt vmcnt(10)
	v_fmac_f64_e32 v[114:115], v[130:131], v[118:119]
	s_waitcnt vmcnt(8) lgkmcnt(1)
	v_fmac_f64_e32 v[114:115], v[132:133], v[120:121]
	s_waitcnt vmcnt(6)
	v_fmac_f64_e32 v[114:115], v[134:135], v[122:123]
	s_waitcnt vmcnt(4) lgkmcnt(0)
	v_fmac_f64_e32 v[114:115], v[136:137], v[124:125]
	s_waitcnt vmcnt(2)
	v_fmac_f64_e32 v[114:115], v[138:139], v[126:127]
	s_waitcnt vmcnt(0)
	v_add_f64 v[114:115], v[140:141], -v[114:115]
	buffer_store_dword v114, off, s[0:3], 0 offset:392
	buffer_store_dword v115, off, s[0:3], 0 offset:396
	s_and_saveexec_b64 s[4:5], vcc
	s_cbranch_execz .LBB119_247
; %bb.246:
	buffer_load_dword v114, off, s[0:3], 0 offset:384
	buffer_load_dword v115, off, s[0:3], 0 offset:388
	v_mov_b32_e32 v116, 0
	buffer_store_dword v116, off, s[0:3], 0 offset:384
	buffer_store_dword v116, off, s[0:3], 0 offset:388
	s_waitcnt vmcnt(2)
	ds_write_b64 v1, v[114:115]
.LBB119_247:
	s_or_b64 exec, exec, s[4:5]
	s_waitcnt lgkmcnt(0)
	; wave barrier
	s_waitcnt lgkmcnt(0)
	buffer_load_dword v128, off, s[0:3], 0 offset:392
	buffer_load_dword v129, off, s[0:3], 0 offset:396
	;; [unrolled: 1-line block ×16, first 2 shown]
	v_mov_b32_e32 v114, 0
	ds_read2_b64 v[116:119], v114 offset0:105 offset1:106
	ds_read2_b64 v[120:123], v114 offset0:107 offset1:108
	;; [unrolled: 1-line block ×3, first 2 shown]
	ds_read_b64 v[144:145], v114 offset:888
	v_cmp_lt_u32_e32 vcc, 47, v0
	s_waitcnt vmcnt(14) lgkmcnt(3)
	v_fma_f64 v[116:117], v[128:129], v[116:117], 0
	s_waitcnt vmcnt(12)
	v_fmac_f64_e32 v[116:117], v[130:131], v[118:119]
	s_waitcnt vmcnt(10) lgkmcnt(2)
	v_fmac_f64_e32 v[116:117], v[132:133], v[120:121]
	s_waitcnt vmcnt(8)
	v_fmac_f64_e32 v[116:117], v[134:135], v[122:123]
	s_waitcnt vmcnt(6) lgkmcnt(1)
	v_fmac_f64_e32 v[116:117], v[136:137], v[124:125]
	;; [unrolled: 4-line block ×3, first 2 shown]
	s_waitcnt vmcnt(0)
	v_add_f64 v[116:117], v[142:143], -v[116:117]
	buffer_store_dword v116, off, s[0:3], 0 offset:384
	buffer_store_dword v117, off, s[0:3], 0 offset:388
	s_and_saveexec_b64 s[4:5], vcc
	s_cbranch_execz .LBB119_249
; %bb.248:
	buffer_load_dword v116, off, s[0:3], 0 offset:376
	buffer_load_dword v117, off, s[0:3], 0 offset:380
	s_waitcnt vmcnt(0)
	ds_write_b64 v1, v[116:117]
	buffer_store_dword v114, off, s[0:3], 0 offset:376
	buffer_store_dword v114, off, s[0:3], 0 offset:380
.LBB119_249:
	s_or_b64 exec, exec, s[4:5]
	s_waitcnt lgkmcnt(0)
	; wave barrier
	s_waitcnt lgkmcnt(0)
	buffer_load_dword v132, off, s[0:3], 0 offset:384
	buffer_load_dword v133, off, s[0:3], 0 offset:388
	;; [unrolled: 1-line block ×18, first 2 shown]
	ds_read_b128 v[116:119], v114 offset:832
	ds_read_b128 v[120:123], v114 offset:848
	;; [unrolled: 1-line block ×4, first 2 shown]
	v_cmp_lt_u32_e32 vcc, 46, v0
	s_waitcnt vmcnt(16) lgkmcnt(3)
	v_fma_f64 v[114:115], v[132:133], v[116:117], 0
	s_waitcnt vmcnt(14)
	v_fmac_f64_e32 v[114:115], v[134:135], v[118:119]
	s_waitcnt vmcnt(12) lgkmcnt(2)
	v_fmac_f64_e32 v[114:115], v[136:137], v[120:121]
	s_waitcnt vmcnt(10)
	v_fmac_f64_e32 v[114:115], v[138:139], v[122:123]
	s_waitcnt vmcnt(8) lgkmcnt(1)
	v_fmac_f64_e32 v[114:115], v[140:141], v[124:125]
	;; [unrolled: 4-line block ×3, first 2 shown]
	s_waitcnt vmcnt(2)
	v_fmac_f64_e32 v[114:115], v[146:147], v[130:131]
	s_waitcnt vmcnt(0)
	v_add_f64 v[114:115], v[148:149], -v[114:115]
	buffer_store_dword v114, off, s[0:3], 0 offset:376
	buffer_store_dword v115, off, s[0:3], 0 offset:380
	s_and_saveexec_b64 s[4:5], vcc
	s_cbranch_execz .LBB119_251
; %bb.250:
	buffer_load_dword v114, off, s[0:3], 0 offset:368
	buffer_load_dword v115, off, s[0:3], 0 offset:372
	v_mov_b32_e32 v116, 0
	buffer_store_dword v116, off, s[0:3], 0 offset:368
	buffer_store_dword v116, off, s[0:3], 0 offset:372
	s_waitcnt vmcnt(2)
	ds_write_b64 v1, v[114:115]
.LBB119_251:
	s_or_b64 exec, exec, s[4:5]
	s_waitcnt lgkmcnt(0)
	; wave barrier
	s_waitcnt lgkmcnt(0)
	buffer_load_dword v132, off, s[0:3], 0 offset:376
	buffer_load_dword v133, off, s[0:3], 0 offset:380
	;; [unrolled: 1-line block ×20, first 2 shown]
	v_mov_b32_e32 v114, 0
	ds_read2_b64 v[116:119], v114 offset0:103 offset1:104
	ds_read2_b64 v[120:123], v114 offset0:105 offset1:106
	;; [unrolled: 1-line block ×4, first 2 shown]
	ds_read_b64 v[152:153], v114 offset:888
	v_cmp_lt_u32_e32 vcc, 45, v0
	s_waitcnt vmcnt(18) lgkmcnt(4)
	v_fma_f64 v[116:117], v[132:133], v[116:117], 0
	s_waitcnt vmcnt(16)
	v_fmac_f64_e32 v[116:117], v[134:135], v[118:119]
	s_waitcnt vmcnt(14) lgkmcnt(3)
	v_fmac_f64_e32 v[116:117], v[136:137], v[120:121]
	s_waitcnt vmcnt(12)
	v_fmac_f64_e32 v[116:117], v[138:139], v[122:123]
	s_waitcnt vmcnt(10) lgkmcnt(2)
	v_fmac_f64_e32 v[116:117], v[140:141], v[124:125]
	;; [unrolled: 4-line block ×3, first 2 shown]
	s_waitcnt vmcnt(2)
	v_fmac_f64_e32 v[116:117], v[148:149], v[130:131]
	s_waitcnt lgkmcnt(0)
	v_fmac_f64_e32 v[116:117], v[146:147], v[152:153]
	s_waitcnt vmcnt(0)
	v_add_f64 v[116:117], v[150:151], -v[116:117]
	buffer_store_dword v116, off, s[0:3], 0 offset:368
	buffer_store_dword v117, off, s[0:3], 0 offset:372
	s_and_saveexec_b64 s[4:5], vcc
	s_cbranch_execz .LBB119_253
; %bb.252:
	buffer_load_dword v116, off, s[0:3], 0 offset:360
	buffer_load_dword v117, off, s[0:3], 0 offset:364
	s_waitcnt vmcnt(0)
	ds_write_b64 v1, v[116:117]
	buffer_store_dword v114, off, s[0:3], 0 offset:360
	buffer_store_dword v114, off, s[0:3], 0 offset:364
.LBB119_253:
	s_or_b64 exec, exec, s[4:5]
	s_waitcnt lgkmcnt(0)
	; wave barrier
	s_waitcnt lgkmcnt(0)
	buffer_load_dword v136, off, s[0:3], 0 offset:368
	buffer_load_dword v137, off, s[0:3], 0 offset:372
	;; [unrolled: 1-line block ×22, first 2 shown]
	ds_read_b128 v[116:119], v114 offset:816
	ds_read_b128 v[120:123], v114 offset:832
	;; [unrolled: 1-line block ×5, first 2 shown]
	v_cmp_lt_u32_e32 vcc, 44, v0
	s_waitcnt vmcnt(20) lgkmcnt(4)
	v_fma_f64 v[114:115], v[136:137], v[116:117], 0
	s_waitcnt vmcnt(18)
	v_fmac_f64_e32 v[114:115], v[138:139], v[118:119]
	s_waitcnt vmcnt(16) lgkmcnt(3)
	v_fmac_f64_e32 v[114:115], v[140:141], v[120:121]
	s_waitcnt vmcnt(14)
	v_fmac_f64_e32 v[114:115], v[142:143], v[122:123]
	s_waitcnt vmcnt(12) lgkmcnt(2)
	v_fmac_f64_e32 v[114:115], v[144:145], v[124:125]
	;; [unrolled: 4-line block ×3, first 2 shown]
	s_waitcnt vmcnt(3)
	v_fmac_f64_e32 v[114:115], v[154:155], v[130:131]
	s_waitcnt lgkmcnt(0)
	v_fmac_f64_e32 v[114:115], v[152:153], v[132:133]
	s_waitcnt vmcnt(2)
	v_fmac_f64_e32 v[114:115], v[150:151], v[134:135]
	s_waitcnt vmcnt(0)
	v_add_f64 v[114:115], v[156:157], -v[114:115]
	buffer_store_dword v114, off, s[0:3], 0 offset:360
	buffer_store_dword v115, off, s[0:3], 0 offset:364
	s_and_saveexec_b64 s[4:5], vcc
	s_cbranch_execz .LBB119_255
; %bb.254:
	buffer_load_dword v114, off, s[0:3], 0 offset:352
	buffer_load_dword v115, off, s[0:3], 0 offset:356
	v_mov_b32_e32 v116, 0
	buffer_store_dword v116, off, s[0:3], 0 offset:352
	buffer_store_dword v116, off, s[0:3], 0 offset:356
	s_waitcnt vmcnt(2)
	ds_write_b64 v1, v[114:115]
.LBB119_255:
	s_or_b64 exec, exec, s[4:5]
	s_waitcnt lgkmcnt(0)
	; wave barrier
	s_waitcnt lgkmcnt(0)
	buffer_load_dword v136, off, s[0:3], 0 offset:360
	buffer_load_dword v137, off, s[0:3], 0 offset:364
	;; [unrolled: 1-line block ×24, first 2 shown]
	v_mov_b32_e32 v114, 0
	ds_read2_b64 v[116:119], v114 offset0:101 offset1:102
	ds_read2_b64 v[120:123], v114 offset0:103 offset1:104
	;; [unrolled: 1-line block ×5, first 2 shown]
	ds_read_b64 v[160:161], v114 offset:888
	v_cmp_lt_u32_e32 vcc, 43, v0
	s_waitcnt vmcnt(22) lgkmcnt(5)
	v_fma_f64 v[116:117], v[136:137], v[116:117], 0
	s_waitcnt vmcnt(20)
	v_fmac_f64_e32 v[116:117], v[138:139], v[118:119]
	s_waitcnt vmcnt(18) lgkmcnt(4)
	v_fmac_f64_e32 v[116:117], v[140:141], v[120:121]
	s_waitcnt vmcnt(16)
	v_fmac_f64_e32 v[116:117], v[142:143], v[122:123]
	s_waitcnt vmcnt(14) lgkmcnt(3)
	v_fmac_f64_e32 v[116:117], v[144:145], v[124:125]
	;; [unrolled: 4-line block ×3, first 2 shown]
	s_waitcnt vmcnt(4)
	v_fmac_f64_e32 v[116:117], v[156:157], v[130:131]
	s_waitcnt lgkmcnt(1)
	v_fmac_f64_e32 v[116:117], v[154:155], v[132:133]
	s_waitcnt vmcnt(3)
	v_fmac_f64_e32 v[116:117], v[152:153], v[134:135]
	s_waitcnt vmcnt(2) lgkmcnt(0)
	v_fmac_f64_e32 v[116:117], v[150:151], v[160:161]
	s_waitcnt vmcnt(0)
	v_add_f64 v[116:117], v[158:159], -v[116:117]
	buffer_store_dword v117, off, s[0:3], 0 offset:356
	buffer_store_dword v116, off, s[0:3], 0 offset:352
	s_and_saveexec_b64 s[4:5], vcc
	s_cbranch_execz .LBB119_257
; %bb.256:
	buffer_load_dword v116, off, s[0:3], 0 offset:344
	buffer_load_dword v117, off, s[0:3], 0 offset:348
	s_waitcnt vmcnt(0)
	ds_write_b64 v1, v[116:117]
	buffer_store_dword v114, off, s[0:3], 0 offset:344
	buffer_store_dword v114, off, s[0:3], 0 offset:348
.LBB119_257:
	s_or_b64 exec, exec, s[4:5]
	s_waitcnt lgkmcnt(0)
	; wave barrier
	s_waitcnt lgkmcnt(0)
	buffer_load_dword v140, off, s[0:3], 0 offset:352
	buffer_load_dword v141, off, s[0:3], 0 offset:356
	buffer_load_dword v142, off, s[0:3], 0 offset:360
	buffer_load_dword v143, off, s[0:3], 0 offset:364
	buffer_load_dword v144, off, s[0:3], 0 offset:368
	buffer_load_dword v145, off, s[0:3], 0 offset:372
	buffer_load_dword v146, off, s[0:3], 0 offset:376
	buffer_load_dword v147, off, s[0:3], 0 offset:380
	buffer_load_dword v148, off, s[0:3], 0 offset:384
	buffer_load_dword v149, off, s[0:3], 0 offset:388
	buffer_load_dword v150, off, s[0:3], 0 offset:392
	buffer_load_dword v151, off, s[0:3], 0 offset:396
	buffer_load_dword v152, off, s[0:3], 0 offset:400
	buffer_load_dword v153, off, s[0:3], 0 offset:404
	buffer_load_dword v154, off, s[0:3], 0 offset:432
	buffer_load_dword v157, off, s[0:3], 0 offset:428
	buffer_load_dword v156, off, s[0:3], 0 offset:424
	buffer_load_dword v159, off, s[0:3], 0 offset:420
	buffer_load_dword v158, off, s[0:3], 0 offset:416
	buffer_load_dword v161, off, s[0:3], 0 offset:412
	buffer_load_dword v160, off, s[0:3], 0 offset:408
	buffer_load_dword v155, off, s[0:3], 0 offset:436
	buffer_load_dword v163, off, s[0:3], 0 offset:444
	buffer_load_dword v162, off, s[0:3], 0 offset:440
	buffer_load_dword v164, off, s[0:3], 0 offset:344
	buffer_load_dword v165, off, s[0:3], 0 offset:348
	ds_read_b128 v[116:119], v114 offset:800
	ds_read_b128 v[120:123], v114 offset:816
	;; [unrolled: 1-line block ×6, first 2 shown]
	v_cmp_lt_u32_e32 vcc, 42, v0
	s_waitcnt vmcnt(24) lgkmcnt(5)
	v_fma_f64 v[114:115], v[140:141], v[116:117], 0
	s_waitcnt vmcnt(22)
	v_fmac_f64_e32 v[114:115], v[142:143], v[118:119]
	s_waitcnt vmcnt(20) lgkmcnt(4)
	v_fmac_f64_e32 v[114:115], v[144:145], v[120:121]
	s_waitcnt vmcnt(18)
	v_fmac_f64_e32 v[114:115], v[146:147], v[122:123]
	s_waitcnt vmcnt(16) lgkmcnt(3)
	v_fmac_f64_e32 v[114:115], v[148:149], v[124:125]
	;; [unrolled: 4-line block ×3, first 2 shown]
	s_waitcnt vmcnt(5)
	v_fmac_f64_e32 v[114:115], v[160:161], v[130:131]
	s_waitcnt lgkmcnt(1)
	v_fmac_f64_e32 v[114:115], v[158:159], v[132:133]
	v_fmac_f64_e32 v[114:115], v[156:157], v[134:135]
	s_waitcnt vmcnt(4) lgkmcnt(0)
	v_fmac_f64_e32 v[114:115], v[154:155], v[136:137]
	s_waitcnt vmcnt(2)
	v_fmac_f64_e32 v[114:115], v[162:163], v[138:139]
	s_waitcnt vmcnt(0)
	v_add_f64 v[114:115], v[164:165], -v[114:115]
	buffer_store_dword v115, off, s[0:3], 0 offset:348
	buffer_store_dword v114, off, s[0:3], 0 offset:344
	s_and_saveexec_b64 s[4:5], vcc
	s_cbranch_execz .LBB119_259
; %bb.258:
	buffer_load_dword v114, off, s[0:3], 0 offset:336
	buffer_load_dword v115, off, s[0:3], 0 offset:340
	v_mov_b32_e32 v116, 0
	buffer_store_dword v116, off, s[0:3], 0 offset:336
	buffer_store_dword v116, off, s[0:3], 0 offset:340
	s_waitcnt vmcnt(2)
	ds_write_b64 v1, v[114:115]
.LBB119_259:
	s_or_b64 exec, exec, s[4:5]
	s_waitcnt lgkmcnt(0)
	; wave barrier
	s_waitcnt lgkmcnt(0)
	buffer_load_dword v120, off, s[0:3], 0 offset:336
	buffer_load_dword v121, off, s[0:3], 0 offset:340
	;; [unrolled: 1-line block ×16, first 2 shown]
	v_mov_b32_e32 v114, 0
	ds_read2_b64 v[116:119], v114 offset0:99 offset1:100
	v_cmp_lt_u32_e32 vcc, 41, v0
	s_waitcnt vmcnt(12) lgkmcnt(0)
	v_fma_f64 v[122:123], v[122:123], v[116:117], 0
	s_waitcnt vmcnt(10)
	v_fmac_f64_e32 v[122:123], v[124:125], v[118:119]
	ds_read2_b64 v[116:119], v114 offset0:101 offset1:102
	s_waitcnt vmcnt(8) lgkmcnt(0)
	v_fmac_f64_e32 v[122:123], v[126:127], v[116:117]
	s_waitcnt vmcnt(6)
	v_fmac_f64_e32 v[122:123], v[128:129], v[118:119]
	ds_read2_b64 v[116:119], v114 offset0:103 offset1:104
	s_waitcnt vmcnt(4) lgkmcnt(0)
	v_fmac_f64_e32 v[122:123], v[130:131], v[116:117]
	s_waitcnt vmcnt(2)
	v_fmac_f64_e32 v[122:123], v[132:133], v[118:119]
	ds_read2_b64 v[116:119], v114 offset0:105 offset1:106
	s_waitcnt vmcnt(0) lgkmcnt(0)
	v_fmac_f64_e32 v[122:123], v[134:135], v[116:117]
	buffer_load_dword v117, off, s[0:3], 0 offset:404
	buffer_load_dword v116, off, s[0:3], 0 offset:400
	;; [unrolled: 1-line block ×4, first 2 shown]
	s_waitcnt vmcnt(2)
	v_fmac_f64_e32 v[122:123], v[116:117], v[118:119]
	ds_read2_b64 v[116:119], v114 offset0:107 offset1:108
	s_waitcnt vmcnt(0) lgkmcnt(0)
	v_fmac_f64_e32 v[122:123], v[124:125], v[116:117]
	buffer_load_dword v117, off, s[0:3], 0 offset:420
	buffer_load_dword v116, off, s[0:3], 0 offset:416
	;; [unrolled: 1-line block ×4, first 2 shown]
	s_waitcnt vmcnt(2)
	v_fmac_f64_e32 v[122:123], v[116:117], v[118:119]
	ds_read2_b64 v[116:119], v114 offset0:109 offset1:110
	s_waitcnt vmcnt(0) lgkmcnt(0)
	v_fmac_f64_e32 v[122:123], v[124:125], v[116:117]
	buffer_load_dword v117, off, s[0:3], 0 offset:436
	buffer_load_dword v116, off, s[0:3], 0 offset:432
	s_waitcnt vmcnt(0)
	v_fmac_f64_e32 v[122:123], v[116:117], v[118:119]
	buffer_load_dword v117, off, s[0:3], 0 offset:444
	buffer_load_dword v116, off, s[0:3], 0 offset:440
	ds_read_b64 v[118:119], v114 offset:888
	s_waitcnt vmcnt(0) lgkmcnt(0)
	v_fmac_f64_e32 v[122:123], v[116:117], v[118:119]
	v_add_f64 v[116:117], v[120:121], -v[122:123]
	buffer_store_dword v117, off, s[0:3], 0 offset:340
	buffer_store_dword v116, off, s[0:3], 0 offset:336
	s_and_saveexec_b64 s[4:5], vcc
	s_cbranch_execz .LBB119_261
; %bb.260:
	buffer_load_dword v116, off, s[0:3], 0 offset:328
	buffer_load_dword v117, off, s[0:3], 0 offset:332
	s_waitcnt vmcnt(0)
	ds_write_b64 v1, v[116:117]
	buffer_store_dword v114, off, s[0:3], 0 offset:328
	buffer_store_dword v114, off, s[0:3], 0 offset:332
.LBB119_261:
	s_or_b64 exec, exec, s[4:5]
	s_waitcnt lgkmcnt(0)
	; wave barrier
	s_waitcnt lgkmcnt(0)
	buffer_load_dword v132, off, s[0:3], 0 offset:328
	buffer_load_dword v133, off, s[0:3], 0 offset:332
	;; [unrolled: 1-line block ×16, first 2 shown]
	ds_read_b128 v[116:119], v114 offset:784
	ds_read_b128 v[120:123], v114 offset:800
	;; [unrolled: 1-line block ×4, first 2 shown]
	v_cmp_lt_u32_e32 vcc, 40, v0
	s_waitcnt vmcnt(12) lgkmcnt(3)
	v_fma_f64 v[134:135], v[134:135], v[116:117], 0
	buffer_load_dword v117, off, s[0:3], 0 offset:396
	buffer_load_dword v116, off, s[0:3], 0 offset:392
	s_waitcnt vmcnt(12)
	v_fmac_f64_e32 v[134:135], v[136:137], v[118:119]
	s_waitcnt vmcnt(10) lgkmcnt(2)
	v_fmac_f64_e32 v[134:135], v[138:139], v[120:121]
	buffer_load_dword v121, off, s[0:3], 0 offset:404
	buffer_load_dword v120, off, s[0:3], 0 offset:400
	s_waitcnt vmcnt(10)
	v_fmac_f64_e32 v[134:135], v[140:141], v[122:123]
	s_waitcnt vmcnt(8) lgkmcnt(1)
	v_fmac_f64_e32 v[134:135], v[142:143], v[124:125]
	s_waitcnt vmcnt(6)
	v_fmac_f64_e32 v[134:135], v[144:145], v[126:127]
	s_waitcnt vmcnt(4) lgkmcnt(0)
	v_fmac_f64_e32 v[134:135], v[146:147], v[128:129]
	s_waitcnt vmcnt(2)
	v_fmac_f64_e32 v[134:135], v[116:117], v[130:131]
	ds_read_b128 v[116:119], v114 offset:848
	s_waitcnt vmcnt(0) lgkmcnt(0)
	v_fmac_f64_e32 v[134:135], v[120:121], v[116:117]
	buffer_load_dword v117, off, s[0:3], 0 offset:412
	buffer_load_dword v116, off, s[0:3], 0 offset:408
	;; [unrolled: 1-line block ×4, first 2 shown]
	s_waitcnt vmcnt(2)
	v_fmac_f64_e32 v[134:135], v[116:117], v[118:119]
	ds_read_b128 v[116:119], v114 offset:864
	s_waitcnt vmcnt(0) lgkmcnt(0)
	v_fmac_f64_e32 v[134:135], v[120:121], v[116:117]
	buffer_load_dword v117, off, s[0:3], 0 offset:428
	buffer_load_dword v116, off, s[0:3], 0 offset:424
	s_waitcnt vmcnt(0)
	v_fmac_f64_e32 v[134:135], v[116:117], v[118:119]
	buffer_load_dword v119, off, s[0:3], 0 offset:436
	buffer_load_dword v118, off, s[0:3], 0 offset:432
	ds_read_b128 v[114:117], v114 offset:880
	s_waitcnt vmcnt(0) lgkmcnt(0)
	v_fmac_f64_e32 v[134:135], v[118:119], v[114:115]
	buffer_load_dword v115, off, s[0:3], 0 offset:444
	buffer_load_dword v114, off, s[0:3], 0 offset:440
	s_waitcnt vmcnt(0)
	v_fmac_f64_e32 v[134:135], v[114:115], v[116:117]
	v_add_f64 v[114:115], v[132:133], -v[134:135]
	buffer_store_dword v115, off, s[0:3], 0 offset:332
	buffer_store_dword v114, off, s[0:3], 0 offset:328
	s_and_saveexec_b64 s[4:5], vcc
	s_cbranch_execz .LBB119_263
; %bb.262:
	buffer_load_dword v114, off, s[0:3], 0 offset:320
	buffer_load_dword v115, off, s[0:3], 0 offset:324
	v_mov_b32_e32 v116, 0
	buffer_store_dword v116, off, s[0:3], 0 offset:320
	buffer_store_dword v116, off, s[0:3], 0 offset:324
	s_waitcnt vmcnt(2)
	ds_write_b64 v1, v[114:115]
.LBB119_263:
	s_or_b64 exec, exec, s[4:5]
	s_waitcnt lgkmcnt(0)
	; wave barrier
	s_waitcnt lgkmcnt(0)
	buffer_load_dword v120, off, s[0:3], 0 offset:320
	buffer_load_dword v121, off, s[0:3], 0 offset:324
	;; [unrolled: 1-line block ×16, first 2 shown]
	v_mov_b32_e32 v114, 0
	ds_read2_b64 v[116:119], v114 offset0:97 offset1:98
	v_cmp_lt_u32_e32 vcc, 39, v0
	s_waitcnt vmcnt(12) lgkmcnt(0)
	v_fma_f64 v[122:123], v[122:123], v[116:117], 0
	s_waitcnt vmcnt(10)
	v_fmac_f64_e32 v[122:123], v[124:125], v[118:119]
	ds_read2_b64 v[116:119], v114 offset0:99 offset1:100
	s_waitcnt vmcnt(8) lgkmcnt(0)
	v_fmac_f64_e32 v[122:123], v[126:127], v[116:117]
	s_waitcnt vmcnt(6)
	v_fmac_f64_e32 v[122:123], v[128:129], v[118:119]
	ds_read2_b64 v[116:119], v114 offset0:101 offset1:102
	s_waitcnt vmcnt(4) lgkmcnt(0)
	v_fmac_f64_e32 v[122:123], v[130:131], v[116:117]
	;; [unrolled: 5-line block ×3, first 2 shown]
	buffer_load_dword v117, off, s[0:3], 0 offset:388
	buffer_load_dword v116, off, s[0:3], 0 offset:384
	buffer_load_dword v125, off, s[0:3], 0 offset:396
	buffer_load_dword v124, off, s[0:3], 0 offset:392
	s_waitcnt vmcnt(2)
	v_fmac_f64_e32 v[122:123], v[116:117], v[118:119]
	ds_read2_b64 v[116:119], v114 offset0:105 offset1:106
	s_waitcnt vmcnt(0) lgkmcnt(0)
	v_fmac_f64_e32 v[122:123], v[124:125], v[116:117]
	buffer_load_dword v117, off, s[0:3], 0 offset:404
	buffer_load_dword v116, off, s[0:3], 0 offset:400
	buffer_load_dword v125, off, s[0:3], 0 offset:412
	buffer_load_dword v124, off, s[0:3], 0 offset:408
	s_waitcnt vmcnt(2)
	v_fmac_f64_e32 v[122:123], v[116:117], v[118:119]
	ds_read2_b64 v[116:119], v114 offset0:107 offset1:108
	s_waitcnt vmcnt(0) lgkmcnt(0)
	v_fmac_f64_e32 v[122:123], v[124:125], v[116:117]
	buffer_load_dword v117, off, s[0:3], 0 offset:420
	buffer_load_dword v116, off, s[0:3], 0 offset:416
	buffer_load_dword v125, off, s[0:3], 0 offset:428
	buffer_load_dword v124, off, s[0:3], 0 offset:424
	s_waitcnt vmcnt(2)
	v_fmac_f64_e32 v[122:123], v[116:117], v[118:119]
	ds_read2_b64 v[116:119], v114 offset0:109 offset1:110
	s_waitcnt vmcnt(0) lgkmcnt(0)
	v_fmac_f64_e32 v[122:123], v[124:125], v[116:117]
	buffer_load_dword v117, off, s[0:3], 0 offset:436
	buffer_load_dword v116, off, s[0:3], 0 offset:432
	s_waitcnt vmcnt(0)
	v_fmac_f64_e32 v[122:123], v[116:117], v[118:119]
	buffer_load_dword v117, off, s[0:3], 0 offset:444
	buffer_load_dword v116, off, s[0:3], 0 offset:440
	ds_read_b64 v[118:119], v114 offset:888
	s_waitcnt vmcnt(0) lgkmcnt(0)
	v_fmac_f64_e32 v[122:123], v[116:117], v[118:119]
	v_add_f64 v[116:117], v[120:121], -v[122:123]
	buffer_store_dword v117, off, s[0:3], 0 offset:324
	buffer_store_dword v116, off, s[0:3], 0 offset:320
	s_and_saveexec_b64 s[4:5], vcc
	s_cbranch_execz .LBB119_265
; %bb.264:
	buffer_load_dword v116, off, s[0:3], 0 offset:312
	buffer_load_dword v117, off, s[0:3], 0 offset:316
	s_waitcnt vmcnt(0)
	ds_write_b64 v1, v[116:117]
	buffer_store_dword v114, off, s[0:3], 0 offset:312
	buffer_store_dword v114, off, s[0:3], 0 offset:316
.LBB119_265:
	s_or_b64 exec, exec, s[4:5]
	s_waitcnt lgkmcnt(0)
	; wave barrier
	s_waitcnt lgkmcnt(0)
	buffer_load_dword v132, off, s[0:3], 0 offset:312
	buffer_load_dword v133, off, s[0:3], 0 offset:316
	;; [unrolled: 1-line block ×16, first 2 shown]
	ds_read_b128 v[116:119], v114 offset:768
	ds_read_b128 v[120:123], v114 offset:784
	;; [unrolled: 1-line block ×4, first 2 shown]
	v_cmp_lt_u32_e32 vcc, 38, v0
	s_waitcnt vmcnt(12) lgkmcnt(3)
	v_fma_f64 v[134:135], v[134:135], v[116:117], 0
	buffer_load_dword v117, off, s[0:3], 0 offset:380
	buffer_load_dword v116, off, s[0:3], 0 offset:376
	s_waitcnt vmcnt(12)
	v_fmac_f64_e32 v[134:135], v[136:137], v[118:119]
	s_waitcnt vmcnt(10) lgkmcnt(2)
	v_fmac_f64_e32 v[134:135], v[138:139], v[120:121]
	buffer_load_dword v121, off, s[0:3], 0 offset:388
	buffer_load_dword v120, off, s[0:3], 0 offset:384
	s_waitcnt vmcnt(10)
	v_fmac_f64_e32 v[134:135], v[140:141], v[122:123]
	s_waitcnt vmcnt(8) lgkmcnt(1)
	v_fmac_f64_e32 v[134:135], v[142:143], v[124:125]
	s_waitcnt vmcnt(6)
	v_fmac_f64_e32 v[134:135], v[144:145], v[126:127]
	s_waitcnt vmcnt(4) lgkmcnt(0)
	v_fmac_f64_e32 v[134:135], v[146:147], v[128:129]
	s_waitcnt vmcnt(2)
	v_fmac_f64_e32 v[134:135], v[116:117], v[130:131]
	ds_read_b128 v[116:119], v114 offset:832
	s_waitcnt vmcnt(0) lgkmcnt(0)
	v_fmac_f64_e32 v[134:135], v[120:121], v[116:117]
	buffer_load_dword v117, off, s[0:3], 0 offset:396
	buffer_load_dword v116, off, s[0:3], 0 offset:392
	;; [unrolled: 1-line block ×4, first 2 shown]
	s_waitcnt vmcnt(2)
	v_fmac_f64_e32 v[134:135], v[116:117], v[118:119]
	ds_read_b128 v[116:119], v114 offset:848
	s_waitcnt vmcnt(0) lgkmcnt(0)
	v_fmac_f64_e32 v[134:135], v[120:121], v[116:117]
	buffer_load_dword v117, off, s[0:3], 0 offset:412
	buffer_load_dword v116, off, s[0:3], 0 offset:408
	;; [unrolled: 1-line block ×4, first 2 shown]
	s_waitcnt vmcnt(2)
	v_fmac_f64_e32 v[134:135], v[116:117], v[118:119]
	ds_read_b128 v[116:119], v114 offset:864
	s_waitcnt vmcnt(0) lgkmcnt(0)
	v_fmac_f64_e32 v[134:135], v[120:121], v[116:117]
	buffer_load_dword v117, off, s[0:3], 0 offset:428
	buffer_load_dword v116, off, s[0:3], 0 offset:424
	s_waitcnt vmcnt(0)
	v_fmac_f64_e32 v[134:135], v[116:117], v[118:119]
	buffer_load_dword v119, off, s[0:3], 0 offset:436
	buffer_load_dword v118, off, s[0:3], 0 offset:432
	ds_read_b128 v[114:117], v114 offset:880
	s_waitcnt vmcnt(0) lgkmcnt(0)
	v_fmac_f64_e32 v[134:135], v[118:119], v[114:115]
	buffer_load_dword v115, off, s[0:3], 0 offset:444
	buffer_load_dword v114, off, s[0:3], 0 offset:440
	s_waitcnt vmcnt(0)
	v_fmac_f64_e32 v[134:135], v[114:115], v[116:117]
	v_add_f64 v[114:115], v[132:133], -v[134:135]
	buffer_store_dword v115, off, s[0:3], 0 offset:316
	buffer_store_dword v114, off, s[0:3], 0 offset:312
	s_and_saveexec_b64 s[4:5], vcc
	s_cbranch_execz .LBB119_267
; %bb.266:
	buffer_load_dword v114, off, s[0:3], 0 offset:304
	buffer_load_dword v115, off, s[0:3], 0 offset:308
	v_mov_b32_e32 v116, 0
	buffer_store_dword v116, off, s[0:3], 0 offset:304
	buffer_store_dword v116, off, s[0:3], 0 offset:308
	s_waitcnt vmcnt(2)
	ds_write_b64 v1, v[114:115]
.LBB119_267:
	s_or_b64 exec, exec, s[4:5]
	s_waitcnt lgkmcnt(0)
	; wave barrier
	s_waitcnt lgkmcnt(0)
	buffer_load_dword v114, off, s[0:3], 0 offset:304
	buffer_load_dword v115, off, s[0:3], 0 offset:308
	;; [unrolled: 1-line block ×16, first 2 shown]
	v_mov_b32_e32 v118, 0
	ds_read2_b64 v[120:123], v118 offset0:95 offset1:96
	v_cmp_lt_u32_e32 vcc, 37, v0
	s_waitcnt vmcnt(12) lgkmcnt(0)
	v_fma_f64 v[116:117], v[116:117], v[120:121], 0
	s_waitcnt vmcnt(10)
	v_fmac_f64_e32 v[116:117], v[124:125], v[122:123]
	ds_read2_b64 v[120:123], v118 offset0:97 offset1:98
	s_waitcnt vmcnt(8) lgkmcnt(0)
	v_fmac_f64_e32 v[116:117], v[126:127], v[120:121]
	s_waitcnt vmcnt(6)
	v_fmac_f64_e32 v[116:117], v[128:129], v[122:123]
	ds_read2_b64 v[120:123], v118 offset0:99 offset1:100
	s_waitcnt vmcnt(4) lgkmcnt(0)
	v_fmac_f64_e32 v[116:117], v[130:131], v[120:121]
	;; [unrolled: 5-line block ×3, first 2 shown]
	buffer_load_dword v121, off, s[0:3], 0 offset:372
	buffer_load_dword v120, off, s[0:3], 0 offset:368
	buffer_load_dword v125, off, s[0:3], 0 offset:380
	buffer_load_dword v124, off, s[0:3], 0 offset:376
	s_waitcnt vmcnt(2)
	v_fmac_f64_e32 v[116:117], v[120:121], v[122:123]
	ds_read2_b64 v[120:123], v118 offset0:103 offset1:104
	s_waitcnt vmcnt(0) lgkmcnt(0)
	v_fmac_f64_e32 v[116:117], v[124:125], v[120:121]
	buffer_load_dword v121, off, s[0:3], 0 offset:388
	buffer_load_dword v120, off, s[0:3], 0 offset:384
	buffer_load_dword v125, off, s[0:3], 0 offset:396
	buffer_load_dword v124, off, s[0:3], 0 offset:392
	s_waitcnt vmcnt(2)
	v_fmac_f64_e32 v[116:117], v[120:121], v[122:123]
	ds_read2_b64 v[120:123], v118 offset0:105 offset1:106
	s_waitcnt vmcnt(0) lgkmcnt(0)
	v_fmac_f64_e32 v[116:117], v[124:125], v[120:121]
	;; [unrolled: 9-line block ×4, first 2 shown]
	buffer_load_dword v121, off, s[0:3], 0 offset:436
	buffer_load_dword v120, off, s[0:3], 0 offset:432
	s_waitcnt vmcnt(0)
	v_fmac_f64_e32 v[116:117], v[120:121], v[122:123]
	buffer_load_dword v121, off, s[0:3], 0 offset:444
	buffer_load_dword v120, off, s[0:3], 0 offset:440
	ds_read_b64 v[122:123], v118 offset:888
	s_waitcnt vmcnt(0) lgkmcnt(0)
	v_fmac_f64_e32 v[116:117], v[120:121], v[122:123]
	v_add_f64 v[114:115], v[114:115], -v[116:117]
	buffer_store_dword v115, off, s[0:3], 0 offset:308
	buffer_store_dword v114, off, s[0:3], 0 offset:304
	s_and_saveexec_b64 s[4:5], vcc
	s_cbranch_execz .LBB119_269
; %bb.268:
	buffer_load_dword v114, off, s[0:3], 0 offset:296
	buffer_load_dword v115, off, s[0:3], 0 offset:300
	s_waitcnt vmcnt(0)
	ds_write_b64 v1, v[114:115]
	buffer_store_dword v118, off, s[0:3], 0 offset:296
	buffer_store_dword v118, off, s[0:3], 0 offset:300
.LBB119_269:
	s_or_b64 exec, exec, s[4:5]
	s_waitcnt lgkmcnt(0)
	; wave barrier
	s_waitcnt lgkmcnt(0)
	buffer_load_dword v114, off, s[0:3], 0 offset:296
	buffer_load_dword v115, off, s[0:3], 0 offset:300
	;; [unrolled: 1-line block ×16, first 2 shown]
	ds_read_b128 v[120:123], v118 offset:752
	ds_read_b128 v[124:127], v118 offset:768
	;; [unrolled: 1-line block ×4, first 2 shown]
	v_cmp_lt_u32_e32 vcc, 36, v0
	s_waitcnt vmcnt(12) lgkmcnt(3)
	v_fma_f64 v[116:117], v[116:117], v[120:121], 0
	buffer_load_dword v121, off, s[0:3], 0 offset:364
	buffer_load_dword v120, off, s[0:3], 0 offset:360
	s_waitcnt vmcnt(12)
	v_fmac_f64_e32 v[116:117], v[136:137], v[122:123]
	s_waitcnt vmcnt(10) lgkmcnt(2)
	v_fmac_f64_e32 v[116:117], v[138:139], v[124:125]
	buffer_load_dword v125, off, s[0:3], 0 offset:372
	buffer_load_dword v124, off, s[0:3], 0 offset:368
	s_waitcnt vmcnt(10)
	v_fmac_f64_e32 v[116:117], v[140:141], v[126:127]
	s_waitcnt vmcnt(8) lgkmcnt(1)
	v_fmac_f64_e32 v[116:117], v[142:143], v[128:129]
	s_waitcnt vmcnt(6)
	v_fmac_f64_e32 v[116:117], v[144:145], v[130:131]
	s_waitcnt vmcnt(4) lgkmcnt(0)
	v_fmac_f64_e32 v[116:117], v[146:147], v[132:133]
	s_waitcnt vmcnt(2)
	v_fmac_f64_e32 v[116:117], v[120:121], v[134:135]
	ds_read_b128 v[120:123], v118 offset:816
	s_waitcnt vmcnt(0) lgkmcnt(0)
	v_fmac_f64_e32 v[116:117], v[124:125], v[120:121]
	buffer_load_dword v121, off, s[0:3], 0 offset:380
	buffer_load_dword v120, off, s[0:3], 0 offset:376
	buffer_load_dword v125, off, s[0:3], 0 offset:388
	buffer_load_dword v124, off, s[0:3], 0 offset:384
	s_waitcnt vmcnt(2)
	v_fmac_f64_e32 v[116:117], v[120:121], v[122:123]
	ds_read_b128 v[120:123], v118 offset:832
	s_waitcnt vmcnt(0) lgkmcnt(0)
	v_fmac_f64_e32 v[116:117], v[124:125], v[120:121]
	buffer_load_dword v121, off, s[0:3], 0 offset:396
	buffer_load_dword v120, off, s[0:3], 0 offset:392
	buffer_load_dword v125, off, s[0:3], 0 offset:404
	buffer_load_dword v124, off, s[0:3], 0 offset:400
	;; [unrolled: 9-line block ×3, first 2 shown]
	s_waitcnt vmcnt(2)
	v_fmac_f64_e32 v[116:117], v[120:121], v[122:123]
	ds_read_b128 v[120:123], v118 offset:864
	s_waitcnt vmcnt(0) lgkmcnt(0)
	v_fmac_f64_e32 v[116:117], v[124:125], v[120:121]
	buffer_load_dword v121, off, s[0:3], 0 offset:428
	buffer_load_dword v120, off, s[0:3], 0 offset:424
	s_waitcnt vmcnt(0)
	v_fmac_f64_e32 v[116:117], v[120:121], v[122:123]
	buffer_load_dword v123, off, s[0:3], 0 offset:436
	buffer_load_dword v122, off, s[0:3], 0 offset:432
	ds_read_b128 v[118:121], v118 offset:880
	s_waitcnt vmcnt(0) lgkmcnt(0)
	v_fmac_f64_e32 v[116:117], v[122:123], v[118:119]
	buffer_load_dword v119, off, s[0:3], 0 offset:444
	buffer_load_dword v118, off, s[0:3], 0 offset:440
	s_waitcnt vmcnt(0)
	v_fmac_f64_e32 v[116:117], v[118:119], v[120:121]
	v_add_f64 v[114:115], v[114:115], -v[116:117]
	buffer_store_dword v115, off, s[0:3], 0 offset:300
	buffer_store_dword v114, off, s[0:3], 0 offset:296
	s_and_saveexec_b64 s[4:5], vcc
	s_cbranch_execz .LBB119_271
; %bb.270:
	buffer_load_dword v114, off, s[0:3], 0 offset:288
	buffer_load_dword v115, off, s[0:3], 0 offset:292
	v_mov_b32_e32 v116, 0
	buffer_store_dword v116, off, s[0:3], 0 offset:288
	buffer_store_dword v116, off, s[0:3], 0 offset:292
	s_waitcnt vmcnt(2)
	ds_write_b64 v1, v[114:115]
.LBB119_271:
	s_or_b64 exec, exec, s[4:5]
	s_waitcnt lgkmcnt(0)
	; wave barrier
	s_waitcnt lgkmcnt(0)
	buffer_load_dword v114, off, s[0:3], 0 offset:288
	buffer_load_dword v115, off, s[0:3], 0 offset:292
	;; [unrolled: 1-line block ×16, first 2 shown]
	v_mov_b32_e32 v118, 0
	ds_read2_b64 v[120:123], v118 offset0:93 offset1:94
	v_cmp_lt_u32_e32 vcc, 35, v0
	s_waitcnt vmcnt(12) lgkmcnt(0)
	v_fma_f64 v[116:117], v[116:117], v[120:121], 0
	s_waitcnt vmcnt(10)
	v_fmac_f64_e32 v[116:117], v[124:125], v[122:123]
	ds_read2_b64 v[120:123], v118 offset0:95 offset1:96
	s_waitcnt vmcnt(8) lgkmcnt(0)
	v_fmac_f64_e32 v[116:117], v[126:127], v[120:121]
	s_waitcnt vmcnt(6)
	v_fmac_f64_e32 v[116:117], v[128:129], v[122:123]
	ds_read2_b64 v[120:123], v118 offset0:97 offset1:98
	s_waitcnt vmcnt(4) lgkmcnt(0)
	v_fmac_f64_e32 v[116:117], v[130:131], v[120:121]
	;; [unrolled: 5-line block ×3, first 2 shown]
	buffer_load_dword v121, off, s[0:3], 0 offset:356
	buffer_load_dword v120, off, s[0:3], 0 offset:352
	buffer_load_dword v125, off, s[0:3], 0 offset:364
	buffer_load_dword v124, off, s[0:3], 0 offset:360
	s_waitcnt vmcnt(2)
	v_fmac_f64_e32 v[116:117], v[120:121], v[122:123]
	ds_read2_b64 v[120:123], v118 offset0:101 offset1:102
	s_waitcnt vmcnt(0) lgkmcnt(0)
	v_fmac_f64_e32 v[116:117], v[124:125], v[120:121]
	buffer_load_dword v121, off, s[0:3], 0 offset:372
	buffer_load_dword v120, off, s[0:3], 0 offset:368
	buffer_load_dword v125, off, s[0:3], 0 offset:380
	buffer_load_dword v124, off, s[0:3], 0 offset:376
	s_waitcnt vmcnt(2)
	v_fmac_f64_e32 v[116:117], v[120:121], v[122:123]
	ds_read2_b64 v[120:123], v118 offset0:103 offset1:104
	s_waitcnt vmcnt(0) lgkmcnt(0)
	v_fmac_f64_e32 v[116:117], v[124:125], v[120:121]
	;; [unrolled: 9-line block ×5, first 2 shown]
	buffer_load_dword v121, off, s[0:3], 0 offset:436
	buffer_load_dword v120, off, s[0:3], 0 offset:432
	s_waitcnt vmcnt(0)
	v_fmac_f64_e32 v[116:117], v[120:121], v[122:123]
	buffer_load_dword v121, off, s[0:3], 0 offset:444
	buffer_load_dword v120, off, s[0:3], 0 offset:440
	ds_read_b64 v[122:123], v118 offset:888
	s_waitcnt vmcnt(0) lgkmcnt(0)
	v_fmac_f64_e32 v[116:117], v[120:121], v[122:123]
	v_add_f64 v[114:115], v[114:115], -v[116:117]
	buffer_store_dword v115, off, s[0:3], 0 offset:292
	buffer_store_dword v114, off, s[0:3], 0 offset:288
	s_and_saveexec_b64 s[4:5], vcc
	s_cbranch_execz .LBB119_273
; %bb.272:
	buffer_load_dword v114, off, s[0:3], 0 offset:280
	buffer_load_dword v115, off, s[0:3], 0 offset:284
	s_waitcnt vmcnt(0)
	ds_write_b64 v1, v[114:115]
	buffer_store_dword v118, off, s[0:3], 0 offset:280
	buffer_store_dword v118, off, s[0:3], 0 offset:284
.LBB119_273:
	s_or_b64 exec, exec, s[4:5]
	s_waitcnt lgkmcnt(0)
	; wave barrier
	s_waitcnt lgkmcnt(0)
	buffer_load_dword v114, off, s[0:3], 0 offset:280
	buffer_load_dword v115, off, s[0:3], 0 offset:284
	;; [unrolled: 1-line block ×16, first 2 shown]
	ds_read_b128 v[120:123], v118 offset:736
	ds_read_b128 v[124:127], v118 offset:752
	;; [unrolled: 1-line block ×4, first 2 shown]
	v_cmp_lt_u32_e32 vcc, 34, v0
	s_waitcnt vmcnt(12) lgkmcnt(3)
	v_fma_f64 v[116:117], v[116:117], v[120:121], 0
	buffer_load_dword v121, off, s[0:3], 0 offset:348
	buffer_load_dword v120, off, s[0:3], 0 offset:344
	s_waitcnt vmcnt(12)
	v_fmac_f64_e32 v[116:117], v[136:137], v[122:123]
	s_waitcnt vmcnt(10) lgkmcnt(2)
	v_fmac_f64_e32 v[116:117], v[138:139], v[124:125]
	buffer_load_dword v125, off, s[0:3], 0 offset:356
	buffer_load_dword v124, off, s[0:3], 0 offset:352
	s_waitcnt vmcnt(10)
	v_fmac_f64_e32 v[116:117], v[140:141], v[126:127]
	s_waitcnt vmcnt(8) lgkmcnt(1)
	v_fmac_f64_e32 v[116:117], v[142:143], v[128:129]
	s_waitcnt vmcnt(6)
	v_fmac_f64_e32 v[116:117], v[144:145], v[130:131]
	s_waitcnt vmcnt(4) lgkmcnt(0)
	v_fmac_f64_e32 v[116:117], v[146:147], v[132:133]
	s_waitcnt vmcnt(2)
	v_fmac_f64_e32 v[116:117], v[120:121], v[134:135]
	ds_read_b128 v[120:123], v118 offset:800
	s_waitcnt vmcnt(0) lgkmcnt(0)
	v_fmac_f64_e32 v[116:117], v[124:125], v[120:121]
	buffer_load_dword v121, off, s[0:3], 0 offset:364
	buffer_load_dword v120, off, s[0:3], 0 offset:360
	buffer_load_dword v125, off, s[0:3], 0 offset:372
	buffer_load_dword v124, off, s[0:3], 0 offset:368
	s_waitcnt vmcnt(2)
	v_fmac_f64_e32 v[116:117], v[120:121], v[122:123]
	ds_read_b128 v[120:123], v118 offset:816
	s_waitcnt vmcnt(0) lgkmcnt(0)
	v_fmac_f64_e32 v[116:117], v[124:125], v[120:121]
	buffer_load_dword v121, off, s[0:3], 0 offset:380
	buffer_load_dword v120, off, s[0:3], 0 offset:376
	buffer_load_dword v125, off, s[0:3], 0 offset:388
	buffer_load_dword v124, off, s[0:3], 0 offset:384
	;; [unrolled: 9-line block ×4, first 2 shown]
	s_waitcnt vmcnt(2)
	v_fmac_f64_e32 v[116:117], v[120:121], v[122:123]
	ds_read_b128 v[120:123], v118 offset:864
	s_waitcnt vmcnt(0) lgkmcnt(0)
	v_fmac_f64_e32 v[116:117], v[124:125], v[120:121]
	buffer_load_dword v121, off, s[0:3], 0 offset:428
	buffer_load_dword v120, off, s[0:3], 0 offset:424
	s_waitcnt vmcnt(0)
	v_fmac_f64_e32 v[116:117], v[120:121], v[122:123]
	buffer_load_dword v123, off, s[0:3], 0 offset:436
	buffer_load_dword v122, off, s[0:3], 0 offset:432
	ds_read_b128 v[118:121], v118 offset:880
	s_waitcnt vmcnt(0) lgkmcnt(0)
	v_fmac_f64_e32 v[116:117], v[122:123], v[118:119]
	buffer_load_dword v119, off, s[0:3], 0 offset:444
	buffer_load_dword v118, off, s[0:3], 0 offset:440
	s_waitcnt vmcnt(0)
	v_fmac_f64_e32 v[116:117], v[118:119], v[120:121]
	v_add_f64 v[114:115], v[114:115], -v[116:117]
	buffer_store_dword v115, off, s[0:3], 0 offset:284
	buffer_store_dword v114, off, s[0:3], 0 offset:280
	s_and_saveexec_b64 s[4:5], vcc
	s_cbranch_execz .LBB119_275
; %bb.274:
	buffer_load_dword v114, off, s[0:3], 0 offset:272
	buffer_load_dword v115, off, s[0:3], 0 offset:276
	v_mov_b32_e32 v116, 0
	buffer_store_dword v116, off, s[0:3], 0 offset:272
	buffer_store_dword v116, off, s[0:3], 0 offset:276
	s_waitcnt vmcnt(2)
	ds_write_b64 v1, v[114:115]
.LBB119_275:
	s_or_b64 exec, exec, s[4:5]
	s_waitcnt lgkmcnt(0)
	; wave barrier
	s_waitcnt lgkmcnt(0)
	buffer_load_dword v114, off, s[0:3], 0 offset:272
	buffer_load_dword v115, off, s[0:3], 0 offset:276
	;; [unrolled: 1-line block ×16, first 2 shown]
	v_mov_b32_e32 v118, 0
	ds_read2_b64 v[120:123], v118 offset0:91 offset1:92
	v_cmp_lt_u32_e32 vcc, 33, v0
	s_waitcnt vmcnt(12) lgkmcnt(0)
	v_fma_f64 v[116:117], v[116:117], v[120:121], 0
	s_waitcnt vmcnt(10)
	v_fmac_f64_e32 v[116:117], v[124:125], v[122:123]
	ds_read2_b64 v[120:123], v118 offset0:93 offset1:94
	s_waitcnt vmcnt(8) lgkmcnt(0)
	v_fmac_f64_e32 v[116:117], v[126:127], v[120:121]
	s_waitcnt vmcnt(6)
	v_fmac_f64_e32 v[116:117], v[128:129], v[122:123]
	ds_read2_b64 v[120:123], v118 offset0:95 offset1:96
	s_waitcnt vmcnt(4) lgkmcnt(0)
	v_fmac_f64_e32 v[116:117], v[130:131], v[120:121]
	;; [unrolled: 5-line block ×3, first 2 shown]
	buffer_load_dword v121, off, s[0:3], 0 offset:340
	buffer_load_dword v120, off, s[0:3], 0 offset:336
	buffer_load_dword v125, off, s[0:3], 0 offset:348
	buffer_load_dword v124, off, s[0:3], 0 offset:344
	s_waitcnt vmcnt(2)
	v_fmac_f64_e32 v[116:117], v[120:121], v[122:123]
	ds_read2_b64 v[120:123], v118 offset0:99 offset1:100
	s_waitcnt vmcnt(0) lgkmcnt(0)
	v_fmac_f64_e32 v[116:117], v[124:125], v[120:121]
	buffer_load_dword v121, off, s[0:3], 0 offset:356
	buffer_load_dword v120, off, s[0:3], 0 offset:352
	buffer_load_dword v125, off, s[0:3], 0 offset:364
	buffer_load_dword v124, off, s[0:3], 0 offset:360
	s_waitcnt vmcnt(2)
	v_fmac_f64_e32 v[116:117], v[120:121], v[122:123]
	ds_read2_b64 v[120:123], v118 offset0:101 offset1:102
	s_waitcnt vmcnt(0) lgkmcnt(0)
	v_fmac_f64_e32 v[116:117], v[124:125], v[120:121]
	;; [unrolled: 9-line block ×6, first 2 shown]
	buffer_load_dword v121, off, s[0:3], 0 offset:436
	buffer_load_dword v120, off, s[0:3], 0 offset:432
	s_waitcnt vmcnt(0)
	v_fmac_f64_e32 v[116:117], v[120:121], v[122:123]
	buffer_load_dword v121, off, s[0:3], 0 offset:444
	buffer_load_dword v120, off, s[0:3], 0 offset:440
	ds_read_b64 v[122:123], v118 offset:888
	s_waitcnt vmcnt(0) lgkmcnt(0)
	v_fmac_f64_e32 v[116:117], v[120:121], v[122:123]
	v_add_f64 v[114:115], v[114:115], -v[116:117]
	buffer_store_dword v115, off, s[0:3], 0 offset:276
	buffer_store_dword v114, off, s[0:3], 0 offset:272
	s_and_saveexec_b64 s[4:5], vcc
	s_cbranch_execz .LBB119_277
; %bb.276:
	buffer_load_dword v114, off, s[0:3], 0 offset:264
	buffer_load_dword v115, off, s[0:3], 0 offset:268
	s_waitcnt vmcnt(0)
	ds_write_b64 v1, v[114:115]
	buffer_store_dword v118, off, s[0:3], 0 offset:264
	buffer_store_dword v118, off, s[0:3], 0 offset:268
.LBB119_277:
	s_or_b64 exec, exec, s[4:5]
	s_waitcnt lgkmcnt(0)
	; wave barrier
	s_waitcnt lgkmcnt(0)
	buffer_load_dword v114, off, s[0:3], 0 offset:264
	buffer_load_dword v115, off, s[0:3], 0 offset:268
	;; [unrolled: 1-line block ×16, first 2 shown]
	ds_read_b128 v[120:123], v118 offset:720
	ds_read_b128 v[124:127], v118 offset:736
	ds_read_b128 v[128:131], v118 offset:752
	ds_read_b128 v[132:135], v118 offset:768
	v_cmp_lt_u32_e32 vcc, 32, v0
	s_waitcnt vmcnt(12) lgkmcnt(3)
	v_fma_f64 v[116:117], v[116:117], v[120:121], 0
	buffer_load_dword v121, off, s[0:3], 0 offset:332
	buffer_load_dword v120, off, s[0:3], 0 offset:328
	s_waitcnt vmcnt(12)
	v_fmac_f64_e32 v[116:117], v[136:137], v[122:123]
	s_waitcnt vmcnt(10) lgkmcnt(2)
	v_fmac_f64_e32 v[116:117], v[138:139], v[124:125]
	buffer_load_dword v125, off, s[0:3], 0 offset:340
	buffer_load_dword v124, off, s[0:3], 0 offset:336
	s_waitcnt vmcnt(10)
	v_fmac_f64_e32 v[116:117], v[140:141], v[126:127]
	s_waitcnt vmcnt(8) lgkmcnt(1)
	v_fmac_f64_e32 v[116:117], v[142:143], v[128:129]
	s_waitcnt vmcnt(6)
	v_fmac_f64_e32 v[116:117], v[144:145], v[130:131]
	s_waitcnt vmcnt(4) lgkmcnt(0)
	v_fmac_f64_e32 v[116:117], v[146:147], v[132:133]
	s_waitcnt vmcnt(2)
	v_fmac_f64_e32 v[116:117], v[120:121], v[134:135]
	ds_read_b128 v[120:123], v118 offset:784
	s_waitcnt vmcnt(0) lgkmcnt(0)
	v_fmac_f64_e32 v[116:117], v[124:125], v[120:121]
	buffer_load_dword v121, off, s[0:3], 0 offset:348
	buffer_load_dword v120, off, s[0:3], 0 offset:344
	buffer_load_dword v125, off, s[0:3], 0 offset:356
	buffer_load_dword v124, off, s[0:3], 0 offset:352
	s_waitcnt vmcnt(2)
	v_fmac_f64_e32 v[116:117], v[120:121], v[122:123]
	ds_read_b128 v[120:123], v118 offset:800
	s_waitcnt vmcnt(0) lgkmcnt(0)
	v_fmac_f64_e32 v[116:117], v[124:125], v[120:121]
	buffer_load_dword v121, off, s[0:3], 0 offset:364
	buffer_load_dword v120, off, s[0:3], 0 offset:360
	buffer_load_dword v125, off, s[0:3], 0 offset:372
	buffer_load_dword v124, off, s[0:3], 0 offset:368
	;; [unrolled: 9-line block ×5, first 2 shown]
	s_waitcnt vmcnt(2)
	v_fmac_f64_e32 v[116:117], v[120:121], v[122:123]
	ds_read_b128 v[120:123], v118 offset:864
	s_waitcnt vmcnt(0) lgkmcnt(0)
	v_fmac_f64_e32 v[116:117], v[124:125], v[120:121]
	buffer_load_dword v121, off, s[0:3], 0 offset:428
	buffer_load_dword v120, off, s[0:3], 0 offset:424
	s_waitcnt vmcnt(0)
	v_fmac_f64_e32 v[116:117], v[120:121], v[122:123]
	buffer_load_dword v123, off, s[0:3], 0 offset:436
	buffer_load_dword v122, off, s[0:3], 0 offset:432
	ds_read_b128 v[118:121], v118 offset:880
	s_waitcnt vmcnt(0) lgkmcnt(0)
	v_fmac_f64_e32 v[116:117], v[122:123], v[118:119]
	buffer_load_dword v119, off, s[0:3], 0 offset:444
	buffer_load_dword v118, off, s[0:3], 0 offset:440
	s_waitcnt vmcnt(0)
	v_fmac_f64_e32 v[116:117], v[118:119], v[120:121]
	v_add_f64 v[114:115], v[114:115], -v[116:117]
	buffer_store_dword v115, off, s[0:3], 0 offset:268
	buffer_store_dword v114, off, s[0:3], 0 offset:264
	s_and_saveexec_b64 s[4:5], vcc
	s_cbranch_execz .LBB119_279
; %bb.278:
	buffer_load_dword v114, off, s[0:3], 0 offset:256
	buffer_load_dword v115, off, s[0:3], 0 offset:260
	v_mov_b32_e32 v116, 0
	buffer_store_dword v116, off, s[0:3], 0 offset:256
	buffer_store_dword v116, off, s[0:3], 0 offset:260
	s_waitcnt vmcnt(2)
	ds_write_b64 v1, v[114:115]
.LBB119_279:
	s_or_b64 exec, exec, s[4:5]
	s_waitcnt lgkmcnt(0)
	; wave barrier
	s_waitcnt lgkmcnt(0)
	buffer_load_dword v114, off, s[0:3], 0 offset:256
	buffer_load_dword v115, off, s[0:3], 0 offset:260
	;; [unrolled: 1-line block ×16, first 2 shown]
	v_mov_b32_e32 v118, 0
	ds_read2_b64 v[120:123], v118 offset0:89 offset1:90
	v_cmp_lt_u32_e32 vcc, 31, v0
	s_waitcnt vmcnt(12) lgkmcnt(0)
	v_fma_f64 v[116:117], v[116:117], v[120:121], 0
	s_waitcnt vmcnt(10)
	v_fmac_f64_e32 v[116:117], v[124:125], v[122:123]
	ds_read2_b64 v[120:123], v118 offset0:91 offset1:92
	s_waitcnt vmcnt(8) lgkmcnt(0)
	v_fmac_f64_e32 v[116:117], v[126:127], v[120:121]
	s_waitcnt vmcnt(6)
	v_fmac_f64_e32 v[116:117], v[128:129], v[122:123]
	ds_read2_b64 v[120:123], v118 offset0:93 offset1:94
	s_waitcnt vmcnt(4) lgkmcnt(0)
	v_fmac_f64_e32 v[116:117], v[130:131], v[120:121]
	;; [unrolled: 5-line block ×3, first 2 shown]
	buffer_load_dword v121, off, s[0:3], 0 offset:324
	buffer_load_dword v120, off, s[0:3], 0 offset:320
	buffer_load_dword v125, off, s[0:3], 0 offset:332
	buffer_load_dword v124, off, s[0:3], 0 offset:328
	s_waitcnt vmcnt(2)
	v_fmac_f64_e32 v[116:117], v[120:121], v[122:123]
	ds_read2_b64 v[120:123], v118 offset0:97 offset1:98
	s_waitcnt vmcnt(0) lgkmcnt(0)
	v_fmac_f64_e32 v[116:117], v[124:125], v[120:121]
	buffer_load_dword v121, off, s[0:3], 0 offset:340
	buffer_load_dword v120, off, s[0:3], 0 offset:336
	buffer_load_dword v125, off, s[0:3], 0 offset:348
	buffer_load_dword v124, off, s[0:3], 0 offset:344
	s_waitcnt vmcnt(2)
	v_fmac_f64_e32 v[116:117], v[120:121], v[122:123]
	ds_read2_b64 v[120:123], v118 offset0:99 offset1:100
	s_waitcnt vmcnt(0) lgkmcnt(0)
	v_fmac_f64_e32 v[116:117], v[124:125], v[120:121]
	;; [unrolled: 9-line block ×7, first 2 shown]
	buffer_load_dword v121, off, s[0:3], 0 offset:436
	buffer_load_dword v120, off, s[0:3], 0 offset:432
	s_waitcnt vmcnt(0)
	v_fmac_f64_e32 v[116:117], v[120:121], v[122:123]
	buffer_load_dword v121, off, s[0:3], 0 offset:444
	buffer_load_dword v120, off, s[0:3], 0 offset:440
	ds_read_b64 v[122:123], v118 offset:888
	s_waitcnt vmcnt(0) lgkmcnt(0)
	v_fmac_f64_e32 v[116:117], v[120:121], v[122:123]
	v_add_f64 v[114:115], v[114:115], -v[116:117]
	buffer_store_dword v115, off, s[0:3], 0 offset:260
	buffer_store_dword v114, off, s[0:3], 0 offset:256
	s_and_saveexec_b64 s[4:5], vcc
	s_cbranch_execz .LBB119_281
; %bb.280:
	buffer_load_dword v114, off, s[0:3], 0 offset:248
	buffer_load_dword v115, off, s[0:3], 0 offset:252
	s_waitcnt vmcnt(0)
	ds_write_b64 v1, v[114:115]
	buffer_store_dword v118, off, s[0:3], 0 offset:248
	buffer_store_dword v118, off, s[0:3], 0 offset:252
.LBB119_281:
	s_or_b64 exec, exec, s[4:5]
	s_waitcnt lgkmcnt(0)
	; wave barrier
	s_waitcnt lgkmcnt(0)
	buffer_load_dword v114, off, s[0:3], 0 offset:248
	buffer_load_dword v115, off, s[0:3], 0 offset:252
	;; [unrolled: 1-line block ×16, first 2 shown]
	ds_read_b128 v[120:123], v118 offset:704
	ds_read_b128 v[124:127], v118 offset:720
	;; [unrolled: 1-line block ×4, first 2 shown]
	v_cmp_lt_u32_e32 vcc, 30, v0
	s_waitcnt vmcnt(12) lgkmcnt(3)
	v_fma_f64 v[116:117], v[116:117], v[120:121], 0
	buffer_load_dword v121, off, s[0:3], 0 offset:316
	buffer_load_dword v120, off, s[0:3], 0 offset:312
	s_waitcnt vmcnt(12)
	v_fmac_f64_e32 v[116:117], v[136:137], v[122:123]
	s_waitcnt vmcnt(10) lgkmcnt(2)
	v_fmac_f64_e32 v[116:117], v[138:139], v[124:125]
	buffer_load_dword v125, off, s[0:3], 0 offset:324
	buffer_load_dword v124, off, s[0:3], 0 offset:320
	s_waitcnt vmcnt(10)
	v_fmac_f64_e32 v[116:117], v[140:141], v[126:127]
	s_waitcnt vmcnt(8) lgkmcnt(1)
	v_fmac_f64_e32 v[116:117], v[142:143], v[128:129]
	s_waitcnt vmcnt(6)
	v_fmac_f64_e32 v[116:117], v[144:145], v[130:131]
	s_waitcnt vmcnt(4) lgkmcnt(0)
	v_fmac_f64_e32 v[116:117], v[146:147], v[132:133]
	s_waitcnt vmcnt(2)
	v_fmac_f64_e32 v[116:117], v[120:121], v[134:135]
	ds_read_b128 v[120:123], v118 offset:768
	s_waitcnt vmcnt(0) lgkmcnt(0)
	v_fmac_f64_e32 v[116:117], v[124:125], v[120:121]
	buffer_load_dword v121, off, s[0:3], 0 offset:332
	buffer_load_dword v120, off, s[0:3], 0 offset:328
	buffer_load_dword v125, off, s[0:3], 0 offset:340
	buffer_load_dword v124, off, s[0:3], 0 offset:336
	s_waitcnt vmcnt(2)
	v_fmac_f64_e32 v[116:117], v[120:121], v[122:123]
	ds_read_b128 v[120:123], v118 offset:784
	s_waitcnt vmcnt(0) lgkmcnt(0)
	v_fmac_f64_e32 v[116:117], v[124:125], v[120:121]
	buffer_load_dword v121, off, s[0:3], 0 offset:348
	buffer_load_dword v120, off, s[0:3], 0 offset:344
	buffer_load_dword v125, off, s[0:3], 0 offset:356
	buffer_load_dword v124, off, s[0:3], 0 offset:352
	;; [unrolled: 9-line block ×6, first 2 shown]
	s_waitcnt vmcnt(2)
	v_fmac_f64_e32 v[116:117], v[120:121], v[122:123]
	ds_read_b128 v[120:123], v118 offset:864
	s_waitcnt vmcnt(0) lgkmcnt(0)
	v_fmac_f64_e32 v[116:117], v[124:125], v[120:121]
	buffer_load_dword v121, off, s[0:3], 0 offset:428
	buffer_load_dword v120, off, s[0:3], 0 offset:424
	s_waitcnt vmcnt(0)
	v_fmac_f64_e32 v[116:117], v[120:121], v[122:123]
	buffer_load_dword v123, off, s[0:3], 0 offset:436
	buffer_load_dword v122, off, s[0:3], 0 offset:432
	ds_read_b128 v[118:121], v118 offset:880
	s_waitcnt vmcnt(0) lgkmcnt(0)
	v_fmac_f64_e32 v[116:117], v[122:123], v[118:119]
	buffer_load_dword v119, off, s[0:3], 0 offset:444
	buffer_load_dword v118, off, s[0:3], 0 offset:440
	s_waitcnt vmcnt(0)
	v_fmac_f64_e32 v[116:117], v[118:119], v[120:121]
	v_add_f64 v[114:115], v[114:115], -v[116:117]
	buffer_store_dword v115, off, s[0:3], 0 offset:252
	buffer_store_dword v114, off, s[0:3], 0 offset:248
	s_and_saveexec_b64 s[4:5], vcc
	s_cbranch_execz .LBB119_283
; %bb.282:
	buffer_load_dword v114, off, s[0:3], 0 offset:240
	buffer_load_dword v115, off, s[0:3], 0 offset:244
	v_mov_b32_e32 v116, 0
	buffer_store_dword v116, off, s[0:3], 0 offset:240
	buffer_store_dword v116, off, s[0:3], 0 offset:244
	s_waitcnt vmcnt(2)
	ds_write_b64 v1, v[114:115]
.LBB119_283:
	s_or_b64 exec, exec, s[4:5]
	s_waitcnt lgkmcnt(0)
	; wave barrier
	s_waitcnt lgkmcnt(0)
	buffer_load_dword v114, off, s[0:3], 0 offset:240
	buffer_load_dword v115, off, s[0:3], 0 offset:244
	buffer_load_dword v116, off, s[0:3], 0 offset:248
	buffer_load_dword v117, off, s[0:3], 0 offset:252
	buffer_load_dword v124, off, s[0:3], 0 offset:256
	buffer_load_dword v125, off, s[0:3], 0 offset:260
	buffer_load_dword v126, off, s[0:3], 0 offset:264
	buffer_load_dword v127, off, s[0:3], 0 offset:268
	buffer_load_dword v128, off, s[0:3], 0 offset:272
	buffer_load_dword v129, off, s[0:3], 0 offset:276
	buffer_load_dword v130, off, s[0:3], 0 offset:280
	buffer_load_dword v131, off, s[0:3], 0 offset:284
	buffer_load_dword v132, off, s[0:3], 0 offset:288
	buffer_load_dword v133, off, s[0:3], 0 offset:292
	buffer_load_dword v134, off, s[0:3], 0 offset:296
	buffer_load_dword v135, off, s[0:3], 0 offset:300
	v_mov_b32_e32 v118, 0
	ds_read2_b64 v[120:123], v118 offset0:87 offset1:88
	v_cmp_lt_u32_e32 vcc, 29, v0
	s_waitcnt vmcnt(12) lgkmcnt(0)
	v_fma_f64 v[116:117], v[116:117], v[120:121], 0
	s_waitcnt vmcnt(10)
	v_fmac_f64_e32 v[116:117], v[124:125], v[122:123]
	ds_read2_b64 v[120:123], v118 offset0:89 offset1:90
	s_waitcnt vmcnt(8) lgkmcnt(0)
	v_fmac_f64_e32 v[116:117], v[126:127], v[120:121]
	s_waitcnt vmcnt(6)
	v_fmac_f64_e32 v[116:117], v[128:129], v[122:123]
	ds_read2_b64 v[120:123], v118 offset0:91 offset1:92
	s_waitcnt vmcnt(4) lgkmcnt(0)
	v_fmac_f64_e32 v[116:117], v[130:131], v[120:121]
	;; [unrolled: 5-line block ×3, first 2 shown]
	buffer_load_dword v121, off, s[0:3], 0 offset:308
	buffer_load_dword v120, off, s[0:3], 0 offset:304
	buffer_load_dword v125, off, s[0:3], 0 offset:316
	buffer_load_dword v124, off, s[0:3], 0 offset:312
	s_waitcnt vmcnt(2)
	v_fmac_f64_e32 v[116:117], v[120:121], v[122:123]
	ds_read2_b64 v[120:123], v118 offset0:95 offset1:96
	s_waitcnt vmcnt(0) lgkmcnt(0)
	v_fmac_f64_e32 v[116:117], v[124:125], v[120:121]
	buffer_load_dword v121, off, s[0:3], 0 offset:324
	buffer_load_dword v120, off, s[0:3], 0 offset:320
	buffer_load_dword v125, off, s[0:3], 0 offset:332
	buffer_load_dword v124, off, s[0:3], 0 offset:328
	s_waitcnt vmcnt(2)
	v_fmac_f64_e32 v[116:117], v[120:121], v[122:123]
	ds_read2_b64 v[120:123], v118 offset0:97 offset1:98
	s_waitcnt vmcnt(0) lgkmcnt(0)
	v_fmac_f64_e32 v[116:117], v[124:125], v[120:121]
	buffer_load_dword v121, off, s[0:3], 0 offset:340
	buffer_load_dword v120, off, s[0:3], 0 offset:336
	buffer_load_dword v125, off, s[0:3], 0 offset:348
	buffer_load_dword v124, off, s[0:3], 0 offset:344
	s_waitcnt vmcnt(2)
	v_fmac_f64_e32 v[116:117], v[120:121], v[122:123]
	ds_read2_b64 v[120:123], v118 offset0:99 offset1:100
	s_waitcnt vmcnt(0) lgkmcnt(0)
	v_fmac_f64_e32 v[116:117], v[124:125], v[120:121]
	buffer_load_dword v121, off, s[0:3], 0 offset:356
	buffer_load_dword v120, off, s[0:3], 0 offset:352
	buffer_load_dword v125, off, s[0:3], 0 offset:364
	buffer_load_dword v124, off, s[0:3], 0 offset:360
	s_waitcnt vmcnt(2)
	v_fmac_f64_e32 v[116:117], v[120:121], v[122:123]
	ds_read2_b64 v[120:123], v118 offset0:101 offset1:102
	s_waitcnt vmcnt(0) lgkmcnt(0)
	v_fmac_f64_e32 v[116:117], v[124:125], v[120:121]
	buffer_load_dword v121, off, s[0:3], 0 offset:372
	buffer_load_dword v120, off, s[0:3], 0 offset:368
	buffer_load_dword v125, off, s[0:3], 0 offset:380
	buffer_load_dword v124, off, s[0:3], 0 offset:376
	s_waitcnt vmcnt(2)
	v_fmac_f64_e32 v[116:117], v[120:121], v[122:123]
	ds_read2_b64 v[120:123], v118 offset0:103 offset1:104
	s_waitcnt vmcnt(0) lgkmcnt(0)
	v_fmac_f64_e32 v[116:117], v[124:125], v[120:121]
	buffer_load_dword v121, off, s[0:3], 0 offset:388
	buffer_load_dword v120, off, s[0:3], 0 offset:384
	buffer_load_dword v125, off, s[0:3], 0 offset:396
	buffer_load_dword v124, off, s[0:3], 0 offset:392
	s_waitcnt vmcnt(2)
	v_fmac_f64_e32 v[116:117], v[120:121], v[122:123]
	ds_read2_b64 v[120:123], v118 offset0:105 offset1:106
	s_waitcnt vmcnt(0) lgkmcnt(0)
	v_fmac_f64_e32 v[116:117], v[124:125], v[120:121]
	buffer_load_dword v121, off, s[0:3], 0 offset:404
	buffer_load_dword v120, off, s[0:3], 0 offset:400
	buffer_load_dword v125, off, s[0:3], 0 offset:412
	buffer_load_dword v124, off, s[0:3], 0 offset:408
	s_waitcnt vmcnt(2)
	v_fmac_f64_e32 v[116:117], v[120:121], v[122:123]
	ds_read2_b64 v[120:123], v118 offset0:107 offset1:108
	s_waitcnt vmcnt(0) lgkmcnt(0)
	v_fmac_f64_e32 v[116:117], v[124:125], v[120:121]
	buffer_load_dword v121, off, s[0:3], 0 offset:420
	buffer_load_dword v120, off, s[0:3], 0 offset:416
	buffer_load_dword v125, off, s[0:3], 0 offset:428
	buffer_load_dword v124, off, s[0:3], 0 offset:424
	s_waitcnt vmcnt(2)
	v_fmac_f64_e32 v[116:117], v[120:121], v[122:123]
	ds_read2_b64 v[120:123], v118 offset0:109 offset1:110
	s_waitcnt vmcnt(0) lgkmcnt(0)
	v_fmac_f64_e32 v[116:117], v[124:125], v[120:121]
	buffer_load_dword v121, off, s[0:3], 0 offset:436
	buffer_load_dword v120, off, s[0:3], 0 offset:432
	s_waitcnt vmcnt(0)
	v_fmac_f64_e32 v[116:117], v[120:121], v[122:123]
	buffer_load_dword v121, off, s[0:3], 0 offset:444
	buffer_load_dword v120, off, s[0:3], 0 offset:440
	ds_read_b64 v[122:123], v118 offset:888
	s_waitcnt vmcnt(0) lgkmcnt(0)
	v_fmac_f64_e32 v[116:117], v[120:121], v[122:123]
	v_add_f64 v[114:115], v[114:115], -v[116:117]
	buffer_store_dword v115, off, s[0:3], 0 offset:244
	buffer_store_dword v114, off, s[0:3], 0 offset:240
	s_and_saveexec_b64 s[4:5], vcc
	s_cbranch_execz .LBB119_285
; %bb.284:
	buffer_load_dword v114, off, s[0:3], 0 offset:232
	buffer_load_dword v115, off, s[0:3], 0 offset:236
	s_waitcnt vmcnt(0)
	ds_write_b64 v1, v[114:115]
	buffer_store_dword v118, off, s[0:3], 0 offset:232
	buffer_store_dword v118, off, s[0:3], 0 offset:236
.LBB119_285:
	s_or_b64 exec, exec, s[4:5]
	s_waitcnt lgkmcnt(0)
	; wave barrier
	s_waitcnt lgkmcnt(0)
	buffer_load_dword v114, off, s[0:3], 0 offset:232
	buffer_load_dword v115, off, s[0:3], 0 offset:236
	;; [unrolled: 1-line block ×16, first 2 shown]
	ds_read_b128 v[120:123], v118 offset:688
	ds_read_b128 v[124:127], v118 offset:704
	;; [unrolled: 1-line block ×4, first 2 shown]
	v_cmp_lt_u32_e32 vcc, 28, v0
	s_waitcnt vmcnt(12) lgkmcnt(3)
	v_fma_f64 v[116:117], v[116:117], v[120:121], 0
	buffer_load_dword v121, off, s[0:3], 0 offset:300
	buffer_load_dword v120, off, s[0:3], 0 offset:296
	s_waitcnt vmcnt(12)
	v_fmac_f64_e32 v[116:117], v[136:137], v[122:123]
	s_waitcnt vmcnt(10) lgkmcnt(2)
	v_fmac_f64_e32 v[116:117], v[138:139], v[124:125]
	buffer_load_dword v125, off, s[0:3], 0 offset:308
	buffer_load_dword v124, off, s[0:3], 0 offset:304
	s_waitcnt vmcnt(10)
	v_fmac_f64_e32 v[116:117], v[140:141], v[126:127]
	s_waitcnt vmcnt(8) lgkmcnt(1)
	v_fmac_f64_e32 v[116:117], v[142:143], v[128:129]
	s_waitcnt vmcnt(6)
	v_fmac_f64_e32 v[116:117], v[144:145], v[130:131]
	s_waitcnt vmcnt(4) lgkmcnt(0)
	v_fmac_f64_e32 v[116:117], v[146:147], v[132:133]
	s_waitcnt vmcnt(2)
	v_fmac_f64_e32 v[116:117], v[120:121], v[134:135]
	ds_read_b128 v[120:123], v118 offset:752
	s_waitcnt vmcnt(0) lgkmcnt(0)
	v_fmac_f64_e32 v[116:117], v[124:125], v[120:121]
	buffer_load_dword v121, off, s[0:3], 0 offset:316
	buffer_load_dword v120, off, s[0:3], 0 offset:312
	buffer_load_dword v125, off, s[0:3], 0 offset:324
	buffer_load_dword v124, off, s[0:3], 0 offset:320
	s_waitcnt vmcnt(2)
	v_fmac_f64_e32 v[116:117], v[120:121], v[122:123]
	ds_read_b128 v[120:123], v118 offset:768
	s_waitcnt vmcnt(0) lgkmcnt(0)
	v_fmac_f64_e32 v[116:117], v[124:125], v[120:121]
	buffer_load_dword v121, off, s[0:3], 0 offset:332
	buffer_load_dword v120, off, s[0:3], 0 offset:328
	buffer_load_dword v125, off, s[0:3], 0 offset:340
	buffer_load_dword v124, off, s[0:3], 0 offset:336
	;; [unrolled: 9-line block ×7, first 2 shown]
	s_waitcnt vmcnt(2)
	v_fmac_f64_e32 v[116:117], v[120:121], v[122:123]
	ds_read_b128 v[120:123], v118 offset:864
	s_waitcnt vmcnt(0) lgkmcnt(0)
	v_fmac_f64_e32 v[116:117], v[124:125], v[120:121]
	buffer_load_dword v121, off, s[0:3], 0 offset:428
	buffer_load_dword v120, off, s[0:3], 0 offset:424
	s_waitcnt vmcnt(0)
	v_fmac_f64_e32 v[116:117], v[120:121], v[122:123]
	buffer_load_dword v123, off, s[0:3], 0 offset:436
	buffer_load_dword v122, off, s[0:3], 0 offset:432
	ds_read_b128 v[118:121], v118 offset:880
	s_waitcnt vmcnt(0) lgkmcnt(0)
	v_fmac_f64_e32 v[116:117], v[122:123], v[118:119]
	buffer_load_dword v119, off, s[0:3], 0 offset:444
	buffer_load_dword v118, off, s[0:3], 0 offset:440
	s_waitcnt vmcnt(0)
	v_fmac_f64_e32 v[116:117], v[118:119], v[120:121]
	v_add_f64 v[114:115], v[114:115], -v[116:117]
	buffer_store_dword v115, off, s[0:3], 0 offset:236
	buffer_store_dword v114, off, s[0:3], 0 offset:232
	s_and_saveexec_b64 s[4:5], vcc
	s_cbranch_execz .LBB119_287
; %bb.286:
	buffer_load_dword v114, off, s[0:3], 0 offset:224
	buffer_load_dword v115, off, s[0:3], 0 offset:228
	v_mov_b32_e32 v116, 0
	buffer_store_dword v116, off, s[0:3], 0 offset:224
	buffer_store_dword v116, off, s[0:3], 0 offset:228
	s_waitcnt vmcnt(2)
	ds_write_b64 v1, v[114:115]
.LBB119_287:
	s_or_b64 exec, exec, s[4:5]
	s_waitcnt lgkmcnt(0)
	; wave barrier
	s_waitcnt lgkmcnt(0)
	buffer_load_dword v114, off, s[0:3], 0 offset:224
	buffer_load_dword v115, off, s[0:3], 0 offset:228
	;; [unrolled: 1-line block ×16, first 2 shown]
	v_mov_b32_e32 v118, 0
	ds_read2_b64 v[120:123], v118 offset0:85 offset1:86
	v_cmp_lt_u32_e32 vcc, 27, v0
	s_waitcnt vmcnt(12) lgkmcnt(0)
	v_fma_f64 v[116:117], v[116:117], v[120:121], 0
	s_waitcnt vmcnt(10)
	v_fmac_f64_e32 v[116:117], v[124:125], v[122:123]
	ds_read2_b64 v[120:123], v118 offset0:87 offset1:88
	s_waitcnt vmcnt(8) lgkmcnt(0)
	v_fmac_f64_e32 v[116:117], v[126:127], v[120:121]
	s_waitcnt vmcnt(6)
	v_fmac_f64_e32 v[116:117], v[128:129], v[122:123]
	ds_read2_b64 v[120:123], v118 offset0:89 offset1:90
	s_waitcnt vmcnt(4) lgkmcnt(0)
	v_fmac_f64_e32 v[116:117], v[130:131], v[120:121]
	;; [unrolled: 5-line block ×3, first 2 shown]
	buffer_load_dword v121, off, s[0:3], 0 offset:292
	buffer_load_dword v120, off, s[0:3], 0 offset:288
	buffer_load_dword v125, off, s[0:3], 0 offset:300
	buffer_load_dword v124, off, s[0:3], 0 offset:296
	s_waitcnt vmcnt(2)
	v_fmac_f64_e32 v[116:117], v[120:121], v[122:123]
	ds_read2_b64 v[120:123], v118 offset0:93 offset1:94
	s_waitcnt vmcnt(0) lgkmcnt(0)
	v_fmac_f64_e32 v[116:117], v[124:125], v[120:121]
	buffer_load_dword v121, off, s[0:3], 0 offset:308
	buffer_load_dword v120, off, s[0:3], 0 offset:304
	buffer_load_dword v125, off, s[0:3], 0 offset:316
	buffer_load_dword v124, off, s[0:3], 0 offset:312
	s_waitcnt vmcnt(2)
	v_fmac_f64_e32 v[116:117], v[120:121], v[122:123]
	ds_read2_b64 v[120:123], v118 offset0:95 offset1:96
	s_waitcnt vmcnt(0) lgkmcnt(0)
	v_fmac_f64_e32 v[116:117], v[124:125], v[120:121]
	;; [unrolled: 9-line block ×9, first 2 shown]
	buffer_load_dword v121, off, s[0:3], 0 offset:436
	buffer_load_dword v120, off, s[0:3], 0 offset:432
	s_waitcnt vmcnt(0)
	v_fmac_f64_e32 v[116:117], v[120:121], v[122:123]
	buffer_load_dword v121, off, s[0:3], 0 offset:444
	buffer_load_dword v120, off, s[0:3], 0 offset:440
	ds_read_b64 v[122:123], v118 offset:888
	s_waitcnt vmcnt(0) lgkmcnt(0)
	v_fmac_f64_e32 v[116:117], v[120:121], v[122:123]
	v_add_f64 v[114:115], v[114:115], -v[116:117]
	buffer_store_dword v115, off, s[0:3], 0 offset:228
	buffer_store_dword v114, off, s[0:3], 0 offset:224
	s_and_saveexec_b64 s[4:5], vcc
	s_cbranch_execz .LBB119_289
; %bb.288:
	buffer_load_dword v114, off, s[0:3], 0 offset:216
	buffer_load_dword v115, off, s[0:3], 0 offset:220
	s_waitcnt vmcnt(0)
	ds_write_b64 v1, v[114:115]
	buffer_store_dword v118, off, s[0:3], 0 offset:216
	buffer_store_dword v118, off, s[0:3], 0 offset:220
.LBB119_289:
	s_or_b64 exec, exec, s[4:5]
	s_waitcnt lgkmcnt(0)
	; wave barrier
	s_waitcnt lgkmcnt(0)
	buffer_load_dword v114, off, s[0:3], 0 offset:216
	buffer_load_dword v115, off, s[0:3], 0 offset:220
	;; [unrolled: 1-line block ×16, first 2 shown]
	ds_read_b128 v[120:123], v118 offset:672
	ds_read_b128 v[124:127], v118 offset:688
	;; [unrolled: 1-line block ×4, first 2 shown]
	v_cmp_lt_u32_e32 vcc, 26, v0
	s_waitcnt vmcnt(12) lgkmcnt(3)
	v_fma_f64 v[116:117], v[116:117], v[120:121], 0
	buffer_load_dword v121, off, s[0:3], 0 offset:284
	buffer_load_dword v120, off, s[0:3], 0 offset:280
	s_waitcnt vmcnt(12)
	v_fmac_f64_e32 v[116:117], v[136:137], v[122:123]
	s_waitcnt vmcnt(10) lgkmcnt(2)
	v_fmac_f64_e32 v[116:117], v[138:139], v[124:125]
	buffer_load_dword v125, off, s[0:3], 0 offset:292
	buffer_load_dword v124, off, s[0:3], 0 offset:288
	s_waitcnt vmcnt(10)
	v_fmac_f64_e32 v[116:117], v[140:141], v[126:127]
	s_waitcnt vmcnt(8) lgkmcnt(1)
	v_fmac_f64_e32 v[116:117], v[142:143], v[128:129]
	s_waitcnt vmcnt(6)
	v_fmac_f64_e32 v[116:117], v[144:145], v[130:131]
	s_waitcnt vmcnt(4) lgkmcnt(0)
	v_fmac_f64_e32 v[116:117], v[146:147], v[132:133]
	s_waitcnt vmcnt(2)
	v_fmac_f64_e32 v[116:117], v[120:121], v[134:135]
	ds_read_b128 v[120:123], v118 offset:736
	s_waitcnt vmcnt(0) lgkmcnt(0)
	v_fmac_f64_e32 v[116:117], v[124:125], v[120:121]
	buffer_load_dword v121, off, s[0:3], 0 offset:300
	buffer_load_dword v120, off, s[0:3], 0 offset:296
	buffer_load_dword v125, off, s[0:3], 0 offset:308
	buffer_load_dword v124, off, s[0:3], 0 offset:304
	s_waitcnt vmcnt(2)
	v_fmac_f64_e32 v[116:117], v[120:121], v[122:123]
	ds_read_b128 v[120:123], v118 offset:752
	s_waitcnt vmcnt(0) lgkmcnt(0)
	v_fmac_f64_e32 v[116:117], v[124:125], v[120:121]
	buffer_load_dword v121, off, s[0:3], 0 offset:316
	buffer_load_dword v120, off, s[0:3], 0 offset:312
	buffer_load_dword v125, off, s[0:3], 0 offset:324
	buffer_load_dword v124, off, s[0:3], 0 offset:320
	;; [unrolled: 9-line block ×8, first 2 shown]
	s_waitcnt vmcnt(2)
	v_fmac_f64_e32 v[116:117], v[120:121], v[122:123]
	ds_read_b128 v[120:123], v118 offset:864
	s_waitcnt vmcnt(0) lgkmcnt(0)
	v_fmac_f64_e32 v[116:117], v[124:125], v[120:121]
	buffer_load_dword v121, off, s[0:3], 0 offset:428
	buffer_load_dword v120, off, s[0:3], 0 offset:424
	s_waitcnt vmcnt(0)
	v_fmac_f64_e32 v[116:117], v[120:121], v[122:123]
	buffer_load_dword v123, off, s[0:3], 0 offset:436
	buffer_load_dword v122, off, s[0:3], 0 offset:432
	ds_read_b128 v[118:121], v118 offset:880
	s_waitcnt vmcnt(0) lgkmcnt(0)
	v_fmac_f64_e32 v[116:117], v[122:123], v[118:119]
	buffer_load_dword v119, off, s[0:3], 0 offset:444
	buffer_load_dword v118, off, s[0:3], 0 offset:440
	s_waitcnt vmcnt(0)
	v_fmac_f64_e32 v[116:117], v[118:119], v[120:121]
	v_add_f64 v[114:115], v[114:115], -v[116:117]
	buffer_store_dword v115, off, s[0:3], 0 offset:220
	buffer_store_dword v114, off, s[0:3], 0 offset:216
	s_and_saveexec_b64 s[4:5], vcc
	s_cbranch_execz .LBB119_291
; %bb.290:
	buffer_load_dword v114, off, s[0:3], 0 offset:208
	buffer_load_dword v115, off, s[0:3], 0 offset:212
	v_mov_b32_e32 v116, 0
	buffer_store_dword v116, off, s[0:3], 0 offset:208
	buffer_store_dword v116, off, s[0:3], 0 offset:212
	s_waitcnt vmcnt(2)
	ds_write_b64 v1, v[114:115]
.LBB119_291:
	s_or_b64 exec, exec, s[4:5]
	s_waitcnt lgkmcnt(0)
	; wave barrier
	s_waitcnt lgkmcnt(0)
	buffer_load_dword v114, off, s[0:3], 0 offset:208
	buffer_load_dword v115, off, s[0:3], 0 offset:212
	;; [unrolled: 1-line block ×16, first 2 shown]
	v_mov_b32_e32 v118, 0
	ds_read2_b64 v[120:123], v118 offset0:83 offset1:84
	v_cmp_lt_u32_e32 vcc, 25, v0
	s_waitcnt vmcnt(12) lgkmcnt(0)
	v_fma_f64 v[116:117], v[116:117], v[120:121], 0
	s_waitcnt vmcnt(10)
	v_fmac_f64_e32 v[116:117], v[124:125], v[122:123]
	ds_read2_b64 v[120:123], v118 offset0:85 offset1:86
	s_waitcnt vmcnt(8) lgkmcnt(0)
	v_fmac_f64_e32 v[116:117], v[126:127], v[120:121]
	s_waitcnt vmcnt(6)
	v_fmac_f64_e32 v[116:117], v[128:129], v[122:123]
	ds_read2_b64 v[120:123], v118 offset0:87 offset1:88
	s_waitcnt vmcnt(4) lgkmcnt(0)
	v_fmac_f64_e32 v[116:117], v[130:131], v[120:121]
	;; [unrolled: 5-line block ×3, first 2 shown]
	buffer_load_dword v121, off, s[0:3], 0 offset:276
	buffer_load_dword v120, off, s[0:3], 0 offset:272
	buffer_load_dword v125, off, s[0:3], 0 offset:284
	buffer_load_dword v124, off, s[0:3], 0 offset:280
	s_waitcnt vmcnt(2)
	v_fmac_f64_e32 v[116:117], v[120:121], v[122:123]
	ds_read2_b64 v[120:123], v118 offset0:91 offset1:92
	s_waitcnt vmcnt(0) lgkmcnt(0)
	v_fmac_f64_e32 v[116:117], v[124:125], v[120:121]
	buffer_load_dword v121, off, s[0:3], 0 offset:292
	buffer_load_dword v120, off, s[0:3], 0 offset:288
	buffer_load_dword v125, off, s[0:3], 0 offset:300
	buffer_load_dword v124, off, s[0:3], 0 offset:296
	s_waitcnt vmcnt(2)
	v_fmac_f64_e32 v[116:117], v[120:121], v[122:123]
	ds_read2_b64 v[120:123], v118 offset0:93 offset1:94
	s_waitcnt vmcnt(0) lgkmcnt(0)
	v_fmac_f64_e32 v[116:117], v[124:125], v[120:121]
	;; [unrolled: 9-line block ×10, first 2 shown]
	buffer_load_dword v121, off, s[0:3], 0 offset:436
	buffer_load_dword v120, off, s[0:3], 0 offset:432
	s_waitcnt vmcnt(0)
	v_fmac_f64_e32 v[116:117], v[120:121], v[122:123]
	buffer_load_dword v121, off, s[0:3], 0 offset:444
	buffer_load_dword v120, off, s[0:3], 0 offset:440
	ds_read_b64 v[122:123], v118 offset:888
	s_waitcnt vmcnt(0) lgkmcnt(0)
	v_fmac_f64_e32 v[116:117], v[120:121], v[122:123]
	v_add_f64 v[114:115], v[114:115], -v[116:117]
	buffer_store_dword v115, off, s[0:3], 0 offset:212
	buffer_store_dword v114, off, s[0:3], 0 offset:208
	s_and_saveexec_b64 s[4:5], vcc
	s_cbranch_execz .LBB119_293
; %bb.292:
	buffer_load_dword v114, off, s[0:3], 0 offset:200
	buffer_load_dword v115, off, s[0:3], 0 offset:204
	s_waitcnt vmcnt(0)
	ds_write_b64 v1, v[114:115]
	buffer_store_dword v118, off, s[0:3], 0 offset:200
	buffer_store_dword v118, off, s[0:3], 0 offset:204
.LBB119_293:
	s_or_b64 exec, exec, s[4:5]
	s_waitcnt lgkmcnt(0)
	; wave barrier
	s_waitcnt lgkmcnt(0)
	buffer_load_dword v114, off, s[0:3], 0 offset:200
	buffer_load_dword v115, off, s[0:3], 0 offset:204
	;; [unrolled: 1-line block ×16, first 2 shown]
	ds_read_b128 v[120:123], v118 offset:656
	ds_read_b128 v[124:127], v118 offset:672
	ds_read_b128 v[128:131], v118 offset:688
	ds_read_b128 v[132:135], v118 offset:704
	v_cmp_lt_u32_e32 vcc, 24, v0
	s_waitcnt vmcnt(12) lgkmcnt(3)
	v_fma_f64 v[116:117], v[116:117], v[120:121], 0
	buffer_load_dword v121, off, s[0:3], 0 offset:268
	buffer_load_dword v120, off, s[0:3], 0 offset:264
	s_waitcnt vmcnt(12)
	v_fmac_f64_e32 v[116:117], v[136:137], v[122:123]
	s_waitcnt vmcnt(10) lgkmcnt(2)
	v_fmac_f64_e32 v[116:117], v[138:139], v[124:125]
	buffer_load_dword v125, off, s[0:3], 0 offset:276
	buffer_load_dword v124, off, s[0:3], 0 offset:272
	s_waitcnt vmcnt(10)
	v_fmac_f64_e32 v[116:117], v[140:141], v[126:127]
	s_waitcnt vmcnt(8) lgkmcnt(1)
	v_fmac_f64_e32 v[116:117], v[142:143], v[128:129]
	s_waitcnt vmcnt(6)
	v_fmac_f64_e32 v[116:117], v[144:145], v[130:131]
	s_waitcnt vmcnt(4) lgkmcnt(0)
	v_fmac_f64_e32 v[116:117], v[146:147], v[132:133]
	s_waitcnt vmcnt(2)
	v_fmac_f64_e32 v[116:117], v[120:121], v[134:135]
	ds_read_b128 v[120:123], v118 offset:720
	s_waitcnt vmcnt(0) lgkmcnt(0)
	v_fmac_f64_e32 v[116:117], v[124:125], v[120:121]
	buffer_load_dword v121, off, s[0:3], 0 offset:284
	buffer_load_dword v120, off, s[0:3], 0 offset:280
	buffer_load_dword v125, off, s[0:3], 0 offset:292
	buffer_load_dword v124, off, s[0:3], 0 offset:288
	s_waitcnt vmcnt(2)
	v_fmac_f64_e32 v[116:117], v[120:121], v[122:123]
	ds_read_b128 v[120:123], v118 offset:736
	s_waitcnt vmcnt(0) lgkmcnt(0)
	v_fmac_f64_e32 v[116:117], v[124:125], v[120:121]
	buffer_load_dword v121, off, s[0:3], 0 offset:300
	buffer_load_dword v120, off, s[0:3], 0 offset:296
	buffer_load_dword v125, off, s[0:3], 0 offset:308
	buffer_load_dword v124, off, s[0:3], 0 offset:304
	;; [unrolled: 9-line block ×9, first 2 shown]
	s_waitcnt vmcnt(2)
	v_fmac_f64_e32 v[116:117], v[120:121], v[122:123]
	ds_read_b128 v[120:123], v118 offset:864
	s_waitcnt vmcnt(0) lgkmcnt(0)
	v_fmac_f64_e32 v[116:117], v[124:125], v[120:121]
	buffer_load_dword v121, off, s[0:3], 0 offset:428
	buffer_load_dword v120, off, s[0:3], 0 offset:424
	s_waitcnt vmcnt(0)
	v_fmac_f64_e32 v[116:117], v[120:121], v[122:123]
	buffer_load_dword v123, off, s[0:3], 0 offset:436
	buffer_load_dword v122, off, s[0:3], 0 offset:432
	ds_read_b128 v[118:121], v118 offset:880
	s_waitcnt vmcnt(0) lgkmcnt(0)
	v_fmac_f64_e32 v[116:117], v[122:123], v[118:119]
	buffer_load_dword v119, off, s[0:3], 0 offset:444
	buffer_load_dword v118, off, s[0:3], 0 offset:440
	s_waitcnt vmcnt(0)
	v_fmac_f64_e32 v[116:117], v[118:119], v[120:121]
	v_add_f64 v[114:115], v[114:115], -v[116:117]
	buffer_store_dword v115, off, s[0:3], 0 offset:204
	buffer_store_dword v114, off, s[0:3], 0 offset:200
	s_and_saveexec_b64 s[4:5], vcc
	s_cbranch_execz .LBB119_295
; %bb.294:
	buffer_load_dword v114, off, s[0:3], 0 offset:192
	buffer_load_dword v115, off, s[0:3], 0 offset:196
	v_mov_b32_e32 v116, 0
	buffer_store_dword v116, off, s[0:3], 0 offset:192
	buffer_store_dword v116, off, s[0:3], 0 offset:196
	s_waitcnt vmcnt(2)
	ds_write_b64 v1, v[114:115]
.LBB119_295:
	s_or_b64 exec, exec, s[4:5]
	s_waitcnt lgkmcnt(0)
	; wave barrier
	s_waitcnt lgkmcnt(0)
	buffer_load_dword v114, off, s[0:3], 0 offset:192
	buffer_load_dword v115, off, s[0:3], 0 offset:196
	;; [unrolled: 1-line block ×16, first 2 shown]
	v_mov_b32_e32 v118, 0
	ds_read2_b64 v[120:123], v118 offset0:81 offset1:82
	v_cmp_lt_u32_e32 vcc, 23, v0
	s_waitcnt vmcnt(12) lgkmcnt(0)
	v_fma_f64 v[116:117], v[116:117], v[120:121], 0
	s_waitcnt vmcnt(10)
	v_fmac_f64_e32 v[116:117], v[124:125], v[122:123]
	ds_read2_b64 v[120:123], v118 offset0:83 offset1:84
	s_waitcnt vmcnt(8) lgkmcnt(0)
	v_fmac_f64_e32 v[116:117], v[126:127], v[120:121]
	s_waitcnt vmcnt(6)
	v_fmac_f64_e32 v[116:117], v[128:129], v[122:123]
	ds_read2_b64 v[120:123], v118 offset0:85 offset1:86
	s_waitcnt vmcnt(4) lgkmcnt(0)
	v_fmac_f64_e32 v[116:117], v[130:131], v[120:121]
	s_waitcnt vmcnt(2)
	v_fmac_f64_e32 v[116:117], v[132:133], v[122:123]
	ds_read2_b64 v[120:123], v118 offset0:87 offset1:88
	s_waitcnt vmcnt(0) lgkmcnt(0)
	v_fmac_f64_e32 v[116:117], v[134:135], v[120:121]
	buffer_load_dword v121, off, s[0:3], 0 offset:260
	buffer_load_dword v120, off, s[0:3], 0 offset:256
	buffer_load_dword v125, off, s[0:3], 0 offset:268
	buffer_load_dword v124, off, s[0:3], 0 offset:264
	s_waitcnt vmcnt(2)
	v_fmac_f64_e32 v[116:117], v[120:121], v[122:123]
	ds_read2_b64 v[120:123], v118 offset0:89 offset1:90
	s_waitcnt vmcnt(0) lgkmcnt(0)
	v_fmac_f64_e32 v[116:117], v[124:125], v[120:121]
	buffer_load_dword v121, off, s[0:3], 0 offset:276
	buffer_load_dword v120, off, s[0:3], 0 offset:272
	buffer_load_dword v125, off, s[0:3], 0 offset:284
	buffer_load_dword v124, off, s[0:3], 0 offset:280
	s_waitcnt vmcnt(2)
	v_fmac_f64_e32 v[116:117], v[120:121], v[122:123]
	ds_read2_b64 v[120:123], v118 offset0:91 offset1:92
	s_waitcnt vmcnt(0) lgkmcnt(0)
	v_fmac_f64_e32 v[116:117], v[124:125], v[120:121]
	;; [unrolled: 9-line block ×11, first 2 shown]
	buffer_load_dword v121, off, s[0:3], 0 offset:436
	buffer_load_dword v120, off, s[0:3], 0 offset:432
	s_waitcnt vmcnt(0)
	v_fmac_f64_e32 v[116:117], v[120:121], v[122:123]
	buffer_load_dword v121, off, s[0:3], 0 offset:444
	buffer_load_dword v120, off, s[0:3], 0 offset:440
	ds_read_b64 v[122:123], v118 offset:888
	s_waitcnt vmcnt(0) lgkmcnt(0)
	v_fmac_f64_e32 v[116:117], v[120:121], v[122:123]
	v_add_f64 v[114:115], v[114:115], -v[116:117]
	buffer_store_dword v115, off, s[0:3], 0 offset:196
	buffer_store_dword v114, off, s[0:3], 0 offset:192
	s_and_saveexec_b64 s[4:5], vcc
	s_cbranch_execz .LBB119_297
; %bb.296:
	buffer_load_dword v114, off, s[0:3], 0 offset:184
	buffer_load_dword v115, off, s[0:3], 0 offset:188
	s_waitcnt vmcnt(0)
	ds_write_b64 v1, v[114:115]
	buffer_store_dword v118, off, s[0:3], 0 offset:184
	buffer_store_dword v118, off, s[0:3], 0 offset:188
.LBB119_297:
	s_or_b64 exec, exec, s[4:5]
	s_waitcnt lgkmcnt(0)
	; wave barrier
	s_waitcnt lgkmcnt(0)
	buffer_load_dword v114, off, s[0:3], 0 offset:184
	buffer_load_dword v115, off, s[0:3], 0 offset:188
	buffer_load_dword v116, off, s[0:3], 0 offset:192
	buffer_load_dword v117, off, s[0:3], 0 offset:196
	buffer_load_dword v136, off, s[0:3], 0 offset:200
	buffer_load_dword v137, off, s[0:3], 0 offset:204
	buffer_load_dword v138, off, s[0:3], 0 offset:208
	buffer_load_dword v139, off, s[0:3], 0 offset:212
	buffer_load_dword v140, off, s[0:3], 0 offset:216
	buffer_load_dword v141, off, s[0:3], 0 offset:220
	buffer_load_dword v142, off, s[0:3], 0 offset:224
	buffer_load_dword v143, off, s[0:3], 0 offset:228
	buffer_load_dword v144, off, s[0:3], 0 offset:232
	buffer_load_dword v145, off, s[0:3], 0 offset:236
	buffer_load_dword v146, off, s[0:3], 0 offset:240
	buffer_load_dword v147, off, s[0:3], 0 offset:244
	ds_read_b128 v[120:123], v118 offset:640
	ds_read_b128 v[124:127], v118 offset:656
	;; [unrolled: 1-line block ×4, first 2 shown]
	v_cmp_lt_u32_e32 vcc, 22, v0
	s_waitcnt vmcnt(12) lgkmcnt(3)
	v_fma_f64 v[116:117], v[116:117], v[120:121], 0
	buffer_load_dword v121, off, s[0:3], 0 offset:252
	buffer_load_dword v120, off, s[0:3], 0 offset:248
	s_waitcnt vmcnt(12)
	v_fmac_f64_e32 v[116:117], v[136:137], v[122:123]
	s_waitcnt vmcnt(10) lgkmcnt(2)
	v_fmac_f64_e32 v[116:117], v[138:139], v[124:125]
	buffer_load_dword v125, off, s[0:3], 0 offset:260
	buffer_load_dword v124, off, s[0:3], 0 offset:256
	s_waitcnt vmcnt(10)
	v_fmac_f64_e32 v[116:117], v[140:141], v[126:127]
	s_waitcnt vmcnt(8) lgkmcnt(1)
	v_fmac_f64_e32 v[116:117], v[142:143], v[128:129]
	s_waitcnt vmcnt(6)
	v_fmac_f64_e32 v[116:117], v[144:145], v[130:131]
	s_waitcnt vmcnt(4) lgkmcnt(0)
	v_fmac_f64_e32 v[116:117], v[146:147], v[132:133]
	s_waitcnt vmcnt(2)
	v_fmac_f64_e32 v[116:117], v[120:121], v[134:135]
	ds_read_b128 v[120:123], v118 offset:704
	s_waitcnt vmcnt(0) lgkmcnt(0)
	v_fmac_f64_e32 v[116:117], v[124:125], v[120:121]
	buffer_load_dword v121, off, s[0:3], 0 offset:268
	buffer_load_dword v120, off, s[0:3], 0 offset:264
	buffer_load_dword v125, off, s[0:3], 0 offset:276
	buffer_load_dword v124, off, s[0:3], 0 offset:272
	s_waitcnt vmcnt(2)
	v_fmac_f64_e32 v[116:117], v[120:121], v[122:123]
	ds_read_b128 v[120:123], v118 offset:720
	s_waitcnt vmcnt(0) lgkmcnt(0)
	v_fmac_f64_e32 v[116:117], v[124:125], v[120:121]
	buffer_load_dword v121, off, s[0:3], 0 offset:284
	buffer_load_dword v120, off, s[0:3], 0 offset:280
	buffer_load_dword v125, off, s[0:3], 0 offset:292
	buffer_load_dword v124, off, s[0:3], 0 offset:288
	;; [unrolled: 9-line block ×10, first 2 shown]
	s_waitcnt vmcnt(2)
	v_fmac_f64_e32 v[116:117], v[120:121], v[122:123]
	ds_read_b128 v[120:123], v118 offset:864
	s_waitcnt vmcnt(0) lgkmcnt(0)
	v_fmac_f64_e32 v[116:117], v[124:125], v[120:121]
	buffer_load_dword v121, off, s[0:3], 0 offset:428
	buffer_load_dword v120, off, s[0:3], 0 offset:424
	s_waitcnt vmcnt(0)
	v_fmac_f64_e32 v[116:117], v[120:121], v[122:123]
	buffer_load_dword v123, off, s[0:3], 0 offset:436
	buffer_load_dword v122, off, s[0:3], 0 offset:432
	ds_read_b128 v[118:121], v118 offset:880
	s_waitcnt vmcnt(0) lgkmcnt(0)
	v_fmac_f64_e32 v[116:117], v[122:123], v[118:119]
	buffer_load_dword v119, off, s[0:3], 0 offset:444
	buffer_load_dword v118, off, s[0:3], 0 offset:440
	s_waitcnt vmcnt(0)
	v_fmac_f64_e32 v[116:117], v[118:119], v[120:121]
	v_add_f64 v[114:115], v[114:115], -v[116:117]
	buffer_store_dword v115, off, s[0:3], 0 offset:188
	buffer_store_dword v114, off, s[0:3], 0 offset:184
	s_and_saveexec_b64 s[4:5], vcc
	s_cbranch_execz .LBB119_299
; %bb.298:
	buffer_load_dword v114, off, s[0:3], 0 offset:176
	buffer_load_dword v115, off, s[0:3], 0 offset:180
	v_mov_b32_e32 v116, 0
	buffer_store_dword v116, off, s[0:3], 0 offset:176
	buffer_store_dword v116, off, s[0:3], 0 offset:180
	s_waitcnt vmcnt(2)
	ds_write_b64 v1, v[114:115]
.LBB119_299:
	s_or_b64 exec, exec, s[4:5]
	s_waitcnt lgkmcnt(0)
	; wave barrier
	s_waitcnt lgkmcnt(0)
	buffer_load_dword v114, off, s[0:3], 0 offset:176
	buffer_load_dword v115, off, s[0:3], 0 offset:180
	;; [unrolled: 1-line block ×16, first 2 shown]
	v_mov_b32_e32 v118, 0
	ds_read2_b64 v[120:123], v118 offset0:79 offset1:80
	v_cmp_lt_u32_e32 vcc, 21, v0
	s_waitcnt vmcnt(12) lgkmcnt(0)
	v_fma_f64 v[116:117], v[116:117], v[120:121], 0
	s_waitcnt vmcnt(10)
	v_fmac_f64_e32 v[116:117], v[124:125], v[122:123]
	ds_read2_b64 v[120:123], v118 offset0:81 offset1:82
	s_waitcnt vmcnt(8) lgkmcnt(0)
	v_fmac_f64_e32 v[116:117], v[126:127], v[120:121]
	s_waitcnt vmcnt(6)
	v_fmac_f64_e32 v[116:117], v[128:129], v[122:123]
	ds_read2_b64 v[120:123], v118 offset0:83 offset1:84
	s_waitcnt vmcnt(4) lgkmcnt(0)
	v_fmac_f64_e32 v[116:117], v[130:131], v[120:121]
	;; [unrolled: 5-line block ×3, first 2 shown]
	buffer_load_dword v121, off, s[0:3], 0 offset:244
	buffer_load_dword v120, off, s[0:3], 0 offset:240
	buffer_load_dword v125, off, s[0:3], 0 offset:252
	buffer_load_dword v124, off, s[0:3], 0 offset:248
	s_waitcnt vmcnt(2)
	v_fmac_f64_e32 v[116:117], v[120:121], v[122:123]
	ds_read2_b64 v[120:123], v118 offset0:87 offset1:88
	s_waitcnt vmcnt(0) lgkmcnt(0)
	v_fmac_f64_e32 v[116:117], v[124:125], v[120:121]
	buffer_load_dword v121, off, s[0:3], 0 offset:260
	buffer_load_dword v120, off, s[0:3], 0 offset:256
	buffer_load_dword v125, off, s[0:3], 0 offset:268
	buffer_load_dword v124, off, s[0:3], 0 offset:264
	s_waitcnt vmcnt(2)
	v_fmac_f64_e32 v[116:117], v[120:121], v[122:123]
	ds_read2_b64 v[120:123], v118 offset0:89 offset1:90
	s_waitcnt vmcnt(0) lgkmcnt(0)
	v_fmac_f64_e32 v[116:117], v[124:125], v[120:121]
	;; [unrolled: 9-line block ×12, first 2 shown]
	buffer_load_dword v121, off, s[0:3], 0 offset:436
	buffer_load_dword v120, off, s[0:3], 0 offset:432
	s_waitcnt vmcnt(0)
	v_fmac_f64_e32 v[116:117], v[120:121], v[122:123]
	buffer_load_dword v121, off, s[0:3], 0 offset:444
	buffer_load_dword v120, off, s[0:3], 0 offset:440
	ds_read_b64 v[122:123], v118 offset:888
	s_waitcnt vmcnt(0) lgkmcnt(0)
	v_fmac_f64_e32 v[116:117], v[120:121], v[122:123]
	v_add_f64 v[114:115], v[114:115], -v[116:117]
	buffer_store_dword v115, off, s[0:3], 0 offset:180
	buffer_store_dword v114, off, s[0:3], 0 offset:176
	s_and_saveexec_b64 s[4:5], vcc
	s_cbranch_execz .LBB119_301
; %bb.300:
	buffer_load_dword v114, off, s[0:3], 0 offset:168
	buffer_load_dword v115, off, s[0:3], 0 offset:172
	s_waitcnt vmcnt(0)
	ds_write_b64 v1, v[114:115]
	buffer_store_dword v118, off, s[0:3], 0 offset:168
	buffer_store_dword v118, off, s[0:3], 0 offset:172
.LBB119_301:
	s_or_b64 exec, exec, s[4:5]
	s_waitcnt lgkmcnt(0)
	; wave barrier
	s_waitcnt lgkmcnt(0)
	buffer_load_dword v114, off, s[0:3], 0 offset:168
	buffer_load_dword v115, off, s[0:3], 0 offset:172
	;; [unrolled: 1-line block ×16, first 2 shown]
	ds_read_b128 v[120:123], v118 offset:624
	ds_read_b128 v[124:127], v118 offset:640
	;; [unrolled: 1-line block ×4, first 2 shown]
	v_cmp_lt_u32_e32 vcc, 20, v0
	s_waitcnt vmcnt(12) lgkmcnt(3)
	v_fma_f64 v[116:117], v[116:117], v[120:121], 0
	buffer_load_dword v121, off, s[0:3], 0 offset:236
	buffer_load_dword v120, off, s[0:3], 0 offset:232
	s_waitcnt vmcnt(12)
	v_fmac_f64_e32 v[116:117], v[136:137], v[122:123]
	s_waitcnt vmcnt(10) lgkmcnt(2)
	v_fmac_f64_e32 v[116:117], v[138:139], v[124:125]
	buffer_load_dword v125, off, s[0:3], 0 offset:244
	buffer_load_dword v124, off, s[0:3], 0 offset:240
	s_waitcnt vmcnt(10)
	v_fmac_f64_e32 v[116:117], v[140:141], v[126:127]
	s_waitcnt vmcnt(8) lgkmcnt(1)
	v_fmac_f64_e32 v[116:117], v[142:143], v[128:129]
	s_waitcnt vmcnt(6)
	v_fmac_f64_e32 v[116:117], v[144:145], v[130:131]
	s_waitcnt vmcnt(4) lgkmcnt(0)
	v_fmac_f64_e32 v[116:117], v[146:147], v[132:133]
	s_waitcnt vmcnt(2)
	v_fmac_f64_e32 v[116:117], v[120:121], v[134:135]
	ds_read_b128 v[120:123], v118 offset:688
	s_waitcnt vmcnt(0) lgkmcnt(0)
	v_fmac_f64_e32 v[116:117], v[124:125], v[120:121]
	buffer_load_dword v121, off, s[0:3], 0 offset:252
	buffer_load_dword v120, off, s[0:3], 0 offset:248
	buffer_load_dword v125, off, s[0:3], 0 offset:260
	buffer_load_dword v124, off, s[0:3], 0 offset:256
	s_waitcnt vmcnt(2)
	v_fmac_f64_e32 v[116:117], v[120:121], v[122:123]
	ds_read_b128 v[120:123], v118 offset:704
	s_waitcnt vmcnt(0) lgkmcnt(0)
	v_fmac_f64_e32 v[116:117], v[124:125], v[120:121]
	buffer_load_dword v121, off, s[0:3], 0 offset:268
	buffer_load_dword v120, off, s[0:3], 0 offset:264
	buffer_load_dword v125, off, s[0:3], 0 offset:276
	buffer_load_dword v124, off, s[0:3], 0 offset:272
	;; [unrolled: 9-line block ×11, first 2 shown]
	s_waitcnt vmcnt(2)
	v_fmac_f64_e32 v[116:117], v[120:121], v[122:123]
	ds_read_b128 v[120:123], v118 offset:864
	s_waitcnt vmcnt(0) lgkmcnt(0)
	v_fmac_f64_e32 v[116:117], v[124:125], v[120:121]
	buffer_load_dword v121, off, s[0:3], 0 offset:428
	buffer_load_dword v120, off, s[0:3], 0 offset:424
	s_waitcnt vmcnt(0)
	v_fmac_f64_e32 v[116:117], v[120:121], v[122:123]
	buffer_load_dword v123, off, s[0:3], 0 offset:436
	buffer_load_dword v122, off, s[0:3], 0 offset:432
	ds_read_b128 v[118:121], v118 offset:880
	s_waitcnt vmcnt(0) lgkmcnt(0)
	v_fmac_f64_e32 v[116:117], v[122:123], v[118:119]
	buffer_load_dword v119, off, s[0:3], 0 offset:444
	buffer_load_dword v118, off, s[0:3], 0 offset:440
	s_waitcnt vmcnt(0)
	v_fmac_f64_e32 v[116:117], v[118:119], v[120:121]
	v_add_f64 v[114:115], v[114:115], -v[116:117]
	buffer_store_dword v115, off, s[0:3], 0 offset:172
	buffer_store_dword v114, off, s[0:3], 0 offset:168
	s_and_saveexec_b64 s[4:5], vcc
	s_cbranch_execz .LBB119_303
; %bb.302:
	buffer_load_dword v114, off, s[0:3], 0 offset:160
	buffer_load_dword v115, off, s[0:3], 0 offset:164
	v_mov_b32_e32 v116, 0
	buffer_store_dword v116, off, s[0:3], 0 offset:160
	buffer_store_dword v116, off, s[0:3], 0 offset:164
	s_waitcnt vmcnt(2)
	ds_write_b64 v1, v[114:115]
.LBB119_303:
	s_or_b64 exec, exec, s[4:5]
	s_waitcnt lgkmcnt(0)
	; wave barrier
	s_waitcnt lgkmcnt(0)
	buffer_load_dword v114, off, s[0:3], 0 offset:160
	buffer_load_dword v115, off, s[0:3], 0 offset:164
	;; [unrolled: 1-line block ×16, first 2 shown]
	v_mov_b32_e32 v118, 0
	ds_read2_b64 v[120:123], v118 offset0:77 offset1:78
	v_cmp_lt_u32_e32 vcc, 19, v0
	s_waitcnt vmcnt(12) lgkmcnt(0)
	v_fma_f64 v[116:117], v[116:117], v[120:121], 0
	s_waitcnt vmcnt(10)
	v_fmac_f64_e32 v[116:117], v[124:125], v[122:123]
	ds_read2_b64 v[120:123], v118 offset0:79 offset1:80
	s_waitcnt vmcnt(8) lgkmcnt(0)
	v_fmac_f64_e32 v[116:117], v[126:127], v[120:121]
	s_waitcnt vmcnt(6)
	v_fmac_f64_e32 v[116:117], v[128:129], v[122:123]
	ds_read2_b64 v[120:123], v118 offset0:81 offset1:82
	s_waitcnt vmcnt(4) lgkmcnt(0)
	v_fmac_f64_e32 v[116:117], v[130:131], v[120:121]
	;; [unrolled: 5-line block ×3, first 2 shown]
	buffer_load_dword v121, off, s[0:3], 0 offset:228
	buffer_load_dword v120, off, s[0:3], 0 offset:224
	buffer_load_dword v125, off, s[0:3], 0 offset:236
	buffer_load_dword v124, off, s[0:3], 0 offset:232
	s_waitcnt vmcnt(2)
	v_fmac_f64_e32 v[116:117], v[120:121], v[122:123]
	ds_read2_b64 v[120:123], v118 offset0:85 offset1:86
	s_waitcnt vmcnt(0) lgkmcnt(0)
	v_fmac_f64_e32 v[116:117], v[124:125], v[120:121]
	buffer_load_dword v121, off, s[0:3], 0 offset:244
	buffer_load_dword v120, off, s[0:3], 0 offset:240
	buffer_load_dword v125, off, s[0:3], 0 offset:252
	buffer_load_dword v124, off, s[0:3], 0 offset:248
	s_waitcnt vmcnt(2)
	v_fmac_f64_e32 v[116:117], v[120:121], v[122:123]
	ds_read2_b64 v[120:123], v118 offset0:87 offset1:88
	s_waitcnt vmcnt(0) lgkmcnt(0)
	v_fmac_f64_e32 v[116:117], v[124:125], v[120:121]
	;; [unrolled: 9-line block ×13, first 2 shown]
	buffer_load_dword v121, off, s[0:3], 0 offset:436
	buffer_load_dword v120, off, s[0:3], 0 offset:432
	s_waitcnt vmcnt(0)
	v_fmac_f64_e32 v[116:117], v[120:121], v[122:123]
	buffer_load_dword v121, off, s[0:3], 0 offset:444
	buffer_load_dword v120, off, s[0:3], 0 offset:440
	ds_read_b64 v[122:123], v118 offset:888
	s_waitcnt vmcnt(0) lgkmcnt(0)
	v_fmac_f64_e32 v[116:117], v[120:121], v[122:123]
	v_add_f64 v[114:115], v[114:115], -v[116:117]
	buffer_store_dword v115, off, s[0:3], 0 offset:164
	buffer_store_dword v114, off, s[0:3], 0 offset:160
	s_and_saveexec_b64 s[4:5], vcc
	s_cbranch_execz .LBB119_305
; %bb.304:
	buffer_load_dword v114, off, s[0:3], 0 offset:152
	buffer_load_dword v115, off, s[0:3], 0 offset:156
	s_waitcnt vmcnt(0)
	ds_write_b64 v1, v[114:115]
	buffer_store_dword v118, off, s[0:3], 0 offset:152
	buffer_store_dword v118, off, s[0:3], 0 offset:156
.LBB119_305:
	s_or_b64 exec, exec, s[4:5]
	s_waitcnt lgkmcnt(0)
	; wave barrier
	s_waitcnt lgkmcnt(0)
	buffer_load_dword v114, off, s[0:3], 0 offset:152
	buffer_load_dword v115, off, s[0:3], 0 offset:156
	;; [unrolled: 1-line block ×16, first 2 shown]
	ds_read_b128 v[120:123], v118 offset:608
	ds_read_b128 v[124:127], v118 offset:624
	;; [unrolled: 1-line block ×4, first 2 shown]
	v_cmp_lt_u32_e32 vcc, 18, v0
	s_waitcnt vmcnt(12) lgkmcnt(3)
	v_fma_f64 v[116:117], v[116:117], v[120:121], 0
	buffer_load_dword v121, off, s[0:3], 0 offset:220
	buffer_load_dword v120, off, s[0:3], 0 offset:216
	s_waitcnt vmcnt(12)
	v_fmac_f64_e32 v[116:117], v[136:137], v[122:123]
	s_waitcnt vmcnt(10) lgkmcnt(2)
	v_fmac_f64_e32 v[116:117], v[138:139], v[124:125]
	buffer_load_dword v125, off, s[0:3], 0 offset:228
	buffer_load_dword v124, off, s[0:3], 0 offset:224
	s_waitcnt vmcnt(10)
	v_fmac_f64_e32 v[116:117], v[140:141], v[126:127]
	s_waitcnt vmcnt(8) lgkmcnt(1)
	v_fmac_f64_e32 v[116:117], v[142:143], v[128:129]
	s_waitcnt vmcnt(6)
	v_fmac_f64_e32 v[116:117], v[144:145], v[130:131]
	s_waitcnt vmcnt(4) lgkmcnt(0)
	v_fmac_f64_e32 v[116:117], v[146:147], v[132:133]
	s_waitcnt vmcnt(2)
	v_fmac_f64_e32 v[116:117], v[120:121], v[134:135]
	ds_read_b128 v[120:123], v118 offset:672
	s_waitcnt vmcnt(0) lgkmcnt(0)
	v_fmac_f64_e32 v[116:117], v[124:125], v[120:121]
	buffer_load_dword v121, off, s[0:3], 0 offset:236
	buffer_load_dword v120, off, s[0:3], 0 offset:232
	buffer_load_dword v125, off, s[0:3], 0 offset:244
	buffer_load_dword v124, off, s[0:3], 0 offset:240
	s_waitcnt vmcnt(2)
	v_fmac_f64_e32 v[116:117], v[120:121], v[122:123]
	ds_read_b128 v[120:123], v118 offset:688
	s_waitcnt vmcnt(0) lgkmcnt(0)
	v_fmac_f64_e32 v[116:117], v[124:125], v[120:121]
	buffer_load_dword v121, off, s[0:3], 0 offset:252
	buffer_load_dword v120, off, s[0:3], 0 offset:248
	buffer_load_dword v125, off, s[0:3], 0 offset:260
	buffer_load_dword v124, off, s[0:3], 0 offset:256
	;; [unrolled: 9-line block ×12, first 2 shown]
	s_waitcnt vmcnt(2)
	v_fmac_f64_e32 v[116:117], v[120:121], v[122:123]
	ds_read_b128 v[120:123], v118 offset:864
	s_waitcnt vmcnt(0) lgkmcnt(0)
	v_fmac_f64_e32 v[116:117], v[124:125], v[120:121]
	buffer_load_dword v121, off, s[0:3], 0 offset:428
	buffer_load_dword v120, off, s[0:3], 0 offset:424
	s_waitcnt vmcnt(0)
	v_fmac_f64_e32 v[116:117], v[120:121], v[122:123]
	buffer_load_dword v123, off, s[0:3], 0 offset:436
	buffer_load_dword v122, off, s[0:3], 0 offset:432
	ds_read_b128 v[118:121], v118 offset:880
	s_waitcnt vmcnt(0) lgkmcnt(0)
	v_fmac_f64_e32 v[116:117], v[122:123], v[118:119]
	buffer_load_dword v119, off, s[0:3], 0 offset:444
	buffer_load_dword v118, off, s[0:3], 0 offset:440
	s_waitcnt vmcnt(0)
	v_fmac_f64_e32 v[116:117], v[118:119], v[120:121]
	v_add_f64 v[114:115], v[114:115], -v[116:117]
	buffer_store_dword v115, off, s[0:3], 0 offset:156
	buffer_store_dword v114, off, s[0:3], 0 offset:152
	s_and_saveexec_b64 s[4:5], vcc
	s_cbranch_execz .LBB119_307
; %bb.306:
	buffer_load_dword v114, off, s[0:3], 0 offset:144
	buffer_load_dword v115, off, s[0:3], 0 offset:148
	v_mov_b32_e32 v116, 0
	buffer_store_dword v116, off, s[0:3], 0 offset:144
	buffer_store_dword v116, off, s[0:3], 0 offset:148
	s_waitcnt vmcnt(2)
	ds_write_b64 v1, v[114:115]
.LBB119_307:
	s_or_b64 exec, exec, s[4:5]
	s_waitcnt lgkmcnt(0)
	; wave barrier
	s_waitcnt lgkmcnt(0)
	buffer_load_dword v114, off, s[0:3], 0 offset:144
	buffer_load_dword v115, off, s[0:3], 0 offset:148
	buffer_load_dword v116, off, s[0:3], 0 offset:152
	buffer_load_dword v117, off, s[0:3], 0 offset:156
	buffer_load_dword v124, off, s[0:3], 0 offset:160
	buffer_load_dword v125, off, s[0:3], 0 offset:164
	buffer_load_dword v126, off, s[0:3], 0 offset:168
	buffer_load_dword v127, off, s[0:3], 0 offset:172
	buffer_load_dword v128, off, s[0:3], 0 offset:176
	buffer_load_dword v129, off, s[0:3], 0 offset:180
	buffer_load_dword v130, off, s[0:3], 0 offset:184
	buffer_load_dword v131, off, s[0:3], 0 offset:188
	buffer_load_dword v132, off, s[0:3], 0 offset:192
	buffer_load_dword v133, off, s[0:3], 0 offset:196
	buffer_load_dword v134, off, s[0:3], 0 offset:200
	buffer_load_dword v135, off, s[0:3], 0 offset:204
	v_mov_b32_e32 v118, 0
	ds_read2_b64 v[120:123], v118 offset0:75 offset1:76
	v_cmp_lt_u32_e32 vcc, 17, v0
	s_waitcnt vmcnt(12) lgkmcnt(0)
	v_fma_f64 v[116:117], v[116:117], v[120:121], 0
	s_waitcnt vmcnt(10)
	v_fmac_f64_e32 v[116:117], v[124:125], v[122:123]
	ds_read2_b64 v[120:123], v118 offset0:77 offset1:78
	s_waitcnt vmcnt(8) lgkmcnt(0)
	v_fmac_f64_e32 v[116:117], v[126:127], v[120:121]
	s_waitcnt vmcnt(6)
	v_fmac_f64_e32 v[116:117], v[128:129], v[122:123]
	ds_read2_b64 v[120:123], v118 offset0:79 offset1:80
	s_waitcnt vmcnt(4) lgkmcnt(0)
	v_fmac_f64_e32 v[116:117], v[130:131], v[120:121]
	;; [unrolled: 5-line block ×3, first 2 shown]
	buffer_load_dword v121, off, s[0:3], 0 offset:212
	buffer_load_dword v120, off, s[0:3], 0 offset:208
	buffer_load_dword v125, off, s[0:3], 0 offset:220
	buffer_load_dword v124, off, s[0:3], 0 offset:216
	s_waitcnt vmcnt(2)
	v_fmac_f64_e32 v[116:117], v[120:121], v[122:123]
	ds_read2_b64 v[120:123], v118 offset0:83 offset1:84
	s_waitcnt vmcnt(0) lgkmcnt(0)
	v_fmac_f64_e32 v[116:117], v[124:125], v[120:121]
	buffer_load_dword v121, off, s[0:3], 0 offset:228
	buffer_load_dword v120, off, s[0:3], 0 offset:224
	buffer_load_dword v125, off, s[0:3], 0 offset:236
	buffer_load_dword v124, off, s[0:3], 0 offset:232
	s_waitcnt vmcnt(2)
	v_fmac_f64_e32 v[116:117], v[120:121], v[122:123]
	ds_read2_b64 v[120:123], v118 offset0:85 offset1:86
	s_waitcnt vmcnt(0) lgkmcnt(0)
	v_fmac_f64_e32 v[116:117], v[124:125], v[120:121]
	;; [unrolled: 9-line block ×14, first 2 shown]
	buffer_load_dword v121, off, s[0:3], 0 offset:436
	buffer_load_dword v120, off, s[0:3], 0 offset:432
	s_waitcnt vmcnt(0)
	v_fmac_f64_e32 v[116:117], v[120:121], v[122:123]
	buffer_load_dword v121, off, s[0:3], 0 offset:444
	buffer_load_dword v120, off, s[0:3], 0 offset:440
	ds_read_b64 v[122:123], v118 offset:888
	s_waitcnt vmcnt(0) lgkmcnt(0)
	v_fmac_f64_e32 v[116:117], v[120:121], v[122:123]
	v_add_f64 v[114:115], v[114:115], -v[116:117]
	buffer_store_dword v115, off, s[0:3], 0 offset:148
	buffer_store_dword v114, off, s[0:3], 0 offset:144
	s_and_saveexec_b64 s[4:5], vcc
	s_cbranch_execz .LBB119_309
; %bb.308:
	buffer_load_dword v114, off, s[0:3], 0 offset:136
	buffer_load_dword v115, off, s[0:3], 0 offset:140
	s_waitcnt vmcnt(0)
	ds_write_b64 v1, v[114:115]
	buffer_store_dword v118, off, s[0:3], 0 offset:136
	buffer_store_dword v118, off, s[0:3], 0 offset:140
.LBB119_309:
	s_or_b64 exec, exec, s[4:5]
	s_waitcnt lgkmcnt(0)
	; wave barrier
	s_waitcnt lgkmcnt(0)
	buffer_load_dword v114, off, s[0:3], 0 offset:136
	buffer_load_dword v115, off, s[0:3], 0 offset:140
	;; [unrolled: 1-line block ×16, first 2 shown]
	ds_read_b128 v[120:123], v118 offset:592
	ds_read_b128 v[124:127], v118 offset:608
	;; [unrolled: 1-line block ×4, first 2 shown]
	v_cmp_lt_u32_e32 vcc, 16, v0
	s_waitcnt vmcnt(12) lgkmcnt(3)
	v_fma_f64 v[116:117], v[116:117], v[120:121], 0
	buffer_load_dword v121, off, s[0:3], 0 offset:204
	buffer_load_dword v120, off, s[0:3], 0 offset:200
	s_waitcnt vmcnt(12)
	v_fmac_f64_e32 v[116:117], v[136:137], v[122:123]
	s_waitcnt vmcnt(10) lgkmcnt(2)
	v_fmac_f64_e32 v[116:117], v[138:139], v[124:125]
	buffer_load_dword v125, off, s[0:3], 0 offset:212
	buffer_load_dword v124, off, s[0:3], 0 offset:208
	s_waitcnt vmcnt(10)
	v_fmac_f64_e32 v[116:117], v[140:141], v[126:127]
	s_waitcnt vmcnt(8) lgkmcnt(1)
	v_fmac_f64_e32 v[116:117], v[142:143], v[128:129]
	s_waitcnt vmcnt(6)
	v_fmac_f64_e32 v[116:117], v[144:145], v[130:131]
	s_waitcnt vmcnt(4) lgkmcnt(0)
	v_fmac_f64_e32 v[116:117], v[146:147], v[132:133]
	s_waitcnt vmcnt(2)
	v_fmac_f64_e32 v[116:117], v[120:121], v[134:135]
	ds_read_b128 v[120:123], v118 offset:656
	s_waitcnt vmcnt(0) lgkmcnt(0)
	v_fmac_f64_e32 v[116:117], v[124:125], v[120:121]
	buffer_load_dword v121, off, s[0:3], 0 offset:220
	buffer_load_dword v120, off, s[0:3], 0 offset:216
	buffer_load_dword v125, off, s[0:3], 0 offset:228
	buffer_load_dword v124, off, s[0:3], 0 offset:224
	s_waitcnt vmcnt(2)
	v_fmac_f64_e32 v[116:117], v[120:121], v[122:123]
	ds_read_b128 v[120:123], v118 offset:672
	s_waitcnt vmcnt(0) lgkmcnt(0)
	v_fmac_f64_e32 v[116:117], v[124:125], v[120:121]
	buffer_load_dword v121, off, s[0:3], 0 offset:236
	buffer_load_dword v120, off, s[0:3], 0 offset:232
	buffer_load_dword v125, off, s[0:3], 0 offset:244
	buffer_load_dword v124, off, s[0:3], 0 offset:240
	s_waitcnt vmcnt(2)
	v_fmac_f64_e32 v[116:117], v[120:121], v[122:123]
	ds_read_b128 v[120:123], v118 offset:688
	s_waitcnt vmcnt(0) lgkmcnt(0)
	v_fmac_f64_e32 v[116:117], v[124:125], v[120:121]
	buffer_load_dword v121, off, s[0:3], 0 offset:252
	buffer_load_dword v120, off, s[0:3], 0 offset:248
	buffer_load_dword v125, off, s[0:3], 0 offset:260
	buffer_load_dword v124, off, s[0:3], 0 offset:256
	s_waitcnt vmcnt(2)
	v_fmac_f64_e32 v[116:117], v[120:121], v[122:123]
	ds_read_b128 v[120:123], v118 offset:704
	s_waitcnt vmcnt(0) lgkmcnt(0)
	v_fmac_f64_e32 v[116:117], v[124:125], v[120:121]
	buffer_load_dword v121, off, s[0:3], 0 offset:268
	buffer_load_dword v120, off, s[0:3], 0 offset:264
	buffer_load_dword v125, off, s[0:3], 0 offset:276
	buffer_load_dword v124, off, s[0:3], 0 offset:272
	s_waitcnt vmcnt(2)
	v_fmac_f64_e32 v[116:117], v[120:121], v[122:123]
	ds_read_b128 v[120:123], v118 offset:720
	s_waitcnt vmcnt(0) lgkmcnt(0)
	v_fmac_f64_e32 v[116:117], v[124:125], v[120:121]
	buffer_load_dword v121, off, s[0:3], 0 offset:284
	buffer_load_dword v120, off, s[0:3], 0 offset:280
	buffer_load_dword v125, off, s[0:3], 0 offset:292
	buffer_load_dword v124, off, s[0:3], 0 offset:288
	s_waitcnt vmcnt(2)
	v_fmac_f64_e32 v[116:117], v[120:121], v[122:123]
	ds_read_b128 v[120:123], v118 offset:736
	s_waitcnt vmcnt(0) lgkmcnt(0)
	v_fmac_f64_e32 v[116:117], v[124:125], v[120:121]
	buffer_load_dword v121, off, s[0:3], 0 offset:300
	buffer_load_dword v120, off, s[0:3], 0 offset:296
	buffer_load_dword v125, off, s[0:3], 0 offset:308
	buffer_load_dword v124, off, s[0:3], 0 offset:304
	s_waitcnt vmcnt(2)
	v_fmac_f64_e32 v[116:117], v[120:121], v[122:123]
	ds_read_b128 v[120:123], v118 offset:752
	s_waitcnt vmcnt(0) lgkmcnt(0)
	v_fmac_f64_e32 v[116:117], v[124:125], v[120:121]
	buffer_load_dword v121, off, s[0:3], 0 offset:316
	buffer_load_dword v120, off, s[0:3], 0 offset:312
	buffer_load_dword v125, off, s[0:3], 0 offset:324
	buffer_load_dword v124, off, s[0:3], 0 offset:320
	s_waitcnt vmcnt(2)
	v_fmac_f64_e32 v[116:117], v[120:121], v[122:123]
	ds_read_b128 v[120:123], v118 offset:768
	s_waitcnt vmcnt(0) lgkmcnt(0)
	v_fmac_f64_e32 v[116:117], v[124:125], v[120:121]
	buffer_load_dword v121, off, s[0:3], 0 offset:332
	buffer_load_dword v120, off, s[0:3], 0 offset:328
	buffer_load_dword v125, off, s[0:3], 0 offset:340
	buffer_load_dword v124, off, s[0:3], 0 offset:336
	s_waitcnt vmcnt(2)
	v_fmac_f64_e32 v[116:117], v[120:121], v[122:123]
	ds_read_b128 v[120:123], v118 offset:784
	s_waitcnt vmcnt(0) lgkmcnt(0)
	v_fmac_f64_e32 v[116:117], v[124:125], v[120:121]
	buffer_load_dword v121, off, s[0:3], 0 offset:348
	buffer_load_dword v120, off, s[0:3], 0 offset:344
	buffer_load_dword v125, off, s[0:3], 0 offset:356
	buffer_load_dword v124, off, s[0:3], 0 offset:352
	s_waitcnt vmcnt(2)
	v_fmac_f64_e32 v[116:117], v[120:121], v[122:123]
	ds_read_b128 v[120:123], v118 offset:800
	s_waitcnt vmcnt(0) lgkmcnt(0)
	v_fmac_f64_e32 v[116:117], v[124:125], v[120:121]
	buffer_load_dword v121, off, s[0:3], 0 offset:364
	buffer_load_dword v120, off, s[0:3], 0 offset:360
	buffer_load_dword v125, off, s[0:3], 0 offset:372
	buffer_load_dword v124, off, s[0:3], 0 offset:368
	s_waitcnt vmcnt(2)
	v_fmac_f64_e32 v[116:117], v[120:121], v[122:123]
	ds_read_b128 v[120:123], v118 offset:816
	s_waitcnt vmcnt(0) lgkmcnt(0)
	v_fmac_f64_e32 v[116:117], v[124:125], v[120:121]
	buffer_load_dword v121, off, s[0:3], 0 offset:380
	buffer_load_dword v120, off, s[0:3], 0 offset:376
	buffer_load_dword v125, off, s[0:3], 0 offset:388
	buffer_load_dword v124, off, s[0:3], 0 offset:384
	s_waitcnt vmcnt(2)
	v_fmac_f64_e32 v[116:117], v[120:121], v[122:123]
	ds_read_b128 v[120:123], v118 offset:832
	s_waitcnt vmcnt(0) lgkmcnt(0)
	v_fmac_f64_e32 v[116:117], v[124:125], v[120:121]
	buffer_load_dword v121, off, s[0:3], 0 offset:396
	buffer_load_dword v120, off, s[0:3], 0 offset:392
	buffer_load_dword v125, off, s[0:3], 0 offset:404
	buffer_load_dword v124, off, s[0:3], 0 offset:400
	s_waitcnt vmcnt(2)
	v_fmac_f64_e32 v[116:117], v[120:121], v[122:123]
	ds_read_b128 v[120:123], v118 offset:848
	s_waitcnt vmcnt(0) lgkmcnt(0)
	v_fmac_f64_e32 v[116:117], v[124:125], v[120:121]
	buffer_load_dword v121, off, s[0:3], 0 offset:412
	buffer_load_dword v120, off, s[0:3], 0 offset:408
	buffer_load_dword v125, off, s[0:3], 0 offset:420
	buffer_load_dword v124, off, s[0:3], 0 offset:416
	s_waitcnt vmcnt(2)
	v_fmac_f64_e32 v[116:117], v[120:121], v[122:123]
	ds_read_b128 v[120:123], v118 offset:864
	s_waitcnt vmcnt(0) lgkmcnt(0)
	v_fmac_f64_e32 v[116:117], v[124:125], v[120:121]
	buffer_load_dword v121, off, s[0:3], 0 offset:428
	buffer_load_dword v120, off, s[0:3], 0 offset:424
	s_waitcnt vmcnt(0)
	v_fmac_f64_e32 v[116:117], v[120:121], v[122:123]
	buffer_load_dword v123, off, s[0:3], 0 offset:436
	buffer_load_dword v122, off, s[0:3], 0 offset:432
	ds_read_b128 v[118:121], v118 offset:880
	s_waitcnt vmcnt(0) lgkmcnt(0)
	v_fmac_f64_e32 v[116:117], v[122:123], v[118:119]
	buffer_load_dword v119, off, s[0:3], 0 offset:444
	buffer_load_dword v118, off, s[0:3], 0 offset:440
	s_waitcnt vmcnt(0)
	v_fmac_f64_e32 v[116:117], v[118:119], v[120:121]
	v_add_f64 v[114:115], v[114:115], -v[116:117]
	buffer_store_dword v115, off, s[0:3], 0 offset:140
	buffer_store_dword v114, off, s[0:3], 0 offset:136
	s_and_saveexec_b64 s[4:5], vcc
	s_cbranch_execz .LBB119_311
; %bb.310:
	buffer_load_dword v114, off, s[0:3], 0 offset:128
	buffer_load_dword v115, off, s[0:3], 0 offset:132
	v_mov_b32_e32 v116, 0
	buffer_store_dword v116, off, s[0:3], 0 offset:128
	buffer_store_dword v116, off, s[0:3], 0 offset:132
	s_waitcnt vmcnt(2)
	ds_write_b64 v1, v[114:115]
.LBB119_311:
	s_or_b64 exec, exec, s[4:5]
	s_waitcnt lgkmcnt(0)
	; wave barrier
	s_waitcnt lgkmcnt(0)
	buffer_load_dword v114, off, s[0:3], 0 offset:128
	buffer_load_dword v115, off, s[0:3], 0 offset:132
	;; [unrolled: 1-line block ×16, first 2 shown]
	v_mov_b32_e32 v118, 0
	ds_read2_b64 v[120:123], v118 offset0:73 offset1:74
	v_cmp_lt_u32_e32 vcc, 15, v0
	s_waitcnt vmcnt(12) lgkmcnt(0)
	v_fma_f64 v[116:117], v[116:117], v[120:121], 0
	s_waitcnt vmcnt(10)
	v_fmac_f64_e32 v[116:117], v[124:125], v[122:123]
	ds_read2_b64 v[120:123], v118 offset0:75 offset1:76
	s_waitcnt vmcnt(8) lgkmcnt(0)
	v_fmac_f64_e32 v[116:117], v[126:127], v[120:121]
	s_waitcnt vmcnt(6)
	v_fmac_f64_e32 v[116:117], v[128:129], v[122:123]
	ds_read2_b64 v[120:123], v118 offset0:77 offset1:78
	s_waitcnt vmcnt(4) lgkmcnt(0)
	v_fmac_f64_e32 v[116:117], v[130:131], v[120:121]
	;; [unrolled: 5-line block ×3, first 2 shown]
	buffer_load_dword v121, off, s[0:3], 0 offset:196
	buffer_load_dword v120, off, s[0:3], 0 offset:192
	buffer_load_dword v125, off, s[0:3], 0 offset:204
	buffer_load_dword v124, off, s[0:3], 0 offset:200
	s_waitcnt vmcnt(2)
	v_fmac_f64_e32 v[116:117], v[120:121], v[122:123]
	ds_read2_b64 v[120:123], v118 offset0:81 offset1:82
	s_waitcnt vmcnt(0) lgkmcnt(0)
	v_fmac_f64_e32 v[116:117], v[124:125], v[120:121]
	buffer_load_dword v121, off, s[0:3], 0 offset:212
	buffer_load_dword v120, off, s[0:3], 0 offset:208
	buffer_load_dword v125, off, s[0:3], 0 offset:220
	buffer_load_dword v124, off, s[0:3], 0 offset:216
	s_waitcnt vmcnt(2)
	v_fmac_f64_e32 v[116:117], v[120:121], v[122:123]
	ds_read2_b64 v[120:123], v118 offset0:83 offset1:84
	s_waitcnt vmcnt(0) lgkmcnt(0)
	v_fmac_f64_e32 v[116:117], v[124:125], v[120:121]
	;; [unrolled: 9-line block ×15, first 2 shown]
	buffer_load_dword v121, off, s[0:3], 0 offset:436
	buffer_load_dword v120, off, s[0:3], 0 offset:432
	s_waitcnt vmcnt(0)
	v_fmac_f64_e32 v[116:117], v[120:121], v[122:123]
	buffer_load_dword v121, off, s[0:3], 0 offset:444
	buffer_load_dword v120, off, s[0:3], 0 offset:440
	ds_read_b64 v[122:123], v118 offset:888
	s_waitcnt vmcnt(0) lgkmcnt(0)
	v_fmac_f64_e32 v[116:117], v[120:121], v[122:123]
	v_add_f64 v[114:115], v[114:115], -v[116:117]
	buffer_store_dword v115, off, s[0:3], 0 offset:132
	buffer_store_dword v114, off, s[0:3], 0 offset:128
	s_and_saveexec_b64 s[4:5], vcc
	s_cbranch_execz .LBB119_313
; %bb.312:
	buffer_load_dword v114, off, s[0:3], 0 offset:120
	buffer_load_dword v115, off, s[0:3], 0 offset:124
	s_waitcnt vmcnt(0)
	ds_write_b64 v1, v[114:115]
	buffer_store_dword v118, off, s[0:3], 0 offset:120
	buffer_store_dword v118, off, s[0:3], 0 offset:124
.LBB119_313:
	s_or_b64 exec, exec, s[4:5]
	s_waitcnt lgkmcnt(0)
	; wave barrier
	s_waitcnt lgkmcnt(0)
	buffer_load_dword v114, off, s[0:3], 0 offset:120
	buffer_load_dword v115, off, s[0:3], 0 offset:124
	buffer_load_dword v116, off, s[0:3], 0 offset:128
	buffer_load_dword v117, off, s[0:3], 0 offset:132
	buffer_load_dword v136, off, s[0:3], 0 offset:136
	buffer_load_dword v137, off, s[0:3], 0 offset:140
	buffer_load_dword v138, off, s[0:3], 0 offset:144
	buffer_load_dword v139, off, s[0:3], 0 offset:148
	buffer_load_dword v140, off, s[0:3], 0 offset:152
	buffer_load_dword v141, off, s[0:3], 0 offset:156
	buffer_load_dword v142, off, s[0:3], 0 offset:160
	buffer_load_dword v143, off, s[0:3], 0 offset:164
	buffer_load_dword v144, off, s[0:3], 0 offset:168
	buffer_load_dword v145, off, s[0:3], 0 offset:172
	buffer_load_dword v146, off, s[0:3], 0 offset:176
	buffer_load_dword v147, off, s[0:3], 0 offset:180
	ds_read_b128 v[120:123], v118 offset:576
	ds_read_b128 v[124:127], v118 offset:592
	ds_read_b128 v[128:131], v118 offset:608
	ds_read_b128 v[132:135], v118 offset:624
	v_cmp_lt_u32_e32 vcc, 14, v0
	s_waitcnt vmcnt(12) lgkmcnt(3)
	v_fma_f64 v[116:117], v[116:117], v[120:121], 0
	buffer_load_dword v121, off, s[0:3], 0 offset:188
	buffer_load_dword v120, off, s[0:3], 0 offset:184
	s_waitcnt vmcnt(12)
	v_fmac_f64_e32 v[116:117], v[136:137], v[122:123]
	s_waitcnt vmcnt(10) lgkmcnt(2)
	v_fmac_f64_e32 v[116:117], v[138:139], v[124:125]
	buffer_load_dword v125, off, s[0:3], 0 offset:196
	buffer_load_dword v124, off, s[0:3], 0 offset:192
	s_waitcnt vmcnt(10)
	v_fmac_f64_e32 v[116:117], v[140:141], v[126:127]
	s_waitcnt vmcnt(8) lgkmcnt(1)
	v_fmac_f64_e32 v[116:117], v[142:143], v[128:129]
	s_waitcnt vmcnt(6)
	v_fmac_f64_e32 v[116:117], v[144:145], v[130:131]
	s_waitcnt vmcnt(4) lgkmcnt(0)
	v_fmac_f64_e32 v[116:117], v[146:147], v[132:133]
	s_waitcnt vmcnt(2)
	v_fmac_f64_e32 v[116:117], v[120:121], v[134:135]
	ds_read_b128 v[120:123], v118 offset:640
	s_waitcnt vmcnt(0) lgkmcnt(0)
	v_fmac_f64_e32 v[116:117], v[124:125], v[120:121]
	buffer_load_dword v121, off, s[0:3], 0 offset:204
	buffer_load_dword v120, off, s[0:3], 0 offset:200
	buffer_load_dword v125, off, s[0:3], 0 offset:212
	buffer_load_dword v124, off, s[0:3], 0 offset:208
	s_waitcnt vmcnt(2)
	v_fmac_f64_e32 v[116:117], v[120:121], v[122:123]
	ds_read_b128 v[120:123], v118 offset:656
	s_waitcnt vmcnt(0) lgkmcnt(0)
	v_fmac_f64_e32 v[116:117], v[124:125], v[120:121]
	buffer_load_dword v121, off, s[0:3], 0 offset:220
	buffer_load_dword v120, off, s[0:3], 0 offset:216
	buffer_load_dword v125, off, s[0:3], 0 offset:228
	buffer_load_dword v124, off, s[0:3], 0 offset:224
	;; [unrolled: 9-line block ×14, first 2 shown]
	s_waitcnt vmcnt(2)
	v_fmac_f64_e32 v[116:117], v[120:121], v[122:123]
	ds_read_b128 v[120:123], v118 offset:864
	s_waitcnt vmcnt(0) lgkmcnt(0)
	v_fmac_f64_e32 v[116:117], v[124:125], v[120:121]
	buffer_load_dword v121, off, s[0:3], 0 offset:428
	buffer_load_dword v120, off, s[0:3], 0 offset:424
	s_waitcnt vmcnt(0)
	v_fmac_f64_e32 v[116:117], v[120:121], v[122:123]
	buffer_load_dword v123, off, s[0:3], 0 offset:436
	buffer_load_dword v122, off, s[0:3], 0 offset:432
	ds_read_b128 v[118:121], v118 offset:880
	s_waitcnt vmcnt(0) lgkmcnt(0)
	v_fmac_f64_e32 v[116:117], v[122:123], v[118:119]
	buffer_load_dword v119, off, s[0:3], 0 offset:444
	buffer_load_dword v118, off, s[0:3], 0 offset:440
	s_waitcnt vmcnt(0)
	v_fmac_f64_e32 v[116:117], v[118:119], v[120:121]
	v_add_f64 v[114:115], v[114:115], -v[116:117]
	buffer_store_dword v115, off, s[0:3], 0 offset:124
	buffer_store_dword v114, off, s[0:3], 0 offset:120
	s_and_saveexec_b64 s[4:5], vcc
	s_cbranch_execz .LBB119_315
; %bb.314:
	buffer_load_dword v114, off, s[0:3], 0 offset:112
	buffer_load_dword v115, off, s[0:3], 0 offset:116
	v_mov_b32_e32 v116, 0
	buffer_store_dword v116, off, s[0:3], 0 offset:112
	buffer_store_dword v116, off, s[0:3], 0 offset:116
	s_waitcnt vmcnt(2)
	ds_write_b64 v1, v[114:115]
.LBB119_315:
	s_or_b64 exec, exec, s[4:5]
	s_waitcnt lgkmcnt(0)
	; wave barrier
	s_waitcnt lgkmcnt(0)
	buffer_load_dword v114, off, s[0:3], 0 offset:112
	buffer_load_dword v115, off, s[0:3], 0 offset:116
	;; [unrolled: 1-line block ×16, first 2 shown]
	v_mov_b32_e32 v118, 0
	ds_read2_b64 v[120:123], v118 offset0:71 offset1:72
	v_cmp_lt_u32_e32 vcc, 13, v0
	s_waitcnt vmcnt(12) lgkmcnt(0)
	v_fma_f64 v[116:117], v[116:117], v[120:121], 0
	s_waitcnt vmcnt(10)
	v_fmac_f64_e32 v[116:117], v[124:125], v[122:123]
	ds_read2_b64 v[120:123], v118 offset0:73 offset1:74
	s_waitcnt vmcnt(8) lgkmcnt(0)
	v_fmac_f64_e32 v[116:117], v[126:127], v[120:121]
	s_waitcnt vmcnt(6)
	v_fmac_f64_e32 v[116:117], v[128:129], v[122:123]
	ds_read2_b64 v[120:123], v118 offset0:75 offset1:76
	s_waitcnt vmcnt(4) lgkmcnt(0)
	v_fmac_f64_e32 v[116:117], v[130:131], v[120:121]
	;; [unrolled: 5-line block ×3, first 2 shown]
	buffer_load_dword v121, off, s[0:3], 0 offset:180
	buffer_load_dword v120, off, s[0:3], 0 offset:176
	buffer_load_dword v125, off, s[0:3], 0 offset:188
	buffer_load_dword v124, off, s[0:3], 0 offset:184
	s_waitcnt vmcnt(2)
	v_fmac_f64_e32 v[116:117], v[120:121], v[122:123]
	ds_read2_b64 v[120:123], v118 offset0:79 offset1:80
	s_waitcnt vmcnt(0) lgkmcnt(0)
	v_fmac_f64_e32 v[116:117], v[124:125], v[120:121]
	buffer_load_dword v121, off, s[0:3], 0 offset:196
	buffer_load_dword v120, off, s[0:3], 0 offset:192
	buffer_load_dword v125, off, s[0:3], 0 offset:204
	buffer_load_dword v124, off, s[0:3], 0 offset:200
	s_waitcnt vmcnt(2)
	v_fmac_f64_e32 v[116:117], v[120:121], v[122:123]
	ds_read2_b64 v[120:123], v118 offset0:81 offset1:82
	s_waitcnt vmcnt(0) lgkmcnt(0)
	v_fmac_f64_e32 v[116:117], v[124:125], v[120:121]
	;; [unrolled: 9-line block ×16, first 2 shown]
	buffer_load_dword v121, off, s[0:3], 0 offset:436
	buffer_load_dword v120, off, s[0:3], 0 offset:432
	s_waitcnt vmcnt(0)
	v_fmac_f64_e32 v[116:117], v[120:121], v[122:123]
	buffer_load_dword v121, off, s[0:3], 0 offset:444
	buffer_load_dword v120, off, s[0:3], 0 offset:440
	ds_read_b64 v[122:123], v118 offset:888
	s_waitcnt vmcnt(0) lgkmcnt(0)
	v_fmac_f64_e32 v[116:117], v[120:121], v[122:123]
	v_add_f64 v[114:115], v[114:115], -v[116:117]
	buffer_store_dword v115, off, s[0:3], 0 offset:116
	buffer_store_dword v114, off, s[0:3], 0 offset:112
	s_and_saveexec_b64 s[4:5], vcc
	s_cbranch_execz .LBB119_317
; %bb.316:
	buffer_load_dword v114, off, s[0:3], 0 offset:104
	buffer_load_dword v115, off, s[0:3], 0 offset:108
	s_waitcnt vmcnt(0)
	ds_write_b64 v1, v[114:115]
	buffer_store_dword v118, off, s[0:3], 0 offset:104
	buffer_store_dword v118, off, s[0:3], 0 offset:108
.LBB119_317:
	s_or_b64 exec, exec, s[4:5]
	s_waitcnt lgkmcnt(0)
	; wave barrier
	s_waitcnt lgkmcnt(0)
	buffer_load_dword v114, off, s[0:3], 0 offset:104
	buffer_load_dword v115, off, s[0:3], 0 offset:108
	;; [unrolled: 1-line block ×16, first 2 shown]
	ds_read_b128 v[120:123], v118 offset:560
	ds_read_b128 v[124:127], v118 offset:576
	;; [unrolled: 1-line block ×4, first 2 shown]
	v_cmp_lt_u32_e32 vcc, 12, v0
	s_waitcnt vmcnt(12) lgkmcnt(3)
	v_fma_f64 v[116:117], v[116:117], v[120:121], 0
	buffer_load_dword v121, off, s[0:3], 0 offset:172
	buffer_load_dword v120, off, s[0:3], 0 offset:168
	s_waitcnt vmcnt(12)
	v_fmac_f64_e32 v[116:117], v[136:137], v[122:123]
	s_waitcnt vmcnt(10) lgkmcnt(2)
	v_fmac_f64_e32 v[116:117], v[138:139], v[124:125]
	buffer_load_dword v125, off, s[0:3], 0 offset:180
	buffer_load_dword v124, off, s[0:3], 0 offset:176
	s_waitcnt vmcnt(10)
	v_fmac_f64_e32 v[116:117], v[140:141], v[126:127]
	s_waitcnt vmcnt(8) lgkmcnt(1)
	v_fmac_f64_e32 v[116:117], v[142:143], v[128:129]
	s_waitcnt vmcnt(6)
	v_fmac_f64_e32 v[116:117], v[144:145], v[130:131]
	s_waitcnt vmcnt(4) lgkmcnt(0)
	v_fmac_f64_e32 v[116:117], v[146:147], v[132:133]
	s_waitcnt vmcnt(2)
	v_fmac_f64_e32 v[116:117], v[120:121], v[134:135]
	ds_read_b128 v[120:123], v118 offset:624
	s_waitcnt vmcnt(0) lgkmcnt(0)
	v_fmac_f64_e32 v[116:117], v[124:125], v[120:121]
	buffer_load_dword v121, off, s[0:3], 0 offset:188
	buffer_load_dword v120, off, s[0:3], 0 offset:184
	buffer_load_dword v125, off, s[0:3], 0 offset:196
	buffer_load_dword v124, off, s[0:3], 0 offset:192
	s_waitcnt vmcnt(2)
	v_fmac_f64_e32 v[116:117], v[120:121], v[122:123]
	ds_read_b128 v[120:123], v118 offset:640
	s_waitcnt vmcnt(0) lgkmcnt(0)
	v_fmac_f64_e32 v[116:117], v[124:125], v[120:121]
	buffer_load_dword v121, off, s[0:3], 0 offset:204
	buffer_load_dword v120, off, s[0:3], 0 offset:200
	buffer_load_dword v125, off, s[0:3], 0 offset:212
	buffer_load_dword v124, off, s[0:3], 0 offset:208
	s_waitcnt vmcnt(2)
	v_fmac_f64_e32 v[116:117], v[120:121], v[122:123]
	ds_read_b128 v[120:123], v118 offset:656
	s_waitcnt vmcnt(0) lgkmcnt(0)
	v_fmac_f64_e32 v[116:117], v[124:125], v[120:121]
	buffer_load_dword v121, off, s[0:3], 0 offset:220
	buffer_load_dword v120, off, s[0:3], 0 offset:216
	buffer_load_dword v125, off, s[0:3], 0 offset:228
	buffer_load_dword v124, off, s[0:3], 0 offset:224
	s_waitcnt vmcnt(2)
	v_fmac_f64_e32 v[116:117], v[120:121], v[122:123]
	ds_read_b128 v[120:123], v118 offset:672
	s_waitcnt vmcnt(0) lgkmcnt(0)
	v_fmac_f64_e32 v[116:117], v[124:125], v[120:121]
	buffer_load_dword v121, off, s[0:3], 0 offset:236
	buffer_load_dword v120, off, s[0:3], 0 offset:232
	buffer_load_dword v125, off, s[0:3], 0 offset:244
	buffer_load_dword v124, off, s[0:3], 0 offset:240
	s_waitcnt vmcnt(2)
	v_fmac_f64_e32 v[116:117], v[120:121], v[122:123]
	ds_read_b128 v[120:123], v118 offset:688
	s_waitcnt vmcnt(0) lgkmcnt(0)
	v_fmac_f64_e32 v[116:117], v[124:125], v[120:121]
	buffer_load_dword v121, off, s[0:3], 0 offset:252
	buffer_load_dword v120, off, s[0:3], 0 offset:248
	buffer_load_dword v125, off, s[0:3], 0 offset:260
	buffer_load_dword v124, off, s[0:3], 0 offset:256
	s_waitcnt vmcnt(2)
	v_fmac_f64_e32 v[116:117], v[120:121], v[122:123]
	ds_read_b128 v[120:123], v118 offset:704
	s_waitcnt vmcnt(0) lgkmcnt(0)
	v_fmac_f64_e32 v[116:117], v[124:125], v[120:121]
	buffer_load_dword v121, off, s[0:3], 0 offset:268
	buffer_load_dword v120, off, s[0:3], 0 offset:264
	buffer_load_dword v125, off, s[0:3], 0 offset:276
	buffer_load_dword v124, off, s[0:3], 0 offset:272
	s_waitcnt vmcnt(2)
	v_fmac_f64_e32 v[116:117], v[120:121], v[122:123]
	ds_read_b128 v[120:123], v118 offset:720
	s_waitcnt vmcnt(0) lgkmcnt(0)
	v_fmac_f64_e32 v[116:117], v[124:125], v[120:121]
	buffer_load_dword v121, off, s[0:3], 0 offset:284
	buffer_load_dword v120, off, s[0:3], 0 offset:280
	buffer_load_dword v125, off, s[0:3], 0 offset:292
	buffer_load_dword v124, off, s[0:3], 0 offset:288
	s_waitcnt vmcnt(2)
	v_fmac_f64_e32 v[116:117], v[120:121], v[122:123]
	ds_read_b128 v[120:123], v118 offset:736
	s_waitcnt vmcnt(0) lgkmcnt(0)
	v_fmac_f64_e32 v[116:117], v[124:125], v[120:121]
	buffer_load_dword v121, off, s[0:3], 0 offset:300
	buffer_load_dword v120, off, s[0:3], 0 offset:296
	buffer_load_dword v125, off, s[0:3], 0 offset:308
	buffer_load_dword v124, off, s[0:3], 0 offset:304
	s_waitcnt vmcnt(2)
	v_fmac_f64_e32 v[116:117], v[120:121], v[122:123]
	ds_read_b128 v[120:123], v118 offset:752
	s_waitcnt vmcnt(0) lgkmcnt(0)
	v_fmac_f64_e32 v[116:117], v[124:125], v[120:121]
	buffer_load_dword v121, off, s[0:3], 0 offset:316
	buffer_load_dword v120, off, s[0:3], 0 offset:312
	buffer_load_dword v125, off, s[0:3], 0 offset:324
	buffer_load_dword v124, off, s[0:3], 0 offset:320
	s_waitcnt vmcnt(2)
	v_fmac_f64_e32 v[116:117], v[120:121], v[122:123]
	ds_read_b128 v[120:123], v118 offset:768
	s_waitcnt vmcnt(0) lgkmcnt(0)
	v_fmac_f64_e32 v[116:117], v[124:125], v[120:121]
	buffer_load_dword v121, off, s[0:3], 0 offset:332
	buffer_load_dword v120, off, s[0:3], 0 offset:328
	buffer_load_dword v125, off, s[0:3], 0 offset:340
	buffer_load_dword v124, off, s[0:3], 0 offset:336
	s_waitcnt vmcnt(2)
	v_fmac_f64_e32 v[116:117], v[120:121], v[122:123]
	ds_read_b128 v[120:123], v118 offset:784
	s_waitcnt vmcnt(0) lgkmcnt(0)
	v_fmac_f64_e32 v[116:117], v[124:125], v[120:121]
	buffer_load_dword v121, off, s[0:3], 0 offset:348
	buffer_load_dword v120, off, s[0:3], 0 offset:344
	buffer_load_dword v125, off, s[0:3], 0 offset:356
	buffer_load_dword v124, off, s[0:3], 0 offset:352
	s_waitcnt vmcnt(2)
	v_fmac_f64_e32 v[116:117], v[120:121], v[122:123]
	ds_read_b128 v[120:123], v118 offset:800
	s_waitcnt vmcnt(0) lgkmcnt(0)
	v_fmac_f64_e32 v[116:117], v[124:125], v[120:121]
	buffer_load_dword v121, off, s[0:3], 0 offset:364
	buffer_load_dword v120, off, s[0:3], 0 offset:360
	buffer_load_dword v125, off, s[0:3], 0 offset:372
	buffer_load_dword v124, off, s[0:3], 0 offset:368
	s_waitcnt vmcnt(2)
	v_fmac_f64_e32 v[116:117], v[120:121], v[122:123]
	ds_read_b128 v[120:123], v118 offset:816
	s_waitcnt vmcnt(0) lgkmcnt(0)
	v_fmac_f64_e32 v[116:117], v[124:125], v[120:121]
	buffer_load_dword v121, off, s[0:3], 0 offset:380
	buffer_load_dword v120, off, s[0:3], 0 offset:376
	buffer_load_dword v125, off, s[0:3], 0 offset:388
	buffer_load_dword v124, off, s[0:3], 0 offset:384
	s_waitcnt vmcnt(2)
	v_fmac_f64_e32 v[116:117], v[120:121], v[122:123]
	ds_read_b128 v[120:123], v118 offset:832
	s_waitcnt vmcnt(0) lgkmcnt(0)
	v_fmac_f64_e32 v[116:117], v[124:125], v[120:121]
	buffer_load_dword v121, off, s[0:3], 0 offset:396
	buffer_load_dword v120, off, s[0:3], 0 offset:392
	buffer_load_dword v125, off, s[0:3], 0 offset:404
	buffer_load_dword v124, off, s[0:3], 0 offset:400
	s_waitcnt vmcnt(2)
	v_fmac_f64_e32 v[116:117], v[120:121], v[122:123]
	ds_read_b128 v[120:123], v118 offset:848
	s_waitcnt vmcnt(0) lgkmcnt(0)
	v_fmac_f64_e32 v[116:117], v[124:125], v[120:121]
	buffer_load_dword v121, off, s[0:3], 0 offset:412
	buffer_load_dword v120, off, s[0:3], 0 offset:408
	buffer_load_dword v125, off, s[0:3], 0 offset:420
	buffer_load_dword v124, off, s[0:3], 0 offset:416
	s_waitcnt vmcnt(2)
	v_fmac_f64_e32 v[116:117], v[120:121], v[122:123]
	ds_read_b128 v[120:123], v118 offset:864
	s_waitcnt vmcnt(0) lgkmcnt(0)
	v_fmac_f64_e32 v[116:117], v[124:125], v[120:121]
	buffer_load_dword v121, off, s[0:3], 0 offset:428
	buffer_load_dword v120, off, s[0:3], 0 offset:424
	s_waitcnt vmcnt(0)
	v_fmac_f64_e32 v[116:117], v[120:121], v[122:123]
	buffer_load_dword v123, off, s[0:3], 0 offset:436
	buffer_load_dword v122, off, s[0:3], 0 offset:432
	ds_read_b128 v[118:121], v118 offset:880
	s_waitcnt vmcnt(0) lgkmcnt(0)
	v_fmac_f64_e32 v[116:117], v[122:123], v[118:119]
	buffer_load_dword v119, off, s[0:3], 0 offset:444
	buffer_load_dword v118, off, s[0:3], 0 offset:440
	s_waitcnt vmcnt(0)
	v_fmac_f64_e32 v[116:117], v[118:119], v[120:121]
	v_add_f64 v[114:115], v[114:115], -v[116:117]
	buffer_store_dword v115, off, s[0:3], 0 offset:108
	buffer_store_dword v114, off, s[0:3], 0 offset:104
	s_and_saveexec_b64 s[4:5], vcc
	s_cbranch_execz .LBB119_319
; %bb.318:
	buffer_load_dword v114, off, s[0:3], 0 offset:96
	buffer_load_dword v115, off, s[0:3], 0 offset:100
	v_mov_b32_e32 v116, 0
	buffer_store_dword v116, off, s[0:3], 0 offset:96
	buffer_store_dword v116, off, s[0:3], 0 offset:100
	s_waitcnt vmcnt(2)
	ds_write_b64 v1, v[114:115]
.LBB119_319:
	s_or_b64 exec, exec, s[4:5]
	s_waitcnt lgkmcnt(0)
	; wave barrier
	s_waitcnt lgkmcnt(0)
	buffer_load_dword v114, off, s[0:3], 0 offset:96
	buffer_load_dword v115, off, s[0:3], 0 offset:100
	;; [unrolled: 1-line block ×16, first 2 shown]
	v_mov_b32_e32 v118, 0
	ds_read2_b64 v[120:123], v118 offset0:69 offset1:70
	v_cmp_lt_u32_e32 vcc, 11, v0
	s_waitcnt vmcnt(12) lgkmcnt(0)
	v_fma_f64 v[116:117], v[116:117], v[120:121], 0
	s_waitcnt vmcnt(10)
	v_fmac_f64_e32 v[116:117], v[124:125], v[122:123]
	ds_read2_b64 v[120:123], v118 offset0:71 offset1:72
	s_waitcnt vmcnt(8) lgkmcnt(0)
	v_fmac_f64_e32 v[116:117], v[126:127], v[120:121]
	s_waitcnt vmcnt(6)
	v_fmac_f64_e32 v[116:117], v[128:129], v[122:123]
	ds_read2_b64 v[120:123], v118 offset0:73 offset1:74
	s_waitcnt vmcnt(4) lgkmcnt(0)
	v_fmac_f64_e32 v[116:117], v[130:131], v[120:121]
	;; [unrolled: 5-line block ×3, first 2 shown]
	buffer_load_dword v121, off, s[0:3], 0 offset:164
	buffer_load_dword v120, off, s[0:3], 0 offset:160
	buffer_load_dword v125, off, s[0:3], 0 offset:172
	buffer_load_dword v124, off, s[0:3], 0 offset:168
	s_waitcnt vmcnt(2)
	v_fmac_f64_e32 v[116:117], v[120:121], v[122:123]
	ds_read2_b64 v[120:123], v118 offset0:77 offset1:78
	s_waitcnt vmcnt(0) lgkmcnt(0)
	v_fmac_f64_e32 v[116:117], v[124:125], v[120:121]
	buffer_load_dword v121, off, s[0:3], 0 offset:180
	buffer_load_dword v120, off, s[0:3], 0 offset:176
	buffer_load_dword v125, off, s[0:3], 0 offset:188
	buffer_load_dword v124, off, s[0:3], 0 offset:184
	s_waitcnt vmcnt(2)
	v_fmac_f64_e32 v[116:117], v[120:121], v[122:123]
	ds_read2_b64 v[120:123], v118 offset0:79 offset1:80
	s_waitcnt vmcnt(0) lgkmcnt(0)
	v_fmac_f64_e32 v[116:117], v[124:125], v[120:121]
	;; [unrolled: 9-line block ×17, first 2 shown]
	buffer_load_dword v121, off, s[0:3], 0 offset:436
	buffer_load_dword v120, off, s[0:3], 0 offset:432
	s_waitcnt vmcnt(0)
	v_fmac_f64_e32 v[116:117], v[120:121], v[122:123]
	buffer_load_dword v121, off, s[0:3], 0 offset:444
	buffer_load_dword v120, off, s[0:3], 0 offset:440
	ds_read_b64 v[122:123], v118 offset:888
	s_waitcnt vmcnt(0) lgkmcnt(0)
	v_fmac_f64_e32 v[116:117], v[120:121], v[122:123]
	v_add_f64 v[114:115], v[114:115], -v[116:117]
	buffer_store_dword v115, off, s[0:3], 0 offset:100
	buffer_store_dword v114, off, s[0:3], 0 offset:96
	s_and_saveexec_b64 s[4:5], vcc
	s_cbranch_execz .LBB119_321
; %bb.320:
	buffer_load_dword v114, off, s[0:3], 0 offset:88
	buffer_load_dword v115, off, s[0:3], 0 offset:92
	s_waitcnt vmcnt(0)
	ds_write_b64 v1, v[114:115]
	buffer_store_dword v118, off, s[0:3], 0 offset:88
	buffer_store_dword v118, off, s[0:3], 0 offset:92
.LBB119_321:
	s_or_b64 exec, exec, s[4:5]
	s_waitcnt lgkmcnt(0)
	; wave barrier
	s_waitcnt lgkmcnt(0)
	buffer_load_dword v114, off, s[0:3], 0 offset:88
	buffer_load_dword v115, off, s[0:3], 0 offset:92
	;; [unrolled: 1-line block ×16, first 2 shown]
	ds_read_b128 v[120:123], v118 offset:544
	ds_read_b128 v[124:127], v118 offset:560
	;; [unrolled: 1-line block ×4, first 2 shown]
	v_cmp_lt_u32_e32 vcc, 10, v0
	s_waitcnt vmcnt(12) lgkmcnt(3)
	v_fma_f64 v[116:117], v[116:117], v[120:121], 0
	buffer_load_dword v121, off, s[0:3], 0 offset:156
	buffer_load_dword v120, off, s[0:3], 0 offset:152
	s_waitcnt vmcnt(12)
	v_fmac_f64_e32 v[116:117], v[136:137], v[122:123]
	s_waitcnt vmcnt(10) lgkmcnt(2)
	v_fmac_f64_e32 v[116:117], v[138:139], v[124:125]
	buffer_load_dword v125, off, s[0:3], 0 offset:164
	buffer_load_dword v124, off, s[0:3], 0 offset:160
	s_waitcnt vmcnt(10)
	v_fmac_f64_e32 v[116:117], v[140:141], v[126:127]
	s_waitcnt vmcnt(8) lgkmcnt(1)
	v_fmac_f64_e32 v[116:117], v[142:143], v[128:129]
	s_waitcnt vmcnt(6)
	v_fmac_f64_e32 v[116:117], v[144:145], v[130:131]
	s_waitcnt vmcnt(4) lgkmcnt(0)
	v_fmac_f64_e32 v[116:117], v[146:147], v[132:133]
	s_waitcnt vmcnt(2)
	v_fmac_f64_e32 v[116:117], v[120:121], v[134:135]
	ds_read_b128 v[120:123], v118 offset:608
	s_waitcnt vmcnt(0) lgkmcnt(0)
	v_fmac_f64_e32 v[116:117], v[124:125], v[120:121]
	buffer_load_dword v121, off, s[0:3], 0 offset:172
	buffer_load_dword v120, off, s[0:3], 0 offset:168
	buffer_load_dword v125, off, s[0:3], 0 offset:180
	buffer_load_dword v124, off, s[0:3], 0 offset:176
	s_waitcnt vmcnt(2)
	v_fmac_f64_e32 v[116:117], v[120:121], v[122:123]
	ds_read_b128 v[120:123], v118 offset:624
	s_waitcnt vmcnt(0) lgkmcnt(0)
	v_fmac_f64_e32 v[116:117], v[124:125], v[120:121]
	buffer_load_dword v121, off, s[0:3], 0 offset:188
	buffer_load_dword v120, off, s[0:3], 0 offset:184
	buffer_load_dword v125, off, s[0:3], 0 offset:196
	buffer_load_dword v124, off, s[0:3], 0 offset:192
	;; [unrolled: 9-line block ×16, first 2 shown]
	s_waitcnt vmcnt(2)
	v_fmac_f64_e32 v[116:117], v[120:121], v[122:123]
	ds_read_b128 v[120:123], v118 offset:864
	s_waitcnt vmcnt(0) lgkmcnt(0)
	v_fmac_f64_e32 v[116:117], v[124:125], v[120:121]
	buffer_load_dword v121, off, s[0:3], 0 offset:428
	buffer_load_dword v120, off, s[0:3], 0 offset:424
	s_waitcnt vmcnt(0)
	v_fmac_f64_e32 v[116:117], v[120:121], v[122:123]
	buffer_load_dword v123, off, s[0:3], 0 offset:436
	buffer_load_dword v122, off, s[0:3], 0 offset:432
	ds_read_b128 v[118:121], v118 offset:880
	s_waitcnt vmcnt(0) lgkmcnt(0)
	v_fmac_f64_e32 v[116:117], v[122:123], v[118:119]
	buffer_load_dword v119, off, s[0:3], 0 offset:444
	buffer_load_dword v118, off, s[0:3], 0 offset:440
	s_waitcnt vmcnt(0)
	v_fmac_f64_e32 v[116:117], v[118:119], v[120:121]
	v_add_f64 v[114:115], v[114:115], -v[116:117]
	buffer_store_dword v115, off, s[0:3], 0 offset:92
	buffer_store_dword v114, off, s[0:3], 0 offset:88
	s_and_saveexec_b64 s[4:5], vcc
	s_cbranch_execz .LBB119_323
; %bb.322:
	buffer_load_dword v114, off, s[0:3], 0 offset:80
	buffer_load_dword v115, off, s[0:3], 0 offset:84
	v_mov_b32_e32 v116, 0
	buffer_store_dword v116, off, s[0:3], 0 offset:80
	buffer_store_dword v116, off, s[0:3], 0 offset:84
	s_waitcnt vmcnt(2)
	ds_write_b64 v1, v[114:115]
.LBB119_323:
	s_or_b64 exec, exec, s[4:5]
	s_waitcnt lgkmcnt(0)
	; wave barrier
	s_waitcnt lgkmcnt(0)
	buffer_load_dword v114, off, s[0:3], 0 offset:80
	buffer_load_dword v115, off, s[0:3], 0 offset:84
	;; [unrolled: 1-line block ×16, first 2 shown]
	v_mov_b32_e32 v118, 0
	ds_read2_b64 v[120:123], v118 offset0:67 offset1:68
	v_cmp_lt_u32_e32 vcc, 9, v0
	s_waitcnt vmcnt(12) lgkmcnt(0)
	v_fma_f64 v[116:117], v[116:117], v[120:121], 0
	s_waitcnt vmcnt(10)
	v_fmac_f64_e32 v[116:117], v[124:125], v[122:123]
	ds_read2_b64 v[120:123], v118 offset0:69 offset1:70
	s_waitcnt vmcnt(8) lgkmcnt(0)
	v_fmac_f64_e32 v[116:117], v[126:127], v[120:121]
	s_waitcnt vmcnt(6)
	v_fmac_f64_e32 v[116:117], v[128:129], v[122:123]
	ds_read2_b64 v[120:123], v118 offset0:71 offset1:72
	s_waitcnt vmcnt(4) lgkmcnt(0)
	v_fmac_f64_e32 v[116:117], v[130:131], v[120:121]
	;; [unrolled: 5-line block ×3, first 2 shown]
	buffer_load_dword v121, off, s[0:3], 0 offset:148
	buffer_load_dword v120, off, s[0:3], 0 offset:144
	buffer_load_dword v125, off, s[0:3], 0 offset:156
	buffer_load_dword v124, off, s[0:3], 0 offset:152
	s_waitcnt vmcnt(2)
	v_fmac_f64_e32 v[116:117], v[120:121], v[122:123]
	ds_read2_b64 v[120:123], v118 offset0:75 offset1:76
	s_waitcnt vmcnt(0) lgkmcnt(0)
	v_fmac_f64_e32 v[116:117], v[124:125], v[120:121]
	buffer_load_dword v121, off, s[0:3], 0 offset:164
	buffer_load_dword v120, off, s[0:3], 0 offset:160
	buffer_load_dword v125, off, s[0:3], 0 offset:172
	buffer_load_dword v124, off, s[0:3], 0 offset:168
	s_waitcnt vmcnt(2)
	v_fmac_f64_e32 v[116:117], v[120:121], v[122:123]
	ds_read2_b64 v[120:123], v118 offset0:77 offset1:78
	s_waitcnt vmcnt(0) lgkmcnt(0)
	v_fmac_f64_e32 v[116:117], v[124:125], v[120:121]
	;; [unrolled: 9-line block ×18, first 2 shown]
	buffer_load_dword v121, off, s[0:3], 0 offset:436
	buffer_load_dword v120, off, s[0:3], 0 offset:432
	s_waitcnt vmcnt(0)
	v_fmac_f64_e32 v[116:117], v[120:121], v[122:123]
	buffer_load_dword v121, off, s[0:3], 0 offset:444
	buffer_load_dword v120, off, s[0:3], 0 offset:440
	ds_read_b64 v[122:123], v118 offset:888
	s_waitcnt vmcnt(0) lgkmcnt(0)
	v_fmac_f64_e32 v[116:117], v[120:121], v[122:123]
	v_add_f64 v[114:115], v[114:115], -v[116:117]
	buffer_store_dword v115, off, s[0:3], 0 offset:84
	buffer_store_dword v114, off, s[0:3], 0 offset:80
	s_and_saveexec_b64 s[4:5], vcc
	s_cbranch_execz .LBB119_325
; %bb.324:
	buffer_load_dword v114, off, s[0:3], 0 offset:72
	buffer_load_dword v115, off, s[0:3], 0 offset:76
	s_waitcnt vmcnt(0)
	ds_write_b64 v1, v[114:115]
	buffer_store_dword v118, off, s[0:3], 0 offset:72
	buffer_store_dword v118, off, s[0:3], 0 offset:76
.LBB119_325:
	s_or_b64 exec, exec, s[4:5]
	s_waitcnt lgkmcnt(0)
	; wave barrier
	s_waitcnt lgkmcnt(0)
	buffer_load_dword v114, off, s[0:3], 0 offset:72
	buffer_load_dword v115, off, s[0:3], 0 offset:76
	buffer_load_dword v116, off, s[0:3], 0 offset:80
	buffer_load_dword v117, off, s[0:3], 0 offset:84
	buffer_load_dword v136, off, s[0:3], 0 offset:88
	buffer_load_dword v137, off, s[0:3], 0 offset:92
	buffer_load_dword v138, off, s[0:3], 0 offset:96
	buffer_load_dword v139, off, s[0:3], 0 offset:100
	buffer_load_dword v140, off, s[0:3], 0 offset:104
	buffer_load_dword v141, off, s[0:3], 0 offset:108
	buffer_load_dword v142, off, s[0:3], 0 offset:112
	buffer_load_dword v143, off, s[0:3], 0 offset:116
	buffer_load_dword v144, off, s[0:3], 0 offset:120
	buffer_load_dword v145, off, s[0:3], 0 offset:124
	buffer_load_dword v146, off, s[0:3], 0 offset:128
	buffer_load_dword v147, off, s[0:3], 0 offset:132
	ds_read_b128 v[120:123], v118 offset:528
	ds_read_b128 v[124:127], v118 offset:544
	;; [unrolled: 1-line block ×4, first 2 shown]
	v_cmp_lt_u32_e32 vcc, 8, v0
	s_waitcnt vmcnt(12) lgkmcnt(3)
	v_fma_f64 v[116:117], v[116:117], v[120:121], 0
	buffer_load_dword v121, off, s[0:3], 0 offset:140
	buffer_load_dword v120, off, s[0:3], 0 offset:136
	s_waitcnt vmcnt(12)
	v_fmac_f64_e32 v[116:117], v[136:137], v[122:123]
	s_waitcnt vmcnt(10) lgkmcnt(2)
	v_fmac_f64_e32 v[116:117], v[138:139], v[124:125]
	buffer_load_dword v125, off, s[0:3], 0 offset:148
	buffer_load_dword v124, off, s[0:3], 0 offset:144
	s_waitcnt vmcnt(10)
	v_fmac_f64_e32 v[116:117], v[140:141], v[126:127]
	s_waitcnt vmcnt(8) lgkmcnt(1)
	v_fmac_f64_e32 v[116:117], v[142:143], v[128:129]
	s_waitcnt vmcnt(6)
	v_fmac_f64_e32 v[116:117], v[144:145], v[130:131]
	s_waitcnt vmcnt(4) lgkmcnt(0)
	v_fmac_f64_e32 v[116:117], v[146:147], v[132:133]
	s_waitcnt vmcnt(2)
	v_fmac_f64_e32 v[116:117], v[120:121], v[134:135]
	ds_read_b128 v[120:123], v118 offset:592
	s_waitcnt vmcnt(0) lgkmcnt(0)
	v_fmac_f64_e32 v[116:117], v[124:125], v[120:121]
	buffer_load_dword v121, off, s[0:3], 0 offset:156
	buffer_load_dword v120, off, s[0:3], 0 offset:152
	buffer_load_dword v125, off, s[0:3], 0 offset:164
	buffer_load_dword v124, off, s[0:3], 0 offset:160
	s_waitcnt vmcnt(2)
	v_fmac_f64_e32 v[116:117], v[120:121], v[122:123]
	ds_read_b128 v[120:123], v118 offset:608
	s_waitcnt vmcnt(0) lgkmcnt(0)
	v_fmac_f64_e32 v[116:117], v[124:125], v[120:121]
	buffer_load_dword v121, off, s[0:3], 0 offset:172
	buffer_load_dword v120, off, s[0:3], 0 offset:168
	buffer_load_dword v125, off, s[0:3], 0 offset:180
	buffer_load_dword v124, off, s[0:3], 0 offset:176
	;; [unrolled: 9-line block ×17, first 2 shown]
	s_waitcnt vmcnt(2)
	v_fmac_f64_e32 v[116:117], v[120:121], v[122:123]
	ds_read_b128 v[120:123], v118 offset:864
	s_waitcnt vmcnt(0) lgkmcnt(0)
	v_fmac_f64_e32 v[116:117], v[124:125], v[120:121]
	buffer_load_dword v121, off, s[0:3], 0 offset:428
	buffer_load_dword v120, off, s[0:3], 0 offset:424
	s_waitcnt vmcnt(0)
	v_fmac_f64_e32 v[116:117], v[120:121], v[122:123]
	buffer_load_dword v123, off, s[0:3], 0 offset:436
	buffer_load_dword v122, off, s[0:3], 0 offset:432
	ds_read_b128 v[118:121], v118 offset:880
	s_waitcnt vmcnt(0) lgkmcnt(0)
	v_fmac_f64_e32 v[116:117], v[122:123], v[118:119]
	buffer_load_dword v119, off, s[0:3], 0 offset:444
	buffer_load_dword v118, off, s[0:3], 0 offset:440
	s_waitcnt vmcnt(0)
	v_fmac_f64_e32 v[116:117], v[118:119], v[120:121]
	v_add_f64 v[114:115], v[114:115], -v[116:117]
	buffer_store_dword v115, off, s[0:3], 0 offset:76
	buffer_store_dword v114, off, s[0:3], 0 offset:72
	s_and_saveexec_b64 s[4:5], vcc
	s_cbranch_execz .LBB119_327
; %bb.326:
	buffer_load_dword v114, off, s[0:3], 0 offset:64
	buffer_load_dword v115, off, s[0:3], 0 offset:68
	v_mov_b32_e32 v116, 0
	buffer_store_dword v116, off, s[0:3], 0 offset:64
	buffer_store_dword v116, off, s[0:3], 0 offset:68
	s_waitcnt vmcnt(2)
	ds_write_b64 v1, v[114:115]
.LBB119_327:
	s_or_b64 exec, exec, s[4:5]
	s_waitcnt lgkmcnt(0)
	; wave barrier
	s_waitcnt lgkmcnt(0)
	buffer_load_dword v114, off, s[0:3], 0 offset:64
	buffer_load_dword v115, off, s[0:3], 0 offset:68
	;; [unrolled: 1-line block ×16, first 2 shown]
	v_mov_b32_e32 v118, 0
	ds_read2_b64 v[120:123], v118 offset0:65 offset1:66
	v_cmp_lt_u32_e32 vcc, 7, v0
	s_waitcnt vmcnt(12) lgkmcnt(0)
	v_fma_f64 v[116:117], v[116:117], v[120:121], 0
	s_waitcnt vmcnt(10)
	v_fmac_f64_e32 v[116:117], v[124:125], v[122:123]
	ds_read2_b64 v[120:123], v118 offset0:67 offset1:68
	s_waitcnt vmcnt(8) lgkmcnt(0)
	v_fmac_f64_e32 v[116:117], v[126:127], v[120:121]
	s_waitcnt vmcnt(6)
	v_fmac_f64_e32 v[116:117], v[128:129], v[122:123]
	ds_read2_b64 v[120:123], v118 offset0:69 offset1:70
	s_waitcnt vmcnt(4) lgkmcnt(0)
	v_fmac_f64_e32 v[116:117], v[130:131], v[120:121]
	;; [unrolled: 5-line block ×3, first 2 shown]
	buffer_load_dword v121, off, s[0:3], 0 offset:132
	buffer_load_dword v120, off, s[0:3], 0 offset:128
	buffer_load_dword v125, off, s[0:3], 0 offset:140
	buffer_load_dword v124, off, s[0:3], 0 offset:136
	s_waitcnt vmcnt(2)
	v_fmac_f64_e32 v[116:117], v[120:121], v[122:123]
	ds_read2_b64 v[120:123], v118 offset0:73 offset1:74
	s_waitcnt vmcnt(0) lgkmcnt(0)
	v_fmac_f64_e32 v[116:117], v[124:125], v[120:121]
	buffer_load_dword v121, off, s[0:3], 0 offset:148
	buffer_load_dword v120, off, s[0:3], 0 offset:144
	buffer_load_dword v125, off, s[0:3], 0 offset:156
	buffer_load_dword v124, off, s[0:3], 0 offset:152
	s_waitcnt vmcnt(2)
	v_fmac_f64_e32 v[116:117], v[120:121], v[122:123]
	ds_read2_b64 v[120:123], v118 offset0:75 offset1:76
	s_waitcnt vmcnt(0) lgkmcnt(0)
	v_fmac_f64_e32 v[116:117], v[124:125], v[120:121]
	;; [unrolled: 9-line block ×19, first 2 shown]
	buffer_load_dword v121, off, s[0:3], 0 offset:436
	buffer_load_dword v120, off, s[0:3], 0 offset:432
	s_waitcnt vmcnt(0)
	v_fmac_f64_e32 v[116:117], v[120:121], v[122:123]
	buffer_load_dword v121, off, s[0:3], 0 offset:444
	buffer_load_dword v120, off, s[0:3], 0 offset:440
	ds_read_b64 v[122:123], v118 offset:888
	s_waitcnt vmcnt(0) lgkmcnt(0)
	v_fmac_f64_e32 v[116:117], v[120:121], v[122:123]
	v_add_f64 v[114:115], v[114:115], -v[116:117]
	buffer_store_dword v115, off, s[0:3], 0 offset:68
	buffer_store_dword v114, off, s[0:3], 0 offset:64
	s_and_saveexec_b64 s[4:5], vcc
	s_cbranch_execz .LBB119_329
; %bb.328:
	buffer_load_dword v114, off, s[0:3], 0 offset:56
	buffer_load_dword v115, off, s[0:3], 0 offset:60
	s_waitcnt vmcnt(0)
	ds_write_b64 v1, v[114:115]
	buffer_store_dword v118, off, s[0:3], 0 offset:56
	buffer_store_dword v118, off, s[0:3], 0 offset:60
.LBB119_329:
	s_or_b64 exec, exec, s[4:5]
	s_waitcnt lgkmcnt(0)
	; wave barrier
	s_waitcnt lgkmcnt(0)
	buffer_load_dword v114, off, s[0:3], 0 offset:56
	buffer_load_dword v115, off, s[0:3], 0 offset:60
	;; [unrolled: 1-line block ×16, first 2 shown]
	ds_read_b128 v[120:123], v118 offset:512
	ds_read_b128 v[124:127], v118 offset:528
	;; [unrolled: 1-line block ×4, first 2 shown]
	v_cmp_lt_u32_e32 vcc, 6, v0
	s_waitcnt vmcnt(12) lgkmcnt(3)
	v_fma_f64 v[116:117], v[116:117], v[120:121], 0
	buffer_load_dword v121, off, s[0:3], 0 offset:124
	buffer_load_dword v120, off, s[0:3], 0 offset:120
	s_waitcnt vmcnt(12)
	v_fmac_f64_e32 v[116:117], v[136:137], v[122:123]
	s_waitcnt vmcnt(10) lgkmcnt(2)
	v_fmac_f64_e32 v[116:117], v[138:139], v[124:125]
	buffer_load_dword v125, off, s[0:3], 0 offset:132
	buffer_load_dword v124, off, s[0:3], 0 offset:128
	s_waitcnt vmcnt(10)
	v_fmac_f64_e32 v[116:117], v[140:141], v[126:127]
	s_waitcnt vmcnt(8) lgkmcnt(1)
	v_fmac_f64_e32 v[116:117], v[142:143], v[128:129]
	s_waitcnt vmcnt(6)
	v_fmac_f64_e32 v[116:117], v[144:145], v[130:131]
	s_waitcnt vmcnt(4) lgkmcnt(0)
	v_fmac_f64_e32 v[116:117], v[146:147], v[132:133]
	s_waitcnt vmcnt(2)
	v_fmac_f64_e32 v[116:117], v[120:121], v[134:135]
	ds_read_b128 v[120:123], v118 offset:576
	s_waitcnt vmcnt(0) lgkmcnt(0)
	v_fmac_f64_e32 v[116:117], v[124:125], v[120:121]
	buffer_load_dword v121, off, s[0:3], 0 offset:140
	buffer_load_dword v120, off, s[0:3], 0 offset:136
	buffer_load_dword v125, off, s[0:3], 0 offset:148
	buffer_load_dword v124, off, s[0:3], 0 offset:144
	s_waitcnt vmcnt(2)
	v_fmac_f64_e32 v[116:117], v[120:121], v[122:123]
	ds_read_b128 v[120:123], v118 offset:592
	s_waitcnt vmcnt(0) lgkmcnt(0)
	v_fmac_f64_e32 v[116:117], v[124:125], v[120:121]
	buffer_load_dword v121, off, s[0:3], 0 offset:156
	buffer_load_dword v120, off, s[0:3], 0 offset:152
	buffer_load_dword v125, off, s[0:3], 0 offset:164
	buffer_load_dword v124, off, s[0:3], 0 offset:160
	;; [unrolled: 9-line block ×18, first 2 shown]
	s_waitcnt vmcnt(2)
	v_fmac_f64_e32 v[116:117], v[120:121], v[122:123]
	ds_read_b128 v[120:123], v118 offset:864
	s_waitcnt vmcnt(0) lgkmcnt(0)
	v_fmac_f64_e32 v[116:117], v[124:125], v[120:121]
	buffer_load_dword v121, off, s[0:3], 0 offset:428
	buffer_load_dword v120, off, s[0:3], 0 offset:424
	s_waitcnt vmcnt(0)
	v_fmac_f64_e32 v[116:117], v[120:121], v[122:123]
	buffer_load_dword v123, off, s[0:3], 0 offset:436
	buffer_load_dword v122, off, s[0:3], 0 offset:432
	ds_read_b128 v[118:121], v118 offset:880
	s_waitcnt vmcnt(0) lgkmcnt(0)
	v_fmac_f64_e32 v[116:117], v[122:123], v[118:119]
	buffer_load_dword v119, off, s[0:3], 0 offset:444
	buffer_load_dword v118, off, s[0:3], 0 offset:440
	s_waitcnt vmcnt(0)
	v_fmac_f64_e32 v[116:117], v[118:119], v[120:121]
	v_add_f64 v[114:115], v[114:115], -v[116:117]
	buffer_store_dword v115, off, s[0:3], 0 offset:60
	buffer_store_dword v114, off, s[0:3], 0 offset:56
	s_and_saveexec_b64 s[4:5], vcc
	s_cbranch_execz .LBB119_331
; %bb.330:
	buffer_load_dword v114, off, s[0:3], 0 offset:48
	buffer_load_dword v115, off, s[0:3], 0 offset:52
	v_mov_b32_e32 v116, 0
	buffer_store_dword v116, off, s[0:3], 0 offset:48
	buffer_store_dword v116, off, s[0:3], 0 offset:52
	s_waitcnt vmcnt(2)
	ds_write_b64 v1, v[114:115]
.LBB119_331:
	s_or_b64 exec, exec, s[4:5]
	s_waitcnt lgkmcnt(0)
	; wave barrier
	s_waitcnt lgkmcnt(0)
	buffer_load_dword v114, off, s[0:3], 0 offset:48
	buffer_load_dword v115, off, s[0:3], 0 offset:52
	;; [unrolled: 1-line block ×16, first 2 shown]
	v_mov_b32_e32 v118, 0
	ds_read2_b64 v[120:123], v118 offset0:63 offset1:64
	v_cmp_lt_u32_e32 vcc, 5, v0
	s_waitcnt vmcnt(12) lgkmcnt(0)
	v_fma_f64 v[116:117], v[116:117], v[120:121], 0
	s_waitcnt vmcnt(10)
	v_fmac_f64_e32 v[116:117], v[124:125], v[122:123]
	ds_read2_b64 v[120:123], v118 offset0:65 offset1:66
	s_waitcnt vmcnt(8) lgkmcnt(0)
	v_fmac_f64_e32 v[116:117], v[126:127], v[120:121]
	s_waitcnt vmcnt(6)
	v_fmac_f64_e32 v[116:117], v[128:129], v[122:123]
	ds_read2_b64 v[120:123], v118 offset0:67 offset1:68
	s_waitcnt vmcnt(4) lgkmcnt(0)
	v_fmac_f64_e32 v[116:117], v[130:131], v[120:121]
	;; [unrolled: 5-line block ×3, first 2 shown]
	buffer_load_dword v121, off, s[0:3], 0 offset:116
	buffer_load_dword v120, off, s[0:3], 0 offset:112
	buffer_load_dword v125, off, s[0:3], 0 offset:124
	buffer_load_dword v124, off, s[0:3], 0 offset:120
	s_waitcnt vmcnt(2)
	v_fmac_f64_e32 v[116:117], v[120:121], v[122:123]
	ds_read2_b64 v[120:123], v118 offset0:71 offset1:72
	s_waitcnt vmcnt(0) lgkmcnt(0)
	v_fmac_f64_e32 v[116:117], v[124:125], v[120:121]
	buffer_load_dword v121, off, s[0:3], 0 offset:132
	buffer_load_dword v120, off, s[0:3], 0 offset:128
	buffer_load_dword v125, off, s[0:3], 0 offset:140
	buffer_load_dword v124, off, s[0:3], 0 offset:136
	s_waitcnt vmcnt(2)
	v_fmac_f64_e32 v[116:117], v[120:121], v[122:123]
	ds_read2_b64 v[120:123], v118 offset0:73 offset1:74
	s_waitcnt vmcnt(0) lgkmcnt(0)
	v_fmac_f64_e32 v[116:117], v[124:125], v[120:121]
	;; [unrolled: 9-line block ×20, first 2 shown]
	buffer_load_dword v121, off, s[0:3], 0 offset:436
	buffer_load_dword v120, off, s[0:3], 0 offset:432
	s_waitcnt vmcnt(0)
	v_fmac_f64_e32 v[116:117], v[120:121], v[122:123]
	buffer_load_dword v121, off, s[0:3], 0 offset:444
	buffer_load_dword v120, off, s[0:3], 0 offset:440
	ds_read_b64 v[122:123], v118 offset:888
	s_waitcnt vmcnt(0) lgkmcnt(0)
	v_fmac_f64_e32 v[116:117], v[120:121], v[122:123]
	v_add_f64 v[114:115], v[114:115], -v[116:117]
	buffer_store_dword v115, off, s[0:3], 0 offset:52
	buffer_store_dword v114, off, s[0:3], 0 offset:48
	s_and_saveexec_b64 s[4:5], vcc
	s_cbranch_execz .LBB119_333
; %bb.332:
	buffer_load_dword v114, off, s[0:3], 0 offset:40
	buffer_load_dword v115, off, s[0:3], 0 offset:44
	s_waitcnt vmcnt(0)
	ds_write_b64 v1, v[114:115]
	buffer_store_dword v118, off, s[0:3], 0 offset:40
	buffer_store_dword v118, off, s[0:3], 0 offset:44
.LBB119_333:
	s_or_b64 exec, exec, s[4:5]
	s_waitcnt lgkmcnt(0)
	; wave barrier
	s_waitcnt lgkmcnt(0)
	buffer_load_dword v114, off, s[0:3], 0 offset:40
	buffer_load_dword v115, off, s[0:3], 0 offset:44
	;; [unrolled: 1-line block ×16, first 2 shown]
	ds_read_b128 v[120:123], v118 offset:496
	v_cmp_lt_u32_e32 vcc, 4, v0
	s_waitcnt vmcnt(12) lgkmcnt(0)
	v_fma_f64 v[116:117], v[116:117], v[120:121], 0
	s_waitcnt vmcnt(10)
	v_fmac_f64_e32 v[116:117], v[124:125], v[122:123]
	ds_read_b128 v[120:123], v118 offset:512
	s_waitcnt vmcnt(8) lgkmcnt(0)
	v_fmac_f64_e32 v[116:117], v[126:127], v[120:121]
	s_waitcnt vmcnt(6)
	v_fmac_f64_e32 v[116:117], v[128:129], v[122:123]
	ds_read_b128 v[120:123], v118 offset:528
	s_waitcnt vmcnt(4) lgkmcnt(0)
	v_fmac_f64_e32 v[116:117], v[130:131], v[120:121]
	;; [unrolled: 5-line block ×3, first 2 shown]
	buffer_load_dword v121, off, s[0:3], 0 offset:108
	buffer_load_dword v120, off, s[0:3], 0 offset:104
	buffer_load_dword v125, off, s[0:3], 0 offset:116
	buffer_load_dword v124, off, s[0:3], 0 offset:112
	s_waitcnt vmcnt(2)
	v_fmac_f64_e32 v[116:117], v[120:121], v[122:123]
	ds_read_b128 v[120:123], v118 offset:560
	s_waitcnt vmcnt(0) lgkmcnt(0)
	v_fmac_f64_e32 v[116:117], v[124:125], v[120:121]
	buffer_load_dword v121, off, s[0:3], 0 offset:124
	buffer_load_dword v120, off, s[0:3], 0 offset:120
	buffer_load_dword v125, off, s[0:3], 0 offset:132
	buffer_load_dword v124, off, s[0:3], 0 offset:128
	s_waitcnt vmcnt(2)
	v_fmac_f64_e32 v[116:117], v[120:121], v[122:123]
	ds_read_b128 v[120:123], v118 offset:576
	s_waitcnt vmcnt(0) lgkmcnt(0)
	v_fmac_f64_e32 v[116:117], v[124:125], v[120:121]
	;; [unrolled: 9-line block ×20, first 2 shown]
	buffer_load_dword v121, off, s[0:3], 0 offset:428
	buffer_load_dword v120, off, s[0:3], 0 offset:424
	s_waitcnt vmcnt(0)
	v_fmac_f64_e32 v[116:117], v[120:121], v[122:123]
	buffer_load_dword v123, off, s[0:3], 0 offset:436
	buffer_load_dword v122, off, s[0:3], 0 offset:432
	ds_read_b128 v[118:121], v118 offset:880
	s_waitcnt vmcnt(0) lgkmcnt(0)
	v_fmac_f64_e32 v[116:117], v[122:123], v[118:119]
	buffer_load_dword v119, off, s[0:3], 0 offset:444
	buffer_load_dword v118, off, s[0:3], 0 offset:440
	s_waitcnt vmcnt(0)
	v_fmac_f64_e32 v[116:117], v[118:119], v[120:121]
	v_add_f64 v[114:115], v[114:115], -v[116:117]
	buffer_store_dword v115, off, s[0:3], 0 offset:44
	buffer_store_dword v114, off, s[0:3], 0 offset:40
	s_and_saveexec_b64 s[4:5], vcc
	s_cbranch_execz .LBB119_335
; %bb.334:
	buffer_load_dword v114, off, s[0:3], 0 offset:32
	buffer_load_dword v115, off, s[0:3], 0 offset:36
	v_mov_b32_e32 v116, 0
	buffer_store_dword v116, off, s[0:3], 0 offset:32
	buffer_store_dword v116, off, s[0:3], 0 offset:36
	s_waitcnt vmcnt(2)
	ds_write_b64 v1, v[114:115]
.LBB119_335:
	s_or_b64 exec, exec, s[4:5]
	s_waitcnt lgkmcnt(0)
	; wave barrier
	s_waitcnt lgkmcnt(0)
	buffer_load_dword v114, off, s[0:3], 0 offset:32
	buffer_load_dword v115, off, s[0:3], 0 offset:36
	;; [unrolled: 1-line block ×16, first 2 shown]
	v_mov_b32_e32 v118, 0
	ds_read2_b64 v[120:123], v118 offset0:61 offset1:62
	v_cmp_lt_u32_e32 vcc, 3, v0
	s_waitcnt vmcnt(12) lgkmcnt(0)
	v_fma_f64 v[116:117], v[116:117], v[120:121], 0
	s_waitcnt vmcnt(10)
	v_fmac_f64_e32 v[116:117], v[124:125], v[122:123]
	ds_read2_b64 v[120:123], v118 offset0:63 offset1:64
	s_waitcnt vmcnt(8) lgkmcnt(0)
	v_fmac_f64_e32 v[116:117], v[126:127], v[120:121]
	s_waitcnt vmcnt(6)
	v_fmac_f64_e32 v[116:117], v[128:129], v[122:123]
	ds_read2_b64 v[120:123], v118 offset0:65 offset1:66
	s_waitcnt vmcnt(4) lgkmcnt(0)
	v_fmac_f64_e32 v[116:117], v[130:131], v[120:121]
	;; [unrolled: 5-line block ×3, first 2 shown]
	buffer_load_dword v121, off, s[0:3], 0 offset:100
	buffer_load_dword v120, off, s[0:3], 0 offset:96
	buffer_load_dword v125, off, s[0:3], 0 offset:108
	buffer_load_dword v124, off, s[0:3], 0 offset:104
	s_waitcnt vmcnt(2)
	v_fmac_f64_e32 v[116:117], v[120:121], v[122:123]
	ds_read2_b64 v[120:123], v118 offset0:69 offset1:70
	s_waitcnt vmcnt(0) lgkmcnt(0)
	v_fmac_f64_e32 v[116:117], v[124:125], v[120:121]
	buffer_load_dword v121, off, s[0:3], 0 offset:116
	buffer_load_dword v120, off, s[0:3], 0 offset:112
	buffer_load_dword v125, off, s[0:3], 0 offset:124
	buffer_load_dword v124, off, s[0:3], 0 offset:120
	s_waitcnt vmcnt(2)
	v_fmac_f64_e32 v[116:117], v[120:121], v[122:123]
	ds_read2_b64 v[120:123], v118 offset0:71 offset1:72
	s_waitcnt vmcnt(0) lgkmcnt(0)
	v_fmac_f64_e32 v[116:117], v[124:125], v[120:121]
	;; [unrolled: 9-line block ×21, first 2 shown]
	buffer_load_dword v121, off, s[0:3], 0 offset:436
	buffer_load_dword v120, off, s[0:3], 0 offset:432
	s_waitcnt vmcnt(0)
	v_fmac_f64_e32 v[116:117], v[120:121], v[122:123]
	buffer_load_dword v121, off, s[0:3], 0 offset:444
	buffer_load_dword v120, off, s[0:3], 0 offset:440
	ds_read_b64 v[122:123], v118 offset:888
	s_waitcnt vmcnt(0) lgkmcnt(0)
	v_fmac_f64_e32 v[116:117], v[120:121], v[122:123]
	v_add_f64 v[114:115], v[114:115], -v[116:117]
	buffer_store_dword v115, off, s[0:3], 0 offset:36
	buffer_store_dword v114, off, s[0:3], 0 offset:32
	s_and_saveexec_b64 s[4:5], vcc
	s_cbranch_execz .LBB119_337
; %bb.336:
	buffer_load_dword v114, off, s[0:3], 0 offset:24
	buffer_load_dword v115, off, s[0:3], 0 offset:28
	s_waitcnt vmcnt(0)
	ds_write_b64 v1, v[114:115]
	buffer_store_dword v118, off, s[0:3], 0 offset:24
	buffer_store_dword v118, off, s[0:3], 0 offset:28
.LBB119_337:
	s_or_b64 exec, exec, s[4:5]
	s_waitcnt lgkmcnt(0)
	; wave barrier
	s_waitcnt lgkmcnt(0)
	buffer_load_dword v114, off, s[0:3], 0 offset:24
	buffer_load_dword v115, off, s[0:3], 0 offset:28
	;; [unrolled: 1-line block ×16, first 2 shown]
	ds_read_b128 v[120:123], v118 offset:480
	v_cmp_lt_u32_e32 vcc, 2, v0
	s_waitcnt vmcnt(12) lgkmcnt(0)
	v_fma_f64 v[116:117], v[116:117], v[120:121], 0
	s_waitcnt vmcnt(10)
	v_fmac_f64_e32 v[116:117], v[124:125], v[122:123]
	ds_read_b128 v[120:123], v118 offset:496
	s_waitcnt vmcnt(8) lgkmcnt(0)
	v_fmac_f64_e32 v[116:117], v[126:127], v[120:121]
	s_waitcnt vmcnt(6)
	v_fmac_f64_e32 v[116:117], v[128:129], v[122:123]
	ds_read_b128 v[120:123], v118 offset:512
	s_waitcnt vmcnt(4) lgkmcnt(0)
	v_fmac_f64_e32 v[116:117], v[130:131], v[120:121]
	;; [unrolled: 5-line block ×3, first 2 shown]
	buffer_load_dword v121, off, s[0:3], 0 offset:92
	buffer_load_dword v120, off, s[0:3], 0 offset:88
	buffer_load_dword v125, off, s[0:3], 0 offset:100
	buffer_load_dword v124, off, s[0:3], 0 offset:96
	s_waitcnt vmcnt(2)
	v_fmac_f64_e32 v[116:117], v[120:121], v[122:123]
	ds_read_b128 v[120:123], v118 offset:544
	s_waitcnt vmcnt(0) lgkmcnt(0)
	v_fmac_f64_e32 v[116:117], v[124:125], v[120:121]
	buffer_load_dword v121, off, s[0:3], 0 offset:108
	buffer_load_dword v120, off, s[0:3], 0 offset:104
	buffer_load_dword v125, off, s[0:3], 0 offset:116
	buffer_load_dword v124, off, s[0:3], 0 offset:112
	s_waitcnt vmcnt(2)
	v_fmac_f64_e32 v[116:117], v[120:121], v[122:123]
	ds_read_b128 v[120:123], v118 offset:560
	s_waitcnt vmcnt(0) lgkmcnt(0)
	v_fmac_f64_e32 v[116:117], v[124:125], v[120:121]
	;; [unrolled: 9-line block ×21, first 2 shown]
	buffer_load_dword v121, off, s[0:3], 0 offset:428
	buffer_load_dword v120, off, s[0:3], 0 offset:424
	s_waitcnt vmcnt(0)
	v_fmac_f64_e32 v[116:117], v[120:121], v[122:123]
	buffer_load_dword v123, off, s[0:3], 0 offset:436
	buffer_load_dword v122, off, s[0:3], 0 offset:432
	ds_read_b128 v[118:121], v118 offset:880
	s_waitcnt vmcnt(0) lgkmcnt(0)
	v_fmac_f64_e32 v[116:117], v[122:123], v[118:119]
	buffer_load_dword v119, off, s[0:3], 0 offset:444
	buffer_load_dword v118, off, s[0:3], 0 offset:440
	s_waitcnt vmcnt(0)
	v_fmac_f64_e32 v[116:117], v[118:119], v[120:121]
	v_add_f64 v[114:115], v[114:115], -v[116:117]
	buffer_store_dword v115, off, s[0:3], 0 offset:28
	buffer_store_dword v114, off, s[0:3], 0 offset:24
	s_and_saveexec_b64 s[4:5], vcc
	s_cbranch_execz .LBB119_339
; %bb.338:
	buffer_load_dword v114, off, s[0:3], 0 offset:16
	buffer_load_dword v115, off, s[0:3], 0 offset:20
	v_mov_b32_e32 v116, 0
	buffer_store_dword v116, off, s[0:3], 0 offset:16
	buffer_store_dword v116, off, s[0:3], 0 offset:20
	s_waitcnt vmcnt(2)
	ds_write_b64 v1, v[114:115]
.LBB119_339:
	s_or_b64 exec, exec, s[4:5]
	s_waitcnt lgkmcnt(0)
	; wave barrier
	s_waitcnt lgkmcnt(0)
	buffer_load_dword v114, off, s[0:3], 0 offset:16
	buffer_load_dword v115, off, s[0:3], 0 offset:20
	;; [unrolled: 1-line block ×16, first 2 shown]
	v_mov_b32_e32 v118, 0
	ds_read2_b64 v[120:123], v118 offset0:59 offset1:60
	v_cmp_lt_u32_e32 vcc, 1, v0
	s_waitcnt vmcnt(12) lgkmcnt(0)
	v_fma_f64 v[116:117], v[116:117], v[120:121], 0
	s_waitcnt vmcnt(10)
	v_fmac_f64_e32 v[116:117], v[124:125], v[122:123]
	ds_read2_b64 v[120:123], v118 offset0:61 offset1:62
	s_waitcnt vmcnt(8) lgkmcnt(0)
	v_fmac_f64_e32 v[116:117], v[126:127], v[120:121]
	s_waitcnt vmcnt(6)
	v_fmac_f64_e32 v[116:117], v[128:129], v[122:123]
	ds_read2_b64 v[120:123], v118 offset0:63 offset1:64
	s_waitcnt vmcnt(4) lgkmcnt(0)
	v_fmac_f64_e32 v[116:117], v[130:131], v[120:121]
	s_waitcnt vmcnt(2)
	v_fmac_f64_e32 v[116:117], v[132:133], v[122:123]
	ds_read2_b64 v[120:123], v118 offset0:65 offset1:66
	s_waitcnt vmcnt(0) lgkmcnt(0)
	v_fmac_f64_e32 v[116:117], v[134:135], v[120:121]
	buffer_load_dword v121, off, s[0:3], 0 offset:84
	buffer_load_dword v120, off, s[0:3], 0 offset:80
	buffer_load_dword v125, off, s[0:3], 0 offset:92
	buffer_load_dword v124, off, s[0:3], 0 offset:88
	s_waitcnt vmcnt(2)
	v_fmac_f64_e32 v[116:117], v[120:121], v[122:123]
	ds_read2_b64 v[120:123], v118 offset0:67 offset1:68
	s_waitcnt vmcnt(0) lgkmcnt(0)
	v_fmac_f64_e32 v[116:117], v[124:125], v[120:121]
	buffer_load_dword v121, off, s[0:3], 0 offset:100
	buffer_load_dword v120, off, s[0:3], 0 offset:96
	buffer_load_dword v125, off, s[0:3], 0 offset:108
	buffer_load_dword v124, off, s[0:3], 0 offset:104
	s_waitcnt vmcnt(2)
	v_fmac_f64_e32 v[116:117], v[120:121], v[122:123]
	ds_read2_b64 v[120:123], v118 offset0:69 offset1:70
	s_waitcnt vmcnt(0) lgkmcnt(0)
	v_fmac_f64_e32 v[116:117], v[124:125], v[120:121]
	;; [unrolled: 9-line block ×22, first 2 shown]
	buffer_load_dword v121, off, s[0:3], 0 offset:436
	buffer_load_dword v120, off, s[0:3], 0 offset:432
	s_waitcnt vmcnt(0)
	v_fmac_f64_e32 v[116:117], v[120:121], v[122:123]
	buffer_load_dword v121, off, s[0:3], 0 offset:444
	buffer_load_dword v120, off, s[0:3], 0 offset:440
	ds_read_b64 v[122:123], v118 offset:888
	s_waitcnt vmcnt(0) lgkmcnt(0)
	v_fmac_f64_e32 v[116:117], v[120:121], v[122:123]
	v_add_f64 v[114:115], v[114:115], -v[116:117]
	buffer_store_dword v115, off, s[0:3], 0 offset:20
	buffer_store_dword v114, off, s[0:3], 0 offset:16
	s_and_saveexec_b64 s[4:5], vcc
	s_cbranch_execz .LBB119_341
; %bb.340:
	buffer_load_dword v114, off, s[0:3], 0 offset:8
	buffer_load_dword v115, off, s[0:3], 0 offset:12
	s_waitcnt vmcnt(0)
	ds_write_b64 v1, v[114:115]
	buffer_store_dword v118, off, s[0:3], 0 offset:8
	buffer_store_dword v118, off, s[0:3], 0 offset:12
.LBB119_341:
	s_or_b64 exec, exec, s[4:5]
	s_waitcnt lgkmcnt(0)
	; wave barrier
	s_waitcnt lgkmcnt(0)
	buffer_load_dword v114, off, s[0:3], 0 offset:8
	buffer_load_dword v115, off, s[0:3], 0 offset:12
	;; [unrolled: 1-line block ×16, first 2 shown]
	ds_read_b128 v[120:123], v118 offset:464
	v_cmp_ne_u32_e32 vcc, 0, v0
	s_waitcnt vmcnt(12) lgkmcnt(0)
	v_fma_f64 v[116:117], v[116:117], v[120:121], 0
	s_waitcnt vmcnt(10)
	v_fmac_f64_e32 v[116:117], v[124:125], v[122:123]
	ds_read_b128 v[120:123], v118 offset:480
	s_waitcnt vmcnt(8) lgkmcnt(0)
	v_fmac_f64_e32 v[116:117], v[126:127], v[120:121]
	s_waitcnt vmcnt(6)
	v_fmac_f64_e32 v[116:117], v[128:129], v[122:123]
	ds_read_b128 v[120:123], v118 offset:496
	s_waitcnt vmcnt(4) lgkmcnt(0)
	v_fmac_f64_e32 v[116:117], v[130:131], v[120:121]
	s_waitcnt vmcnt(2)
	v_fmac_f64_e32 v[116:117], v[132:133], v[122:123]
	ds_read_b128 v[120:123], v118 offset:512
	s_waitcnt vmcnt(0) lgkmcnt(0)
	v_fmac_f64_e32 v[116:117], v[134:135], v[120:121]
	buffer_load_dword v121, off, s[0:3], 0 offset:76
	buffer_load_dword v120, off, s[0:3], 0 offset:72
	buffer_load_dword v125, off, s[0:3], 0 offset:84
	buffer_load_dword v124, off, s[0:3], 0 offset:80
	s_waitcnt vmcnt(2)
	v_fmac_f64_e32 v[116:117], v[120:121], v[122:123]
	ds_read_b128 v[120:123], v118 offset:528
	s_waitcnt vmcnt(0) lgkmcnt(0)
	v_fmac_f64_e32 v[116:117], v[124:125], v[120:121]
	buffer_load_dword v121, off, s[0:3], 0 offset:92
	buffer_load_dword v120, off, s[0:3], 0 offset:88
	buffer_load_dword v125, off, s[0:3], 0 offset:100
	buffer_load_dword v124, off, s[0:3], 0 offset:96
	s_waitcnt vmcnt(2)
	v_fmac_f64_e32 v[116:117], v[120:121], v[122:123]
	ds_read_b128 v[120:123], v118 offset:544
	s_waitcnt vmcnt(0) lgkmcnt(0)
	v_fmac_f64_e32 v[116:117], v[124:125], v[120:121]
	;; [unrolled: 9-line block ×22, first 2 shown]
	buffer_load_dword v121, off, s[0:3], 0 offset:428
	buffer_load_dword v120, off, s[0:3], 0 offset:424
	s_waitcnt vmcnt(0)
	v_fmac_f64_e32 v[116:117], v[120:121], v[122:123]
	buffer_load_dword v123, off, s[0:3], 0 offset:436
	buffer_load_dword v122, off, s[0:3], 0 offset:432
	ds_read_b128 v[118:121], v118 offset:880
	s_waitcnt vmcnt(0) lgkmcnt(0)
	v_fmac_f64_e32 v[116:117], v[122:123], v[118:119]
	buffer_load_dword v119, off, s[0:3], 0 offset:444
	buffer_load_dword v118, off, s[0:3], 0 offset:440
	s_waitcnt vmcnt(0)
	v_fmac_f64_e32 v[116:117], v[118:119], v[120:121]
	v_add_f64 v[114:115], v[114:115], -v[116:117]
	buffer_store_dword v115, off, s[0:3], 0 offset:12
	buffer_store_dword v114, off, s[0:3], 0 offset:8
	s_and_saveexec_b64 s[4:5], vcc
	s_cbranch_execz .LBB119_343
; %bb.342:
	buffer_load_dword v114, off, s[0:3], 0
	buffer_load_dword v115, off, s[0:3], 0 offset:4
	v_mov_b32_e32 v0, 0
	buffer_store_dword v0, off, s[0:3], 0
	buffer_store_dword v0, off, s[0:3], 0 offset:4
	s_waitcnt vmcnt(2)
	ds_write_b64 v1, v[114:115]
.LBB119_343:
	s_or_b64 exec, exec, s[4:5]
	s_waitcnt lgkmcnt(0)
	; wave barrier
	s_waitcnt lgkmcnt(0)
	buffer_load_dword v0, off, s[0:3], 0
	buffer_load_dword v1, off, s[0:3], 0 offset:4
	buffer_load_dword v120, off, s[0:3], 0 offset:8
	;; [unrolled: 1-line block ×15, first 2 shown]
	v_mov_b32_e32 v118, 0
	ds_read2_b64 v[114:117], v118 offset0:57 offset1:58
	s_and_b64 vcc, exec, s[16:17]
	s_waitcnt vmcnt(12) lgkmcnt(0)
	v_fma_f64 v[114:115], v[120:121], v[114:115], 0
	s_waitcnt vmcnt(10)
	v_fmac_f64_e32 v[114:115], v[122:123], v[116:117]
	ds_read2_b64 v[120:123], v118 offset0:59 offset1:60
	s_waitcnt vmcnt(8) lgkmcnt(0)
	v_fmac_f64_e32 v[114:115], v[124:125], v[120:121]
	s_waitcnt vmcnt(6)
	v_fmac_f64_e32 v[114:115], v[126:127], v[122:123]
	ds_read2_b64 v[120:123], v118 offset0:61 offset1:62
	s_waitcnt vmcnt(4) lgkmcnt(0)
	v_fmac_f64_e32 v[114:115], v[128:129], v[120:121]
	s_waitcnt vmcnt(2)
	v_fmac_f64_e32 v[114:115], v[130:131], v[122:123]
	ds_read2_b64 v[120:123], v118 offset0:63 offset1:64
	buffer_load_dword v117, off, s[0:3], 0 offset:68
	buffer_load_dword v116, off, s[0:3], 0 offset:64
	s_waitcnt vmcnt(2) lgkmcnt(0)
	v_fmac_f64_e32 v[114:115], v[132:133], v[120:121]
	s_waitcnt vmcnt(0)
	v_fmac_f64_e32 v[114:115], v[116:117], v[122:123]
	buffer_load_dword v117, off, s[0:3], 0 offset:76
	buffer_load_dword v116, off, s[0:3], 0 offset:72
	ds_read2_b64 v[120:123], v118 offset0:65 offset1:66
	s_waitcnt vmcnt(0) lgkmcnt(0)
	v_fmac_f64_e32 v[114:115], v[116:117], v[120:121]
	buffer_load_dword v117, off, s[0:3], 0 offset:84
	buffer_load_dword v116, off, s[0:3], 0 offset:80
	s_waitcnt vmcnt(0)
	v_fmac_f64_e32 v[114:115], v[116:117], v[122:123]
	buffer_load_dword v117, off, s[0:3], 0 offset:92
	buffer_load_dword v116, off, s[0:3], 0 offset:88
	ds_read2_b64 v[120:123], v118 offset0:67 offset1:68
	s_waitcnt vmcnt(0) lgkmcnt(0)
	v_fmac_f64_e32 v[114:115], v[116:117], v[120:121]
	buffer_load_dword v117, off, s[0:3], 0 offset:100
	buffer_load_dword v116, off, s[0:3], 0 offset:96
	;; [unrolled: 9-line block ×23, first 2 shown]
	buffer_load_dword v121, off, s[0:3], 0 offset:444
	buffer_load_dword v120, off, s[0:3], 0 offset:440
	ds_read_b64 v[118:119], v118 offset:888
	s_waitcnt vmcnt(2)
	v_fmac_f64_e32 v[114:115], v[116:117], v[122:123]
	s_waitcnt vmcnt(0) lgkmcnt(0)
	v_fmac_f64_e32 v[114:115], v[120:121], v[118:119]
	v_add_f64 v[0:1], v[0:1], -v[114:115]
	buffer_store_dword v1, off, s[0:3], 0 offset:4
	buffer_store_dword v0, off, s[0:3], 0
	s_cbranch_vccz .LBB119_455
; %bb.344:
	v_pk_mov_b32 v[0:1], s[10:11], s[10:11] op_sel:[0,1]
	flat_load_dword v0, v[0:1] offset:216
	s_waitcnt vmcnt(0) lgkmcnt(0)
	v_add_u32_e32 v0, -1, v0
	v_cmp_ne_u32_e32 vcc, 54, v0
	s_and_saveexec_b64 s[4:5], vcc
	s_cbranch_execz .LBB119_346
; %bb.345:
	v_mov_b32_e32 v1, 0
	v_lshl_add_u32 v0, v0, 3, v1
	buffer_load_dword v1, v0, s[0:3], 0 offen offset:4
	buffer_load_dword v114, v0, s[0:3], 0 offen
	s_waitcnt vmcnt(1)
	buffer_store_dword v1, off, s[0:3], 0 offset:436
	s_waitcnt vmcnt(1)
	buffer_store_dword v114, off, s[0:3], 0 offset:432
	buffer_store_dword v117, v0, s[0:3], 0 offen offset:4
	buffer_store_dword v116, v0, s[0:3], 0 offen
.LBB119_346:
	s_or_b64 exec, exec, s[4:5]
	v_pk_mov_b32 v[0:1], s[10:11], s[10:11] op_sel:[0,1]
	flat_load_dword v0, v[0:1] offset:212
	s_waitcnt vmcnt(0) lgkmcnt(0)
	v_add_u32_e32 v0, -1, v0
	v_cmp_ne_u32_e32 vcc, 53, v0
	s_and_saveexec_b64 s[4:5], vcc
	s_cbranch_execz .LBB119_348
; %bb.347:
	v_mov_b32_e32 v1, 0
	v_lshl_add_u32 v0, v0, 3, v1
	buffer_load_dword v1, v0, s[0:3], 0 offen
	buffer_load_dword v114, v0, s[0:3], 0 offen offset:4
	buffer_load_dword v115, off, s[0:3], 0 offset:424
	buffer_load_dword v116, off, s[0:3], 0 offset:428
	s_waitcnt vmcnt(3)
	buffer_store_dword v1, off, s[0:3], 0 offset:424
	s_waitcnt vmcnt(3)
	buffer_store_dword v114, off, s[0:3], 0 offset:428
	s_waitcnt vmcnt(3)
	buffer_store_dword v115, v0, s[0:3], 0 offen
	s_waitcnt vmcnt(3)
	buffer_store_dword v116, v0, s[0:3], 0 offen offset:4
.LBB119_348:
	s_or_b64 exec, exec, s[4:5]
	v_pk_mov_b32 v[0:1], s[10:11], s[10:11] op_sel:[0,1]
	flat_load_dword v0, v[0:1] offset:208
	s_waitcnt vmcnt(0) lgkmcnt(0)
	v_add_u32_e32 v0, -1, v0
	v_cmp_ne_u32_e32 vcc, 52, v0
	s_and_saveexec_b64 s[4:5], vcc
	s_cbranch_execz .LBB119_350
; %bb.349:
	v_mov_b32_e32 v1, 0
	v_lshl_add_u32 v0, v0, 3, v1
	buffer_load_dword v1, v0, s[0:3], 0 offen
	buffer_load_dword v114, v0, s[0:3], 0 offen offset:4
	buffer_load_dword v115, off, s[0:3], 0 offset:420
	buffer_load_dword v116, off, s[0:3], 0 offset:416
	s_waitcnt vmcnt(3)
	buffer_store_dword v1, off, s[0:3], 0 offset:416
	s_waitcnt vmcnt(3)
	buffer_store_dword v114, off, s[0:3], 0 offset:420
	s_waitcnt vmcnt(3)
	buffer_store_dword v115, v0, s[0:3], 0 offen offset:4
	s_waitcnt vmcnt(3)
	buffer_store_dword v116, v0, s[0:3], 0 offen
.LBB119_350:
	s_or_b64 exec, exec, s[4:5]
	v_pk_mov_b32 v[0:1], s[10:11], s[10:11] op_sel:[0,1]
	flat_load_dword v0, v[0:1] offset:204
	s_waitcnt vmcnt(0) lgkmcnt(0)
	v_add_u32_e32 v0, -1, v0
	v_cmp_ne_u32_e32 vcc, 51, v0
	s_and_saveexec_b64 s[4:5], vcc
	s_cbranch_execz .LBB119_352
; %bb.351:
	v_mov_b32_e32 v1, 0
	v_lshl_add_u32 v0, v0, 3, v1
	buffer_load_dword v1, v0, s[0:3], 0 offen
	buffer_load_dword v114, v0, s[0:3], 0 offen offset:4
	buffer_load_dword v115, off, s[0:3], 0 offset:408
	buffer_load_dword v116, off, s[0:3], 0 offset:412
	s_waitcnt vmcnt(3)
	buffer_store_dword v1, off, s[0:3], 0 offset:408
	s_waitcnt vmcnt(3)
	buffer_store_dword v114, off, s[0:3], 0 offset:412
	s_waitcnt vmcnt(3)
	buffer_store_dword v115, v0, s[0:3], 0 offen
	s_waitcnt vmcnt(3)
	buffer_store_dword v116, v0, s[0:3], 0 offen offset:4
.LBB119_352:
	s_or_b64 exec, exec, s[4:5]
	v_pk_mov_b32 v[0:1], s[10:11], s[10:11] op_sel:[0,1]
	flat_load_dword v0, v[0:1] offset:200
	s_waitcnt vmcnt(0) lgkmcnt(0)
	v_add_u32_e32 v0, -1, v0
	v_cmp_ne_u32_e32 vcc, 50, v0
	s_and_saveexec_b64 s[4:5], vcc
	s_cbranch_execz .LBB119_354
; %bb.353:
	v_mov_b32_e32 v1, 0
	v_lshl_add_u32 v0, v0, 3, v1
	buffer_load_dword v1, v0, s[0:3], 0 offen
	buffer_load_dword v114, v0, s[0:3], 0 offen offset:4
	buffer_load_dword v115, off, s[0:3], 0 offset:404
	buffer_load_dword v116, off, s[0:3], 0 offset:400
	s_waitcnt vmcnt(3)
	buffer_store_dword v1, off, s[0:3], 0 offset:400
	s_waitcnt vmcnt(3)
	buffer_store_dword v114, off, s[0:3], 0 offset:404
	s_waitcnt vmcnt(3)
	buffer_store_dword v115, v0, s[0:3], 0 offen offset:4
	s_waitcnt vmcnt(3)
	buffer_store_dword v116, v0, s[0:3], 0 offen
.LBB119_354:
	;; [unrolled: 48-line block ×26, first 2 shown]
	s_or_b64 exec, exec, s[4:5]
	v_pk_mov_b32 v[0:1], s[10:11], s[10:11] op_sel:[0,1]
	flat_load_dword v0, v[0:1] offset:4
	s_waitcnt vmcnt(0) lgkmcnt(0)
	v_add_u32_e32 v0, -1, v0
	v_cmp_ne_u32_e32 vcc, 1, v0
	s_and_saveexec_b64 s[4:5], vcc
	s_cbranch_execz .LBB119_452
; %bb.451:
	v_mov_b32_e32 v1, 0
	v_lshl_add_u32 v0, v0, 3, v1
	buffer_load_dword v1, v0, s[0:3], 0 offen
	buffer_load_dword v114, v0, s[0:3], 0 offen offset:4
	buffer_load_dword v115, off, s[0:3], 0 offset:8
	buffer_load_dword v116, off, s[0:3], 0 offset:12
	s_waitcnt vmcnt(3)
	buffer_store_dword v1, off, s[0:3], 0 offset:8
	s_waitcnt vmcnt(3)
	buffer_store_dword v114, off, s[0:3], 0 offset:12
	s_waitcnt vmcnt(3)
	buffer_store_dword v115, v0, s[0:3], 0 offen
	s_waitcnt vmcnt(3)
	buffer_store_dword v116, v0, s[0:3], 0 offen offset:4
.LBB119_452:
	s_or_b64 exec, exec, s[4:5]
	v_pk_mov_b32 v[0:1], s[10:11], s[10:11] op_sel:[0,1]
	flat_load_dword v114, v[0:1]
	s_nop 0
	buffer_load_dword v0, off, s[0:3], 0
	buffer_load_dword v1, off, s[0:3], 0 offset:4
	s_waitcnt vmcnt(0) lgkmcnt(0)
	v_add_u32_e32 v114, -1, v114
	v_cmp_ne_u32_e32 vcc, 0, v114
	s_and_saveexec_b64 s[4:5], vcc
	s_cbranch_execz .LBB119_454
; %bb.453:
	v_mov_b32_e32 v115, 0
	v_lshl_add_u32 v114, v114, 3, v115
	buffer_load_dword v115, v114, s[0:3], 0 offen offset:4
	buffer_load_dword v116, v114, s[0:3], 0 offen
	s_waitcnt vmcnt(1)
	buffer_store_dword v115, off, s[0:3], 0 offset:4
	s_waitcnt vmcnt(1)
	buffer_store_dword v116, off, s[0:3], 0
	buffer_store_dword v1, v114, s[0:3], 0 offen offset:4
	buffer_store_dword v0, v114, s[0:3], 0 offen
	buffer_load_dword v0, off, s[0:3], 0
	s_nop 0
	buffer_load_dword v1, off, s[0:3], 0 offset:4
.LBB119_454:
	s_or_b64 exec, exec, s[4:5]
.LBB119_455:
	s_waitcnt vmcnt(0)
	global_store_dwordx2 v[112:113], v[0:1], off
	buffer_load_dword v0, off, s[0:3], 0 offset:8
	s_nop 0
	buffer_load_dword v1, off, s[0:3], 0 offset:12
	buffer_load_dword v112, off, s[0:3], 0 offset:16
	;; [unrolled: 1-line block ×15, first 2 shown]
	s_waitcnt vmcnt(14)
	global_store_dwordx2 v[110:111], v[0:1], off
	s_waitcnt vmcnt(13)
	global_store_dwordx2 v[2:3], v[112:113], off
	;; [unrolled: 2-line block ×8, first 2 shown]
	buffer_load_dword v0, off, s[0:3], 0 offset:72
	buffer_load_dword v1, off, s[0:3], 0 offset:76
	s_waitcnt vmcnt(0)
	global_store_dwordx2 v[14:15], v[0:1], off
	buffer_load_dword v0, off, s[0:3], 0 offset:80
	s_nop 0
	buffer_load_dword v1, off, s[0:3], 0 offset:84
	s_waitcnt vmcnt(0)
	global_store_dwordx2 v[16:17], v[0:1], off
	buffer_load_dword v0, off, s[0:3], 0 offset:88
	s_nop 0
	;; [unrolled: 5-line block ×46, first 2 shown]
	buffer_load_dword v1, off, s[0:3], 0 offset:444
	s_waitcnt vmcnt(0)
	global_store_dwordx2 v[100:101], v[0:1], off
	s_endpgm
	.section	.rodata,"a",@progbits
	.p2align	6, 0x0
	.amdhsa_kernel _ZN9rocsolver6v33100L18getri_kernel_smallILi56EdPKPdEEvT1_iilPiilS6_bb
		.amdhsa_group_segment_fixed_size 904
		.amdhsa_private_segment_fixed_size 464
		.amdhsa_kernarg_size 60
		.amdhsa_user_sgpr_count 8
		.amdhsa_user_sgpr_private_segment_buffer 1
		.amdhsa_user_sgpr_dispatch_ptr 0
		.amdhsa_user_sgpr_queue_ptr 0
		.amdhsa_user_sgpr_kernarg_segment_ptr 1
		.amdhsa_user_sgpr_dispatch_id 0
		.amdhsa_user_sgpr_flat_scratch_init 1
		.amdhsa_user_sgpr_kernarg_preload_length 0
		.amdhsa_user_sgpr_kernarg_preload_offset 0
		.amdhsa_user_sgpr_private_segment_size 0
		.amdhsa_uses_dynamic_stack 0
		.amdhsa_system_sgpr_private_segment_wavefront_offset 1
		.amdhsa_system_sgpr_workgroup_id_x 1
		.amdhsa_system_sgpr_workgroup_id_y 0
		.amdhsa_system_sgpr_workgroup_id_z 0
		.amdhsa_system_sgpr_workgroup_info 0
		.amdhsa_system_vgpr_workitem_id 0
		.amdhsa_next_free_vgpr 166
		.amdhsa_next_free_sgpr 22
		.amdhsa_accum_offset 168
		.amdhsa_reserve_vcc 1
		.amdhsa_reserve_flat_scratch 1
		.amdhsa_float_round_mode_32 0
		.amdhsa_float_round_mode_16_64 0
		.amdhsa_float_denorm_mode_32 3
		.amdhsa_float_denorm_mode_16_64 3
		.amdhsa_dx10_clamp 1
		.amdhsa_ieee_mode 1
		.amdhsa_fp16_overflow 0
		.amdhsa_tg_split 0
		.amdhsa_exception_fp_ieee_invalid_op 0
		.amdhsa_exception_fp_denorm_src 0
		.amdhsa_exception_fp_ieee_div_zero 0
		.amdhsa_exception_fp_ieee_overflow 0
		.amdhsa_exception_fp_ieee_underflow 0
		.amdhsa_exception_fp_ieee_inexact 0
		.amdhsa_exception_int_div_zero 0
	.end_amdhsa_kernel
	.section	.text._ZN9rocsolver6v33100L18getri_kernel_smallILi56EdPKPdEEvT1_iilPiilS6_bb,"axG",@progbits,_ZN9rocsolver6v33100L18getri_kernel_smallILi56EdPKPdEEvT1_iilPiilS6_bb,comdat
.Lfunc_end119:
	.size	_ZN9rocsolver6v33100L18getri_kernel_smallILi56EdPKPdEEvT1_iilPiilS6_bb, .Lfunc_end119-_ZN9rocsolver6v33100L18getri_kernel_smallILi56EdPKPdEEvT1_iilPiilS6_bb
                                        ; -- End function
	.section	.AMDGPU.csdata,"",@progbits
; Kernel info:
; codeLenInByte = 72520
; NumSgprs: 28
; NumVgprs: 166
; NumAgprs: 0
; TotalNumVgprs: 166
; ScratchSize: 464
; MemoryBound: 1
; FloatMode: 240
; IeeeMode: 1
; LDSByteSize: 904 bytes/workgroup (compile time only)
; SGPRBlocks: 3
; VGPRBlocks: 20
; NumSGPRsForWavesPerEU: 28
; NumVGPRsForWavesPerEU: 166
; AccumOffset: 168
; Occupancy: 3
; WaveLimiterHint : 1
; COMPUTE_PGM_RSRC2:SCRATCH_EN: 1
; COMPUTE_PGM_RSRC2:USER_SGPR: 8
; COMPUTE_PGM_RSRC2:TRAP_HANDLER: 0
; COMPUTE_PGM_RSRC2:TGID_X_EN: 1
; COMPUTE_PGM_RSRC2:TGID_Y_EN: 0
; COMPUTE_PGM_RSRC2:TGID_Z_EN: 0
; COMPUTE_PGM_RSRC2:TIDIG_COMP_CNT: 0
; COMPUTE_PGM_RSRC3_GFX90A:ACCUM_OFFSET: 41
; COMPUTE_PGM_RSRC3_GFX90A:TG_SPLIT: 0
	.section	.text._ZN9rocsolver6v33100L18getri_kernel_smallILi57EdPKPdEEvT1_iilPiilS6_bb,"axG",@progbits,_ZN9rocsolver6v33100L18getri_kernel_smallILi57EdPKPdEEvT1_iilPiilS6_bb,comdat
	.globl	_ZN9rocsolver6v33100L18getri_kernel_smallILi57EdPKPdEEvT1_iilPiilS6_bb ; -- Begin function _ZN9rocsolver6v33100L18getri_kernel_smallILi57EdPKPdEEvT1_iilPiilS6_bb
	.p2align	8
	.type	_ZN9rocsolver6v33100L18getri_kernel_smallILi57EdPKPdEEvT1_iilPiilS6_bb,@function
_ZN9rocsolver6v33100L18getri_kernel_smallILi57EdPKPdEEvT1_iilPiilS6_bb: ; @_ZN9rocsolver6v33100L18getri_kernel_smallILi57EdPKPdEEvT1_iilPiilS6_bb
; %bb.0:
	s_add_u32 flat_scratch_lo, s6, s9
	s_addc_u32 flat_scratch_hi, s7, 0
	s_add_u32 s0, s0, s9
	s_addc_u32 s1, s1, 0
	v_cmp_gt_u32_e32 vcc, 57, v0
	s_and_saveexec_b64 s[6:7], vcc
	s_cbranch_execz .LBB120_236
; %bb.1:
	s_load_dword s20, s[4:5], 0x38
	s_load_dwordx2 s[6:7], s[4:5], 0x0
	s_load_dwordx4 s[12:15], s[4:5], 0x28
	s_waitcnt lgkmcnt(0)
	s_bitcmp1_b32 s20, 8
	s_cselect_b64 s[16:17], -1, 0
	s_ashr_i32 s9, s8, 31
	s_lshl_b64 s[10:11], s[8:9], 3
	s_add_u32 s6, s6, s10
	s_addc_u32 s7, s7, s11
	s_load_dwordx2 s[18:19], s[6:7], 0x0
	s_bfe_u32 s6, s20, 0x10008
	s_cmp_eq_u32 s6, 0
                                        ; implicit-def: $sgpr10_sgpr11
	s_cbranch_scc1 .LBB120_3
; %bb.2:
	s_load_dword s6, s[4:5], 0x20
	s_load_dwordx2 s[10:11], s[4:5], 0x18
	s_mul_i32 s7, s8, s13
	s_mul_hi_u32 s13, s8, s12
	s_add_i32 s13, s13, s7
	s_mul_i32 s21, s9, s12
	s_add_i32 s13, s13, s21
	s_mul_i32 s12, s8, s12
	s_waitcnt lgkmcnt(0)
	s_ashr_i32 s7, s6, 31
	s_lshl_b64 s[12:13], s[12:13], 2
	s_add_u32 s10, s10, s12
	s_addc_u32 s11, s11, s13
	s_lshl_b64 s[6:7], s[6:7], 2
	s_add_u32 s10, s10, s6
	s_addc_u32 s11, s11, s7
.LBB120_3:
	s_load_dwordx2 s[6:7], s[4:5], 0x8
	s_waitcnt lgkmcnt(0)
	s_ashr_i32 s5, s6, 31
	s_mov_b32 s4, s6
	s_lshl_b64 s[4:5], s[4:5], 3
	s_add_u32 s4, s18, s4
	s_addc_u32 s5, s19, s5
	s_add_i32 s6, s7, s7
	v_add_u32_e32 v4, s6, v0
	v_ashrrev_i32_e32 v5, 31, v4
	v_lshlrev_b64 v[2:3], 3, v[4:5]
	v_add_u32_e32 v6, s7, v4
	v_mov_b32_e32 v1, s5
	v_add_co_u32_e32 v2, vcc, s4, v2
	v_ashrrev_i32_e32 v7, 31, v6
	v_addc_co_u32_e32 v3, vcc, v1, v3, vcc
	v_lshlrev_b64 v[4:5], 3, v[6:7]
	v_add_u32_e32 v8, s7, v6
	v_add_co_u32_e32 v4, vcc, s4, v4
	v_ashrrev_i32_e32 v9, 31, v8
	v_addc_co_u32_e32 v5, vcc, v1, v5, vcc
	v_lshlrev_b64 v[6:7], 3, v[8:9]
	v_add_u32_e32 v10, s7, v8
	;; [unrolled: 5-line block ×5, first 2 shown]
	v_add_co_u32_e32 v12, vcc, s4, v12
	v_ashrrev_i32_e32 v15, 31, v14
	v_addc_co_u32_e32 v13, vcc, v1, v13, vcc
	v_lshlrev_b64 v[16:17], 3, v[14:15]
	v_add_co_u32_e32 v18, vcc, s4, v16
	v_add_u32_e32 v16, s7, v14
	v_addc_co_u32_e32 v19, vcc, v1, v17, vcc
	v_ashrrev_i32_e32 v17, 31, v16
	v_lshlrev_b64 v[14:15], 3, v[16:17]
	v_add_u32_e32 v20, s7, v16
	v_add_co_u32_e32 v14, vcc, s4, v14
	v_ashrrev_i32_e32 v21, 31, v20
	v_addc_co_u32_e32 v15, vcc, v1, v15, vcc
	v_lshlrev_b64 v[16:17], 3, v[20:21]
	v_add_u32_e32 v22, s7, v20
	v_add_co_u32_e32 v16, vcc, s4, v16
	v_ashrrev_i32_e32 v23, 31, v22
	v_addc_co_u32_e32 v17, vcc, v1, v17, vcc
	;; [unrolled: 5-line block ×40, first 2 shown]
	v_lshlrev_b64 v[96:97], 3, v[98:99]
	v_add_co_u32_e32 v96, vcc, s4, v96
	v_add_u32_e32 v100, s7, v98
	v_addc_co_u32_e32 v97, vcc, v1, v97, vcc
	v_ashrrev_i32_e32 v101, 31, v100
	v_lshlrev_b32_e32 v1, 3, v0
	v_lshlrev_b64 v[98:99], 3, v[100:101]
	global_load_dwordx2 v[116:117], v1, s[4:5]
	global_load_dwordx2 v[120:121], v[2:3], off
	global_load_dwordx2 v[122:123], v[4:5], off
	;; [unrolled: 1-line block ×3, first 2 shown]
	v_mov_b32_e32 v101, s5
	v_add_co_u32_e32 v114, vcc, s4, v1
	s_ashr_i32 s13, s7, 31
	s_mov_b32 s12, s7
	v_addc_co_u32_e32 v115, vcc, 0, v101, vcc
	s_lshl_b64 s[12:13], s[12:13], 3
	v_mov_b32_e32 v101, s13
	v_add_co_u32_e32 v112, vcc, s12, v114
	v_addc_co_u32_e32 v113, vcc, v115, v101, vcc
	global_load_dwordx2 v[118:119], v[112:113], off
	global_load_dwordx2 v[138:139], v[20:21], off
	;; [unrolled: 1-line block ×7, first 2 shown]
	v_mov_b32_e32 v102, s5
	v_add_co_u32_e32 v98, vcc, s4, v98
	v_addc_co_u32_e32 v99, vcc, v102, v99, vcc
	v_add_u32_e32 v102, s7, v100
	v_ashrrev_i32_e32 v103, 31, v102
	v_lshlrev_b64 v[100:101], 3, v[102:103]
	v_add_u32_e32 v102, s7, v102
	v_mov_b32_e32 v104, s5
	v_add_co_u32_e32 v100, vcc, s4, v100
	v_ashrrev_i32_e32 v103, 31, v102
	v_addc_co_u32_e32 v101, vcc, v104, v101, vcc
	v_lshlrev_b64 v[104:105], 3, v[102:103]
	v_add_u32_e32 v102, s7, v102
	v_mov_b32_e32 v106, s5
	v_add_co_u32_e32 v104, vcc, s4, v104
	v_ashrrev_i32_e32 v103, 31, v102
	v_addc_co_u32_e32 v105, vcc, v106, v105, vcc
	;; [unrolled: 6-line block ×4, first 2 shown]
	v_lshlrev_b64 v[110:111], 3, v[102:103]
	v_mov_b32_e32 v148, s5
	v_add_co_u32_e32 v110, vcc, s4, v110
	global_load_dwordx2 v[136:137], v[16:17], off
	global_load_dwordx2 v[140:141], v[22:23], off
	;; [unrolled: 1-line block ×5, first 2 shown]
	v_addc_co_u32_e32 v111, vcc, v148, v111, vcc
	global_load_dwordx2 v[148:149], v[30:31], off
	global_load_dwordx2 v[150:151], v[32:33], off
	;; [unrolled: 1-line block ×6, first 2 shown]
	v_add_u32_e32 v102, s7, v102
	v_ashrrev_i32_e32 v103, 31, v102
	v_lshlrev_b64 v[102:103], 3, v[102:103]
	v_mov_b32_e32 v160, s5
	v_add_co_u32_e32 v102, vcc, s4, v102
	v_addc_co_u32_e32 v103, vcc, v160, v103, vcc
	global_load_dwordx2 v[160:161], v[42:43], off
	global_load_dwordx2 v[162:163], v[44:45], off
	s_waitcnt vmcnt(23)
	buffer_store_dword v117, off, s[0:3], 0 offset:4
	buffer_store_dword v116, off, s[0:3], 0
	global_load_dwordx2 v[116:117], v[46:47], off
	s_waitcnt vmcnt(22)
	buffer_store_dword v119, off, s[0:3], 0 offset:12
	buffer_store_dword v118, off, s[0:3], 0 offset:8
	global_load_dwordx2 v[118:119], v[48:49], off
	s_nop 0
	buffer_store_dword v121, off, s[0:3], 0 offset:20
	buffer_store_dword v120, off, s[0:3], 0 offset:16
	global_load_dwordx2 v[120:121], v[50:51], off
	s_nop 0
	;; [unrolled: 4-line block ×3, first 2 shown]
	buffer_store_dword v125, off, s[0:3], 0 offset:36
	buffer_store_dword v124, off, s[0:3], 0 offset:32
	global_load_dwordx2 v[124:125], v[54:55], off
	s_waitcnt vmcnt(32)
	buffer_store_dword v127, off, s[0:3], 0 offset:44
	buffer_store_dword v126, off, s[0:3], 0 offset:40
	global_load_dwordx2 v[126:127], v[56:57], off
	s_waitcnt vmcnt(34)
	;; [unrolled: 4-line block ×4, first 2 shown]
	buffer_store_dword v133, off, s[0:3], 0 offset:68
	buffer_store_dword v132, off, s[0:3], 0 offset:64
	global_load_dwordx2 v[132:133], v[62:63], off
	s_nop 0
	buffer_store_dword v134, off, s[0:3], 0 offset:72
	buffer_store_dword v135, off, s[0:3], 0 offset:76
	s_waitcnt vmcnt(41)
	buffer_store_dword v136, off, s[0:3], 0 offset:80
	buffer_store_dword v137, off, s[0:3], 0 offset:84
	;; [unrolled: 1-line block ×4, first 2 shown]
	s_waitcnt vmcnt(44)
	buffer_store_dword v140, off, s[0:3], 0 offset:96
	buffer_store_dword v141, off, s[0:3], 0 offset:100
	s_waitcnt vmcnt(45)
	buffer_store_dword v142, off, s[0:3], 0 offset:104
	buffer_store_dword v143, off, s[0:3], 0 offset:108
	;; [unrolled: 3-line block ×9, first 2 shown]
	s_waitcnt vmcnt(53)
	buffer_store_dword v158, off, s[0:3], 0 offset:168
	global_load_dwordx2 v[134:135], v[64:65], off
	global_load_dwordx2 v[136:137], v[66:67], off
	;; [unrolled: 1-line block ×12, first 2 shown]
	s_bitcmp0_b32 s20, 0
	s_waitcnt vmcnt(61)
	buffer_store_dword v116, off, s[0:3], 0 offset:192
	buffer_store_dword v117, off, s[0:3], 0 offset:196
	global_load_dwordx2 v[116:117], v[78:79], off
	s_mov_b64 s[6:7], -1
	buffer_store_dword v159, off, s[0:3], 0 offset:172
	global_load_dwordx2 v[158:159], v[100:101], off
	s_nop 0
	buffer_store_dword v160, off, s[0:3], 0 offset:176
	buffer_store_dword v161, off, s[0:3], 0 offset:180
	s_waitcnt vmcnt(62)
	buffer_store_dword v119, off, s[0:3], 0 offset:204
	buffer_store_dword v118, off, s[0:3], 0 offset:200
	global_load_dwordx2 v[118:119], v[82:83], off
	s_nop 0
	buffer_store_dword v121, off, s[0:3], 0 offset:212
	buffer_store_dword v120, off, s[0:3], 0 offset:208
	global_load_dwordx2 v[120:121], v[86:87], off
	s_waitcnt vmcnt(62)
	buffer_store_dword v122, off, s[0:3], 0 offset:216
	buffer_store_dword v123, off, s[0:3], 0 offset:220
	global_load_dwordx2 v[122:123], v[90:91], off
	s_nop 0
	buffer_store_dword v124, off, s[0:3], 0 offset:224
	buffer_store_dword v125, off, s[0:3], 0 offset:228
	global_load_dwordx2 v[124:125], v[94:95], off
	;; [unrolled: 8-line block ×3, first 2 shown]
	s_nop 0
	global_load_dwordx2 v[160:161], v[106:107], off
	s_waitcnt vmcnt(62)
	buffer_store_dword v131, off, s[0:3], 0 offset:252
	buffer_store_dword v130, off, s[0:3], 0 offset:248
	global_load_dwordx2 v[130:131], v[108:109], off
	s_nop 0
	buffer_store_dword v162, off, s[0:3], 0 offset:184
	buffer_store_dword v163, off, s[0:3], 0 offset:188
	global_load_dwordx2 v[162:163], v[110:111], off
	s_nop 0
	buffer_store_dword v133, off, s[0:3], 0 offset:260
	buffer_store_dword v132, off, s[0:3], 0 offset:256
	global_load_dwordx2 v[132:133], v[102:103], off
	s_waitcnt vmcnt(46)
	buffer_store_dword v134, off, s[0:3], 0 offset:264
	buffer_store_dword v135, off, s[0:3], 0 offset:268
	s_waitcnt vmcnt(47)
	buffer_store_dword v136, off, s[0:3], 0 offset:272
	buffer_store_dword v137, off, s[0:3], 0 offset:276
	;; [unrolled: 3-line block ×8, first 2 shown]
	buffer_store_dword v148, off, s[0:3], 0 offset:328
	buffer_store_dword v149, off, s[0:3], 0 offset:332
	s_waitcnt vmcnt(43)
	buffer_store_dword v118, off, s[0:3], 0 offset:336
	buffer_store_dword v119, off, s[0:3], 0 offset:340
	buffer_store_dword v151, off, s[0:3], 0 offset:348
	buffer_store_dword v150, off, s[0:3], 0 offset:344
	s_waitcnt vmcnt(44)
	buffer_store_dword v121, off, s[0:3], 0 offset:356
	buffer_store_dword v120, off, s[0:3], 0 offset:352
	;; [unrolled: 5-line block ×6, first 2 shown]
	s_waitcnt vmcnt(49)
	buffer_store_dword v160, off, s[0:3], 0 offset:424
	buffer_store_dword v161, off, s[0:3], 0 offset:428
	s_waitcnt vmcnt(48)
	buffer_store_dword v130, off, s[0:3], 0 offset:432
	buffer_store_dword v131, off, s[0:3], 0 offset:436
	s_waitcnt vmcnt(47)
	buffer_store_dword v163, off, s[0:3], 0 offset:444
	buffer_store_dword v162, off, s[0:3], 0 offset:440
	s_waitcnt vmcnt(46)
	buffer_store_dword v133, off, s[0:3], 0 offset:452
	buffer_store_dword v132, off, s[0:3], 0 offset:448
	s_cbranch_scc1 .LBB120_234
; %bb.4:
	v_cmp_eq_u32_e64 s[4:5], 0, v0
	s_and_saveexec_b64 s[6:7], s[4:5]
	s_cbranch_execz .LBB120_6
; %bb.5:
	v_mov_b32_e32 v116, 0
	ds_write_b32 v116, v116 offset:456
.LBB120_6:
	s_or_b64 exec, exec, s[6:7]
	v_mov_b32_e32 v116, 0
	v_lshl_add_u32 v116, v0, 3, v116
	s_waitcnt lgkmcnt(0)
	; wave barrier
	s_waitcnt lgkmcnt(0)
	buffer_load_dword v118, v116, s[0:3], 0 offen
	buffer_load_dword v119, v116, s[0:3], 0 offen offset:4
	s_waitcnt vmcnt(0)
	v_cmp_eq_f64_e32 vcc, 0, v[118:119]
	s_and_saveexec_b64 s[12:13], vcc
	s_cbranch_execz .LBB120_10
; %bb.7:
	v_mov_b32_e32 v117, 0
	ds_read_b32 v119, v117 offset:456
	v_add_u32_e32 v118, 1, v0
	s_waitcnt lgkmcnt(0)
	v_readfirstlane_b32 s6, v119
	s_cmp_eq_u32 s6, 0
	s_cselect_b64 s[18:19], -1, 0
	v_cmp_gt_i32_e32 vcc, s6, v118
	s_or_b64 s[18:19], s[18:19], vcc
	s_and_b64 exec, exec, s[18:19]
	s_cbranch_execz .LBB120_10
; %bb.8:
	s_mov_b64 s[18:19], 0
	v_mov_b32_e32 v119, s6
.LBB120_9:                              ; =>This Inner Loop Header: Depth=1
	ds_cmpst_rtn_b32 v119, v117, v119, v118 offset:456
	s_waitcnt lgkmcnt(0)
	v_cmp_ne_u32_e32 vcc, 0, v119
	v_cmp_le_i32_e64 s[6:7], v119, v118
	s_and_b64 s[6:7], vcc, s[6:7]
	s_and_b64 s[6:7], exec, s[6:7]
	s_or_b64 s[18:19], s[6:7], s[18:19]
	s_andn2_b64 exec, exec, s[18:19]
	s_cbranch_execnz .LBB120_9
.LBB120_10:
	s_or_b64 exec, exec, s[12:13]
	v_mov_b32_e32 v118, 0
	s_waitcnt lgkmcnt(0)
	; wave barrier
	ds_read_b32 v117, v118 offset:456
	s_and_saveexec_b64 s[6:7], s[4:5]
	s_cbranch_execz .LBB120_12
; %bb.11:
	s_lshl_b64 s[12:13], s[8:9], 2
	s_add_u32 s12, s14, s12
	s_addc_u32 s13, s15, s13
	s_waitcnt lgkmcnt(0)
	global_store_dword v118, v117, s[12:13]
.LBB120_12:
	s_or_b64 exec, exec, s[6:7]
	s_waitcnt lgkmcnt(0)
	v_cmp_ne_u32_e32 vcc, 0, v117
	s_mov_b64 s[6:7], 0
	s_cbranch_vccnz .LBB120_234
; %bb.13:
	buffer_load_dword v118, v116, s[0:3], 0 offen
	buffer_load_dword v119, v116, s[0:3], 0 offen offset:4
	s_waitcnt vmcnt(0)
	v_div_scale_f64 v[120:121], s[6:7], v[118:119], v[118:119], 1.0
	v_rcp_f64_e32 v[122:123], v[120:121]
	v_div_scale_f64 v[124:125], vcc, 1.0, v[118:119], 1.0
	v_fma_f64 v[126:127], -v[120:121], v[122:123], 1.0
	v_fmac_f64_e32 v[122:123], v[122:123], v[126:127]
	v_fma_f64 v[126:127], -v[120:121], v[122:123], 1.0
	v_fmac_f64_e32 v[122:123], v[122:123], v[126:127]
	v_mul_f64 v[126:127], v[124:125], v[122:123]
	v_fma_f64 v[120:121], -v[120:121], v[126:127], v[124:125]
	v_div_fmas_f64 v[120:121], v[120:121], v[122:123], v[126:127]
	v_div_fixup_f64 v[120:121], v[120:121], v[118:119], 1.0
	buffer_store_dword v121, v116, s[0:3], 0 offen offset:4
	buffer_store_dword v120, v116, s[0:3], 0 offen
	buffer_load_dword v123, off, s[0:3], 0 offset:12
	buffer_load_dword v122, off, s[0:3], 0 offset:8
	v_add_u32_e32 v118, 0x1d0, v1
	v_xor_b32_e32 v121, 0x80000000, v121
	s_waitcnt vmcnt(0)
	ds_write2_b64 v1, v[120:121], v[122:123] offset1:58
	s_waitcnt lgkmcnt(0)
	; wave barrier
	s_waitcnt lgkmcnt(0)
	s_and_saveexec_b64 s[6:7], s[4:5]
	s_cbranch_execz .LBB120_15
; %bb.14:
	buffer_load_dword v120, v116, s[0:3], 0 offen
	buffer_load_dword v121, v116, s[0:3], 0 offen offset:4
	v_mov_b32_e32 v117, 0
	ds_read_b64 v[122:123], v118
	ds_read_b64 v[124:125], v117 offset:8
	s_waitcnt vmcnt(0) lgkmcnt(1)
	v_fma_f64 v[120:121], v[120:121], v[122:123], 0
	s_waitcnt lgkmcnt(0)
	v_mul_f64 v[120:121], v[120:121], v[124:125]
	buffer_store_dword v120, off, s[0:3], 0 offset:8
	buffer_store_dword v121, off, s[0:3], 0 offset:12
.LBB120_15:
	s_or_b64 exec, exec, s[6:7]
	s_waitcnt lgkmcnt(0)
	; wave barrier
	buffer_load_dword v120, off, s[0:3], 0 offset:16
	buffer_load_dword v121, off, s[0:3], 0 offset:20
	v_cmp_gt_u32_e32 vcc, 2, v0
	s_waitcnt vmcnt(0)
	ds_write_b64 v118, v[120:121]
	s_waitcnt lgkmcnt(0)
	; wave barrier
	s_waitcnt lgkmcnt(0)
	s_and_saveexec_b64 s[6:7], vcc
	s_cbranch_execz .LBB120_17
; %bb.16:
	buffer_load_dword v117, v116, s[0:3], 0 offen offset:4
	buffer_load_dword v124, off, s[0:3], 0 offset:8
	s_nop 0
	buffer_load_dword v116, v116, s[0:3], 0 offen
	s_nop 0
	buffer_load_dword v125, off, s[0:3], 0 offset:12
	ds_read_b64 v[126:127], v118
	v_mov_b32_e32 v119, 0
	ds_read2_b64 v[120:123], v119 offset0:2 offset1:59
	s_waitcnt vmcnt(1) lgkmcnt(1)
	v_fma_f64 v[116:117], v[116:117], v[126:127], 0
	s_waitcnt vmcnt(0) lgkmcnt(0)
	v_fma_f64 v[122:123], v[124:125], v[122:123], v[116:117]
	v_cndmask_b32_e64 v117, v117, v123, s[4:5]
	v_cndmask_b32_e64 v116, v116, v122, s[4:5]
	v_mul_f64 v[116:117], v[116:117], v[120:121]
	buffer_store_dword v117, off, s[0:3], 0 offset:20
	buffer_store_dword v116, off, s[0:3], 0 offset:16
.LBB120_17:
	s_or_b64 exec, exec, s[6:7]
	s_waitcnt lgkmcnt(0)
	; wave barrier
	buffer_load_dword v116, off, s[0:3], 0 offset:24
	buffer_load_dword v117, off, s[0:3], 0 offset:28
	v_cmp_gt_u32_e32 vcc, 3, v0
	v_add_u32_e32 v119, -1, v0
	s_waitcnt vmcnt(0)
	ds_write_b64 v118, v[116:117]
	s_waitcnt lgkmcnt(0)
	; wave barrier
	s_waitcnt lgkmcnt(0)
	s_and_saveexec_b64 s[4:5], vcc
	s_cbranch_execz .LBB120_21
; %bb.18:
	v_add_u32_e32 v120, -1, v0
	v_add_u32_e32 v121, 0x1d0, v1
	v_add_u32_e32 v122, 0, v1
	s_mov_b64 s[6:7], 0
	v_pk_mov_b32 v[116:117], 0, 0
.LBB120_19:                             ; =>This Inner Loop Header: Depth=1
	buffer_load_dword v124, v122, s[0:3], 0 offen
	buffer_load_dword v125, v122, s[0:3], 0 offen offset:4
	ds_read_b64 v[126:127], v121
	v_add_u32_e32 v120, 1, v120
	v_cmp_lt_u32_e32 vcc, 1, v120
	v_add_u32_e32 v121, 8, v121
	v_add_u32_e32 v122, 8, v122
	s_or_b64 s[6:7], vcc, s[6:7]
	s_waitcnt vmcnt(0) lgkmcnt(0)
	v_fmac_f64_e32 v[116:117], v[124:125], v[126:127]
	s_andn2_b64 exec, exec, s[6:7]
	s_cbranch_execnz .LBB120_19
; %bb.20:
	s_or_b64 exec, exec, s[6:7]
	v_mov_b32_e32 v120, 0
	ds_read_b64 v[120:121], v120 offset:24
	s_waitcnt lgkmcnt(0)
	v_mul_f64 v[116:117], v[116:117], v[120:121]
	buffer_store_dword v117, off, s[0:3], 0 offset:28
	buffer_store_dword v116, off, s[0:3], 0 offset:24
.LBB120_21:
	s_or_b64 exec, exec, s[4:5]
	s_waitcnt lgkmcnt(0)
	; wave barrier
	buffer_load_dword v116, off, s[0:3], 0 offset:32
	buffer_load_dword v117, off, s[0:3], 0 offset:36
	v_cmp_gt_u32_e32 vcc, 4, v0
	s_waitcnt vmcnt(0)
	ds_write_b64 v118, v[116:117]
	s_waitcnt lgkmcnt(0)
	; wave barrier
	s_waitcnt lgkmcnt(0)
	s_and_saveexec_b64 s[4:5], vcc
	s_cbranch_execz .LBB120_25
; %bb.22:
	v_add_u32_e32 v120, -1, v0
	v_add_u32_e32 v121, 0x1d0, v1
	v_add_u32_e32 v122, 0, v1
	s_mov_b64 s[6:7], 0
	v_pk_mov_b32 v[116:117], 0, 0
.LBB120_23:                             ; =>This Inner Loop Header: Depth=1
	buffer_load_dword v124, v122, s[0:3], 0 offen
	buffer_load_dword v125, v122, s[0:3], 0 offen offset:4
	ds_read_b64 v[126:127], v121
	v_add_u32_e32 v120, 1, v120
	v_cmp_lt_u32_e32 vcc, 2, v120
	v_add_u32_e32 v121, 8, v121
	v_add_u32_e32 v122, 8, v122
	s_or_b64 s[6:7], vcc, s[6:7]
	s_waitcnt vmcnt(0) lgkmcnt(0)
	v_fmac_f64_e32 v[116:117], v[124:125], v[126:127]
	s_andn2_b64 exec, exec, s[6:7]
	s_cbranch_execnz .LBB120_23
; %bb.24:
	s_or_b64 exec, exec, s[6:7]
	v_mov_b32_e32 v120, 0
	ds_read_b64 v[120:121], v120 offset:32
	s_waitcnt lgkmcnt(0)
	v_mul_f64 v[116:117], v[116:117], v[120:121]
	buffer_store_dword v117, off, s[0:3], 0 offset:36
	buffer_store_dword v116, off, s[0:3], 0 offset:32
.LBB120_25:
	s_or_b64 exec, exec, s[4:5]
	s_waitcnt lgkmcnt(0)
	; wave barrier
	buffer_load_dword v116, off, s[0:3], 0 offset:40
	buffer_load_dword v117, off, s[0:3], 0 offset:44
	v_cmp_gt_u32_e32 vcc, 5, v0
	;; [unrolled: 41-line block ×21, first 2 shown]
	s_waitcnt vmcnt(0)
	ds_write_b64 v118, v[116:117]
	s_waitcnt lgkmcnt(0)
	; wave barrier
	s_waitcnt lgkmcnt(0)
	s_and_saveexec_b64 s[4:5], vcc
	s_cbranch_execz .LBB120_105
; %bb.102:
	v_add_u32_e32 v120, -1, v0
	v_add_u32_e32 v121, 0x1d0, v1
	v_add_u32_e32 v122, 0, v1
	s_mov_b64 s[6:7], 0
	v_pk_mov_b32 v[116:117], 0, 0
.LBB120_103:                            ; =>This Inner Loop Header: Depth=1
	buffer_load_dword v124, v122, s[0:3], 0 offen
	buffer_load_dword v125, v122, s[0:3], 0 offen offset:4
	ds_read_b64 v[126:127], v121
	v_add_u32_e32 v120, 1, v120
	v_cmp_lt_u32_e32 vcc, 22, v120
	v_add_u32_e32 v121, 8, v121
	v_add_u32_e32 v122, 8, v122
	s_or_b64 s[6:7], vcc, s[6:7]
	s_waitcnt vmcnt(0) lgkmcnt(0)
	v_fmac_f64_e32 v[116:117], v[124:125], v[126:127]
	s_andn2_b64 exec, exec, s[6:7]
	s_cbranch_execnz .LBB120_103
; %bb.104:
	s_or_b64 exec, exec, s[6:7]
	v_mov_b32_e32 v120, 0
	ds_read_b64 v[120:121], v120 offset:192
	s_waitcnt lgkmcnt(0)
	v_mul_f64 v[116:117], v[116:117], v[120:121]
	buffer_store_dword v117, off, s[0:3], 0 offset:196
	buffer_store_dword v116, off, s[0:3], 0 offset:192
.LBB120_105:
	s_or_b64 exec, exec, s[4:5]
	s_waitcnt lgkmcnt(0)
	; wave barrier
	buffer_load_dword v116, off, s[0:3], 0 offset:200
	buffer_load_dword v117, off, s[0:3], 0 offset:204
	v_cmp_gt_u32_e32 vcc, 25, v0
	s_waitcnt vmcnt(0)
	ds_write_b64 v118, v[116:117]
	s_waitcnt lgkmcnt(0)
	; wave barrier
	s_waitcnt lgkmcnt(0)
	s_and_saveexec_b64 s[4:5], vcc
	s_cbranch_execz .LBB120_109
; %bb.106:
	v_add_u32_e32 v120, -1, v0
	v_add_u32_e32 v121, 0x1d0, v1
	v_add_u32_e32 v122, 0, v1
	s_mov_b64 s[6:7], 0
	v_pk_mov_b32 v[116:117], 0, 0
.LBB120_107:                            ; =>This Inner Loop Header: Depth=1
	buffer_load_dword v124, v122, s[0:3], 0 offen
	buffer_load_dword v125, v122, s[0:3], 0 offen offset:4
	ds_read_b64 v[126:127], v121
	v_add_u32_e32 v120, 1, v120
	v_cmp_lt_u32_e32 vcc, 23, v120
	v_add_u32_e32 v121, 8, v121
	v_add_u32_e32 v122, 8, v122
	s_or_b64 s[6:7], vcc, s[6:7]
	s_waitcnt vmcnt(0) lgkmcnt(0)
	v_fmac_f64_e32 v[116:117], v[124:125], v[126:127]
	s_andn2_b64 exec, exec, s[6:7]
	s_cbranch_execnz .LBB120_107
; %bb.108:
	s_or_b64 exec, exec, s[6:7]
	v_mov_b32_e32 v120, 0
	ds_read_b64 v[120:121], v120 offset:200
	s_waitcnt lgkmcnt(0)
	v_mul_f64 v[116:117], v[116:117], v[120:121]
	buffer_store_dword v117, off, s[0:3], 0 offset:204
	buffer_store_dword v116, off, s[0:3], 0 offset:200
.LBB120_109:
	s_or_b64 exec, exec, s[4:5]
	s_waitcnt lgkmcnt(0)
	; wave barrier
	buffer_load_dword v116, off, s[0:3], 0 offset:208
	buffer_load_dword v117, off, s[0:3], 0 offset:212
	v_cmp_gt_u32_e32 vcc, 26, v0
	;; [unrolled: 41-line block ×31, first 2 shown]
	s_waitcnt vmcnt(0)
	ds_write_b64 v118, v[116:117]
	s_waitcnt lgkmcnt(0)
	; wave barrier
	s_waitcnt lgkmcnt(0)
	s_and_saveexec_b64 s[4:5], vcc
	s_cbranch_execz .LBB120_229
; %bb.226:
	v_add_u32_e32 v120, -1, v0
	v_add_u32_e32 v121, 0x1d0, v1
	v_add_u32_e32 v122, 0, v1
	s_mov_b64 s[6:7], 0
	v_pk_mov_b32 v[116:117], 0, 0
.LBB120_227:                            ; =>This Inner Loop Header: Depth=1
	buffer_load_dword v124, v122, s[0:3], 0 offen
	buffer_load_dword v125, v122, s[0:3], 0 offen offset:4
	ds_read_b64 v[126:127], v121
	v_add_u32_e32 v120, 1, v120
	v_cmp_lt_u32_e32 vcc, 53, v120
	v_add_u32_e32 v121, 8, v121
	v_add_u32_e32 v122, 8, v122
	s_or_b64 s[6:7], vcc, s[6:7]
	s_waitcnt vmcnt(0) lgkmcnt(0)
	v_fmac_f64_e32 v[116:117], v[124:125], v[126:127]
	s_andn2_b64 exec, exec, s[6:7]
	s_cbranch_execnz .LBB120_227
; %bb.228:
	s_or_b64 exec, exec, s[6:7]
	v_mov_b32_e32 v120, 0
	ds_read_b64 v[120:121], v120 offset:440
	s_waitcnt lgkmcnt(0)
	v_mul_f64 v[116:117], v[116:117], v[120:121]
	buffer_store_dword v117, off, s[0:3], 0 offset:444
	buffer_store_dword v116, off, s[0:3], 0 offset:440
.LBB120_229:
	s_or_b64 exec, exec, s[4:5]
	s_waitcnt lgkmcnt(0)
	; wave barrier
	buffer_load_dword v116, off, s[0:3], 0 offset:448
	buffer_load_dword v117, off, s[0:3], 0 offset:452
	v_cmp_ne_u32_e32 vcc, 56, v0
	s_waitcnt vmcnt(0)
	ds_write_b64 v118, v[116:117]
	s_waitcnt lgkmcnt(0)
	; wave barrier
	s_waitcnt lgkmcnt(0)
	s_and_saveexec_b64 s[4:5], vcc
	s_cbranch_execz .LBB120_233
; %bb.230:
	v_add_u32_e32 v118, 0x1d0, v1
	v_add_u32_e32 v1, 0, v1
	s_mov_b64 s[6:7], 0
	v_pk_mov_b32 v[116:117], 0, 0
.LBB120_231:                            ; =>This Inner Loop Header: Depth=1
	buffer_load_dword v120, v1, s[0:3], 0 offen
	buffer_load_dword v121, v1, s[0:3], 0 offen offset:4
	ds_read_b64 v[122:123], v118
	v_add_u32_e32 v119, 1, v119
	v_cmp_lt_u32_e32 vcc, 54, v119
	v_add_u32_e32 v118, 8, v118
	v_add_u32_e32 v1, 8, v1
	s_or_b64 s[6:7], vcc, s[6:7]
	s_waitcnt vmcnt(0) lgkmcnt(0)
	v_fmac_f64_e32 v[116:117], v[120:121], v[122:123]
	s_andn2_b64 exec, exec, s[6:7]
	s_cbranch_execnz .LBB120_231
; %bb.232:
	s_or_b64 exec, exec, s[6:7]
	v_mov_b32_e32 v1, 0
	ds_read_b64 v[118:119], v1 offset:448
	s_waitcnt lgkmcnt(0)
	v_mul_f64 v[116:117], v[116:117], v[118:119]
	buffer_store_dword v117, off, s[0:3], 0 offset:452
	buffer_store_dword v116, off, s[0:3], 0 offset:448
.LBB120_233:
	s_or_b64 exec, exec, s[4:5]
	s_mov_b64 s[6:7], -1
	s_waitcnt lgkmcnt(0)
	; wave barrier
.LBB120_234:
	s_and_b64 vcc, exec, s[6:7]
	s_cbranch_vccz .LBB120_236
; %bb.235:
	s_lshl_b64 s[4:5], s[8:9], 2
	s_add_u32 s4, s14, s4
	s_addc_u32 s5, s15, s5
	v_mov_b32_e32 v1, 0
	global_load_dword v1, v1, s[4:5]
	s_waitcnt vmcnt(0)
	v_cmp_ne_u32_e32 vcc, 0, v1
	s_cbranch_vccz .LBB120_237
.LBB120_236:
	s_endpgm
.LBB120_237:
	v_mov_b32_e32 v1, 0x1d0
	v_lshl_add_u32 v1, v0, 3, v1
	v_cmp_eq_u32_e32 vcc, 56, v0
	s_and_saveexec_b64 s[4:5], vcc
	s_cbranch_execz .LBB120_239
; %bb.238:
	buffer_load_dword v116, off, s[0:3], 0 offset:440
	buffer_load_dword v117, off, s[0:3], 0 offset:444
	v_mov_b32_e32 v118, 0
	buffer_store_dword v118, off, s[0:3], 0 offset:440
	buffer_store_dword v118, off, s[0:3], 0 offset:444
	s_waitcnt vmcnt(2)
	ds_write_b64 v1, v[116:117]
.LBB120_239:
	s_or_b64 exec, exec, s[4:5]
	s_waitcnt lgkmcnt(0)
	; wave barrier
	s_waitcnt lgkmcnt(0)
	buffer_load_dword v118, off, s[0:3], 0 offset:448
	buffer_load_dword v119, off, s[0:3], 0 offset:452
	;; [unrolled: 1-line block ×4, first 2 shown]
	v_mov_b32_e32 v116, 0
	ds_read_b64 v[122:123], v116 offset:912
	v_cmp_lt_u32_e32 vcc, 54, v0
	s_waitcnt vmcnt(2) lgkmcnt(0)
	v_fma_f64 v[118:119], v[118:119], v[122:123], 0
	s_waitcnt vmcnt(0)
	v_add_f64 v[118:119], v[120:121], -v[118:119]
	buffer_store_dword v118, off, s[0:3], 0 offset:440
	buffer_store_dword v119, off, s[0:3], 0 offset:444
	s_and_saveexec_b64 s[4:5], vcc
	s_cbranch_execz .LBB120_241
; %bb.240:
	buffer_load_dword v118, off, s[0:3], 0 offset:432
	buffer_load_dword v119, off, s[0:3], 0 offset:436
	s_waitcnt vmcnt(0)
	ds_write_b64 v1, v[118:119]
	buffer_store_dword v116, off, s[0:3], 0 offset:432
	buffer_store_dword v116, off, s[0:3], 0 offset:436
.LBB120_241:
	s_or_b64 exec, exec, s[4:5]
	s_waitcnt lgkmcnt(0)
	; wave barrier
	s_waitcnt lgkmcnt(0)
	buffer_load_dword v120, off, s[0:3], 0 offset:440
	buffer_load_dword v121, off, s[0:3], 0 offset:444
	;; [unrolled: 1-line block ×6, first 2 shown]
	ds_read2_b64 v[116:119], v116 offset0:113 offset1:114
	v_cmp_lt_u32_e32 vcc, 53, v0
	s_waitcnt vmcnt(4) lgkmcnt(0)
	v_fma_f64 v[116:117], v[120:121], v[116:117], 0
	s_waitcnt vmcnt(2)
	v_fmac_f64_e32 v[116:117], v[122:123], v[118:119]
	s_waitcnt vmcnt(0)
	v_add_f64 v[116:117], v[124:125], -v[116:117]
	buffer_store_dword v116, off, s[0:3], 0 offset:432
	buffer_store_dword v117, off, s[0:3], 0 offset:436
	s_and_saveexec_b64 s[4:5], vcc
	s_cbranch_execz .LBB120_243
; %bb.242:
	buffer_load_dword v116, off, s[0:3], 0 offset:424
	buffer_load_dword v117, off, s[0:3], 0 offset:428
	v_mov_b32_e32 v118, 0
	buffer_store_dword v118, off, s[0:3], 0 offset:424
	buffer_store_dword v118, off, s[0:3], 0 offset:428
	s_waitcnt vmcnt(2)
	ds_write_b64 v1, v[116:117]
.LBB120_243:
	s_or_b64 exec, exec, s[4:5]
	s_waitcnt lgkmcnt(0)
	; wave barrier
	s_waitcnt lgkmcnt(0)
	buffer_load_dword v122, off, s[0:3], 0 offset:432
	buffer_load_dword v123, off, s[0:3], 0 offset:436
	;; [unrolled: 1-line block ×8, first 2 shown]
	v_mov_b32_e32 v116, 0
	ds_read_b128 v[118:121], v116 offset:896
	ds_read_b64 v[130:131], v116 offset:912
	v_cmp_lt_u32_e32 vcc, 52, v0
	s_waitcnt vmcnt(6) lgkmcnt(1)
	v_fma_f64 v[118:119], v[122:123], v[118:119], 0
	s_waitcnt vmcnt(4)
	v_fmac_f64_e32 v[118:119], v[124:125], v[120:121]
	s_waitcnt vmcnt(2) lgkmcnt(0)
	v_fmac_f64_e32 v[118:119], v[126:127], v[130:131]
	s_waitcnt vmcnt(0)
	v_add_f64 v[118:119], v[128:129], -v[118:119]
	buffer_store_dword v118, off, s[0:3], 0 offset:424
	buffer_store_dword v119, off, s[0:3], 0 offset:428
	s_and_saveexec_b64 s[4:5], vcc
	s_cbranch_execz .LBB120_245
; %bb.244:
	buffer_load_dword v118, off, s[0:3], 0 offset:416
	buffer_load_dword v119, off, s[0:3], 0 offset:420
	s_waitcnt vmcnt(0)
	ds_write_b64 v1, v[118:119]
	buffer_store_dword v116, off, s[0:3], 0 offset:416
	buffer_store_dword v116, off, s[0:3], 0 offset:420
.LBB120_245:
	s_or_b64 exec, exec, s[4:5]
	s_waitcnt lgkmcnt(0)
	; wave barrier
	s_waitcnt lgkmcnt(0)
	buffer_load_dword v126, off, s[0:3], 0 offset:424
	buffer_load_dword v127, off, s[0:3], 0 offset:428
	;; [unrolled: 1-line block ×10, first 2 shown]
	ds_read2_b64 v[118:121], v116 offset0:111 offset1:112
	ds_read2_b64 v[122:125], v116 offset0:113 offset1:114
	v_cmp_lt_u32_e32 vcc, 51, v0
	s_waitcnt vmcnt(8) lgkmcnt(1)
	v_fma_f64 v[116:117], v[126:127], v[118:119], 0
	s_waitcnt vmcnt(6)
	v_fmac_f64_e32 v[116:117], v[128:129], v[120:121]
	s_waitcnt vmcnt(4) lgkmcnt(0)
	v_fmac_f64_e32 v[116:117], v[130:131], v[122:123]
	s_waitcnt vmcnt(2)
	v_fmac_f64_e32 v[116:117], v[132:133], v[124:125]
	s_waitcnt vmcnt(0)
	v_add_f64 v[116:117], v[134:135], -v[116:117]
	buffer_store_dword v116, off, s[0:3], 0 offset:416
	buffer_store_dword v117, off, s[0:3], 0 offset:420
	s_and_saveexec_b64 s[4:5], vcc
	s_cbranch_execz .LBB120_247
; %bb.246:
	buffer_load_dword v116, off, s[0:3], 0 offset:408
	buffer_load_dword v117, off, s[0:3], 0 offset:412
	v_mov_b32_e32 v118, 0
	buffer_store_dword v118, off, s[0:3], 0 offset:408
	buffer_store_dword v118, off, s[0:3], 0 offset:412
	s_waitcnt vmcnt(2)
	ds_write_b64 v1, v[116:117]
.LBB120_247:
	s_or_b64 exec, exec, s[4:5]
	s_waitcnt lgkmcnt(0)
	; wave barrier
	s_waitcnt lgkmcnt(0)
	buffer_load_dword v126, off, s[0:3], 0 offset:416
	buffer_load_dword v127, off, s[0:3], 0 offset:420
	buffer_load_dword v128, off, s[0:3], 0 offset:424
	buffer_load_dword v129, off, s[0:3], 0 offset:428
	buffer_load_dword v130, off, s[0:3], 0 offset:432
	buffer_load_dword v131, off, s[0:3], 0 offset:436
	buffer_load_dword v132, off, s[0:3], 0 offset:440
	buffer_load_dword v133, off, s[0:3], 0 offset:444
	buffer_load_dword v134, off, s[0:3], 0 offset:448
	buffer_load_dword v135, off, s[0:3], 0 offset:452
	buffer_load_dword v136, off, s[0:3], 0 offset:408
	buffer_load_dword v137, off, s[0:3], 0 offset:412
	v_mov_b32_e32 v116, 0
	ds_read_b128 v[118:121], v116 offset:880
	ds_read_b128 v[122:125], v116 offset:896
	ds_read_b64 v[138:139], v116 offset:912
	v_cmp_lt_u32_e32 vcc, 50, v0
	s_waitcnt vmcnt(10) lgkmcnt(2)
	v_fma_f64 v[118:119], v[126:127], v[118:119], 0
	s_waitcnt vmcnt(8)
	v_fmac_f64_e32 v[118:119], v[128:129], v[120:121]
	s_waitcnt vmcnt(6) lgkmcnt(1)
	v_fmac_f64_e32 v[118:119], v[130:131], v[122:123]
	s_waitcnt vmcnt(4)
	v_fmac_f64_e32 v[118:119], v[132:133], v[124:125]
	s_waitcnt vmcnt(2) lgkmcnt(0)
	v_fmac_f64_e32 v[118:119], v[134:135], v[138:139]
	s_waitcnt vmcnt(0)
	v_add_f64 v[118:119], v[136:137], -v[118:119]
	buffer_store_dword v118, off, s[0:3], 0 offset:408
	buffer_store_dword v119, off, s[0:3], 0 offset:412
	s_and_saveexec_b64 s[4:5], vcc
	s_cbranch_execz .LBB120_249
; %bb.248:
	buffer_load_dword v118, off, s[0:3], 0 offset:400
	buffer_load_dword v119, off, s[0:3], 0 offset:404
	s_waitcnt vmcnt(0)
	ds_write_b64 v1, v[118:119]
	buffer_store_dword v116, off, s[0:3], 0 offset:400
	buffer_store_dword v116, off, s[0:3], 0 offset:404
.LBB120_249:
	s_or_b64 exec, exec, s[4:5]
	s_waitcnt lgkmcnt(0)
	; wave barrier
	s_waitcnt lgkmcnt(0)
	buffer_load_dword v130, off, s[0:3], 0 offset:408
	buffer_load_dword v131, off, s[0:3], 0 offset:412
	;; [unrolled: 1-line block ×14, first 2 shown]
	ds_read2_b64 v[118:121], v116 offset0:109 offset1:110
	ds_read2_b64 v[122:125], v116 offset0:111 offset1:112
	ds_read2_b64 v[126:129], v116 offset0:113 offset1:114
	v_cmp_lt_u32_e32 vcc, 49, v0
	s_waitcnt vmcnt(12) lgkmcnt(2)
	v_fma_f64 v[116:117], v[130:131], v[118:119], 0
	s_waitcnt vmcnt(10)
	v_fmac_f64_e32 v[116:117], v[132:133], v[120:121]
	s_waitcnt vmcnt(8) lgkmcnt(1)
	v_fmac_f64_e32 v[116:117], v[134:135], v[122:123]
	s_waitcnt vmcnt(6)
	v_fmac_f64_e32 v[116:117], v[136:137], v[124:125]
	s_waitcnt vmcnt(4) lgkmcnt(0)
	v_fmac_f64_e32 v[116:117], v[138:139], v[126:127]
	s_waitcnt vmcnt(2)
	v_fmac_f64_e32 v[116:117], v[140:141], v[128:129]
	s_waitcnt vmcnt(0)
	v_add_f64 v[116:117], v[142:143], -v[116:117]
	buffer_store_dword v116, off, s[0:3], 0 offset:400
	buffer_store_dword v117, off, s[0:3], 0 offset:404
	s_and_saveexec_b64 s[4:5], vcc
	s_cbranch_execz .LBB120_251
; %bb.250:
	buffer_load_dword v116, off, s[0:3], 0 offset:392
	buffer_load_dword v117, off, s[0:3], 0 offset:396
	v_mov_b32_e32 v118, 0
	buffer_store_dword v118, off, s[0:3], 0 offset:392
	buffer_store_dword v118, off, s[0:3], 0 offset:396
	s_waitcnt vmcnt(2)
	ds_write_b64 v1, v[116:117]
.LBB120_251:
	s_or_b64 exec, exec, s[4:5]
	s_waitcnt lgkmcnt(0)
	; wave barrier
	s_waitcnt lgkmcnt(0)
	buffer_load_dword v130, off, s[0:3], 0 offset:400
	buffer_load_dword v131, off, s[0:3], 0 offset:404
	;; [unrolled: 1-line block ×16, first 2 shown]
	v_mov_b32_e32 v116, 0
	ds_read_b128 v[118:121], v116 offset:864
	ds_read_b128 v[122:125], v116 offset:880
	ds_read_b128 v[126:129], v116 offset:896
	ds_read_b64 v[146:147], v116 offset:912
	v_cmp_lt_u32_e32 vcc, 48, v0
	s_waitcnt vmcnt(14) lgkmcnt(3)
	v_fma_f64 v[118:119], v[130:131], v[118:119], 0
	s_waitcnt vmcnt(12)
	v_fmac_f64_e32 v[118:119], v[132:133], v[120:121]
	s_waitcnt vmcnt(10) lgkmcnt(2)
	v_fmac_f64_e32 v[118:119], v[134:135], v[122:123]
	s_waitcnt vmcnt(8)
	v_fmac_f64_e32 v[118:119], v[136:137], v[124:125]
	s_waitcnt vmcnt(6) lgkmcnt(1)
	v_fmac_f64_e32 v[118:119], v[138:139], v[126:127]
	;; [unrolled: 4-line block ×3, first 2 shown]
	s_waitcnt vmcnt(0)
	v_add_f64 v[118:119], v[144:145], -v[118:119]
	buffer_store_dword v118, off, s[0:3], 0 offset:392
	buffer_store_dword v119, off, s[0:3], 0 offset:396
	s_and_saveexec_b64 s[4:5], vcc
	s_cbranch_execz .LBB120_253
; %bb.252:
	buffer_load_dword v118, off, s[0:3], 0 offset:384
	buffer_load_dword v119, off, s[0:3], 0 offset:388
	s_waitcnt vmcnt(0)
	ds_write_b64 v1, v[118:119]
	buffer_store_dword v116, off, s[0:3], 0 offset:384
	buffer_store_dword v116, off, s[0:3], 0 offset:388
.LBB120_253:
	s_or_b64 exec, exec, s[4:5]
	s_waitcnt lgkmcnt(0)
	; wave barrier
	s_waitcnt lgkmcnt(0)
	buffer_load_dword v134, off, s[0:3], 0 offset:392
	buffer_load_dword v135, off, s[0:3], 0 offset:396
	buffer_load_dword v136, off, s[0:3], 0 offset:400
	buffer_load_dword v137, off, s[0:3], 0 offset:404
	buffer_load_dword v138, off, s[0:3], 0 offset:408
	buffer_load_dword v139, off, s[0:3], 0 offset:412
	buffer_load_dword v140, off, s[0:3], 0 offset:416
	buffer_load_dword v141, off, s[0:3], 0 offset:420
	buffer_load_dword v142, off, s[0:3], 0 offset:424
	buffer_load_dword v143, off, s[0:3], 0 offset:428
	buffer_load_dword v144, off, s[0:3], 0 offset:432
	buffer_load_dword v145, off, s[0:3], 0 offset:436
	buffer_load_dword v146, off, s[0:3], 0 offset:440
	buffer_load_dword v147, off, s[0:3], 0 offset:444
	buffer_load_dword v149, off, s[0:3], 0 offset:452
	buffer_load_dword v148, off, s[0:3], 0 offset:448
	buffer_load_dword v150, off, s[0:3], 0 offset:384
	buffer_load_dword v151, off, s[0:3], 0 offset:388
	ds_read2_b64 v[118:121], v116 offset0:107 offset1:108
	ds_read2_b64 v[122:125], v116 offset0:109 offset1:110
	;; [unrolled: 1-line block ×4, first 2 shown]
	v_cmp_lt_u32_e32 vcc, 47, v0
	s_waitcnt vmcnt(16) lgkmcnt(3)
	v_fma_f64 v[116:117], v[134:135], v[118:119], 0
	s_waitcnt vmcnt(14)
	v_fmac_f64_e32 v[116:117], v[136:137], v[120:121]
	s_waitcnt vmcnt(12) lgkmcnt(2)
	v_fmac_f64_e32 v[116:117], v[138:139], v[122:123]
	s_waitcnt vmcnt(10)
	v_fmac_f64_e32 v[116:117], v[140:141], v[124:125]
	s_waitcnt vmcnt(8) lgkmcnt(1)
	v_fmac_f64_e32 v[116:117], v[142:143], v[126:127]
	;; [unrolled: 4-line block ×3, first 2 shown]
	s_waitcnt vmcnt(2)
	v_fmac_f64_e32 v[116:117], v[148:149], v[132:133]
	s_waitcnt vmcnt(0)
	v_add_f64 v[116:117], v[150:151], -v[116:117]
	buffer_store_dword v116, off, s[0:3], 0 offset:384
	buffer_store_dword v117, off, s[0:3], 0 offset:388
	s_and_saveexec_b64 s[4:5], vcc
	s_cbranch_execz .LBB120_255
; %bb.254:
	buffer_load_dword v116, off, s[0:3], 0 offset:376
	buffer_load_dword v117, off, s[0:3], 0 offset:380
	v_mov_b32_e32 v118, 0
	buffer_store_dword v118, off, s[0:3], 0 offset:376
	buffer_store_dword v118, off, s[0:3], 0 offset:380
	s_waitcnt vmcnt(2)
	ds_write_b64 v1, v[116:117]
.LBB120_255:
	s_or_b64 exec, exec, s[4:5]
	s_waitcnt lgkmcnt(0)
	; wave barrier
	s_waitcnt lgkmcnt(0)
	buffer_load_dword v134, off, s[0:3], 0 offset:384
	buffer_load_dword v135, off, s[0:3], 0 offset:388
	;; [unrolled: 1-line block ×20, first 2 shown]
	v_mov_b32_e32 v116, 0
	ds_read_b128 v[118:121], v116 offset:848
	ds_read_b128 v[122:125], v116 offset:864
	;; [unrolled: 1-line block ×4, first 2 shown]
	ds_read_b64 v[154:155], v116 offset:912
	v_cmp_lt_u32_e32 vcc, 46, v0
	s_waitcnt vmcnt(18) lgkmcnt(4)
	v_fma_f64 v[118:119], v[134:135], v[118:119], 0
	s_waitcnt vmcnt(16)
	v_fmac_f64_e32 v[118:119], v[136:137], v[120:121]
	s_waitcnt vmcnt(14) lgkmcnt(3)
	v_fmac_f64_e32 v[118:119], v[138:139], v[122:123]
	s_waitcnt vmcnt(12)
	v_fmac_f64_e32 v[118:119], v[140:141], v[124:125]
	s_waitcnt vmcnt(10) lgkmcnt(2)
	v_fmac_f64_e32 v[118:119], v[142:143], v[126:127]
	;; [unrolled: 4-line block ×3, first 2 shown]
	s_waitcnt vmcnt(2)
	v_fmac_f64_e32 v[118:119], v[150:151], v[132:133]
	s_waitcnt lgkmcnt(0)
	v_fmac_f64_e32 v[118:119], v[148:149], v[154:155]
	s_waitcnt vmcnt(0)
	v_add_f64 v[118:119], v[152:153], -v[118:119]
	buffer_store_dword v118, off, s[0:3], 0 offset:376
	buffer_store_dword v119, off, s[0:3], 0 offset:380
	s_and_saveexec_b64 s[4:5], vcc
	s_cbranch_execz .LBB120_257
; %bb.256:
	buffer_load_dword v118, off, s[0:3], 0 offset:368
	buffer_load_dword v119, off, s[0:3], 0 offset:372
	s_waitcnt vmcnt(0)
	ds_write_b64 v1, v[118:119]
	buffer_store_dword v116, off, s[0:3], 0 offset:368
	buffer_store_dword v116, off, s[0:3], 0 offset:372
.LBB120_257:
	s_or_b64 exec, exec, s[4:5]
	s_waitcnt lgkmcnt(0)
	; wave barrier
	s_waitcnt lgkmcnt(0)
	buffer_load_dword v138, off, s[0:3], 0 offset:376
	buffer_load_dword v139, off, s[0:3], 0 offset:380
	;; [unrolled: 1-line block ×22, first 2 shown]
	ds_read2_b64 v[118:121], v116 offset0:105 offset1:106
	ds_read2_b64 v[122:125], v116 offset0:107 offset1:108
	;; [unrolled: 1-line block ×5, first 2 shown]
	v_cmp_lt_u32_e32 vcc, 45, v0
	s_waitcnt vmcnt(20) lgkmcnt(4)
	v_fma_f64 v[116:117], v[138:139], v[118:119], 0
	s_waitcnt vmcnt(18)
	v_fmac_f64_e32 v[116:117], v[140:141], v[120:121]
	s_waitcnt vmcnt(16) lgkmcnt(3)
	v_fmac_f64_e32 v[116:117], v[142:143], v[122:123]
	s_waitcnt vmcnt(14)
	v_fmac_f64_e32 v[116:117], v[144:145], v[124:125]
	s_waitcnt vmcnt(12) lgkmcnt(2)
	v_fmac_f64_e32 v[116:117], v[146:147], v[126:127]
	;; [unrolled: 4-line block ×3, first 2 shown]
	s_waitcnt vmcnt(3)
	v_fmac_f64_e32 v[116:117], v[156:157], v[132:133]
	s_waitcnt lgkmcnt(0)
	v_fmac_f64_e32 v[116:117], v[154:155], v[134:135]
	s_waitcnt vmcnt(2)
	v_fmac_f64_e32 v[116:117], v[152:153], v[136:137]
	s_waitcnt vmcnt(0)
	v_add_f64 v[116:117], v[158:159], -v[116:117]
	buffer_store_dword v116, off, s[0:3], 0 offset:368
	buffer_store_dword v117, off, s[0:3], 0 offset:372
	s_and_saveexec_b64 s[4:5], vcc
	s_cbranch_execz .LBB120_259
; %bb.258:
	buffer_load_dword v116, off, s[0:3], 0 offset:360
	buffer_load_dword v117, off, s[0:3], 0 offset:364
	v_mov_b32_e32 v118, 0
	buffer_store_dword v118, off, s[0:3], 0 offset:360
	buffer_store_dword v118, off, s[0:3], 0 offset:364
	s_waitcnt vmcnt(2)
	ds_write_b64 v1, v[116:117]
.LBB120_259:
	s_or_b64 exec, exec, s[4:5]
	s_waitcnt lgkmcnt(0)
	; wave barrier
	s_waitcnt lgkmcnt(0)
	buffer_load_dword v138, off, s[0:3], 0 offset:368
	buffer_load_dword v139, off, s[0:3], 0 offset:372
	;; [unrolled: 1-line block ×24, first 2 shown]
	v_mov_b32_e32 v116, 0
	ds_read_b128 v[118:121], v116 offset:832
	ds_read_b128 v[122:125], v116 offset:848
	;; [unrolled: 1-line block ×5, first 2 shown]
	ds_read_b64 v[162:163], v116 offset:912
	v_cmp_lt_u32_e32 vcc, 44, v0
	s_waitcnt vmcnt(22) lgkmcnt(5)
	v_fma_f64 v[118:119], v[138:139], v[118:119], 0
	s_waitcnt vmcnt(20)
	v_fmac_f64_e32 v[118:119], v[140:141], v[120:121]
	s_waitcnt vmcnt(18) lgkmcnt(4)
	v_fmac_f64_e32 v[118:119], v[142:143], v[122:123]
	s_waitcnt vmcnt(16)
	v_fmac_f64_e32 v[118:119], v[144:145], v[124:125]
	s_waitcnt vmcnt(14) lgkmcnt(3)
	v_fmac_f64_e32 v[118:119], v[146:147], v[126:127]
	s_waitcnt vmcnt(12)
	v_fmac_f64_e32 v[118:119], v[148:149], v[128:129]
	s_waitcnt vmcnt(10) lgkmcnt(2)
	v_fmac_f64_e32 v[118:119], v[150:151], v[130:131]
	s_waitcnt vmcnt(4)
	v_fmac_f64_e32 v[118:119], v[158:159], v[132:133]
	s_waitcnt lgkmcnt(1)
	v_fmac_f64_e32 v[118:119], v[156:157], v[134:135]
	s_waitcnt vmcnt(3)
	v_fmac_f64_e32 v[118:119], v[154:155], v[136:137]
	s_waitcnt vmcnt(2) lgkmcnt(0)
	v_fmac_f64_e32 v[118:119], v[152:153], v[162:163]
	s_waitcnt vmcnt(0)
	v_add_f64 v[118:119], v[160:161], -v[118:119]
	buffer_store_dword v119, off, s[0:3], 0 offset:364
	buffer_store_dword v118, off, s[0:3], 0 offset:360
	s_and_saveexec_b64 s[4:5], vcc
	s_cbranch_execz .LBB120_261
; %bb.260:
	buffer_load_dword v118, off, s[0:3], 0 offset:352
	buffer_load_dword v119, off, s[0:3], 0 offset:356
	s_waitcnt vmcnt(0)
	ds_write_b64 v1, v[118:119]
	buffer_store_dword v116, off, s[0:3], 0 offset:352
	buffer_store_dword v116, off, s[0:3], 0 offset:356
.LBB120_261:
	s_or_b64 exec, exec, s[4:5]
	s_waitcnt lgkmcnt(0)
	; wave barrier
	s_waitcnt lgkmcnt(0)
	buffer_load_dword v142, off, s[0:3], 0 offset:360
	buffer_load_dword v143, off, s[0:3], 0 offset:364
	;; [unrolled: 1-line block ×26, first 2 shown]
	ds_read2_b64 v[118:121], v116 offset0:103 offset1:104
	ds_read2_b64 v[122:125], v116 offset0:105 offset1:106
	;; [unrolled: 1-line block ×6, first 2 shown]
	v_cmp_lt_u32_e32 vcc, 43, v0
	s_waitcnt vmcnt(24) lgkmcnt(5)
	v_fma_f64 v[116:117], v[142:143], v[118:119], 0
	s_waitcnt vmcnt(22)
	v_fmac_f64_e32 v[116:117], v[144:145], v[120:121]
	s_waitcnt vmcnt(20) lgkmcnt(4)
	v_fmac_f64_e32 v[116:117], v[146:147], v[122:123]
	s_waitcnt vmcnt(18)
	v_fmac_f64_e32 v[116:117], v[148:149], v[124:125]
	s_waitcnt vmcnt(16) lgkmcnt(3)
	v_fmac_f64_e32 v[116:117], v[150:151], v[126:127]
	;; [unrolled: 4-line block ×3, first 2 shown]
	s_waitcnt vmcnt(5)
	v_fmac_f64_e32 v[116:117], v[162:163], v[132:133]
	s_waitcnt lgkmcnt(1)
	v_fmac_f64_e32 v[116:117], v[160:161], v[134:135]
	v_fmac_f64_e32 v[116:117], v[158:159], v[136:137]
	s_waitcnt vmcnt(4) lgkmcnt(0)
	v_fmac_f64_e32 v[116:117], v[156:157], v[138:139]
	s_waitcnt vmcnt(2)
	v_fmac_f64_e32 v[116:117], v[164:165], v[140:141]
	s_waitcnt vmcnt(0)
	v_add_f64 v[116:117], v[166:167], -v[116:117]
	buffer_store_dword v117, off, s[0:3], 0 offset:356
	buffer_store_dword v116, off, s[0:3], 0 offset:352
	s_and_saveexec_b64 s[4:5], vcc
	s_cbranch_execz .LBB120_263
; %bb.262:
	buffer_load_dword v116, off, s[0:3], 0 offset:344
	buffer_load_dword v117, off, s[0:3], 0 offset:348
	v_mov_b32_e32 v118, 0
	buffer_store_dword v118, off, s[0:3], 0 offset:344
	buffer_store_dword v118, off, s[0:3], 0 offset:348
	s_waitcnt vmcnt(2)
	ds_write_b64 v1, v[116:117]
.LBB120_263:
	s_or_b64 exec, exec, s[4:5]
	s_waitcnt lgkmcnt(0)
	; wave barrier
	s_waitcnt lgkmcnt(0)
	buffer_load_dword v134, off, s[0:3], 0 offset:344
	buffer_load_dword v135, off, s[0:3], 0 offset:348
	;; [unrolled: 1-line block ×16, first 2 shown]
	v_mov_b32_e32 v116, 0
	ds_read_b128 v[118:121], v116 offset:816
	ds_read_b128 v[122:125], v116 offset:832
	ds_read_b128 v[126:129], v116 offset:848
	ds_read_b128 v[130:133], v116 offset:864
	v_cmp_lt_u32_e32 vcc, 42, v0
	s_waitcnt vmcnt(12) lgkmcnt(3)
	v_fma_f64 v[136:137], v[136:137], v[118:119], 0
	buffer_load_dword v119, off, s[0:3], 0 offset:412
	buffer_load_dword v118, off, s[0:3], 0 offset:408
	s_waitcnt vmcnt(12)
	v_fmac_f64_e32 v[136:137], v[138:139], v[120:121]
	s_waitcnt vmcnt(10) lgkmcnt(2)
	v_fmac_f64_e32 v[136:137], v[140:141], v[122:123]
	buffer_load_dword v123, off, s[0:3], 0 offset:420
	buffer_load_dword v122, off, s[0:3], 0 offset:416
	s_waitcnt vmcnt(10)
	v_fmac_f64_e32 v[136:137], v[142:143], v[124:125]
	s_waitcnt vmcnt(8) lgkmcnt(1)
	v_fmac_f64_e32 v[136:137], v[144:145], v[126:127]
	s_waitcnt vmcnt(6)
	v_fmac_f64_e32 v[136:137], v[146:147], v[128:129]
	s_waitcnt vmcnt(4) lgkmcnt(0)
	v_fmac_f64_e32 v[136:137], v[148:149], v[130:131]
	s_waitcnt vmcnt(2)
	v_fmac_f64_e32 v[136:137], v[118:119], v[132:133]
	ds_read_b128 v[118:121], v116 offset:880
	s_waitcnt vmcnt(0) lgkmcnt(0)
	v_fmac_f64_e32 v[136:137], v[122:123], v[118:119]
	buffer_load_dword v119, off, s[0:3], 0 offset:428
	buffer_load_dword v118, off, s[0:3], 0 offset:424
	;; [unrolled: 1-line block ×4, first 2 shown]
	s_waitcnt vmcnt(2)
	v_fmac_f64_e32 v[136:137], v[118:119], v[120:121]
	ds_read_b128 v[118:121], v116 offset:896
	s_waitcnt vmcnt(0) lgkmcnt(0)
	v_fmac_f64_e32 v[136:137], v[122:123], v[118:119]
	buffer_load_dword v119, off, s[0:3], 0 offset:444
	buffer_load_dword v118, off, s[0:3], 0 offset:440
	s_waitcnt vmcnt(0)
	v_fmac_f64_e32 v[136:137], v[118:119], v[120:121]
	buffer_load_dword v119, off, s[0:3], 0 offset:452
	buffer_load_dword v118, off, s[0:3], 0 offset:448
	ds_read_b64 v[120:121], v116 offset:912
	s_waitcnt vmcnt(0) lgkmcnt(0)
	v_fmac_f64_e32 v[136:137], v[118:119], v[120:121]
	v_add_f64 v[118:119], v[134:135], -v[136:137]
	buffer_store_dword v119, off, s[0:3], 0 offset:348
	buffer_store_dword v118, off, s[0:3], 0 offset:344
	s_and_saveexec_b64 s[4:5], vcc
	s_cbranch_execz .LBB120_265
; %bb.264:
	buffer_load_dword v118, off, s[0:3], 0 offset:336
	buffer_load_dword v119, off, s[0:3], 0 offset:340
	s_waitcnt vmcnt(0)
	ds_write_b64 v1, v[118:119]
	buffer_store_dword v116, off, s[0:3], 0 offset:336
	buffer_store_dword v116, off, s[0:3], 0 offset:340
.LBB120_265:
	s_or_b64 exec, exec, s[4:5]
	s_waitcnt lgkmcnt(0)
	; wave barrier
	s_waitcnt lgkmcnt(0)
	buffer_load_dword v122, off, s[0:3], 0 offset:336
	buffer_load_dword v123, off, s[0:3], 0 offset:340
	;; [unrolled: 1-line block ×16, first 2 shown]
	ds_read2_b64 v[118:121], v116 offset0:101 offset1:102
	v_cmp_lt_u32_e32 vcc, 41, v0
	s_waitcnt vmcnt(12) lgkmcnt(0)
	v_fma_f64 v[124:125], v[124:125], v[118:119], 0
	s_waitcnt vmcnt(10)
	v_fmac_f64_e32 v[124:125], v[126:127], v[120:121]
	ds_read2_b64 v[118:121], v116 offset0:103 offset1:104
	s_waitcnt vmcnt(8) lgkmcnt(0)
	v_fmac_f64_e32 v[124:125], v[128:129], v[118:119]
	s_waitcnt vmcnt(6)
	v_fmac_f64_e32 v[124:125], v[130:131], v[120:121]
	ds_read2_b64 v[118:121], v116 offset0:105 offset1:106
	s_waitcnt vmcnt(4) lgkmcnt(0)
	v_fmac_f64_e32 v[124:125], v[132:133], v[118:119]
	;; [unrolled: 5-line block ×3, first 2 shown]
	buffer_load_dword v119, off, s[0:3], 0 offset:404
	buffer_load_dword v118, off, s[0:3], 0 offset:400
	;; [unrolled: 1-line block ×4, first 2 shown]
	s_waitcnt vmcnt(2)
	v_fmac_f64_e32 v[124:125], v[118:119], v[120:121]
	ds_read2_b64 v[118:121], v116 offset0:109 offset1:110
	s_waitcnt vmcnt(0) lgkmcnt(0)
	v_fmac_f64_e32 v[124:125], v[126:127], v[118:119]
	buffer_load_dword v119, off, s[0:3], 0 offset:420
	buffer_load_dword v118, off, s[0:3], 0 offset:416
	;; [unrolled: 1-line block ×4, first 2 shown]
	s_waitcnt vmcnt(2)
	v_fmac_f64_e32 v[124:125], v[118:119], v[120:121]
	ds_read2_b64 v[118:121], v116 offset0:111 offset1:112
	s_waitcnt vmcnt(0) lgkmcnt(0)
	v_fmac_f64_e32 v[124:125], v[126:127], v[118:119]
	buffer_load_dword v119, off, s[0:3], 0 offset:436
	buffer_load_dword v118, off, s[0:3], 0 offset:432
	s_waitcnt vmcnt(0)
	v_fmac_f64_e32 v[124:125], v[118:119], v[120:121]
	buffer_load_dword v121, off, s[0:3], 0 offset:444
	buffer_load_dword v120, off, s[0:3], 0 offset:440
	ds_read2_b64 v[116:119], v116 offset0:113 offset1:114
	s_waitcnt vmcnt(0) lgkmcnt(0)
	v_fmac_f64_e32 v[124:125], v[120:121], v[116:117]
	buffer_load_dword v117, off, s[0:3], 0 offset:452
	buffer_load_dword v116, off, s[0:3], 0 offset:448
	s_waitcnt vmcnt(0)
	v_fmac_f64_e32 v[124:125], v[116:117], v[118:119]
	v_add_f64 v[116:117], v[122:123], -v[124:125]
	buffer_store_dword v117, off, s[0:3], 0 offset:340
	buffer_store_dword v116, off, s[0:3], 0 offset:336
	s_and_saveexec_b64 s[4:5], vcc
	s_cbranch_execz .LBB120_267
; %bb.266:
	buffer_load_dword v116, off, s[0:3], 0 offset:328
	buffer_load_dword v117, off, s[0:3], 0 offset:332
	v_mov_b32_e32 v118, 0
	buffer_store_dword v118, off, s[0:3], 0 offset:328
	buffer_store_dword v118, off, s[0:3], 0 offset:332
	s_waitcnt vmcnt(2)
	ds_write_b64 v1, v[116:117]
.LBB120_267:
	s_or_b64 exec, exec, s[4:5]
	s_waitcnt lgkmcnt(0)
	; wave barrier
	s_waitcnt lgkmcnt(0)
	buffer_load_dword v134, off, s[0:3], 0 offset:328
	buffer_load_dword v135, off, s[0:3], 0 offset:332
	;; [unrolled: 1-line block ×16, first 2 shown]
	v_mov_b32_e32 v116, 0
	ds_read_b128 v[118:121], v116 offset:800
	ds_read_b128 v[122:125], v116 offset:816
	;; [unrolled: 1-line block ×4, first 2 shown]
	v_cmp_lt_u32_e32 vcc, 40, v0
	s_waitcnt vmcnt(12) lgkmcnt(3)
	v_fma_f64 v[136:137], v[136:137], v[118:119], 0
	buffer_load_dword v119, off, s[0:3], 0 offset:396
	buffer_load_dword v118, off, s[0:3], 0 offset:392
	s_waitcnt vmcnt(12)
	v_fmac_f64_e32 v[136:137], v[138:139], v[120:121]
	s_waitcnt vmcnt(10) lgkmcnt(2)
	v_fmac_f64_e32 v[136:137], v[140:141], v[122:123]
	buffer_load_dword v123, off, s[0:3], 0 offset:404
	buffer_load_dword v122, off, s[0:3], 0 offset:400
	s_waitcnt vmcnt(10)
	v_fmac_f64_e32 v[136:137], v[142:143], v[124:125]
	s_waitcnt vmcnt(8) lgkmcnt(1)
	v_fmac_f64_e32 v[136:137], v[144:145], v[126:127]
	s_waitcnt vmcnt(6)
	v_fmac_f64_e32 v[136:137], v[146:147], v[128:129]
	s_waitcnt vmcnt(4) lgkmcnt(0)
	v_fmac_f64_e32 v[136:137], v[148:149], v[130:131]
	s_waitcnt vmcnt(2)
	v_fmac_f64_e32 v[136:137], v[118:119], v[132:133]
	ds_read_b128 v[118:121], v116 offset:864
	s_waitcnt vmcnt(0) lgkmcnt(0)
	v_fmac_f64_e32 v[136:137], v[122:123], v[118:119]
	buffer_load_dword v119, off, s[0:3], 0 offset:412
	buffer_load_dword v118, off, s[0:3], 0 offset:408
	;; [unrolled: 1-line block ×4, first 2 shown]
	s_waitcnt vmcnt(2)
	v_fmac_f64_e32 v[136:137], v[118:119], v[120:121]
	ds_read_b128 v[118:121], v116 offset:880
	s_waitcnt vmcnt(0) lgkmcnt(0)
	v_fmac_f64_e32 v[136:137], v[122:123], v[118:119]
	buffer_load_dword v119, off, s[0:3], 0 offset:428
	buffer_load_dword v118, off, s[0:3], 0 offset:424
	;; [unrolled: 1-line block ×4, first 2 shown]
	s_waitcnt vmcnt(2)
	v_fmac_f64_e32 v[136:137], v[118:119], v[120:121]
	ds_read_b128 v[118:121], v116 offset:896
	s_waitcnt vmcnt(0) lgkmcnt(0)
	v_fmac_f64_e32 v[136:137], v[122:123], v[118:119]
	buffer_load_dword v119, off, s[0:3], 0 offset:444
	buffer_load_dword v118, off, s[0:3], 0 offset:440
	s_waitcnt vmcnt(0)
	v_fmac_f64_e32 v[136:137], v[118:119], v[120:121]
	buffer_load_dword v119, off, s[0:3], 0 offset:452
	buffer_load_dword v118, off, s[0:3], 0 offset:448
	ds_read_b64 v[120:121], v116 offset:912
	s_waitcnt vmcnt(0) lgkmcnt(0)
	v_fmac_f64_e32 v[136:137], v[118:119], v[120:121]
	v_add_f64 v[118:119], v[134:135], -v[136:137]
	buffer_store_dword v119, off, s[0:3], 0 offset:332
	buffer_store_dword v118, off, s[0:3], 0 offset:328
	s_and_saveexec_b64 s[4:5], vcc
	s_cbranch_execz .LBB120_269
; %bb.268:
	buffer_load_dword v118, off, s[0:3], 0 offset:320
	buffer_load_dword v119, off, s[0:3], 0 offset:324
	s_waitcnt vmcnt(0)
	ds_write_b64 v1, v[118:119]
	buffer_store_dword v116, off, s[0:3], 0 offset:320
	buffer_store_dword v116, off, s[0:3], 0 offset:324
.LBB120_269:
	s_or_b64 exec, exec, s[4:5]
	s_waitcnt lgkmcnt(0)
	; wave barrier
	s_waitcnt lgkmcnt(0)
	buffer_load_dword v122, off, s[0:3], 0 offset:320
	buffer_load_dword v123, off, s[0:3], 0 offset:324
	;; [unrolled: 1-line block ×16, first 2 shown]
	ds_read2_b64 v[118:121], v116 offset0:99 offset1:100
	v_cmp_lt_u32_e32 vcc, 39, v0
	s_waitcnt vmcnt(12) lgkmcnt(0)
	v_fma_f64 v[124:125], v[124:125], v[118:119], 0
	s_waitcnt vmcnt(10)
	v_fmac_f64_e32 v[124:125], v[126:127], v[120:121]
	ds_read2_b64 v[118:121], v116 offset0:101 offset1:102
	s_waitcnt vmcnt(8) lgkmcnt(0)
	v_fmac_f64_e32 v[124:125], v[128:129], v[118:119]
	s_waitcnt vmcnt(6)
	v_fmac_f64_e32 v[124:125], v[130:131], v[120:121]
	ds_read2_b64 v[118:121], v116 offset0:103 offset1:104
	s_waitcnt vmcnt(4) lgkmcnt(0)
	v_fmac_f64_e32 v[124:125], v[132:133], v[118:119]
	;; [unrolled: 5-line block ×3, first 2 shown]
	buffer_load_dword v119, off, s[0:3], 0 offset:388
	buffer_load_dword v118, off, s[0:3], 0 offset:384
	buffer_load_dword v127, off, s[0:3], 0 offset:396
	buffer_load_dword v126, off, s[0:3], 0 offset:392
	s_waitcnt vmcnt(2)
	v_fmac_f64_e32 v[124:125], v[118:119], v[120:121]
	ds_read2_b64 v[118:121], v116 offset0:107 offset1:108
	s_waitcnt vmcnt(0) lgkmcnt(0)
	v_fmac_f64_e32 v[124:125], v[126:127], v[118:119]
	buffer_load_dword v119, off, s[0:3], 0 offset:404
	buffer_load_dword v118, off, s[0:3], 0 offset:400
	buffer_load_dword v127, off, s[0:3], 0 offset:412
	buffer_load_dword v126, off, s[0:3], 0 offset:408
	s_waitcnt vmcnt(2)
	v_fmac_f64_e32 v[124:125], v[118:119], v[120:121]
	ds_read2_b64 v[118:121], v116 offset0:109 offset1:110
	s_waitcnt vmcnt(0) lgkmcnt(0)
	v_fmac_f64_e32 v[124:125], v[126:127], v[118:119]
	;; [unrolled: 9-line block ×3, first 2 shown]
	buffer_load_dword v119, off, s[0:3], 0 offset:436
	buffer_load_dword v118, off, s[0:3], 0 offset:432
	s_waitcnt vmcnt(0)
	v_fmac_f64_e32 v[124:125], v[118:119], v[120:121]
	buffer_load_dword v121, off, s[0:3], 0 offset:444
	buffer_load_dword v120, off, s[0:3], 0 offset:440
	ds_read2_b64 v[116:119], v116 offset0:113 offset1:114
	s_waitcnt vmcnt(0) lgkmcnt(0)
	v_fmac_f64_e32 v[124:125], v[120:121], v[116:117]
	buffer_load_dword v117, off, s[0:3], 0 offset:452
	buffer_load_dword v116, off, s[0:3], 0 offset:448
	s_waitcnt vmcnt(0)
	v_fmac_f64_e32 v[124:125], v[116:117], v[118:119]
	v_add_f64 v[116:117], v[122:123], -v[124:125]
	buffer_store_dword v117, off, s[0:3], 0 offset:324
	buffer_store_dword v116, off, s[0:3], 0 offset:320
	s_and_saveexec_b64 s[4:5], vcc
	s_cbranch_execz .LBB120_271
; %bb.270:
	buffer_load_dword v116, off, s[0:3], 0 offset:312
	buffer_load_dword v117, off, s[0:3], 0 offset:316
	v_mov_b32_e32 v118, 0
	buffer_store_dword v118, off, s[0:3], 0 offset:312
	buffer_store_dword v118, off, s[0:3], 0 offset:316
	s_waitcnt vmcnt(2)
	ds_write_b64 v1, v[116:117]
.LBB120_271:
	s_or_b64 exec, exec, s[4:5]
	s_waitcnt lgkmcnt(0)
	; wave barrier
	s_waitcnt lgkmcnt(0)
	buffer_load_dword v116, off, s[0:3], 0 offset:312
	buffer_load_dword v117, off, s[0:3], 0 offset:316
	buffer_load_dword v118, off, s[0:3], 0 offset:320
	buffer_load_dword v119, off, s[0:3], 0 offset:324
	buffer_load_dword v138, off, s[0:3], 0 offset:328
	buffer_load_dword v139, off, s[0:3], 0 offset:332
	buffer_load_dword v140, off, s[0:3], 0 offset:336
	buffer_load_dword v141, off, s[0:3], 0 offset:340
	buffer_load_dword v142, off, s[0:3], 0 offset:344
	buffer_load_dword v143, off, s[0:3], 0 offset:348
	buffer_load_dword v144, off, s[0:3], 0 offset:352
	buffer_load_dword v145, off, s[0:3], 0 offset:356
	buffer_load_dword v146, off, s[0:3], 0 offset:360
	buffer_load_dword v147, off, s[0:3], 0 offset:364
	buffer_load_dword v148, off, s[0:3], 0 offset:368
	buffer_load_dword v149, off, s[0:3], 0 offset:372
	v_mov_b32_e32 v120, 0
	ds_read_b128 v[122:125], v120 offset:784
	ds_read_b128 v[126:129], v120 offset:800
	;; [unrolled: 1-line block ×4, first 2 shown]
	v_cmp_lt_u32_e32 vcc, 38, v0
	s_waitcnt vmcnt(12) lgkmcnt(3)
	v_fma_f64 v[118:119], v[118:119], v[122:123], 0
	buffer_load_dword v123, off, s[0:3], 0 offset:380
	buffer_load_dword v122, off, s[0:3], 0 offset:376
	s_waitcnt vmcnt(12)
	v_fmac_f64_e32 v[118:119], v[138:139], v[124:125]
	s_waitcnt vmcnt(10) lgkmcnt(2)
	v_fmac_f64_e32 v[118:119], v[140:141], v[126:127]
	buffer_load_dword v127, off, s[0:3], 0 offset:388
	buffer_load_dword v126, off, s[0:3], 0 offset:384
	s_waitcnt vmcnt(10)
	v_fmac_f64_e32 v[118:119], v[142:143], v[128:129]
	s_waitcnt vmcnt(8) lgkmcnt(1)
	v_fmac_f64_e32 v[118:119], v[144:145], v[130:131]
	s_waitcnt vmcnt(6)
	v_fmac_f64_e32 v[118:119], v[146:147], v[132:133]
	s_waitcnt vmcnt(4) lgkmcnt(0)
	v_fmac_f64_e32 v[118:119], v[148:149], v[134:135]
	s_waitcnt vmcnt(2)
	v_fmac_f64_e32 v[118:119], v[122:123], v[136:137]
	ds_read_b128 v[122:125], v120 offset:848
	s_waitcnt vmcnt(0) lgkmcnt(0)
	v_fmac_f64_e32 v[118:119], v[126:127], v[122:123]
	buffer_load_dword v123, off, s[0:3], 0 offset:396
	buffer_load_dword v122, off, s[0:3], 0 offset:392
	buffer_load_dword v127, off, s[0:3], 0 offset:404
	buffer_load_dword v126, off, s[0:3], 0 offset:400
	s_waitcnt vmcnt(2)
	v_fmac_f64_e32 v[118:119], v[122:123], v[124:125]
	ds_read_b128 v[122:125], v120 offset:864
	s_waitcnt vmcnt(0) lgkmcnt(0)
	v_fmac_f64_e32 v[118:119], v[126:127], v[122:123]
	buffer_load_dword v123, off, s[0:3], 0 offset:412
	buffer_load_dword v122, off, s[0:3], 0 offset:408
	buffer_load_dword v127, off, s[0:3], 0 offset:420
	buffer_load_dword v126, off, s[0:3], 0 offset:416
	;; [unrolled: 9-line block ×3, first 2 shown]
	s_waitcnt vmcnt(2)
	v_fmac_f64_e32 v[118:119], v[122:123], v[124:125]
	ds_read_b128 v[122:125], v120 offset:896
	s_waitcnt vmcnt(0) lgkmcnt(0)
	v_fmac_f64_e32 v[118:119], v[126:127], v[122:123]
	buffer_load_dword v123, off, s[0:3], 0 offset:444
	buffer_load_dword v122, off, s[0:3], 0 offset:440
	s_waitcnt vmcnt(0)
	v_fmac_f64_e32 v[118:119], v[122:123], v[124:125]
	buffer_load_dword v123, off, s[0:3], 0 offset:452
	buffer_load_dword v122, off, s[0:3], 0 offset:448
	ds_read_b64 v[124:125], v120 offset:912
	s_waitcnt vmcnt(0) lgkmcnt(0)
	v_fmac_f64_e32 v[118:119], v[122:123], v[124:125]
	v_add_f64 v[116:117], v[116:117], -v[118:119]
	buffer_store_dword v117, off, s[0:3], 0 offset:316
	buffer_store_dword v116, off, s[0:3], 0 offset:312
	s_and_saveexec_b64 s[4:5], vcc
	s_cbranch_execz .LBB120_273
; %bb.272:
	buffer_load_dword v116, off, s[0:3], 0 offset:304
	buffer_load_dword v117, off, s[0:3], 0 offset:308
	s_waitcnt vmcnt(0)
	ds_write_b64 v1, v[116:117]
	buffer_store_dword v120, off, s[0:3], 0 offset:304
	buffer_store_dword v120, off, s[0:3], 0 offset:308
.LBB120_273:
	s_or_b64 exec, exec, s[4:5]
	s_waitcnt lgkmcnt(0)
	; wave barrier
	s_waitcnt lgkmcnt(0)
	buffer_load_dword v116, off, s[0:3], 0 offset:304
	buffer_load_dword v117, off, s[0:3], 0 offset:308
	;; [unrolled: 1-line block ×16, first 2 shown]
	ds_read2_b64 v[122:125], v120 offset0:97 offset1:98
	v_cmp_lt_u32_e32 vcc, 37, v0
	s_waitcnt vmcnt(12) lgkmcnt(0)
	v_fma_f64 v[118:119], v[118:119], v[122:123], 0
	s_waitcnt vmcnt(10)
	v_fmac_f64_e32 v[118:119], v[126:127], v[124:125]
	ds_read2_b64 v[122:125], v120 offset0:99 offset1:100
	s_waitcnt vmcnt(8) lgkmcnt(0)
	v_fmac_f64_e32 v[118:119], v[128:129], v[122:123]
	s_waitcnt vmcnt(6)
	v_fmac_f64_e32 v[118:119], v[130:131], v[124:125]
	ds_read2_b64 v[122:125], v120 offset0:101 offset1:102
	s_waitcnt vmcnt(4) lgkmcnt(0)
	v_fmac_f64_e32 v[118:119], v[132:133], v[122:123]
	;; [unrolled: 5-line block ×3, first 2 shown]
	buffer_load_dword v123, off, s[0:3], 0 offset:372
	buffer_load_dword v122, off, s[0:3], 0 offset:368
	buffer_load_dword v127, off, s[0:3], 0 offset:380
	buffer_load_dword v126, off, s[0:3], 0 offset:376
	s_waitcnt vmcnt(2)
	v_fmac_f64_e32 v[118:119], v[122:123], v[124:125]
	ds_read2_b64 v[122:125], v120 offset0:105 offset1:106
	s_waitcnt vmcnt(0) lgkmcnt(0)
	v_fmac_f64_e32 v[118:119], v[126:127], v[122:123]
	buffer_load_dword v123, off, s[0:3], 0 offset:388
	buffer_load_dword v122, off, s[0:3], 0 offset:384
	buffer_load_dword v127, off, s[0:3], 0 offset:396
	buffer_load_dword v126, off, s[0:3], 0 offset:392
	s_waitcnt vmcnt(2)
	v_fmac_f64_e32 v[118:119], v[122:123], v[124:125]
	ds_read2_b64 v[122:125], v120 offset0:107 offset1:108
	s_waitcnt vmcnt(0) lgkmcnt(0)
	v_fmac_f64_e32 v[118:119], v[126:127], v[122:123]
	;; [unrolled: 9-line block ×4, first 2 shown]
	buffer_load_dword v123, off, s[0:3], 0 offset:436
	buffer_load_dword v122, off, s[0:3], 0 offset:432
	s_waitcnt vmcnt(0)
	v_fmac_f64_e32 v[118:119], v[122:123], v[124:125]
	buffer_load_dword v125, off, s[0:3], 0 offset:444
	buffer_load_dword v124, off, s[0:3], 0 offset:440
	ds_read2_b64 v[120:123], v120 offset0:113 offset1:114
	s_waitcnt vmcnt(0) lgkmcnt(0)
	v_fmac_f64_e32 v[118:119], v[124:125], v[120:121]
	buffer_load_dword v121, off, s[0:3], 0 offset:452
	buffer_load_dword v120, off, s[0:3], 0 offset:448
	s_waitcnt vmcnt(0)
	v_fmac_f64_e32 v[118:119], v[120:121], v[122:123]
	v_add_f64 v[116:117], v[116:117], -v[118:119]
	buffer_store_dword v117, off, s[0:3], 0 offset:308
	buffer_store_dword v116, off, s[0:3], 0 offset:304
	s_and_saveexec_b64 s[4:5], vcc
	s_cbranch_execz .LBB120_275
; %bb.274:
	buffer_load_dword v116, off, s[0:3], 0 offset:296
	buffer_load_dword v117, off, s[0:3], 0 offset:300
	v_mov_b32_e32 v118, 0
	buffer_store_dword v118, off, s[0:3], 0 offset:296
	buffer_store_dword v118, off, s[0:3], 0 offset:300
	s_waitcnt vmcnt(2)
	ds_write_b64 v1, v[116:117]
.LBB120_275:
	s_or_b64 exec, exec, s[4:5]
	s_waitcnt lgkmcnt(0)
	; wave barrier
	s_waitcnt lgkmcnt(0)
	buffer_load_dword v116, off, s[0:3], 0 offset:296
	buffer_load_dword v117, off, s[0:3], 0 offset:300
	;; [unrolled: 1-line block ×16, first 2 shown]
	v_mov_b32_e32 v120, 0
	ds_read_b128 v[122:125], v120 offset:768
	ds_read_b128 v[126:129], v120 offset:784
	;; [unrolled: 1-line block ×4, first 2 shown]
	v_cmp_lt_u32_e32 vcc, 36, v0
	s_waitcnt vmcnt(12) lgkmcnt(3)
	v_fma_f64 v[118:119], v[118:119], v[122:123], 0
	buffer_load_dword v123, off, s[0:3], 0 offset:364
	buffer_load_dword v122, off, s[0:3], 0 offset:360
	s_waitcnt vmcnt(12)
	v_fmac_f64_e32 v[118:119], v[138:139], v[124:125]
	s_waitcnt vmcnt(10) lgkmcnt(2)
	v_fmac_f64_e32 v[118:119], v[140:141], v[126:127]
	buffer_load_dword v127, off, s[0:3], 0 offset:372
	buffer_load_dword v126, off, s[0:3], 0 offset:368
	s_waitcnt vmcnt(10)
	v_fmac_f64_e32 v[118:119], v[142:143], v[128:129]
	s_waitcnt vmcnt(8) lgkmcnt(1)
	v_fmac_f64_e32 v[118:119], v[144:145], v[130:131]
	s_waitcnt vmcnt(6)
	v_fmac_f64_e32 v[118:119], v[146:147], v[132:133]
	s_waitcnt vmcnt(4) lgkmcnt(0)
	v_fmac_f64_e32 v[118:119], v[148:149], v[134:135]
	s_waitcnt vmcnt(2)
	v_fmac_f64_e32 v[118:119], v[122:123], v[136:137]
	ds_read_b128 v[122:125], v120 offset:832
	s_waitcnt vmcnt(0) lgkmcnt(0)
	v_fmac_f64_e32 v[118:119], v[126:127], v[122:123]
	buffer_load_dword v123, off, s[0:3], 0 offset:380
	buffer_load_dword v122, off, s[0:3], 0 offset:376
	buffer_load_dword v127, off, s[0:3], 0 offset:388
	buffer_load_dword v126, off, s[0:3], 0 offset:384
	s_waitcnt vmcnt(2)
	v_fmac_f64_e32 v[118:119], v[122:123], v[124:125]
	ds_read_b128 v[122:125], v120 offset:848
	s_waitcnt vmcnt(0) lgkmcnt(0)
	v_fmac_f64_e32 v[118:119], v[126:127], v[122:123]
	buffer_load_dword v123, off, s[0:3], 0 offset:396
	buffer_load_dword v122, off, s[0:3], 0 offset:392
	buffer_load_dword v127, off, s[0:3], 0 offset:404
	buffer_load_dword v126, off, s[0:3], 0 offset:400
	;; [unrolled: 9-line block ×4, first 2 shown]
	s_waitcnt vmcnt(2)
	v_fmac_f64_e32 v[118:119], v[122:123], v[124:125]
	ds_read_b128 v[122:125], v120 offset:896
	s_waitcnt vmcnt(0) lgkmcnt(0)
	v_fmac_f64_e32 v[118:119], v[126:127], v[122:123]
	buffer_load_dword v123, off, s[0:3], 0 offset:444
	buffer_load_dword v122, off, s[0:3], 0 offset:440
	s_waitcnt vmcnt(0)
	v_fmac_f64_e32 v[118:119], v[122:123], v[124:125]
	buffer_load_dword v123, off, s[0:3], 0 offset:452
	buffer_load_dword v122, off, s[0:3], 0 offset:448
	ds_read_b64 v[124:125], v120 offset:912
	s_waitcnt vmcnt(0) lgkmcnt(0)
	v_fmac_f64_e32 v[118:119], v[122:123], v[124:125]
	v_add_f64 v[116:117], v[116:117], -v[118:119]
	buffer_store_dword v117, off, s[0:3], 0 offset:300
	buffer_store_dword v116, off, s[0:3], 0 offset:296
	s_and_saveexec_b64 s[4:5], vcc
	s_cbranch_execz .LBB120_277
; %bb.276:
	buffer_load_dword v116, off, s[0:3], 0 offset:288
	buffer_load_dword v117, off, s[0:3], 0 offset:292
	s_waitcnt vmcnt(0)
	ds_write_b64 v1, v[116:117]
	buffer_store_dword v120, off, s[0:3], 0 offset:288
	buffer_store_dword v120, off, s[0:3], 0 offset:292
.LBB120_277:
	s_or_b64 exec, exec, s[4:5]
	s_waitcnt lgkmcnt(0)
	; wave barrier
	s_waitcnt lgkmcnt(0)
	buffer_load_dword v116, off, s[0:3], 0 offset:288
	buffer_load_dword v117, off, s[0:3], 0 offset:292
	;; [unrolled: 1-line block ×16, first 2 shown]
	ds_read2_b64 v[122:125], v120 offset0:95 offset1:96
	v_cmp_lt_u32_e32 vcc, 35, v0
	s_waitcnt vmcnt(12) lgkmcnt(0)
	v_fma_f64 v[118:119], v[118:119], v[122:123], 0
	s_waitcnt vmcnt(10)
	v_fmac_f64_e32 v[118:119], v[126:127], v[124:125]
	ds_read2_b64 v[122:125], v120 offset0:97 offset1:98
	s_waitcnt vmcnt(8) lgkmcnt(0)
	v_fmac_f64_e32 v[118:119], v[128:129], v[122:123]
	s_waitcnt vmcnt(6)
	v_fmac_f64_e32 v[118:119], v[130:131], v[124:125]
	ds_read2_b64 v[122:125], v120 offset0:99 offset1:100
	s_waitcnt vmcnt(4) lgkmcnt(0)
	v_fmac_f64_e32 v[118:119], v[132:133], v[122:123]
	s_waitcnt vmcnt(2)
	v_fmac_f64_e32 v[118:119], v[134:135], v[124:125]
	ds_read2_b64 v[122:125], v120 offset0:101 offset1:102
	s_waitcnt vmcnt(0) lgkmcnt(0)
	v_fmac_f64_e32 v[118:119], v[136:137], v[122:123]
	buffer_load_dword v123, off, s[0:3], 0 offset:356
	buffer_load_dword v122, off, s[0:3], 0 offset:352
	buffer_load_dword v127, off, s[0:3], 0 offset:364
	buffer_load_dword v126, off, s[0:3], 0 offset:360
	s_waitcnt vmcnt(2)
	v_fmac_f64_e32 v[118:119], v[122:123], v[124:125]
	ds_read2_b64 v[122:125], v120 offset0:103 offset1:104
	s_waitcnt vmcnt(0) lgkmcnt(0)
	v_fmac_f64_e32 v[118:119], v[126:127], v[122:123]
	buffer_load_dword v123, off, s[0:3], 0 offset:372
	buffer_load_dword v122, off, s[0:3], 0 offset:368
	buffer_load_dword v127, off, s[0:3], 0 offset:380
	buffer_load_dword v126, off, s[0:3], 0 offset:376
	s_waitcnt vmcnt(2)
	v_fmac_f64_e32 v[118:119], v[122:123], v[124:125]
	ds_read2_b64 v[122:125], v120 offset0:105 offset1:106
	s_waitcnt vmcnt(0) lgkmcnt(0)
	v_fmac_f64_e32 v[118:119], v[126:127], v[122:123]
	;; [unrolled: 9-line block ×5, first 2 shown]
	buffer_load_dword v123, off, s[0:3], 0 offset:436
	buffer_load_dword v122, off, s[0:3], 0 offset:432
	s_waitcnt vmcnt(0)
	v_fmac_f64_e32 v[118:119], v[122:123], v[124:125]
	buffer_load_dword v125, off, s[0:3], 0 offset:444
	buffer_load_dword v124, off, s[0:3], 0 offset:440
	ds_read2_b64 v[120:123], v120 offset0:113 offset1:114
	s_waitcnt vmcnt(0) lgkmcnt(0)
	v_fmac_f64_e32 v[118:119], v[124:125], v[120:121]
	buffer_load_dword v121, off, s[0:3], 0 offset:452
	buffer_load_dword v120, off, s[0:3], 0 offset:448
	s_waitcnt vmcnt(0)
	v_fmac_f64_e32 v[118:119], v[120:121], v[122:123]
	v_add_f64 v[116:117], v[116:117], -v[118:119]
	buffer_store_dword v117, off, s[0:3], 0 offset:292
	buffer_store_dword v116, off, s[0:3], 0 offset:288
	s_and_saveexec_b64 s[4:5], vcc
	s_cbranch_execz .LBB120_279
; %bb.278:
	buffer_load_dword v116, off, s[0:3], 0 offset:280
	buffer_load_dword v117, off, s[0:3], 0 offset:284
	v_mov_b32_e32 v118, 0
	buffer_store_dword v118, off, s[0:3], 0 offset:280
	buffer_store_dword v118, off, s[0:3], 0 offset:284
	s_waitcnt vmcnt(2)
	ds_write_b64 v1, v[116:117]
.LBB120_279:
	s_or_b64 exec, exec, s[4:5]
	s_waitcnt lgkmcnt(0)
	; wave barrier
	s_waitcnt lgkmcnt(0)
	buffer_load_dword v116, off, s[0:3], 0 offset:280
	buffer_load_dword v117, off, s[0:3], 0 offset:284
	;; [unrolled: 1-line block ×16, first 2 shown]
	v_mov_b32_e32 v120, 0
	ds_read_b128 v[122:125], v120 offset:752
	ds_read_b128 v[126:129], v120 offset:768
	;; [unrolled: 1-line block ×4, first 2 shown]
	v_cmp_lt_u32_e32 vcc, 34, v0
	s_waitcnt vmcnt(12) lgkmcnt(3)
	v_fma_f64 v[118:119], v[118:119], v[122:123], 0
	buffer_load_dword v123, off, s[0:3], 0 offset:348
	buffer_load_dword v122, off, s[0:3], 0 offset:344
	s_waitcnt vmcnt(12)
	v_fmac_f64_e32 v[118:119], v[138:139], v[124:125]
	s_waitcnt vmcnt(10) lgkmcnt(2)
	v_fmac_f64_e32 v[118:119], v[140:141], v[126:127]
	buffer_load_dword v127, off, s[0:3], 0 offset:356
	buffer_load_dword v126, off, s[0:3], 0 offset:352
	s_waitcnt vmcnt(10)
	v_fmac_f64_e32 v[118:119], v[142:143], v[128:129]
	s_waitcnt vmcnt(8) lgkmcnt(1)
	v_fmac_f64_e32 v[118:119], v[144:145], v[130:131]
	s_waitcnt vmcnt(6)
	v_fmac_f64_e32 v[118:119], v[146:147], v[132:133]
	s_waitcnt vmcnt(4) lgkmcnt(0)
	v_fmac_f64_e32 v[118:119], v[148:149], v[134:135]
	s_waitcnt vmcnt(2)
	v_fmac_f64_e32 v[118:119], v[122:123], v[136:137]
	ds_read_b128 v[122:125], v120 offset:816
	s_waitcnt vmcnt(0) lgkmcnt(0)
	v_fmac_f64_e32 v[118:119], v[126:127], v[122:123]
	buffer_load_dword v123, off, s[0:3], 0 offset:364
	buffer_load_dword v122, off, s[0:3], 0 offset:360
	buffer_load_dword v127, off, s[0:3], 0 offset:372
	buffer_load_dword v126, off, s[0:3], 0 offset:368
	s_waitcnt vmcnt(2)
	v_fmac_f64_e32 v[118:119], v[122:123], v[124:125]
	ds_read_b128 v[122:125], v120 offset:832
	s_waitcnt vmcnt(0) lgkmcnt(0)
	v_fmac_f64_e32 v[118:119], v[126:127], v[122:123]
	buffer_load_dword v123, off, s[0:3], 0 offset:380
	buffer_load_dword v122, off, s[0:3], 0 offset:376
	buffer_load_dword v127, off, s[0:3], 0 offset:388
	buffer_load_dword v126, off, s[0:3], 0 offset:384
	;; [unrolled: 9-line block ×5, first 2 shown]
	s_waitcnt vmcnt(2)
	v_fmac_f64_e32 v[118:119], v[122:123], v[124:125]
	ds_read_b128 v[122:125], v120 offset:896
	s_waitcnt vmcnt(0) lgkmcnt(0)
	v_fmac_f64_e32 v[118:119], v[126:127], v[122:123]
	buffer_load_dword v123, off, s[0:3], 0 offset:444
	buffer_load_dword v122, off, s[0:3], 0 offset:440
	s_waitcnt vmcnt(0)
	v_fmac_f64_e32 v[118:119], v[122:123], v[124:125]
	buffer_load_dword v123, off, s[0:3], 0 offset:452
	buffer_load_dword v122, off, s[0:3], 0 offset:448
	ds_read_b64 v[124:125], v120 offset:912
	s_waitcnt vmcnt(0) lgkmcnt(0)
	v_fmac_f64_e32 v[118:119], v[122:123], v[124:125]
	v_add_f64 v[116:117], v[116:117], -v[118:119]
	buffer_store_dword v117, off, s[0:3], 0 offset:284
	buffer_store_dword v116, off, s[0:3], 0 offset:280
	s_and_saveexec_b64 s[4:5], vcc
	s_cbranch_execz .LBB120_281
; %bb.280:
	buffer_load_dword v116, off, s[0:3], 0 offset:272
	buffer_load_dword v117, off, s[0:3], 0 offset:276
	s_waitcnt vmcnt(0)
	ds_write_b64 v1, v[116:117]
	buffer_store_dword v120, off, s[0:3], 0 offset:272
	buffer_store_dword v120, off, s[0:3], 0 offset:276
.LBB120_281:
	s_or_b64 exec, exec, s[4:5]
	s_waitcnt lgkmcnt(0)
	; wave barrier
	s_waitcnt lgkmcnt(0)
	buffer_load_dword v116, off, s[0:3], 0 offset:272
	buffer_load_dword v117, off, s[0:3], 0 offset:276
	;; [unrolled: 1-line block ×16, first 2 shown]
	ds_read2_b64 v[122:125], v120 offset0:93 offset1:94
	v_cmp_lt_u32_e32 vcc, 33, v0
	s_waitcnt vmcnt(12) lgkmcnt(0)
	v_fma_f64 v[118:119], v[118:119], v[122:123], 0
	s_waitcnt vmcnt(10)
	v_fmac_f64_e32 v[118:119], v[126:127], v[124:125]
	ds_read2_b64 v[122:125], v120 offset0:95 offset1:96
	s_waitcnt vmcnt(8) lgkmcnt(0)
	v_fmac_f64_e32 v[118:119], v[128:129], v[122:123]
	s_waitcnt vmcnt(6)
	v_fmac_f64_e32 v[118:119], v[130:131], v[124:125]
	ds_read2_b64 v[122:125], v120 offset0:97 offset1:98
	s_waitcnt vmcnt(4) lgkmcnt(0)
	v_fmac_f64_e32 v[118:119], v[132:133], v[122:123]
	;; [unrolled: 5-line block ×3, first 2 shown]
	buffer_load_dword v123, off, s[0:3], 0 offset:340
	buffer_load_dword v122, off, s[0:3], 0 offset:336
	buffer_load_dword v127, off, s[0:3], 0 offset:348
	buffer_load_dword v126, off, s[0:3], 0 offset:344
	s_waitcnt vmcnt(2)
	v_fmac_f64_e32 v[118:119], v[122:123], v[124:125]
	ds_read2_b64 v[122:125], v120 offset0:101 offset1:102
	s_waitcnt vmcnt(0) lgkmcnt(0)
	v_fmac_f64_e32 v[118:119], v[126:127], v[122:123]
	buffer_load_dword v123, off, s[0:3], 0 offset:356
	buffer_load_dword v122, off, s[0:3], 0 offset:352
	buffer_load_dword v127, off, s[0:3], 0 offset:364
	buffer_load_dword v126, off, s[0:3], 0 offset:360
	s_waitcnt vmcnt(2)
	v_fmac_f64_e32 v[118:119], v[122:123], v[124:125]
	ds_read2_b64 v[122:125], v120 offset0:103 offset1:104
	s_waitcnt vmcnt(0) lgkmcnt(0)
	v_fmac_f64_e32 v[118:119], v[126:127], v[122:123]
	;; [unrolled: 9-line block ×6, first 2 shown]
	buffer_load_dword v123, off, s[0:3], 0 offset:436
	buffer_load_dword v122, off, s[0:3], 0 offset:432
	s_waitcnt vmcnt(0)
	v_fmac_f64_e32 v[118:119], v[122:123], v[124:125]
	buffer_load_dword v125, off, s[0:3], 0 offset:444
	buffer_load_dword v124, off, s[0:3], 0 offset:440
	ds_read2_b64 v[120:123], v120 offset0:113 offset1:114
	s_waitcnt vmcnt(0) lgkmcnt(0)
	v_fmac_f64_e32 v[118:119], v[124:125], v[120:121]
	buffer_load_dword v121, off, s[0:3], 0 offset:452
	buffer_load_dword v120, off, s[0:3], 0 offset:448
	s_waitcnt vmcnt(0)
	v_fmac_f64_e32 v[118:119], v[120:121], v[122:123]
	v_add_f64 v[116:117], v[116:117], -v[118:119]
	buffer_store_dword v117, off, s[0:3], 0 offset:276
	buffer_store_dword v116, off, s[0:3], 0 offset:272
	s_and_saveexec_b64 s[4:5], vcc
	s_cbranch_execz .LBB120_283
; %bb.282:
	buffer_load_dword v116, off, s[0:3], 0 offset:264
	buffer_load_dword v117, off, s[0:3], 0 offset:268
	v_mov_b32_e32 v118, 0
	buffer_store_dword v118, off, s[0:3], 0 offset:264
	buffer_store_dword v118, off, s[0:3], 0 offset:268
	s_waitcnt vmcnt(2)
	ds_write_b64 v1, v[116:117]
.LBB120_283:
	s_or_b64 exec, exec, s[4:5]
	s_waitcnt lgkmcnt(0)
	; wave barrier
	s_waitcnt lgkmcnt(0)
	buffer_load_dword v116, off, s[0:3], 0 offset:264
	buffer_load_dword v117, off, s[0:3], 0 offset:268
	;; [unrolled: 1-line block ×16, first 2 shown]
	v_mov_b32_e32 v120, 0
	ds_read_b128 v[122:125], v120 offset:736
	ds_read_b128 v[126:129], v120 offset:752
	;; [unrolled: 1-line block ×4, first 2 shown]
	v_cmp_lt_u32_e32 vcc, 32, v0
	s_waitcnt vmcnt(12) lgkmcnt(3)
	v_fma_f64 v[118:119], v[118:119], v[122:123], 0
	buffer_load_dword v123, off, s[0:3], 0 offset:332
	buffer_load_dword v122, off, s[0:3], 0 offset:328
	s_waitcnt vmcnt(12)
	v_fmac_f64_e32 v[118:119], v[138:139], v[124:125]
	s_waitcnt vmcnt(10) lgkmcnt(2)
	v_fmac_f64_e32 v[118:119], v[140:141], v[126:127]
	buffer_load_dword v127, off, s[0:3], 0 offset:340
	buffer_load_dword v126, off, s[0:3], 0 offset:336
	s_waitcnt vmcnt(10)
	v_fmac_f64_e32 v[118:119], v[142:143], v[128:129]
	s_waitcnt vmcnt(8) lgkmcnt(1)
	v_fmac_f64_e32 v[118:119], v[144:145], v[130:131]
	s_waitcnt vmcnt(6)
	v_fmac_f64_e32 v[118:119], v[146:147], v[132:133]
	s_waitcnt vmcnt(4) lgkmcnt(0)
	v_fmac_f64_e32 v[118:119], v[148:149], v[134:135]
	s_waitcnt vmcnt(2)
	v_fmac_f64_e32 v[118:119], v[122:123], v[136:137]
	ds_read_b128 v[122:125], v120 offset:800
	s_waitcnt vmcnt(0) lgkmcnt(0)
	v_fmac_f64_e32 v[118:119], v[126:127], v[122:123]
	buffer_load_dword v123, off, s[0:3], 0 offset:348
	buffer_load_dword v122, off, s[0:3], 0 offset:344
	buffer_load_dword v127, off, s[0:3], 0 offset:356
	buffer_load_dword v126, off, s[0:3], 0 offset:352
	s_waitcnt vmcnt(2)
	v_fmac_f64_e32 v[118:119], v[122:123], v[124:125]
	ds_read_b128 v[122:125], v120 offset:816
	s_waitcnt vmcnt(0) lgkmcnt(0)
	v_fmac_f64_e32 v[118:119], v[126:127], v[122:123]
	buffer_load_dword v123, off, s[0:3], 0 offset:364
	buffer_load_dword v122, off, s[0:3], 0 offset:360
	buffer_load_dword v127, off, s[0:3], 0 offset:372
	buffer_load_dword v126, off, s[0:3], 0 offset:368
	;; [unrolled: 9-line block ×6, first 2 shown]
	s_waitcnt vmcnt(2)
	v_fmac_f64_e32 v[118:119], v[122:123], v[124:125]
	ds_read_b128 v[122:125], v120 offset:896
	s_waitcnt vmcnt(0) lgkmcnt(0)
	v_fmac_f64_e32 v[118:119], v[126:127], v[122:123]
	buffer_load_dword v123, off, s[0:3], 0 offset:444
	buffer_load_dword v122, off, s[0:3], 0 offset:440
	s_waitcnt vmcnt(0)
	v_fmac_f64_e32 v[118:119], v[122:123], v[124:125]
	buffer_load_dword v123, off, s[0:3], 0 offset:452
	buffer_load_dword v122, off, s[0:3], 0 offset:448
	ds_read_b64 v[124:125], v120 offset:912
	s_waitcnt vmcnt(0) lgkmcnt(0)
	v_fmac_f64_e32 v[118:119], v[122:123], v[124:125]
	v_add_f64 v[116:117], v[116:117], -v[118:119]
	buffer_store_dword v117, off, s[0:3], 0 offset:268
	buffer_store_dword v116, off, s[0:3], 0 offset:264
	s_and_saveexec_b64 s[4:5], vcc
	s_cbranch_execz .LBB120_285
; %bb.284:
	buffer_load_dword v116, off, s[0:3], 0 offset:256
	buffer_load_dword v117, off, s[0:3], 0 offset:260
	s_waitcnt vmcnt(0)
	ds_write_b64 v1, v[116:117]
	buffer_store_dword v120, off, s[0:3], 0 offset:256
	buffer_store_dword v120, off, s[0:3], 0 offset:260
.LBB120_285:
	s_or_b64 exec, exec, s[4:5]
	s_waitcnt lgkmcnt(0)
	; wave barrier
	s_waitcnt lgkmcnt(0)
	buffer_load_dword v116, off, s[0:3], 0 offset:256
	buffer_load_dword v117, off, s[0:3], 0 offset:260
	;; [unrolled: 1-line block ×16, first 2 shown]
	ds_read2_b64 v[122:125], v120 offset0:91 offset1:92
	v_cmp_lt_u32_e32 vcc, 31, v0
	s_waitcnt vmcnt(12) lgkmcnt(0)
	v_fma_f64 v[118:119], v[118:119], v[122:123], 0
	s_waitcnt vmcnt(10)
	v_fmac_f64_e32 v[118:119], v[126:127], v[124:125]
	ds_read2_b64 v[122:125], v120 offset0:93 offset1:94
	s_waitcnt vmcnt(8) lgkmcnt(0)
	v_fmac_f64_e32 v[118:119], v[128:129], v[122:123]
	s_waitcnt vmcnt(6)
	v_fmac_f64_e32 v[118:119], v[130:131], v[124:125]
	ds_read2_b64 v[122:125], v120 offset0:95 offset1:96
	s_waitcnt vmcnt(4) lgkmcnt(0)
	v_fmac_f64_e32 v[118:119], v[132:133], v[122:123]
	;; [unrolled: 5-line block ×3, first 2 shown]
	buffer_load_dword v123, off, s[0:3], 0 offset:324
	buffer_load_dword v122, off, s[0:3], 0 offset:320
	buffer_load_dword v127, off, s[0:3], 0 offset:332
	buffer_load_dword v126, off, s[0:3], 0 offset:328
	s_waitcnt vmcnt(2)
	v_fmac_f64_e32 v[118:119], v[122:123], v[124:125]
	ds_read2_b64 v[122:125], v120 offset0:99 offset1:100
	s_waitcnt vmcnt(0) lgkmcnt(0)
	v_fmac_f64_e32 v[118:119], v[126:127], v[122:123]
	buffer_load_dword v123, off, s[0:3], 0 offset:340
	buffer_load_dword v122, off, s[0:3], 0 offset:336
	buffer_load_dword v127, off, s[0:3], 0 offset:348
	buffer_load_dword v126, off, s[0:3], 0 offset:344
	s_waitcnt vmcnt(2)
	v_fmac_f64_e32 v[118:119], v[122:123], v[124:125]
	ds_read2_b64 v[122:125], v120 offset0:101 offset1:102
	s_waitcnt vmcnt(0) lgkmcnt(0)
	v_fmac_f64_e32 v[118:119], v[126:127], v[122:123]
	;; [unrolled: 9-line block ×7, first 2 shown]
	buffer_load_dword v123, off, s[0:3], 0 offset:436
	buffer_load_dword v122, off, s[0:3], 0 offset:432
	s_waitcnt vmcnt(0)
	v_fmac_f64_e32 v[118:119], v[122:123], v[124:125]
	buffer_load_dword v125, off, s[0:3], 0 offset:444
	buffer_load_dword v124, off, s[0:3], 0 offset:440
	ds_read2_b64 v[120:123], v120 offset0:113 offset1:114
	s_waitcnt vmcnt(0) lgkmcnt(0)
	v_fmac_f64_e32 v[118:119], v[124:125], v[120:121]
	buffer_load_dword v121, off, s[0:3], 0 offset:452
	buffer_load_dword v120, off, s[0:3], 0 offset:448
	s_waitcnt vmcnt(0)
	v_fmac_f64_e32 v[118:119], v[120:121], v[122:123]
	v_add_f64 v[116:117], v[116:117], -v[118:119]
	buffer_store_dword v117, off, s[0:3], 0 offset:260
	buffer_store_dword v116, off, s[0:3], 0 offset:256
	s_and_saveexec_b64 s[4:5], vcc
	s_cbranch_execz .LBB120_287
; %bb.286:
	buffer_load_dword v116, off, s[0:3], 0 offset:248
	buffer_load_dword v117, off, s[0:3], 0 offset:252
	v_mov_b32_e32 v118, 0
	buffer_store_dword v118, off, s[0:3], 0 offset:248
	buffer_store_dword v118, off, s[0:3], 0 offset:252
	s_waitcnt vmcnt(2)
	ds_write_b64 v1, v[116:117]
.LBB120_287:
	s_or_b64 exec, exec, s[4:5]
	s_waitcnt lgkmcnt(0)
	; wave barrier
	s_waitcnt lgkmcnt(0)
	buffer_load_dword v116, off, s[0:3], 0 offset:248
	buffer_load_dword v117, off, s[0:3], 0 offset:252
	;; [unrolled: 1-line block ×16, first 2 shown]
	v_mov_b32_e32 v120, 0
	ds_read_b128 v[122:125], v120 offset:720
	ds_read_b128 v[126:129], v120 offset:736
	;; [unrolled: 1-line block ×4, first 2 shown]
	v_cmp_lt_u32_e32 vcc, 30, v0
	s_waitcnt vmcnt(12) lgkmcnt(3)
	v_fma_f64 v[118:119], v[118:119], v[122:123], 0
	buffer_load_dword v123, off, s[0:3], 0 offset:316
	buffer_load_dword v122, off, s[0:3], 0 offset:312
	s_waitcnt vmcnt(12)
	v_fmac_f64_e32 v[118:119], v[138:139], v[124:125]
	s_waitcnt vmcnt(10) lgkmcnt(2)
	v_fmac_f64_e32 v[118:119], v[140:141], v[126:127]
	buffer_load_dword v127, off, s[0:3], 0 offset:324
	buffer_load_dword v126, off, s[0:3], 0 offset:320
	s_waitcnt vmcnt(10)
	v_fmac_f64_e32 v[118:119], v[142:143], v[128:129]
	s_waitcnt vmcnt(8) lgkmcnt(1)
	v_fmac_f64_e32 v[118:119], v[144:145], v[130:131]
	s_waitcnt vmcnt(6)
	v_fmac_f64_e32 v[118:119], v[146:147], v[132:133]
	s_waitcnt vmcnt(4) lgkmcnt(0)
	v_fmac_f64_e32 v[118:119], v[148:149], v[134:135]
	s_waitcnt vmcnt(2)
	v_fmac_f64_e32 v[118:119], v[122:123], v[136:137]
	ds_read_b128 v[122:125], v120 offset:784
	s_waitcnt vmcnt(0) lgkmcnt(0)
	v_fmac_f64_e32 v[118:119], v[126:127], v[122:123]
	buffer_load_dword v123, off, s[0:3], 0 offset:332
	buffer_load_dword v122, off, s[0:3], 0 offset:328
	buffer_load_dword v127, off, s[0:3], 0 offset:340
	buffer_load_dword v126, off, s[0:3], 0 offset:336
	s_waitcnt vmcnt(2)
	v_fmac_f64_e32 v[118:119], v[122:123], v[124:125]
	ds_read_b128 v[122:125], v120 offset:800
	s_waitcnt vmcnt(0) lgkmcnt(0)
	v_fmac_f64_e32 v[118:119], v[126:127], v[122:123]
	buffer_load_dword v123, off, s[0:3], 0 offset:348
	buffer_load_dword v122, off, s[0:3], 0 offset:344
	buffer_load_dword v127, off, s[0:3], 0 offset:356
	buffer_load_dword v126, off, s[0:3], 0 offset:352
	;; [unrolled: 9-line block ×7, first 2 shown]
	s_waitcnt vmcnt(2)
	v_fmac_f64_e32 v[118:119], v[122:123], v[124:125]
	ds_read_b128 v[122:125], v120 offset:896
	s_waitcnt vmcnt(0) lgkmcnt(0)
	v_fmac_f64_e32 v[118:119], v[126:127], v[122:123]
	buffer_load_dword v123, off, s[0:3], 0 offset:444
	buffer_load_dword v122, off, s[0:3], 0 offset:440
	s_waitcnt vmcnt(0)
	v_fmac_f64_e32 v[118:119], v[122:123], v[124:125]
	buffer_load_dword v123, off, s[0:3], 0 offset:452
	buffer_load_dword v122, off, s[0:3], 0 offset:448
	ds_read_b64 v[124:125], v120 offset:912
	s_waitcnt vmcnt(0) lgkmcnt(0)
	v_fmac_f64_e32 v[118:119], v[122:123], v[124:125]
	v_add_f64 v[116:117], v[116:117], -v[118:119]
	buffer_store_dword v117, off, s[0:3], 0 offset:252
	buffer_store_dword v116, off, s[0:3], 0 offset:248
	s_and_saveexec_b64 s[4:5], vcc
	s_cbranch_execz .LBB120_289
; %bb.288:
	buffer_load_dword v116, off, s[0:3], 0 offset:240
	buffer_load_dword v117, off, s[0:3], 0 offset:244
	s_waitcnt vmcnt(0)
	ds_write_b64 v1, v[116:117]
	buffer_store_dword v120, off, s[0:3], 0 offset:240
	buffer_store_dword v120, off, s[0:3], 0 offset:244
.LBB120_289:
	s_or_b64 exec, exec, s[4:5]
	s_waitcnt lgkmcnt(0)
	; wave barrier
	s_waitcnt lgkmcnt(0)
	buffer_load_dword v116, off, s[0:3], 0 offset:240
	buffer_load_dword v117, off, s[0:3], 0 offset:244
	;; [unrolled: 1-line block ×16, first 2 shown]
	ds_read2_b64 v[122:125], v120 offset0:89 offset1:90
	v_cmp_lt_u32_e32 vcc, 29, v0
	s_waitcnt vmcnt(12) lgkmcnt(0)
	v_fma_f64 v[118:119], v[118:119], v[122:123], 0
	s_waitcnt vmcnt(10)
	v_fmac_f64_e32 v[118:119], v[126:127], v[124:125]
	ds_read2_b64 v[122:125], v120 offset0:91 offset1:92
	s_waitcnt vmcnt(8) lgkmcnt(0)
	v_fmac_f64_e32 v[118:119], v[128:129], v[122:123]
	s_waitcnt vmcnt(6)
	v_fmac_f64_e32 v[118:119], v[130:131], v[124:125]
	ds_read2_b64 v[122:125], v120 offset0:93 offset1:94
	s_waitcnt vmcnt(4) lgkmcnt(0)
	v_fmac_f64_e32 v[118:119], v[132:133], v[122:123]
	;; [unrolled: 5-line block ×3, first 2 shown]
	buffer_load_dword v123, off, s[0:3], 0 offset:308
	buffer_load_dword v122, off, s[0:3], 0 offset:304
	buffer_load_dword v127, off, s[0:3], 0 offset:316
	buffer_load_dword v126, off, s[0:3], 0 offset:312
	s_waitcnt vmcnt(2)
	v_fmac_f64_e32 v[118:119], v[122:123], v[124:125]
	ds_read2_b64 v[122:125], v120 offset0:97 offset1:98
	s_waitcnt vmcnt(0) lgkmcnt(0)
	v_fmac_f64_e32 v[118:119], v[126:127], v[122:123]
	buffer_load_dword v123, off, s[0:3], 0 offset:324
	buffer_load_dword v122, off, s[0:3], 0 offset:320
	buffer_load_dword v127, off, s[0:3], 0 offset:332
	buffer_load_dword v126, off, s[0:3], 0 offset:328
	s_waitcnt vmcnt(2)
	v_fmac_f64_e32 v[118:119], v[122:123], v[124:125]
	ds_read2_b64 v[122:125], v120 offset0:99 offset1:100
	s_waitcnt vmcnt(0) lgkmcnt(0)
	v_fmac_f64_e32 v[118:119], v[126:127], v[122:123]
	;; [unrolled: 9-line block ×8, first 2 shown]
	buffer_load_dword v123, off, s[0:3], 0 offset:436
	buffer_load_dword v122, off, s[0:3], 0 offset:432
	s_waitcnt vmcnt(0)
	v_fmac_f64_e32 v[118:119], v[122:123], v[124:125]
	buffer_load_dword v125, off, s[0:3], 0 offset:444
	buffer_load_dword v124, off, s[0:3], 0 offset:440
	ds_read2_b64 v[120:123], v120 offset0:113 offset1:114
	s_waitcnt vmcnt(0) lgkmcnt(0)
	v_fmac_f64_e32 v[118:119], v[124:125], v[120:121]
	buffer_load_dword v121, off, s[0:3], 0 offset:452
	buffer_load_dword v120, off, s[0:3], 0 offset:448
	s_waitcnt vmcnt(0)
	v_fmac_f64_e32 v[118:119], v[120:121], v[122:123]
	v_add_f64 v[116:117], v[116:117], -v[118:119]
	buffer_store_dword v117, off, s[0:3], 0 offset:244
	buffer_store_dword v116, off, s[0:3], 0 offset:240
	s_and_saveexec_b64 s[4:5], vcc
	s_cbranch_execz .LBB120_291
; %bb.290:
	buffer_load_dword v116, off, s[0:3], 0 offset:232
	buffer_load_dword v117, off, s[0:3], 0 offset:236
	v_mov_b32_e32 v118, 0
	buffer_store_dword v118, off, s[0:3], 0 offset:232
	buffer_store_dword v118, off, s[0:3], 0 offset:236
	s_waitcnt vmcnt(2)
	ds_write_b64 v1, v[116:117]
.LBB120_291:
	s_or_b64 exec, exec, s[4:5]
	s_waitcnt lgkmcnt(0)
	; wave barrier
	s_waitcnt lgkmcnt(0)
	buffer_load_dword v116, off, s[0:3], 0 offset:232
	buffer_load_dword v117, off, s[0:3], 0 offset:236
	;; [unrolled: 1-line block ×16, first 2 shown]
	v_mov_b32_e32 v120, 0
	ds_read_b128 v[122:125], v120 offset:704
	ds_read_b128 v[126:129], v120 offset:720
	;; [unrolled: 1-line block ×4, first 2 shown]
	v_cmp_lt_u32_e32 vcc, 28, v0
	s_waitcnt vmcnt(12) lgkmcnt(3)
	v_fma_f64 v[118:119], v[118:119], v[122:123], 0
	buffer_load_dword v123, off, s[0:3], 0 offset:300
	buffer_load_dword v122, off, s[0:3], 0 offset:296
	s_waitcnt vmcnt(12)
	v_fmac_f64_e32 v[118:119], v[138:139], v[124:125]
	s_waitcnt vmcnt(10) lgkmcnt(2)
	v_fmac_f64_e32 v[118:119], v[140:141], v[126:127]
	buffer_load_dword v127, off, s[0:3], 0 offset:308
	buffer_load_dword v126, off, s[0:3], 0 offset:304
	s_waitcnt vmcnt(10)
	v_fmac_f64_e32 v[118:119], v[142:143], v[128:129]
	s_waitcnt vmcnt(8) lgkmcnt(1)
	v_fmac_f64_e32 v[118:119], v[144:145], v[130:131]
	s_waitcnt vmcnt(6)
	v_fmac_f64_e32 v[118:119], v[146:147], v[132:133]
	s_waitcnt vmcnt(4) lgkmcnt(0)
	v_fmac_f64_e32 v[118:119], v[148:149], v[134:135]
	s_waitcnt vmcnt(2)
	v_fmac_f64_e32 v[118:119], v[122:123], v[136:137]
	ds_read_b128 v[122:125], v120 offset:768
	s_waitcnt vmcnt(0) lgkmcnt(0)
	v_fmac_f64_e32 v[118:119], v[126:127], v[122:123]
	buffer_load_dword v123, off, s[0:3], 0 offset:316
	buffer_load_dword v122, off, s[0:3], 0 offset:312
	buffer_load_dword v127, off, s[0:3], 0 offset:324
	buffer_load_dword v126, off, s[0:3], 0 offset:320
	s_waitcnt vmcnt(2)
	v_fmac_f64_e32 v[118:119], v[122:123], v[124:125]
	ds_read_b128 v[122:125], v120 offset:784
	s_waitcnt vmcnt(0) lgkmcnt(0)
	v_fmac_f64_e32 v[118:119], v[126:127], v[122:123]
	buffer_load_dword v123, off, s[0:3], 0 offset:332
	buffer_load_dword v122, off, s[0:3], 0 offset:328
	buffer_load_dword v127, off, s[0:3], 0 offset:340
	buffer_load_dword v126, off, s[0:3], 0 offset:336
	;; [unrolled: 9-line block ×8, first 2 shown]
	s_waitcnt vmcnt(2)
	v_fmac_f64_e32 v[118:119], v[122:123], v[124:125]
	ds_read_b128 v[122:125], v120 offset:896
	s_waitcnt vmcnt(0) lgkmcnt(0)
	v_fmac_f64_e32 v[118:119], v[126:127], v[122:123]
	buffer_load_dword v123, off, s[0:3], 0 offset:444
	buffer_load_dword v122, off, s[0:3], 0 offset:440
	s_waitcnt vmcnt(0)
	v_fmac_f64_e32 v[118:119], v[122:123], v[124:125]
	buffer_load_dword v123, off, s[0:3], 0 offset:452
	buffer_load_dword v122, off, s[0:3], 0 offset:448
	ds_read_b64 v[124:125], v120 offset:912
	s_waitcnt vmcnt(0) lgkmcnt(0)
	v_fmac_f64_e32 v[118:119], v[122:123], v[124:125]
	v_add_f64 v[116:117], v[116:117], -v[118:119]
	buffer_store_dword v117, off, s[0:3], 0 offset:236
	buffer_store_dword v116, off, s[0:3], 0 offset:232
	s_and_saveexec_b64 s[4:5], vcc
	s_cbranch_execz .LBB120_293
; %bb.292:
	buffer_load_dword v116, off, s[0:3], 0 offset:224
	buffer_load_dword v117, off, s[0:3], 0 offset:228
	s_waitcnt vmcnt(0)
	ds_write_b64 v1, v[116:117]
	buffer_store_dword v120, off, s[0:3], 0 offset:224
	buffer_store_dword v120, off, s[0:3], 0 offset:228
.LBB120_293:
	s_or_b64 exec, exec, s[4:5]
	s_waitcnt lgkmcnt(0)
	; wave barrier
	s_waitcnt lgkmcnt(0)
	buffer_load_dword v116, off, s[0:3], 0 offset:224
	buffer_load_dword v117, off, s[0:3], 0 offset:228
	;; [unrolled: 1-line block ×16, first 2 shown]
	ds_read2_b64 v[122:125], v120 offset0:87 offset1:88
	v_cmp_lt_u32_e32 vcc, 27, v0
	s_waitcnt vmcnt(12) lgkmcnt(0)
	v_fma_f64 v[118:119], v[118:119], v[122:123], 0
	s_waitcnt vmcnt(10)
	v_fmac_f64_e32 v[118:119], v[126:127], v[124:125]
	ds_read2_b64 v[122:125], v120 offset0:89 offset1:90
	s_waitcnt vmcnt(8) lgkmcnt(0)
	v_fmac_f64_e32 v[118:119], v[128:129], v[122:123]
	s_waitcnt vmcnt(6)
	v_fmac_f64_e32 v[118:119], v[130:131], v[124:125]
	ds_read2_b64 v[122:125], v120 offset0:91 offset1:92
	s_waitcnt vmcnt(4) lgkmcnt(0)
	v_fmac_f64_e32 v[118:119], v[132:133], v[122:123]
	;; [unrolled: 5-line block ×3, first 2 shown]
	buffer_load_dword v123, off, s[0:3], 0 offset:292
	buffer_load_dword v122, off, s[0:3], 0 offset:288
	buffer_load_dword v127, off, s[0:3], 0 offset:300
	buffer_load_dword v126, off, s[0:3], 0 offset:296
	s_waitcnt vmcnt(2)
	v_fmac_f64_e32 v[118:119], v[122:123], v[124:125]
	ds_read2_b64 v[122:125], v120 offset0:95 offset1:96
	s_waitcnt vmcnt(0) lgkmcnt(0)
	v_fmac_f64_e32 v[118:119], v[126:127], v[122:123]
	buffer_load_dword v123, off, s[0:3], 0 offset:308
	buffer_load_dword v122, off, s[0:3], 0 offset:304
	buffer_load_dword v127, off, s[0:3], 0 offset:316
	buffer_load_dword v126, off, s[0:3], 0 offset:312
	s_waitcnt vmcnt(2)
	v_fmac_f64_e32 v[118:119], v[122:123], v[124:125]
	ds_read2_b64 v[122:125], v120 offset0:97 offset1:98
	s_waitcnt vmcnt(0) lgkmcnt(0)
	v_fmac_f64_e32 v[118:119], v[126:127], v[122:123]
	;; [unrolled: 9-line block ×9, first 2 shown]
	buffer_load_dword v123, off, s[0:3], 0 offset:436
	buffer_load_dword v122, off, s[0:3], 0 offset:432
	s_waitcnt vmcnt(0)
	v_fmac_f64_e32 v[118:119], v[122:123], v[124:125]
	buffer_load_dword v125, off, s[0:3], 0 offset:444
	buffer_load_dword v124, off, s[0:3], 0 offset:440
	ds_read2_b64 v[120:123], v120 offset0:113 offset1:114
	s_waitcnt vmcnt(0) lgkmcnt(0)
	v_fmac_f64_e32 v[118:119], v[124:125], v[120:121]
	buffer_load_dword v121, off, s[0:3], 0 offset:452
	buffer_load_dword v120, off, s[0:3], 0 offset:448
	s_waitcnt vmcnt(0)
	v_fmac_f64_e32 v[118:119], v[120:121], v[122:123]
	v_add_f64 v[116:117], v[116:117], -v[118:119]
	buffer_store_dword v117, off, s[0:3], 0 offset:228
	buffer_store_dword v116, off, s[0:3], 0 offset:224
	s_and_saveexec_b64 s[4:5], vcc
	s_cbranch_execz .LBB120_295
; %bb.294:
	buffer_load_dword v116, off, s[0:3], 0 offset:216
	buffer_load_dword v117, off, s[0:3], 0 offset:220
	v_mov_b32_e32 v118, 0
	buffer_store_dword v118, off, s[0:3], 0 offset:216
	buffer_store_dword v118, off, s[0:3], 0 offset:220
	s_waitcnt vmcnt(2)
	ds_write_b64 v1, v[116:117]
.LBB120_295:
	s_or_b64 exec, exec, s[4:5]
	s_waitcnt lgkmcnt(0)
	; wave barrier
	s_waitcnt lgkmcnt(0)
	buffer_load_dword v116, off, s[0:3], 0 offset:216
	buffer_load_dword v117, off, s[0:3], 0 offset:220
	;; [unrolled: 1-line block ×16, first 2 shown]
	v_mov_b32_e32 v120, 0
	ds_read_b128 v[122:125], v120 offset:688
	ds_read_b128 v[126:129], v120 offset:704
	;; [unrolled: 1-line block ×4, first 2 shown]
	v_cmp_lt_u32_e32 vcc, 26, v0
	s_waitcnt vmcnt(12) lgkmcnt(3)
	v_fma_f64 v[118:119], v[118:119], v[122:123], 0
	buffer_load_dword v123, off, s[0:3], 0 offset:284
	buffer_load_dword v122, off, s[0:3], 0 offset:280
	s_waitcnt vmcnt(12)
	v_fmac_f64_e32 v[118:119], v[138:139], v[124:125]
	s_waitcnt vmcnt(10) lgkmcnt(2)
	v_fmac_f64_e32 v[118:119], v[140:141], v[126:127]
	buffer_load_dword v127, off, s[0:3], 0 offset:292
	buffer_load_dword v126, off, s[0:3], 0 offset:288
	s_waitcnt vmcnt(10)
	v_fmac_f64_e32 v[118:119], v[142:143], v[128:129]
	s_waitcnt vmcnt(8) lgkmcnt(1)
	v_fmac_f64_e32 v[118:119], v[144:145], v[130:131]
	s_waitcnt vmcnt(6)
	v_fmac_f64_e32 v[118:119], v[146:147], v[132:133]
	s_waitcnt vmcnt(4) lgkmcnt(0)
	v_fmac_f64_e32 v[118:119], v[148:149], v[134:135]
	s_waitcnt vmcnt(2)
	v_fmac_f64_e32 v[118:119], v[122:123], v[136:137]
	ds_read_b128 v[122:125], v120 offset:752
	s_waitcnt vmcnt(0) lgkmcnt(0)
	v_fmac_f64_e32 v[118:119], v[126:127], v[122:123]
	buffer_load_dword v123, off, s[0:3], 0 offset:300
	buffer_load_dword v122, off, s[0:3], 0 offset:296
	buffer_load_dword v127, off, s[0:3], 0 offset:308
	buffer_load_dword v126, off, s[0:3], 0 offset:304
	s_waitcnt vmcnt(2)
	v_fmac_f64_e32 v[118:119], v[122:123], v[124:125]
	ds_read_b128 v[122:125], v120 offset:768
	s_waitcnt vmcnt(0) lgkmcnt(0)
	v_fmac_f64_e32 v[118:119], v[126:127], v[122:123]
	buffer_load_dword v123, off, s[0:3], 0 offset:316
	buffer_load_dword v122, off, s[0:3], 0 offset:312
	buffer_load_dword v127, off, s[0:3], 0 offset:324
	buffer_load_dword v126, off, s[0:3], 0 offset:320
	;; [unrolled: 9-line block ×9, first 2 shown]
	s_waitcnt vmcnt(2)
	v_fmac_f64_e32 v[118:119], v[122:123], v[124:125]
	ds_read_b128 v[122:125], v120 offset:896
	s_waitcnt vmcnt(0) lgkmcnt(0)
	v_fmac_f64_e32 v[118:119], v[126:127], v[122:123]
	buffer_load_dword v123, off, s[0:3], 0 offset:444
	buffer_load_dword v122, off, s[0:3], 0 offset:440
	s_waitcnt vmcnt(0)
	v_fmac_f64_e32 v[118:119], v[122:123], v[124:125]
	buffer_load_dword v123, off, s[0:3], 0 offset:452
	buffer_load_dword v122, off, s[0:3], 0 offset:448
	ds_read_b64 v[124:125], v120 offset:912
	s_waitcnt vmcnt(0) lgkmcnt(0)
	v_fmac_f64_e32 v[118:119], v[122:123], v[124:125]
	v_add_f64 v[116:117], v[116:117], -v[118:119]
	buffer_store_dword v117, off, s[0:3], 0 offset:220
	buffer_store_dword v116, off, s[0:3], 0 offset:216
	s_and_saveexec_b64 s[4:5], vcc
	s_cbranch_execz .LBB120_297
; %bb.296:
	buffer_load_dword v116, off, s[0:3], 0 offset:208
	buffer_load_dword v117, off, s[0:3], 0 offset:212
	s_waitcnt vmcnt(0)
	ds_write_b64 v1, v[116:117]
	buffer_store_dword v120, off, s[0:3], 0 offset:208
	buffer_store_dword v120, off, s[0:3], 0 offset:212
.LBB120_297:
	s_or_b64 exec, exec, s[4:5]
	s_waitcnt lgkmcnt(0)
	; wave barrier
	s_waitcnt lgkmcnt(0)
	buffer_load_dword v116, off, s[0:3], 0 offset:208
	buffer_load_dword v117, off, s[0:3], 0 offset:212
	;; [unrolled: 1-line block ×16, first 2 shown]
	ds_read2_b64 v[122:125], v120 offset0:85 offset1:86
	v_cmp_lt_u32_e32 vcc, 25, v0
	s_waitcnt vmcnt(12) lgkmcnt(0)
	v_fma_f64 v[118:119], v[118:119], v[122:123], 0
	s_waitcnt vmcnt(10)
	v_fmac_f64_e32 v[118:119], v[126:127], v[124:125]
	ds_read2_b64 v[122:125], v120 offset0:87 offset1:88
	s_waitcnt vmcnt(8) lgkmcnt(0)
	v_fmac_f64_e32 v[118:119], v[128:129], v[122:123]
	s_waitcnt vmcnt(6)
	v_fmac_f64_e32 v[118:119], v[130:131], v[124:125]
	ds_read2_b64 v[122:125], v120 offset0:89 offset1:90
	s_waitcnt vmcnt(4) lgkmcnt(0)
	v_fmac_f64_e32 v[118:119], v[132:133], v[122:123]
	;; [unrolled: 5-line block ×3, first 2 shown]
	buffer_load_dword v123, off, s[0:3], 0 offset:276
	buffer_load_dword v122, off, s[0:3], 0 offset:272
	buffer_load_dword v127, off, s[0:3], 0 offset:284
	buffer_load_dword v126, off, s[0:3], 0 offset:280
	s_waitcnt vmcnt(2)
	v_fmac_f64_e32 v[118:119], v[122:123], v[124:125]
	ds_read2_b64 v[122:125], v120 offset0:93 offset1:94
	s_waitcnt vmcnt(0) lgkmcnt(0)
	v_fmac_f64_e32 v[118:119], v[126:127], v[122:123]
	buffer_load_dword v123, off, s[0:3], 0 offset:292
	buffer_load_dword v122, off, s[0:3], 0 offset:288
	buffer_load_dword v127, off, s[0:3], 0 offset:300
	buffer_load_dword v126, off, s[0:3], 0 offset:296
	s_waitcnt vmcnt(2)
	v_fmac_f64_e32 v[118:119], v[122:123], v[124:125]
	ds_read2_b64 v[122:125], v120 offset0:95 offset1:96
	s_waitcnt vmcnt(0) lgkmcnt(0)
	v_fmac_f64_e32 v[118:119], v[126:127], v[122:123]
	;; [unrolled: 9-line block ×10, first 2 shown]
	buffer_load_dword v123, off, s[0:3], 0 offset:436
	buffer_load_dword v122, off, s[0:3], 0 offset:432
	s_waitcnt vmcnt(0)
	v_fmac_f64_e32 v[118:119], v[122:123], v[124:125]
	buffer_load_dword v125, off, s[0:3], 0 offset:444
	buffer_load_dword v124, off, s[0:3], 0 offset:440
	ds_read2_b64 v[120:123], v120 offset0:113 offset1:114
	s_waitcnt vmcnt(0) lgkmcnt(0)
	v_fmac_f64_e32 v[118:119], v[124:125], v[120:121]
	buffer_load_dword v121, off, s[0:3], 0 offset:452
	buffer_load_dword v120, off, s[0:3], 0 offset:448
	s_waitcnt vmcnt(0)
	v_fmac_f64_e32 v[118:119], v[120:121], v[122:123]
	v_add_f64 v[116:117], v[116:117], -v[118:119]
	buffer_store_dword v117, off, s[0:3], 0 offset:212
	buffer_store_dword v116, off, s[0:3], 0 offset:208
	s_and_saveexec_b64 s[4:5], vcc
	s_cbranch_execz .LBB120_299
; %bb.298:
	buffer_load_dword v116, off, s[0:3], 0 offset:200
	buffer_load_dword v117, off, s[0:3], 0 offset:204
	v_mov_b32_e32 v118, 0
	buffer_store_dword v118, off, s[0:3], 0 offset:200
	buffer_store_dword v118, off, s[0:3], 0 offset:204
	s_waitcnt vmcnt(2)
	ds_write_b64 v1, v[116:117]
.LBB120_299:
	s_or_b64 exec, exec, s[4:5]
	s_waitcnt lgkmcnt(0)
	; wave barrier
	s_waitcnt lgkmcnt(0)
	buffer_load_dword v116, off, s[0:3], 0 offset:200
	buffer_load_dword v117, off, s[0:3], 0 offset:204
	;; [unrolled: 1-line block ×16, first 2 shown]
	v_mov_b32_e32 v120, 0
	ds_read_b128 v[122:125], v120 offset:672
	ds_read_b128 v[126:129], v120 offset:688
	;; [unrolled: 1-line block ×4, first 2 shown]
	v_cmp_lt_u32_e32 vcc, 24, v0
	s_waitcnt vmcnt(12) lgkmcnt(3)
	v_fma_f64 v[118:119], v[118:119], v[122:123], 0
	buffer_load_dword v123, off, s[0:3], 0 offset:268
	buffer_load_dword v122, off, s[0:3], 0 offset:264
	s_waitcnt vmcnt(12)
	v_fmac_f64_e32 v[118:119], v[138:139], v[124:125]
	s_waitcnt vmcnt(10) lgkmcnt(2)
	v_fmac_f64_e32 v[118:119], v[140:141], v[126:127]
	buffer_load_dword v127, off, s[0:3], 0 offset:276
	buffer_load_dword v126, off, s[0:3], 0 offset:272
	s_waitcnt vmcnt(10)
	v_fmac_f64_e32 v[118:119], v[142:143], v[128:129]
	s_waitcnt vmcnt(8) lgkmcnt(1)
	v_fmac_f64_e32 v[118:119], v[144:145], v[130:131]
	s_waitcnt vmcnt(6)
	v_fmac_f64_e32 v[118:119], v[146:147], v[132:133]
	s_waitcnt vmcnt(4) lgkmcnt(0)
	v_fmac_f64_e32 v[118:119], v[148:149], v[134:135]
	s_waitcnt vmcnt(2)
	v_fmac_f64_e32 v[118:119], v[122:123], v[136:137]
	ds_read_b128 v[122:125], v120 offset:736
	s_waitcnt vmcnt(0) lgkmcnt(0)
	v_fmac_f64_e32 v[118:119], v[126:127], v[122:123]
	buffer_load_dword v123, off, s[0:3], 0 offset:284
	buffer_load_dword v122, off, s[0:3], 0 offset:280
	buffer_load_dword v127, off, s[0:3], 0 offset:292
	buffer_load_dword v126, off, s[0:3], 0 offset:288
	s_waitcnt vmcnt(2)
	v_fmac_f64_e32 v[118:119], v[122:123], v[124:125]
	ds_read_b128 v[122:125], v120 offset:752
	s_waitcnt vmcnt(0) lgkmcnt(0)
	v_fmac_f64_e32 v[118:119], v[126:127], v[122:123]
	buffer_load_dword v123, off, s[0:3], 0 offset:300
	buffer_load_dword v122, off, s[0:3], 0 offset:296
	buffer_load_dword v127, off, s[0:3], 0 offset:308
	buffer_load_dword v126, off, s[0:3], 0 offset:304
	;; [unrolled: 9-line block ×10, first 2 shown]
	s_waitcnt vmcnt(2)
	v_fmac_f64_e32 v[118:119], v[122:123], v[124:125]
	ds_read_b128 v[122:125], v120 offset:896
	s_waitcnt vmcnt(0) lgkmcnt(0)
	v_fmac_f64_e32 v[118:119], v[126:127], v[122:123]
	buffer_load_dword v123, off, s[0:3], 0 offset:444
	buffer_load_dword v122, off, s[0:3], 0 offset:440
	s_waitcnt vmcnt(0)
	v_fmac_f64_e32 v[118:119], v[122:123], v[124:125]
	buffer_load_dword v123, off, s[0:3], 0 offset:452
	buffer_load_dword v122, off, s[0:3], 0 offset:448
	ds_read_b64 v[124:125], v120 offset:912
	s_waitcnt vmcnt(0) lgkmcnt(0)
	v_fmac_f64_e32 v[118:119], v[122:123], v[124:125]
	v_add_f64 v[116:117], v[116:117], -v[118:119]
	buffer_store_dword v117, off, s[0:3], 0 offset:204
	buffer_store_dword v116, off, s[0:3], 0 offset:200
	s_and_saveexec_b64 s[4:5], vcc
	s_cbranch_execz .LBB120_301
; %bb.300:
	buffer_load_dword v116, off, s[0:3], 0 offset:192
	buffer_load_dword v117, off, s[0:3], 0 offset:196
	s_waitcnt vmcnt(0)
	ds_write_b64 v1, v[116:117]
	buffer_store_dword v120, off, s[0:3], 0 offset:192
	buffer_store_dword v120, off, s[0:3], 0 offset:196
.LBB120_301:
	s_or_b64 exec, exec, s[4:5]
	s_waitcnt lgkmcnt(0)
	; wave barrier
	s_waitcnt lgkmcnt(0)
	buffer_load_dword v116, off, s[0:3], 0 offset:192
	buffer_load_dword v117, off, s[0:3], 0 offset:196
	;; [unrolled: 1-line block ×16, first 2 shown]
	ds_read2_b64 v[122:125], v120 offset0:83 offset1:84
	v_cmp_lt_u32_e32 vcc, 23, v0
	s_waitcnt vmcnt(12) lgkmcnt(0)
	v_fma_f64 v[118:119], v[118:119], v[122:123], 0
	s_waitcnt vmcnt(10)
	v_fmac_f64_e32 v[118:119], v[126:127], v[124:125]
	ds_read2_b64 v[122:125], v120 offset0:85 offset1:86
	s_waitcnt vmcnt(8) lgkmcnt(0)
	v_fmac_f64_e32 v[118:119], v[128:129], v[122:123]
	s_waitcnt vmcnt(6)
	v_fmac_f64_e32 v[118:119], v[130:131], v[124:125]
	ds_read2_b64 v[122:125], v120 offset0:87 offset1:88
	s_waitcnt vmcnt(4) lgkmcnt(0)
	v_fmac_f64_e32 v[118:119], v[132:133], v[122:123]
	;; [unrolled: 5-line block ×3, first 2 shown]
	buffer_load_dword v123, off, s[0:3], 0 offset:260
	buffer_load_dword v122, off, s[0:3], 0 offset:256
	buffer_load_dword v127, off, s[0:3], 0 offset:268
	buffer_load_dword v126, off, s[0:3], 0 offset:264
	s_waitcnt vmcnt(2)
	v_fmac_f64_e32 v[118:119], v[122:123], v[124:125]
	ds_read2_b64 v[122:125], v120 offset0:91 offset1:92
	s_waitcnt vmcnt(0) lgkmcnt(0)
	v_fmac_f64_e32 v[118:119], v[126:127], v[122:123]
	buffer_load_dword v123, off, s[0:3], 0 offset:276
	buffer_load_dword v122, off, s[0:3], 0 offset:272
	buffer_load_dword v127, off, s[0:3], 0 offset:284
	buffer_load_dword v126, off, s[0:3], 0 offset:280
	s_waitcnt vmcnt(2)
	v_fmac_f64_e32 v[118:119], v[122:123], v[124:125]
	ds_read2_b64 v[122:125], v120 offset0:93 offset1:94
	s_waitcnt vmcnt(0) lgkmcnt(0)
	v_fmac_f64_e32 v[118:119], v[126:127], v[122:123]
	;; [unrolled: 9-line block ×11, first 2 shown]
	buffer_load_dword v123, off, s[0:3], 0 offset:436
	buffer_load_dword v122, off, s[0:3], 0 offset:432
	s_waitcnt vmcnt(0)
	v_fmac_f64_e32 v[118:119], v[122:123], v[124:125]
	buffer_load_dword v125, off, s[0:3], 0 offset:444
	buffer_load_dword v124, off, s[0:3], 0 offset:440
	ds_read2_b64 v[120:123], v120 offset0:113 offset1:114
	s_waitcnt vmcnt(0) lgkmcnt(0)
	v_fmac_f64_e32 v[118:119], v[124:125], v[120:121]
	buffer_load_dword v121, off, s[0:3], 0 offset:452
	buffer_load_dword v120, off, s[0:3], 0 offset:448
	s_waitcnt vmcnt(0)
	v_fmac_f64_e32 v[118:119], v[120:121], v[122:123]
	v_add_f64 v[116:117], v[116:117], -v[118:119]
	buffer_store_dword v117, off, s[0:3], 0 offset:196
	buffer_store_dword v116, off, s[0:3], 0 offset:192
	s_and_saveexec_b64 s[4:5], vcc
	s_cbranch_execz .LBB120_303
; %bb.302:
	buffer_load_dword v116, off, s[0:3], 0 offset:184
	buffer_load_dword v117, off, s[0:3], 0 offset:188
	v_mov_b32_e32 v118, 0
	buffer_store_dword v118, off, s[0:3], 0 offset:184
	buffer_store_dword v118, off, s[0:3], 0 offset:188
	s_waitcnt vmcnt(2)
	ds_write_b64 v1, v[116:117]
.LBB120_303:
	s_or_b64 exec, exec, s[4:5]
	s_waitcnt lgkmcnt(0)
	; wave barrier
	s_waitcnt lgkmcnt(0)
	buffer_load_dword v116, off, s[0:3], 0 offset:184
	buffer_load_dword v117, off, s[0:3], 0 offset:188
	;; [unrolled: 1-line block ×16, first 2 shown]
	v_mov_b32_e32 v120, 0
	ds_read_b128 v[122:125], v120 offset:656
	ds_read_b128 v[126:129], v120 offset:672
	;; [unrolled: 1-line block ×4, first 2 shown]
	v_cmp_lt_u32_e32 vcc, 22, v0
	s_waitcnt vmcnt(12) lgkmcnt(3)
	v_fma_f64 v[118:119], v[118:119], v[122:123], 0
	buffer_load_dword v123, off, s[0:3], 0 offset:252
	buffer_load_dword v122, off, s[0:3], 0 offset:248
	s_waitcnt vmcnt(12)
	v_fmac_f64_e32 v[118:119], v[138:139], v[124:125]
	s_waitcnt vmcnt(10) lgkmcnt(2)
	v_fmac_f64_e32 v[118:119], v[140:141], v[126:127]
	buffer_load_dword v127, off, s[0:3], 0 offset:260
	buffer_load_dword v126, off, s[0:3], 0 offset:256
	s_waitcnt vmcnt(10)
	v_fmac_f64_e32 v[118:119], v[142:143], v[128:129]
	s_waitcnt vmcnt(8) lgkmcnt(1)
	v_fmac_f64_e32 v[118:119], v[144:145], v[130:131]
	s_waitcnt vmcnt(6)
	v_fmac_f64_e32 v[118:119], v[146:147], v[132:133]
	s_waitcnt vmcnt(4) lgkmcnt(0)
	v_fmac_f64_e32 v[118:119], v[148:149], v[134:135]
	s_waitcnt vmcnt(2)
	v_fmac_f64_e32 v[118:119], v[122:123], v[136:137]
	ds_read_b128 v[122:125], v120 offset:720
	s_waitcnt vmcnt(0) lgkmcnt(0)
	v_fmac_f64_e32 v[118:119], v[126:127], v[122:123]
	buffer_load_dword v123, off, s[0:3], 0 offset:268
	buffer_load_dword v122, off, s[0:3], 0 offset:264
	buffer_load_dword v127, off, s[0:3], 0 offset:276
	buffer_load_dword v126, off, s[0:3], 0 offset:272
	s_waitcnt vmcnt(2)
	v_fmac_f64_e32 v[118:119], v[122:123], v[124:125]
	ds_read_b128 v[122:125], v120 offset:736
	s_waitcnt vmcnt(0) lgkmcnt(0)
	v_fmac_f64_e32 v[118:119], v[126:127], v[122:123]
	buffer_load_dword v123, off, s[0:3], 0 offset:284
	buffer_load_dword v122, off, s[0:3], 0 offset:280
	buffer_load_dword v127, off, s[0:3], 0 offset:292
	buffer_load_dword v126, off, s[0:3], 0 offset:288
	s_waitcnt vmcnt(2)
	v_fmac_f64_e32 v[118:119], v[122:123], v[124:125]
	ds_read_b128 v[122:125], v120 offset:752
	s_waitcnt vmcnt(0) lgkmcnt(0)
	v_fmac_f64_e32 v[118:119], v[126:127], v[122:123]
	buffer_load_dword v123, off, s[0:3], 0 offset:300
	buffer_load_dword v122, off, s[0:3], 0 offset:296
	buffer_load_dword v127, off, s[0:3], 0 offset:308
	buffer_load_dword v126, off, s[0:3], 0 offset:304
	s_waitcnt vmcnt(2)
	v_fmac_f64_e32 v[118:119], v[122:123], v[124:125]
	ds_read_b128 v[122:125], v120 offset:768
	s_waitcnt vmcnt(0) lgkmcnt(0)
	v_fmac_f64_e32 v[118:119], v[126:127], v[122:123]
	buffer_load_dword v123, off, s[0:3], 0 offset:316
	buffer_load_dword v122, off, s[0:3], 0 offset:312
	buffer_load_dword v127, off, s[0:3], 0 offset:324
	buffer_load_dword v126, off, s[0:3], 0 offset:320
	s_waitcnt vmcnt(2)
	v_fmac_f64_e32 v[118:119], v[122:123], v[124:125]
	ds_read_b128 v[122:125], v120 offset:784
	s_waitcnt vmcnt(0) lgkmcnt(0)
	v_fmac_f64_e32 v[118:119], v[126:127], v[122:123]
	buffer_load_dword v123, off, s[0:3], 0 offset:332
	buffer_load_dword v122, off, s[0:3], 0 offset:328
	buffer_load_dword v127, off, s[0:3], 0 offset:340
	buffer_load_dword v126, off, s[0:3], 0 offset:336
	s_waitcnt vmcnt(2)
	v_fmac_f64_e32 v[118:119], v[122:123], v[124:125]
	ds_read_b128 v[122:125], v120 offset:800
	s_waitcnt vmcnt(0) lgkmcnt(0)
	v_fmac_f64_e32 v[118:119], v[126:127], v[122:123]
	buffer_load_dword v123, off, s[0:3], 0 offset:348
	buffer_load_dword v122, off, s[0:3], 0 offset:344
	buffer_load_dword v127, off, s[0:3], 0 offset:356
	buffer_load_dword v126, off, s[0:3], 0 offset:352
	s_waitcnt vmcnt(2)
	v_fmac_f64_e32 v[118:119], v[122:123], v[124:125]
	ds_read_b128 v[122:125], v120 offset:816
	s_waitcnt vmcnt(0) lgkmcnt(0)
	v_fmac_f64_e32 v[118:119], v[126:127], v[122:123]
	buffer_load_dword v123, off, s[0:3], 0 offset:364
	buffer_load_dword v122, off, s[0:3], 0 offset:360
	buffer_load_dword v127, off, s[0:3], 0 offset:372
	buffer_load_dword v126, off, s[0:3], 0 offset:368
	s_waitcnt vmcnt(2)
	v_fmac_f64_e32 v[118:119], v[122:123], v[124:125]
	ds_read_b128 v[122:125], v120 offset:832
	s_waitcnt vmcnt(0) lgkmcnt(0)
	v_fmac_f64_e32 v[118:119], v[126:127], v[122:123]
	buffer_load_dword v123, off, s[0:3], 0 offset:380
	buffer_load_dword v122, off, s[0:3], 0 offset:376
	buffer_load_dword v127, off, s[0:3], 0 offset:388
	buffer_load_dword v126, off, s[0:3], 0 offset:384
	s_waitcnt vmcnt(2)
	v_fmac_f64_e32 v[118:119], v[122:123], v[124:125]
	ds_read_b128 v[122:125], v120 offset:848
	s_waitcnt vmcnt(0) lgkmcnt(0)
	v_fmac_f64_e32 v[118:119], v[126:127], v[122:123]
	buffer_load_dword v123, off, s[0:3], 0 offset:396
	buffer_load_dword v122, off, s[0:3], 0 offset:392
	buffer_load_dword v127, off, s[0:3], 0 offset:404
	buffer_load_dword v126, off, s[0:3], 0 offset:400
	s_waitcnt vmcnt(2)
	v_fmac_f64_e32 v[118:119], v[122:123], v[124:125]
	ds_read_b128 v[122:125], v120 offset:864
	s_waitcnt vmcnt(0) lgkmcnt(0)
	v_fmac_f64_e32 v[118:119], v[126:127], v[122:123]
	buffer_load_dword v123, off, s[0:3], 0 offset:412
	buffer_load_dword v122, off, s[0:3], 0 offset:408
	buffer_load_dword v127, off, s[0:3], 0 offset:420
	buffer_load_dword v126, off, s[0:3], 0 offset:416
	s_waitcnt vmcnt(2)
	v_fmac_f64_e32 v[118:119], v[122:123], v[124:125]
	ds_read_b128 v[122:125], v120 offset:880
	s_waitcnt vmcnt(0) lgkmcnt(0)
	v_fmac_f64_e32 v[118:119], v[126:127], v[122:123]
	buffer_load_dword v123, off, s[0:3], 0 offset:428
	buffer_load_dword v122, off, s[0:3], 0 offset:424
	buffer_load_dword v127, off, s[0:3], 0 offset:436
	buffer_load_dword v126, off, s[0:3], 0 offset:432
	s_waitcnt vmcnt(2)
	v_fmac_f64_e32 v[118:119], v[122:123], v[124:125]
	ds_read_b128 v[122:125], v120 offset:896
	s_waitcnt vmcnt(0) lgkmcnt(0)
	v_fmac_f64_e32 v[118:119], v[126:127], v[122:123]
	buffer_load_dword v123, off, s[0:3], 0 offset:444
	buffer_load_dword v122, off, s[0:3], 0 offset:440
	s_waitcnt vmcnt(0)
	v_fmac_f64_e32 v[118:119], v[122:123], v[124:125]
	buffer_load_dword v123, off, s[0:3], 0 offset:452
	buffer_load_dword v122, off, s[0:3], 0 offset:448
	ds_read_b64 v[124:125], v120 offset:912
	s_waitcnt vmcnt(0) lgkmcnt(0)
	v_fmac_f64_e32 v[118:119], v[122:123], v[124:125]
	v_add_f64 v[116:117], v[116:117], -v[118:119]
	buffer_store_dword v117, off, s[0:3], 0 offset:188
	buffer_store_dword v116, off, s[0:3], 0 offset:184
	s_and_saveexec_b64 s[4:5], vcc
	s_cbranch_execz .LBB120_305
; %bb.304:
	buffer_load_dword v116, off, s[0:3], 0 offset:176
	buffer_load_dword v117, off, s[0:3], 0 offset:180
	s_waitcnt vmcnt(0)
	ds_write_b64 v1, v[116:117]
	buffer_store_dword v120, off, s[0:3], 0 offset:176
	buffer_store_dword v120, off, s[0:3], 0 offset:180
.LBB120_305:
	s_or_b64 exec, exec, s[4:5]
	s_waitcnt lgkmcnt(0)
	; wave barrier
	s_waitcnt lgkmcnt(0)
	buffer_load_dword v116, off, s[0:3], 0 offset:176
	buffer_load_dword v117, off, s[0:3], 0 offset:180
	buffer_load_dword v118, off, s[0:3], 0 offset:184
	buffer_load_dword v119, off, s[0:3], 0 offset:188
	buffer_load_dword v126, off, s[0:3], 0 offset:192
	buffer_load_dword v127, off, s[0:3], 0 offset:196
	buffer_load_dword v128, off, s[0:3], 0 offset:200
	buffer_load_dword v129, off, s[0:3], 0 offset:204
	buffer_load_dword v130, off, s[0:3], 0 offset:208
	buffer_load_dword v131, off, s[0:3], 0 offset:212
	buffer_load_dword v132, off, s[0:3], 0 offset:216
	buffer_load_dword v133, off, s[0:3], 0 offset:220
	buffer_load_dword v134, off, s[0:3], 0 offset:224
	buffer_load_dword v135, off, s[0:3], 0 offset:228
	buffer_load_dword v136, off, s[0:3], 0 offset:232
	buffer_load_dword v137, off, s[0:3], 0 offset:236
	ds_read2_b64 v[122:125], v120 offset0:81 offset1:82
	v_cmp_lt_u32_e32 vcc, 21, v0
	s_waitcnt vmcnt(12) lgkmcnt(0)
	v_fma_f64 v[118:119], v[118:119], v[122:123], 0
	s_waitcnt vmcnt(10)
	v_fmac_f64_e32 v[118:119], v[126:127], v[124:125]
	ds_read2_b64 v[122:125], v120 offset0:83 offset1:84
	s_waitcnt vmcnt(8) lgkmcnt(0)
	v_fmac_f64_e32 v[118:119], v[128:129], v[122:123]
	s_waitcnt vmcnt(6)
	v_fmac_f64_e32 v[118:119], v[130:131], v[124:125]
	ds_read2_b64 v[122:125], v120 offset0:85 offset1:86
	s_waitcnt vmcnt(4) lgkmcnt(0)
	v_fmac_f64_e32 v[118:119], v[132:133], v[122:123]
	;; [unrolled: 5-line block ×3, first 2 shown]
	buffer_load_dword v123, off, s[0:3], 0 offset:244
	buffer_load_dword v122, off, s[0:3], 0 offset:240
	buffer_load_dword v127, off, s[0:3], 0 offset:252
	buffer_load_dword v126, off, s[0:3], 0 offset:248
	s_waitcnt vmcnt(2)
	v_fmac_f64_e32 v[118:119], v[122:123], v[124:125]
	ds_read2_b64 v[122:125], v120 offset0:89 offset1:90
	s_waitcnt vmcnt(0) lgkmcnt(0)
	v_fmac_f64_e32 v[118:119], v[126:127], v[122:123]
	buffer_load_dword v123, off, s[0:3], 0 offset:260
	buffer_load_dword v122, off, s[0:3], 0 offset:256
	buffer_load_dword v127, off, s[0:3], 0 offset:268
	buffer_load_dword v126, off, s[0:3], 0 offset:264
	s_waitcnt vmcnt(2)
	v_fmac_f64_e32 v[118:119], v[122:123], v[124:125]
	ds_read2_b64 v[122:125], v120 offset0:91 offset1:92
	s_waitcnt vmcnt(0) lgkmcnt(0)
	v_fmac_f64_e32 v[118:119], v[126:127], v[122:123]
	buffer_load_dword v123, off, s[0:3], 0 offset:276
	buffer_load_dword v122, off, s[0:3], 0 offset:272
	buffer_load_dword v127, off, s[0:3], 0 offset:284
	buffer_load_dword v126, off, s[0:3], 0 offset:280
	s_waitcnt vmcnt(2)
	v_fmac_f64_e32 v[118:119], v[122:123], v[124:125]
	ds_read2_b64 v[122:125], v120 offset0:93 offset1:94
	s_waitcnt vmcnt(0) lgkmcnt(0)
	v_fmac_f64_e32 v[118:119], v[126:127], v[122:123]
	buffer_load_dword v123, off, s[0:3], 0 offset:292
	buffer_load_dword v122, off, s[0:3], 0 offset:288
	buffer_load_dword v127, off, s[0:3], 0 offset:300
	buffer_load_dword v126, off, s[0:3], 0 offset:296
	s_waitcnt vmcnt(2)
	v_fmac_f64_e32 v[118:119], v[122:123], v[124:125]
	ds_read2_b64 v[122:125], v120 offset0:95 offset1:96
	s_waitcnt vmcnt(0) lgkmcnt(0)
	v_fmac_f64_e32 v[118:119], v[126:127], v[122:123]
	buffer_load_dword v123, off, s[0:3], 0 offset:308
	buffer_load_dword v122, off, s[0:3], 0 offset:304
	buffer_load_dword v127, off, s[0:3], 0 offset:316
	buffer_load_dword v126, off, s[0:3], 0 offset:312
	s_waitcnt vmcnt(2)
	v_fmac_f64_e32 v[118:119], v[122:123], v[124:125]
	ds_read2_b64 v[122:125], v120 offset0:97 offset1:98
	s_waitcnt vmcnt(0) lgkmcnt(0)
	v_fmac_f64_e32 v[118:119], v[126:127], v[122:123]
	buffer_load_dword v123, off, s[0:3], 0 offset:324
	buffer_load_dword v122, off, s[0:3], 0 offset:320
	buffer_load_dword v127, off, s[0:3], 0 offset:332
	buffer_load_dword v126, off, s[0:3], 0 offset:328
	s_waitcnt vmcnt(2)
	v_fmac_f64_e32 v[118:119], v[122:123], v[124:125]
	ds_read2_b64 v[122:125], v120 offset0:99 offset1:100
	s_waitcnt vmcnt(0) lgkmcnt(0)
	v_fmac_f64_e32 v[118:119], v[126:127], v[122:123]
	buffer_load_dword v123, off, s[0:3], 0 offset:340
	buffer_load_dword v122, off, s[0:3], 0 offset:336
	buffer_load_dword v127, off, s[0:3], 0 offset:348
	buffer_load_dword v126, off, s[0:3], 0 offset:344
	s_waitcnt vmcnt(2)
	v_fmac_f64_e32 v[118:119], v[122:123], v[124:125]
	ds_read2_b64 v[122:125], v120 offset0:101 offset1:102
	s_waitcnt vmcnt(0) lgkmcnt(0)
	v_fmac_f64_e32 v[118:119], v[126:127], v[122:123]
	buffer_load_dword v123, off, s[0:3], 0 offset:356
	buffer_load_dword v122, off, s[0:3], 0 offset:352
	buffer_load_dword v127, off, s[0:3], 0 offset:364
	buffer_load_dword v126, off, s[0:3], 0 offset:360
	s_waitcnt vmcnt(2)
	v_fmac_f64_e32 v[118:119], v[122:123], v[124:125]
	ds_read2_b64 v[122:125], v120 offset0:103 offset1:104
	s_waitcnt vmcnt(0) lgkmcnt(0)
	v_fmac_f64_e32 v[118:119], v[126:127], v[122:123]
	buffer_load_dword v123, off, s[0:3], 0 offset:372
	buffer_load_dword v122, off, s[0:3], 0 offset:368
	buffer_load_dword v127, off, s[0:3], 0 offset:380
	buffer_load_dword v126, off, s[0:3], 0 offset:376
	s_waitcnt vmcnt(2)
	v_fmac_f64_e32 v[118:119], v[122:123], v[124:125]
	ds_read2_b64 v[122:125], v120 offset0:105 offset1:106
	s_waitcnt vmcnt(0) lgkmcnt(0)
	v_fmac_f64_e32 v[118:119], v[126:127], v[122:123]
	buffer_load_dword v123, off, s[0:3], 0 offset:388
	buffer_load_dword v122, off, s[0:3], 0 offset:384
	buffer_load_dword v127, off, s[0:3], 0 offset:396
	buffer_load_dword v126, off, s[0:3], 0 offset:392
	s_waitcnt vmcnt(2)
	v_fmac_f64_e32 v[118:119], v[122:123], v[124:125]
	ds_read2_b64 v[122:125], v120 offset0:107 offset1:108
	s_waitcnt vmcnt(0) lgkmcnt(0)
	v_fmac_f64_e32 v[118:119], v[126:127], v[122:123]
	buffer_load_dword v123, off, s[0:3], 0 offset:404
	buffer_load_dword v122, off, s[0:3], 0 offset:400
	buffer_load_dword v127, off, s[0:3], 0 offset:412
	buffer_load_dword v126, off, s[0:3], 0 offset:408
	s_waitcnt vmcnt(2)
	v_fmac_f64_e32 v[118:119], v[122:123], v[124:125]
	ds_read2_b64 v[122:125], v120 offset0:109 offset1:110
	s_waitcnt vmcnt(0) lgkmcnt(0)
	v_fmac_f64_e32 v[118:119], v[126:127], v[122:123]
	buffer_load_dword v123, off, s[0:3], 0 offset:420
	buffer_load_dword v122, off, s[0:3], 0 offset:416
	buffer_load_dword v127, off, s[0:3], 0 offset:428
	buffer_load_dword v126, off, s[0:3], 0 offset:424
	s_waitcnt vmcnt(2)
	v_fmac_f64_e32 v[118:119], v[122:123], v[124:125]
	ds_read2_b64 v[122:125], v120 offset0:111 offset1:112
	s_waitcnt vmcnt(0) lgkmcnt(0)
	v_fmac_f64_e32 v[118:119], v[126:127], v[122:123]
	buffer_load_dword v123, off, s[0:3], 0 offset:436
	buffer_load_dword v122, off, s[0:3], 0 offset:432
	s_waitcnt vmcnt(0)
	v_fmac_f64_e32 v[118:119], v[122:123], v[124:125]
	buffer_load_dword v125, off, s[0:3], 0 offset:444
	buffer_load_dword v124, off, s[0:3], 0 offset:440
	ds_read2_b64 v[120:123], v120 offset0:113 offset1:114
	s_waitcnt vmcnt(0) lgkmcnt(0)
	v_fmac_f64_e32 v[118:119], v[124:125], v[120:121]
	buffer_load_dword v121, off, s[0:3], 0 offset:452
	buffer_load_dword v120, off, s[0:3], 0 offset:448
	s_waitcnt vmcnt(0)
	v_fmac_f64_e32 v[118:119], v[120:121], v[122:123]
	v_add_f64 v[116:117], v[116:117], -v[118:119]
	buffer_store_dword v117, off, s[0:3], 0 offset:180
	buffer_store_dword v116, off, s[0:3], 0 offset:176
	s_and_saveexec_b64 s[4:5], vcc
	s_cbranch_execz .LBB120_307
; %bb.306:
	buffer_load_dword v116, off, s[0:3], 0 offset:168
	buffer_load_dword v117, off, s[0:3], 0 offset:172
	v_mov_b32_e32 v118, 0
	buffer_store_dword v118, off, s[0:3], 0 offset:168
	buffer_store_dword v118, off, s[0:3], 0 offset:172
	s_waitcnt vmcnt(2)
	ds_write_b64 v1, v[116:117]
.LBB120_307:
	s_or_b64 exec, exec, s[4:5]
	s_waitcnt lgkmcnt(0)
	; wave barrier
	s_waitcnt lgkmcnt(0)
	buffer_load_dword v116, off, s[0:3], 0 offset:168
	buffer_load_dword v117, off, s[0:3], 0 offset:172
	;; [unrolled: 1-line block ×16, first 2 shown]
	v_mov_b32_e32 v120, 0
	ds_read_b128 v[122:125], v120 offset:640
	ds_read_b128 v[126:129], v120 offset:656
	;; [unrolled: 1-line block ×4, first 2 shown]
	v_cmp_lt_u32_e32 vcc, 20, v0
	s_waitcnt vmcnt(12) lgkmcnt(3)
	v_fma_f64 v[118:119], v[118:119], v[122:123], 0
	buffer_load_dword v123, off, s[0:3], 0 offset:236
	buffer_load_dword v122, off, s[0:3], 0 offset:232
	s_waitcnt vmcnt(12)
	v_fmac_f64_e32 v[118:119], v[138:139], v[124:125]
	s_waitcnt vmcnt(10) lgkmcnt(2)
	v_fmac_f64_e32 v[118:119], v[140:141], v[126:127]
	buffer_load_dword v127, off, s[0:3], 0 offset:244
	buffer_load_dword v126, off, s[0:3], 0 offset:240
	s_waitcnt vmcnt(10)
	v_fmac_f64_e32 v[118:119], v[142:143], v[128:129]
	s_waitcnt vmcnt(8) lgkmcnt(1)
	v_fmac_f64_e32 v[118:119], v[144:145], v[130:131]
	s_waitcnt vmcnt(6)
	v_fmac_f64_e32 v[118:119], v[146:147], v[132:133]
	s_waitcnt vmcnt(4) lgkmcnt(0)
	v_fmac_f64_e32 v[118:119], v[148:149], v[134:135]
	s_waitcnt vmcnt(2)
	v_fmac_f64_e32 v[118:119], v[122:123], v[136:137]
	ds_read_b128 v[122:125], v120 offset:704
	s_waitcnt vmcnt(0) lgkmcnt(0)
	v_fmac_f64_e32 v[118:119], v[126:127], v[122:123]
	buffer_load_dword v123, off, s[0:3], 0 offset:252
	buffer_load_dword v122, off, s[0:3], 0 offset:248
	buffer_load_dword v127, off, s[0:3], 0 offset:260
	buffer_load_dword v126, off, s[0:3], 0 offset:256
	s_waitcnt vmcnt(2)
	v_fmac_f64_e32 v[118:119], v[122:123], v[124:125]
	ds_read_b128 v[122:125], v120 offset:720
	s_waitcnt vmcnt(0) lgkmcnt(0)
	v_fmac_f64_e32 v[118:119], v[126:127], v[122:123]
	buffer_load_dword v123, off, s[0:3], 0 offset:268
	buffer_load_dword v122, off, s[0:3], 0 offset:264
	buffer_load_dword v127, off, s[0:3], 0 offset:276
	buffer_load_dword v126, off, s[0:3], 0 offset:272
	s_waitcnt vmcnt(2)
	v_fmac_f64_e32 v[118:119], v[122:123], v[124:125]
	ds_read_b128 v[122:125], v120 offset:736
	s_waitcnt vmcnt(0) lgkmcnt(0)
	v_fmac_f64_e32 v[118:119], v[126:127], v[122:123]
	buffer_load_dword v123, off, s[0:3], 0 offset:284
	buffer_load_dword v122, off, s[0:3], 0 offset:280
	buffer_load_dword v127, off, s[0:3], 0 offset:292
	buffer_load_dword v126, off, s[0:3], 0 offset:288
	s_waitcnt vmcnt(2)
	v_fmac_f64_e32 v[118:119], v[122:123], v[124:125]
	ds_read_b128 v[122:125], v120 offset:752
	s_waitcnt vmcnt(0) lgkmcnt(0)
	v_fmac_f64_e32 v[118:119], v[126:127], v[122:123]
	buffer_load_dword v123, off, s[0:3], 0 offset:300
	buffer_load_dword v122, off, s[0:3], 0 offset:296
	buffer_load_dword v127, off, s[0:3], 0 offset:308
	buffer_load_dword v126, off, s[0:3], 0 offset:304
	s_waitcnt vmcnt(2)
	v_fmac_f64_e32 v[118:119], v[122:123], v[124:125]
	ds_read_b128 v[122:125], v120 offset:768
	s_waitcnt vmcnt(0) lgkmcnt(0)
	v_fmac_f64_e32 v[118:119], v[126:127], v[122:123]
	buffer_load_dword v123, off, s[0:3], 0 offset:316
	buffer_load_dword v122, off, s[0:3], 0 offset:312
	buffer_load_dword v127, off, s[0:3], 0 offset:324
	buffer_load_dword v126, off, s[0:3], 0 offset:320
	s_waitcnt vmcnt(2)
	v_fmac_f64_e32 v[118:119], v[122:123], v[124:125]
	ds_read_b128 v[122:125], v120 offset:784
	s_waitcnt vmcnt(0) lgkmcnt(0)
	v_fmac_f64_e32 v[118:119], v[126:127], v[122:123]
	buffer_load_dword v123, off, s[0:3], 0 offset:332
	buffer_load_dword v122, off, s[0:3], 0 offset:328
	buffer_load_dword v127, off, s[0:3], 0 offset:340
	buffer_load_dword v126, off, s[0:3], 0 offset:336
	s_waitcnt vmcnt(2)
	v_fmac_f64_e32 v[118:119], v[122:123], v[124:125]
	ds_read_b128 v[122:125], v120 offset:800
	s_waitcnt vmcnt(0) lgkmcnt(0)
	v_fmac_f64_e32 v[118:119], v[126:127], v[122:123]
	buffer_load_dword v123, off, s[0:3], 0 offset:348
	buffer_load_dword v122, off, s[0:3], 0 offset:344
	buffer_load_dword v127, off, s[0:3], 0 offset:356
	buffer_load_dword v126, off, s[0:3], 0 offset:352
	s_waitcnt vmcnt(2)
	v_fmac_f64_e32 v[118:119], v[122:123], v[124:125]
	ds_read_b128 v[122:125], v120 offset:816
	s_waitcnt vmcnt(0) lgkmcnt(0)
	v_fmac_f64_e32 v[118:119], v[126:127], v[122:123]
	buffer_load_dword v123, off, s[0:3], 0 offset:364
	buffer_load_dword v122, off, s[0:3], 0 offset:360
	buffer_load_dword v127, off, s[0:3], 0 offset:372
	buffer_load_dword v126, off, s[0:3], 0 offset:368
	s_waitcnt vmcnt(2)
	v_fmac_f64_e32 v[118:119], v[122:123], v[124:125]
	ds_read_b128 v[122:125], v120 offset:832
	s_waitcnt vmcnt(0) lgkmcnt(0)
	v_fmac_f64_e32 v[118:119], v[126:127], v[122:123]
	buffer_load_dword v123, off, s[0:3], 0 offset:380
	buffer_load_dword v122, off, s[0:3], 0 offset:376
	buffer_load_dword v127, off, s[0:3], 0 offset:388
	buffer_load_dword v126, off, s[0:3], 0 offset:384
	s_waitcnt vmcnt(2)
	v_fmac_f64_e32 v[118:119], v[122:123], v[124:125]
	ds_read_b128 v[122:125], v120 offset:848
	s_waitcnt vmcnt(0) lgkmcnt(0)
	v_fmac_f64_e32 v[118:119], v[126:127], v[122:123]
	buffer_load_dword v123, off, s[0:3], 0 offset:396
	buffer_load_dword v122, off, s[0:3], 0 offset:392
	buffer_load_dword v127, off, s[0:3], 0 offset:404
	buffer_load_dword v126, off, s[0:3], 0 offset:400
	s_waitcnt vmcnt(2)
	v_fmac_f64_e32 v[118:119], v[122:123], v[124:125]
	ds_read_b128 v[122:125], v120 offset:864
	s_waitcnt vmcnt(0) lgkmcnt(0)
	v_fmac_f64_e32 v[118:119], v[126:127], v[122:123]
	buffer_load_dword v123, off, s[0:3], 0 offset:412
	buffer_load_dword v122, off, s[0:3], 0 offset:408
	buffer_load_dword v127, off, s[0:3], 0 offset:420
	buffer_load_dword v126, off, s[0:3], 0 offset:416
	s_waitcnt vmcnt(2)
	v_fmac_f64_e32 v[118:119], v[122:123], v[124:125]
	ds_read_b128 v[122:125], v120 offset:880
	s_waitcnt vmcnt(0) lgkmcnt(0)
	v_fmac_f64_e32 v[118:119], v[126:127], v[122:123]
	buffer_load_dword v123, off, s[0:3], 0 offset:428
	buffer_load_dword v122, off, s[0:3], 0 offset:424
	buffer_load_dword v127, off, s[0:3], 0 offset:436
	buffer_load_dword v126, off, s[0:3], 0 offset:432
	s_waitcnt vmcnt(2)
	v_fmac_f64_e32 v[118:119], v[122:123], v[124:125]
	ds_read_b128 v[122:125], v120 offset:896
	s_waitcnt vmcnt(0) lgkmcnt(0)
	v_fmac_f64_e32 v[118:119], v[126:127], v[122:123]
	buffer_load_dword v123, off, s[0:3], 0 offset:444
	buffer_load_dword v122, off, s[0:3], 0 offset:440
	s_waitcnt vmcnt(0)
	v_fmac_f64_e32 v[118:119], v[122:123], v[124:125]
	buffer_load_dword v123, off, s[0:3], 0 offset:452
	buffer_load_dword v122, off, s[0:3], 0 offset:448
	ds_read_b64 v[124:125], v120 offset:912
	s_waitcnt vmcnt(0) lgkmcnt(0)
	v_fmac_f64_e32 v[118:119], v[122:123], v[124:125]
	v_add_f64 v[116:117], v[116:117], -v[118:119]
	buffer_store_dword v117, off, s[0:3], 0 offset:172
	buffer_store_dword v116, off, s[0:3], 0 offset:168
	s_and_saveexec_b64 s[4:5], vcc
	s_cbranch_execz .LBB120_309
; %bb.308:
	buffer_load_dword v116, off, s[0:3], 0 offset:160
	buffer_load_dword v117, off, s[0:3], 0 offset:164
	s_waitcnt vmcnt(0)
	ds_write_b64 v1, v[116:117]
	buffer_store_dword v120, off, s[0:3], 0 offset:160
	buffer_store_dword v120, off, s[0:3], 0 offset:164
.LBB120_309:
	s_or_b64 exec, exec, s[4:5]
	s_waitcnt lgkmcnt(0)
	; wave barrier
	s_waitcnt lgkmcnt(0)
	buffer_load_dword v116, off, s[0:3], 0 offset:160
	buffer_load_dword v117, off, s[0:3], 0 offset:164
	buffer_load_dword v118, off, s[0:3], 0 offset:168
	buffer_load_dword v119, off, s[0:3], 0 offset:172
	buffer_load_dword v126, off, s[0:3], 0 offset:176
	buffer_load_dword v127, off, s[0:3], 0 offset:180
	buffer_load_dword v128, off, s[0:3], 0 offset:184
	buffer_load_dword v129, off, s[0:3], 0 offset:188
	buffer_load_dword v130, off, s[0:3], 0 offset:192
	buffer_load_dword v131, off, s[0:3], 0 offset:196
	buffer_load_dword v132, off, s[0:3], 0 offset:200
	buffer_load_dword v133, off, s[0:3], 0 offset:204
	buffer_load_dword v134, off, s[0:3], 0 offset:208
	buffer_load_dword v135, off, s[0:3], 0 offset:212
	buffer_load_dword v136, off, s[0:3], 0 offset:216
	buffer_load_dword v137, off, s[0:3], 0 offset:220
	ds_read2_b64 v[122:125], v120 offset0:79 offset1:80
	v_cmp_lt_u32_e32 vcc, 19, v0
	s_waitcnt vmcnt(12) lgkmcnt(0)
	v_fma_f64 v[118:119], v[118:119], v[122:123], 0
	s_waitcnt vmcnt(10)
	v_fmac_f64_e32 v[118:119], v[126:127], v[124:125]
	ds_read2_b64 v[122:125], v120 offset0:81 offset1:82
	s_waitcnt vmcnt(8) lgkmcnt(0)
	v_fmac_f64_e32 v[118:119], v[128:129], v[122:123]
	s_waitcnt vmcnt(6)
	v_fmac_f64_e32 v[118:119], v[130:131], v[124:125]
	ds_read2_b64 v[122:125], v120 offset0:83 offset1:84
	s_waitcnt vmcnt(4) lgkmcnt(0)
	v_fmac_f64_e32 v[118:119], v[132:133], v[122:123]
	;; [unrolled: 5-line block ×3, first 2 shown]
	buffer_load_dword v123, off, s[0:3], 0 offset:228
	buffer_load_dword v122, off, s[0:3], 0 offset:224
	buffer_load_dword v127, off, s[0:3], 0 offset:236
	buffer_load_dword v126, off, s[0:3], 0 offset:232
	s_waitcnt vmcnt(2)
	v_fmac_f64_e32 v[118:119], v[122:123], v[124:125]
	ds_read2_b64 v[122:125], v120 offset0:87 offset1:88
	s_waitcnt vmcnt(0) lgkmcnt(0)
	v_fmac_f64_e32 v[118:119], v[126:127], v[122:123]
	buffer_load_dword v123, off, s[0:3], 0 offset:244
	buffer_load_dword v122, off, s[0:3], 0 offset:240
	buffer_load_dword v127, off, s[0:3], 0 offset:252
	buffer_load_dword v126, off, s[0:3], 0 offset:248
	s_waitcnt vmcnt(2)
	v_fmac_f64_e32 v[118:119], v[122:123], v[124:125]
	ds_read2_b64 v[122:125], v120 offset0:89 offset1:90
	s_waitcnt vmcnt(0) lgkmcnt(0)
	v_fmac_f64_e32 v[118:119], v[126:127], v[122:123]
	buffer_load_dword v123, off, s[0:3], 0 offset:260
	buffer_load_dword v122, off, s[0:3], 0 offset:256
	buffer_load_dword v127, off, s[0:3], 0 offset:268
	buffer_load_dword v126, off, s[0:3], 0 offset:264
	s_waitcnt vmcnt(2)
	v_fmac_f64_e32 v[118:119], v[122:123], v[124:125]
	ds_read2_b64 v[122:125], v120 offset0:91 offset1:92
	s_waitcnt vmcnt(0) lgkmcnt(0)
	v_fmac_f64_e32 v[118:119], v[126:127], v[122:123]
	buffer_load_dword v123, off, s[0:3], 0 offset:276
	buffer_load_dword v122, off, s[0:3], 0 offset:272
	buffer_load_dword v127, off, s[0:3], 0 offset:284
	buffer_load_dword v126, off, s[0:3], 0 offset:280
	s_waitcnt vmcnt(2)
	v_fmac_f64_e32 v[118:119], v[122:123], v[124:125]
	ds_read2_b64 v[122:125], v120 offset0:93 offset1:94
	s_waitcnt vmcnt(0) lgkmcnt(0)
	v_fmac_f64_e32 v[118:119], v[126:127], v[122:123]
	buffer_load_dword v123, off, s[0:3], 0 offset:292
	buffer_load_dword v122, off, s[0:3], 0 offset:288
	buffer_load_dword v127, off, s[0:3], 0 offset:300
	buffer_load_dword v126, off, s[0:3], 0 offset:296
	s_waitcnt vmcnt(2)
	v_fmac_f64_e32 v[118:119], v[122:123], v[124:125]
	ds_read2_b64 v[122:125], v120 offset0:95 offset1:96
	s_waitcnt vmcnt(0) lgkmcnt(0)
	v_fmac_f64_e32 v[118:119], v[126:127], v[122:123]
	buffer_load_dword v123, off, s[0:3], 0 offset:308
	buffer_load_dword v122, off, s[0:3], 0 offset:304
	buffer_load_dword v127, off, s[0:3], 0 offset:316
	buffer_load_dword v126, off, s[0:3], 0 offset:312
	s_waitcnt vmcnt(2)
	v_fmac_f64_e32 v[118:119], v[122:123], v[124:125]
	ds_read2_b64 v[122:125], v120 offset0:97 offset1:98
	s_waitcnt vmcnt(0) lgkmcnt(0)
	v_fmac_f64_e32 v[118:119], v[126:127], v[122:123]
	buffer_load_dword v123, off, s[0:3], 0 offset:324
	buffer_load_dword v122, off, s[0:3], 0 offset:320
	buffer_load_dword v127, off, s[0:3], 0 offset:332
	buffer_load_dword v126, off, s[0:3], 0 offset:328
	s_waitcnt vmcnt(2)
	v_fmac_f64_e32 v[118:119], v[122:123], v[124:125]
	ds_read2_b64 v[122:125], v120 offset0:99 offset1:100
	s_waitcnt vmcnt(0) lgkmcnt(0)
	v_fmac_f64_e32 v[118:119], v[126:127], v[122:123]
	buffer_load_dword v123, off, s[0:3], 0 offset:340
	buffer_load_dword v122, off, s[0:3], 0 offset:336
	buffer_load_dword v127, off, s[0:3], 0 offset:348
	buffer_load_dword v126, off, s[0:3], 0 offset:344
	s_waitcnt vmcnt(2)
	v_fmac_f64_e32 v[118:119], v[122:123], v[124:125]
	ds_read2_b64 v[122:125], v120 offset0:101 offset1:102
	s_waitcnt vmcnt(0) lgkmcnt(0)
	v_fmac_f64_e32 v[118:119], v[126:127], v[122:123]
	buffer_load_dword v123, off, s[0:3], 0 offset:356
	buffer_load_dword v122, off, s[0:3], 0 offset:352
	buffer_load_dword v127, off, s[0:3], 0 offset:364
	buffer_load_dword v126, off, s[0:3], 0 offset:360
	s_waitcnt vmcnt(2)
	v_fmac_f64_e32 v[118:119], v[122:123], v[124:125]
	ds_read2_b64 v[122:125], v120 offset0:103 offset1:104
	s_waitcnt vmcnt(0) lgkmcnt(0)
	v_fmac_f64_e32 v[118:119], v[126:127], v[122:123]
	buffer_load_dword v123, off, s[0:3], 0 offset:372
	buffer_load_dword v122, off, s[0:3], 0 offset:368
	buffer_load_dword v127, off, s[0:3], 0 offset:380
	buffer_load_dword v126, off, s[0:3], 0 offset:376
	s_waitcnt vmcnt(2)
	v_fmac_f64_e32 v[118:119], v[122:123], v[124:125]
	ds_read2_b64 v[122:125], v120 offset0:105 offset1:106
	s_waitcnt vmcnt(0) lgkmcnt(0)
	v_fmac_f64_e32 v[118:119], v[126:127], v[122:123]
	buffer_load_dword v123, off, s[0:3], 0 offset:388
	buffer_load_dword v122, off, s[0:3], 0 offset:384
	buffer_load_dword v127, off, s[0:3], 0 offset:396
	buffer_load_dword v126, off, s[0:3], 0 offset:392
	s_waitcnt vmcnt(2)
	v_fmac_f64_e32 v[118:119], v[122:123], v[124:125]
	ds_read2_b64 v[122:125], v120 offset0:107 offset1:108
	s_waitcnt vmcnt(0) lgkmcnt(0)
	v_fmac_f64_e32 v[118:119], v[126:127], v[122:123]
	buffer_load_dword v123, off, s[0:3], 0 offset:404
	buffer_load_dword v122, off, s[0:3], 0 offset:400
	buffer_load_dword v127, off, s[0:3], 0 offset:412
	buffer_load_dword v126, off, s[0:3], 0 offset:408
	s_waitcnt vmcnt(2)
	v_fmac_f64_e32 v[118:119], v[122:123], v[124:125]
	ds_read2_b64 v[122:125], v120 offset0:109 offset1:110
	s_waitcnt vmcnt(0) lgkmcnt(0)
	v_fmac_f64_e32 v[118:119], v[126:127], v[122:123]
	buffer_load_dword v123, off, s[0:3], 0 offset:420
	buffer_load_dword v122, off, s[0:3], 0 offset:416
	buffer_load_dword v127, off, s[0:3], 0 offset:428
	buffer_load_dword v126, off, s[0:3], 0 offset:424
	s_waitcnt vmcnt(2)
	v_fmac_f64_e32 v[118:119], v[122:123], v[124:125]
	ds_read2_b64 v[122:125], v120 offset0:111 offset1:112
	s_waitcnt vmcnt(0) lgkmcnt(0)
	v_fmac_f64_e32 v[118:119], v[126:127], v[122:123]
	buffer_load_dword v123, off, s[0:3], 0 offset:436
	buffer_load_dword v122, off, s[0:3], 0 offset:432
	s_waitcnt vmcnt(0)
	v_fmac_f64_e32 v[118:119], v[122:123], v[124:125]
	buffer_load_dword v125, off, s[0:3], 0 offset:444
	buffer_load_dword v124, off, s[0:3], 0 offset:440
	ds_read2_b64 v[120:123], v120 offset0:113 offset1:114
	s_waitcnt vmcnt(0) lgkmcnt(0)
	v_fmac_f64_e32 v[118:119], v[124:125], v[120:121]
	buffer_load_dword v121, off, s[0:3], 0 offset:452
	buffer_load_dword v120, off, s[0:3], 0 offset:448
	s_waitcnt vmcnt(0)
	v_fmac_f64_e32 v[118:119], v[120:121], v[122:123]
	v_add_f64 v[116:117], v[116:117], -v[118:119]
	buffer_store_dword v117, off, s[0:3], 0 offset:164
	buffer_store_dword v116, off, s[0:3], 0 offset:160
	s_and_saveexec_b64 s[4:5], vcc
	s_cbranch_execz .LBB120_311
; %bb.310:
	buffer_load_dword v116, off, s[0:3], 0 offset:152
	buffer_load_dword v117, off, s[0:3], 0 offset:156
	v_mov_b32_e32 v118, 0
	buffer_store_dword v118, off, s[0:3], 0 offset:152
	buffer_store_dword v118, off, s[0:3], 0 offset:156
	s_waitcnt vmcnt(2)
	ds_write_b64 v1, v[116:117]
.LBB120_311:
	s_or_b64 exec, exec, s[4:5]
	s_waitcnt lgkmcnt(0)
	; wave barrier
	s_waitcnt lgkmcnt(0)
	buffer_load_dword v116, off, s[0:3], 0 offset:152
	buffer_load_dword v117, off, s[0:3], 0 offset:156
	;; [unrolled: 1-line block ×16, first 2 shown]
	v_mov_b32_e32 v120, 0
	ds_read_b128 v[122:125], v120 offset:624
	ds_read_b128 v[126:129], v120 offset:640
	;; [unrolled: 1-line block ×4, first 2 shown]
	v_cmp_lt_u32_e32 vcc, 18, v0
	s_waitcnt vmcnt(12) lgkmcnt(3)
	v_fma_f64 v[118:119], v[118:119], v[122:123], 0
	buffer_load_dword v123, off, s[0:3], 0 offset:220
	buffer_load_dword v122, off, s[0:3], 0 offset:216
	s_waitcnt vmcnt(12)
	v_fmac_f64_e32 v[118:119], v[138:139], v[124:125]
	s_waitcnt vmcnt(10) lgkmcnt(2)
	v_fmac_f64_e32 v[118:119], v[140:141], v[126:127]
	buffer_load_dword v127, off, s[0:3], 0 offset:228
	buffer_load_dword v126, off, s[0:3], 0 offset:224
	s_waitcnt vmcnt(10)
	v_fmac_f64_e32 v[118:119], v[142:143], v[128:129]
	s_waitcnt vmcnt(8) lgkmcnt(1)
	v_fmac_f64_e32 v[118:119], v[144:145], v[130:131]
	s_waitcnt vmcnt(6)
	v_fmac_f64_e32 v[118:119], v[146:147], v[132:133]
	s_waitcnt vmcnt(4) lgkmcnt(0)
	v_fmac_f64_e32 v[118:119], v[148:149], v[134:135]
	s_waitcnt vmcnt(2)
	v_fmac_f64_e32 v[118:119], v[122:123], v[136:137]
	ds_read_b128 v[122:125], v120 offset:688
	s_waitcnt vmcnt(0) lgkmcnt(0)
	v_fmac_f64_e32 v[118:119], v[126:127], v[122:123]
	buffer_load_dword v123, off, s[0:3], 0 offset:236
	buffer_load_dword v122, off, s[0:3], 0 offset:232
	buffer_load_dword v127, off, s[0:3], 0 offset:244
	buffer_load_dword v126, off, s[0:3], 0 offset:240
	s_waitcnt vmcnt(2)
	v_fmac_f64_e32 v[118:119], v[122:123], v[124:125]
	ds_read_b128 v[122:125], v120 offset:704
	s_waitcnt vmcnt(0) lgkmcnt(0)
	v_fmac_f64_e32 v[118:119], v[126:127], v[122:123]
	buffer_load_dword v123, off, s[0:3], 0 offset:252
	buffer_load_dword v122, off, s[0:3], 0 offset:248
	buffer_load_dword v127, off, s[0:3], 0 offset:260
	buffer_load_dword v126, off, s[0:3], 0 offset:256
	;; [unrolled: 9-line block ×13, first 2 shown]
	s_waitcnt vmcnt(2)
	v_fmac_f64_e32 v[118:119], v[122:123], v[124:125]
	ds_read_b128 v[122:125], v120 offset:896
	s_waitcnt vmcnt(0) lgkmcnt(0)
	v_fmac_f64_e32 v[118:119], v[126:127], v[122:123]
	buffer_load_dword v123, off, s[0:3], 0 offset:444
	buffer_load_dword v122, off, s[0:3], 0 offset:440
	s_waitcnt vmcnt(0)
	v_fmac_f64_e32 v[118:119], v[122:123], v[124:125]
	buffer_load_dword v123, off, s[0:3], 0 offset:452
	buffer_load_dword v122, off, s[0:3], 0 offset:448
	ds_read_b64 v[124:125], v120 offset:912
	s_waitcnt vmcnt(0) lgkmcnt(0)
	v_fmac_f64_e32 v[118:119], v[122:123], v[124:125]
	v_add_f64 v[116:117], v[116:117], -v[118:119]
	buffer_store_dword v117, off, s[0:3], 0 offset:156
	buffer_store_dword v116, off, s[0:3], 0 offset:152
	s_and_saveexec_b64 s[4:5], vcc
	s_cbranch_execz .LBB120_313
; %bb.312:
	buffer_load_dword v116, off, s[0:3], 0 offset:144
	buffer_load_dword v117, off, s[0:3], 0 offset:148
	s_waitcnt vmcnt(0)
	ds_write_b64 v1, v[116:117]
	buffer_store_dword v120, off, s[0:3], 0 offset:144
	buffer_store_dword v120, off, s[0:3], 0 offset:148
.LBB120_313:
	s_or_b64 exec, exec, s[4:5]
	s_waitcnt lgkmcnt(0)
	; wave barrier
	s_waitcnt lgkmcnt(0)
	buffer_load_dword v116, off, s[0:3], 0 offset:144
	buffer_load_dword v117, off, s[0:3], 0 offset:148
	;; [unrolled: 1-line block ×16, first 2 shown]
	ds_read2_b64 v[122:125], v120 offset0:77 offset1:78
	v_cmp_lt_u32_e32 vcc, 17, v0
	s_waitcnt vmcnt(12) lgkmcnt(0)
	v_fma_f64 v[118:119], v[118:119], v[122:123], 0
	s_waitcnt vmcnt(10)
	v_fmac_f64_e32 v[118:119], v[126:127], v[124:125]
	ds_read2_b64 v[122:125], v120 offset0:79 offset1:80
	s_waitcnt vmcnt(8) lgkmcnt(0)
	v_fmac_f64_e32 v[118:119], v[128:129], v[122:123]
	s_waitcnt vmcnt(6)
	v_fmac_f64_e32 v[118:119], v[130:131], v[124:125]
	ds_read2_b64 v[122:125], v120 offset0:81 offset1:82
	s_waitcnt vmcnt(4) lgkmcnt(0)
	v_fmac_f64_e32 v[118:119], v[132:133], v[122:123]
	;; [unrolled: 5-line block ×3, first 2 shown]
	buffer_load_dword v123, off, s[0:3], 0 offset:212
	buffer_load_dword v122, off, s[0:3], 0 offset:208
	buffer_load_dword v127, off, s[0:3], 0 offset:220
	buffer_load_dword v126, off, s[0:3], 0 offset:216
	s_waitcnt vmcnt(2)
	v_fmac_f64_e32 v[118:119], v[122:123], v[124:125]
	ds_read2_b64 v[122:125], v120 offset0:85 offset1:86
	s_waitcnt vmcnt(0) lgkmcnt(0)
	v_fmac_f64_e32 v[118:119], v[126:127], v[122:123]
	buffer_load_dword v123, off, s[0:3], 0 offset:228
	buffer_load_dword v122, off, s[0:3], 0 offset:224
	buffer_load_dword v127, off, s[0:3], 0 offset:236
	buffer_load_dword v126, off, s[0:3], 0 offset:232
	s_waitcnt vmcnt(2)
	v_fmac_f64_e32 v[118:119], v[122:123], v[124:125]
	ds_read2_b64 v[122:125], v120 offset0:87 offset1:88
	s_waitcnt vmcnt(0) lgkmcnt(0)
	v_fmac_f64_e32 v[118:119], v[126:127], v[122:123]
	;; [unrolled: 9-line block ×14, first 2 shown]
	buffer_load_dword v123, off, s[0:3], 0 offset:436
	buffer_load_dword v122, off, s[0:3], 0 offset:432
	s_waitcnt vmcnt(0)
	v_fmac_f64_e32 v[118:119], v[122:123], v[124:125]
	buffer_load_dword v125, off, s[0:3], 0 offset:444
	buffer_load_dword v124, off, s[0:3], 0 offset:440
	ds_read2_b64 v[120:123], v120 offset0:113 offset1:114
	s_waitcnt vmcnt(0) lgkmcnt(0)
	v_fmac_f64_e32 v[118:119], v[124:125], v[120:121]
	buffer_load_dword v121, off, s[0:3], 0 offset:452
	buffer_load_dword v120, off, s[0:3], 0 offset:448
	s_waitcnt vmcnt(0)
	v_fmac_f64_e32 v[118:119], v[120:121], v[122:123]
	v_add_f64 v[116:117], v[116:117], -v[118:119]
	buffer_store_dword v117, off, s[0:3], 0 offset:148
	buffer_store_dword v116, off, s[0:3], 0 offset:144
	s_and_saveexec_b64 s[4:5], vcc
	s_cbranch_execz .LBB120_315
; %bb.314:
	buffer_load_dword v116, off, s[0:3], 0 offset:136
	buffer_load_dword v117, off, s[0:3], 0 offset:140
	v_mov_b32_e32 v118, 0
	buffer_store_dword v118, off, s[0:3], 0 offset:136
	buffer_store_dword v118, off, s[0:3], 0 offset:140
	s_waitcnt vmcnt(2)
	ds_write_b64 v1, v[116:117]
.LBB120_315:
	s_or_b64 exec, exec, s[4:5]
	s_waitcnt lgkmcnt(0)
	; wave barrier
	s_waitcnt lgkmcnt(0)
	buffer_load_dword v116, off, s[0:3], 0 offset:136
	buffer_load_dword v117, off, s[0:3], 0 offset:140
	buffer_load_dword v118, off, s[0:3], 0 offset:144
	buffer_load_dword v119, off, s[0:3], 0 offset:148
	buffer_load_dword v138, off, s[0:3], 0 offset:152
	buffer_load_dword v139, off, s[0:3], 0 offset:156
	buffer_load_dword v140, off, s[0:3], 0 offset:160
	buffer_load_dword v141, off, s[0:3], 0 offset:164
	buffer_load_dword v142, off, s[0:3], 0 offset:168
	buffer_load_dword v143, off, s[0:3], 0 offset:172
	buffer_load_dword v144, off, s[0:3], 0 offset:176
	buffer_load_dword v145, off, s[0:3], 0 offset:180
	buffer_load_dword v146, off, s[0:3], 0 offset:184
	buffer_load_dword v147, off, s[0:3], 0 offset:188
	buffer_load_dword v148, off, s[0:3], 0 offset:192
	buffer_load_dword v149, off, s[0:3], 0 offset:196
	v_mov_b32_e32 v120, 0
	ds_read_b128 v[122:125], v120 offset:608
	ds_read_b128 v[126:129], v120 offset:624
	ds_read_b128 v[130:133], v120 offset:640
	ds_read_b128 v[134:137], v120 offset:656
	v_cmp_lt_u32_e32 vcc, 16, v0
	s_waitcnt vmcnt(12) lgkmcnt(3)
	v_fma_f64 v[118:119], v[118:119], v[122:123], 0
	buffer_load_dword v123, off, s[0:3], 0 offset:204
	buffer_load_dword v122, off, s[0:3], 0 offset:200
	s_waitcnt vmcnt(12)
	v_fmac_f64_e32 v[118:119], v[138:139], v[124:125]
	s_waitcnt vmcnt(10) lgkmcnt(2)
	v_fmac_f64_e32 v[118:119], v[140:141], v[126:127]
	buffer_load_dword v127, off, s[0:3], 0 offset:212
	buffer_load_dword v126, off, s[0:3], 0 offset:208
	s_waitcnt vmcnt(10)
	v_fmac_f64_e32 v[118:119], v[142:143], v[128:129]
	s_waitcnt vmcnt(8) lgkmcnt(1)
	v_fmac_f64_e32 v[118:119], v[144:145], v[130:131]
	s_waitcnt vmcnt(6)
	v_fmac_f64_e32 v[118:119], v[146:147], v[132:133]
	s_waitcnt vmcnt(4) lgkmcnt(0)
	v_fmac_f64_e32 v[118:119], v[148:149], v[134:135]
	s_waitcnt vmcnt(2)
	v_fmac_f64_e32 v[118:119], v[122:123], v[136:137]
	ds_read_b128 v[122:125], v120 offset:672
	s_waitcnt vmcnt(0) lgkmcnt(0)
	v_fmac_f64_e32 v[118:119], v[126:127], v[122:123]
	buffer_load_dword v123, off, s[0:3], 0 offset:220
	buffer_load_dword v122, off, s[0:3], 0 offset:216
	buffer_load_dword v127, off, s[0:3], 0 offset:228
	buffer_load_dword v126, off, s[0:3], 0 offset:224
	s_waitcnt vmcnt(2)
	v_fmac_f64_e32 v[118:119], v[122:123], v[124:125]
	ds_read_b128 v[122:125], v120 offset:688
	s_waitcnt vmcnt(0) lgkmcnt(0)
	v_fmac_f64_e32 v[118:119], v[126:127], v[122:123]
	buffer_load_dword v123, off, s[0:3], 0 offset:236
	buffer_load_dword v122, off, s[0:3], 0 offset:232
	buffer_load_dword v127, off, s[0:3], 0 offset:244
	buffer_load_dword v126, off, s[0:3], 0 offset:240
	;; [unrolled: 9-line block ×14, first 2 shown]
	s_waitcnt vmcnt(2)
	v_fmac_f64_e32 v[118:119], v[122:123], v[124:125]
	ds_read_b128 v[122:125], v120 offset:896
	s_waitcnt vmcnt(0) lgkmcnt(0)
	v_fmac_f64_e32 v[118:119], v[126:127], v[122:123]
	buffer_load_dword v123, off, s[0:3], 0 offset:444
	buffer_load_dword v122, off, s[0:3], 0 offset:440
	s_waitcnt vmcnt(0)
	v_fmac_f64_e32 v[118:119], v[122:123], v[124:125]
	buffer_load_dword v123, off, s[0:3], 0 offset:452
	buffer_load_dword v122, off, s[0:3], 0 offset:448
	ds_read_b64 v[124:125], v120 offset:912
	s_waitcnt vmcnt(0) lgkmcnt(0)
	v_fmac_f64_e32 v[118:119], v[122:123], v[124:125]
	v_add_f64 v[116:117], v[116:117], -v[118:119]
	buffer_store_dword v117, off, s[0:3], 0 offset:140
	buffer_store_dword v116, off, s[0:3], 0 offset:136
	s_and_saveexec_b64 s[4:5], vcc
	s_cbranch_execz .LBB120_317
; %bb.316:
	buffer_load_dword v116, off, s[0:3], 0 offset:128
	buffer_load_dword v117, off, s[0:3], 0 offset:132
	s_waitcnt vmcnt(0)
	ds_write_b64 v1, v[116:117]
	buffer_store_dword v120, off, s[0:3], 0 offset:128
	buffer_store_dword v120, off, s[0:3], 0 offset:132
.LBB120_317:
	s_or_b64 exec, exec, s[4:5]
	s_waitcnt lgkmcnt(0)
	; wave barrier
	s_waitcnt lgkmcnt(0)
	buffer_load_dword v116, off, s[0:3], 0 offset:128
	buffer_load_dword v117, off, s[0:3], 0 offset:132
	;; [unrolled: 1-line block ×16, first 2 shown]
	ds_read2_b64 v[122:125], v120 offset0:75 offset1:76
	v_cmp_lt_u32_e32 vcc, 15, v0
	s_waitcnt vmcnt(12) lgkmcnt(0)
	v_fma_f64 v[118:119], v[118:119], v[122:123], 0
	s_waitcnt vmcnt(10)
	v_fmac_f64_e32 v[118:119], v[126:127], v[124:125]
	ds_read2_b64 v[122:125], v120 offset0:77 offset1:78
	s_waitcnt vmcnt(8) lgkmcnt(0)
	v_fmac_f64_e32 v[118:119], v[128:129], v[122:123]
	s_waitcnt vmcnt(6)
	v_fmac_f64_e32 v[118:119], v[130:131], v[124:125]
	ds_read2_b64 v[122:125], v120 offset0:79 offset1:80
	s_waitcnt vmcnt(4) lgkmcnt(0)
	v_fmac_f64_e32 v[118:119], v[132:133], v[122:123]
	;; [unrolled: 5-line block ×3, first 2 shown]
	buffer_load_dword v123, off, s[0:3], 0 offset:196
	buffer_load_dword v122, off, s[0:3], 0 offset:192
	buffer_load_dword v127, off, s[0:3], 0 offset:204
	buffer_load_dword v126, off, s[0:3], 0 offset:200
	s_waitcnt vmcnt(2)
	v_fmac_f64_e32 v[118:119], v[122:123], v[124:125]
	ds_read2_b64 v[122:125], v120 offset0:83 offset1:84
	s_waitcnt vmcnt(0) lgkmcnt(0)
	v_fmac_f64_e32 v[118:119], v[126:127], v[122:123]
	buffer_load_dword v123, off, s[0:3], 0 offset:212
	buffer_load_dword v122, off, s[0:3], 0 offset:208
	buffer_load_dword v127, off, s[0:3], 0 offset:220
	buffer_load_dword v126, off, s[0:3], 0 offset:216
	s_waitcnt vmcnt(2)
	v_fmac_f64_e32 v[118:119], v[122:123], v[124:125]
	ds_read2_b64 v[122:125], v120 offset0:85 offset1:86
	s_waitcnt vmcnt(0) lgkmcnt(0)
	v_fmac_f64_e32 v[118:119], v[126:127], v[122:123]
	;; [unrolled: 9-line block ×15, first 2 shown]
	buffer_load_dword v123, off, s[0:3], 0 offset:436
	buffer_load_dword v122, off, s[0:3], 0 offset:432
	s_waitcnt vmcnt(0)
	v_fmac_f64_e32 v[118:119], v[122:123], v[124:125]
	buffer_load_dword v125, off, s[0:3], 0 offset:444
	buffer_load_dword v124, off, s[0:3], 0 offset:440
	ds_read2_b64 v[120:123], v120 offset0:113 offset1:114
	s_waitcnt vmcnt(0) lgkmcnt(0)
	v_fmac_f64_e32 v[118:119], v[124:125], v[120:121]
	buffer_load_dword v121, off, s[0:3], 0 offset:452
	buffer_load_dword v120, off, s[0:3], 0 offset:448
	s_waitcnt vmcnt(0)
	v_fmac_f64_e32 v[118:119], v[120:121], v[122:123]
	v_add_f64 v[116:117], v[116:117], -v[118:119]
	buffer_store_dword v117, off, s[0:3], 0 offset:132
	buffer_store_dword v116, off, s[0:3], 0 offset:128
	s_and_saveexec_b64 s[4:5], vcc
	s_cbranch_execz .LBB120_319
; %bb.318:
	buffer_load_dword v116, off, s[0:3], 0 offset:120
	buffer_load_dword v117, off, s[0:3], 0 offset:124
	v_mov_b32_e32 v118, 0
	buffer_store_dword v118, off, s[0:3], 0 offset:120
	buffer_store_dword v118, off, s[0:3], 0 offset:124
	s_waitcnt vmcnt(2)
	ds_write_b64 v1, v[116:117]
.LBB120_319:
	s_or_b64 exec, exec, s[4:5]
	s_waitcnt lgkmcnt(0)
	; wave barrier
	s_waitcnt lgkmcnt(0)
	buffer_load_dword v116, off, s[0:3], 0 offset:120
	buffer_load_dword v117, off, s[0:3], 0 offset:124
	;; [unrolled: 1-line block ×16, first 2 shown]
	v_mov_b32_e32 v120, 0
	ds_read_b128 v[122:125], v120 offset:592
	ds_read_b128 v[126:129], v120 offset:608
	;; [unrolled: 1-line block ×4, first 2 shown]
	v_cmp_lt_u32_e32 vcc, 14, v0
	s_waitcnt vmcnt(12) lgkmcnt(3)
	v_fma_f64 v[118:119], v[118:119], v[122:123], 0
	buffer_load_dword v123, off, s[0:3], 0 offset:188
	buffer_load_dword v122, off, s[0:3], 0 offset:184
	s_waitcnt vmcnt(12)
	v_fmac_f64_e32 v[118:119], v[138:139], v[124:125]
	s_waitcnt vmcnt(10) lgkmcnt(2)
	v_fmac_f64_e32 v[118:119], v[140:141], v[126:127]
	buffer_load_dword v127, off, s[0:3], 0 offset:196
	buffer_load_dword v126, off, s[0:3], 0 offset:192
	s_waitcnt vmcnt(10)
	v_fmac_f64_e32 v[118:119], v[142:143], v[128:129]
	s_waitcnt vmcnt(8) lgkmcnt(1)
	v_fmac_f64_e32 v[118:119], v[144:145], v[130:131]
	s_waitcnt vmcnt(6)
	v_fmac_f64_e32 v[118:119], v[146:147], v[132:133]
	s_waitcnt vmcnt(4) lgkmcnt(0)
	v_fmac_f64_e32 v[118:119], v[148:149], v[134:135]
	s_waitcnt vmcnt(2)
	v_fmac_f64_e32 v[118:119], v[122:123], v[136:137]
	ds_read_b128 v[122:125], v120 offset:656
	s_waitcnt vmcnt(0) lgkmcnt(0)
	v_fmac_f64_e32 v[118:119], v[126:127], v[122:123]
	buffer_load_dword v123, off, s[0:3], 0 offset:204
	buffer_load_dword v122, off, s[0:3], 0 offset:200
	buffer_load_dword v127, off, s[0:3], 0 offset:212
	buffer_load_dword v126, off, s[0:3], 0 offset:208
	s_waitcnt vmcnt(2)
	v_fmac_f64_e32 v[118:119], v[122:123], v[124:125]
	ds_read_b128 v[122:125], v120 offset:672
	s_waitcnt vmcnt(0) lgkmcnt(0)
	v_fmac_f64_e32 v[118:119], v[126:127], v[122:123]
	buffer_load_dword v123, off, s[0:3], 0 offset:220
	buffer_load_dword v122, off, s[0:3], 0 offset:216
	buffer_load_dword v127, off, s[0:3], 0 offset:228
	buffer_load_dword v126, off, s[0:3], 0 offset:224
	;; [unrolled: 9-line block ×15, first 2 shown]
	s_waitcnt vmcnt(2)
	v_fmac_f64_e32 v[118:119], v[122:123], v[124:125]
	ds_read_b128 v[122:125], v120 offset:896
	s_waitcnt vmcnt(0) lgkmcnt(0)
	v_fmac_f64_e32 v[118:119], v[126:127], v[122:123]
	buffer_load_dword v123, off, s[0:3], 0 offset:444
	buffer_load_dword v122, off, s[0:3], 0 offset:440
	s_waitcnt vmcnt(0)
	v_fmac_f64_e32 v[118:119], v[122:123], v[124:125]
	buffer_load_dword v123, off, s[0:3], 0 offset:452
	buffer_load_dword v122, off, s[0:3], 0 offset:448
	ds_read_b64 v[124:125], v120 offset:912
	s_waitcnt vmcnt(0) lgkmcnt(0)
	v_fmac_f64_e32 v[118:119], v[122:123], v[124:125]
	v_add_f64 v[116:117], v[116:117], -v[118:119]
	buffer_store_dword v117, off, s[0:3], 0 offset:124
	buffer_store_dword v116, off, s[0:3], 0 offset:120
	s_and_saveexec_b64 s[4:5], vcc
	s_cbranch_execz .LBB120_321
; %bb.320:
	buffer_load_dword v116, off, s[0:3], 0 offset:112
	buffer_load_dword v117, off, s[0:3], 0 offset:116
	s_waitcnt vmcnt(0)
	ds_write_b64 v1, v[116:117]
	buffer_store_dword v120, off, s[0:3], 0 offset:112
	buffer_store_dword v120, off, s[0:3], 0 offset:116
.LBB120_321:
	s_or_b64 exec, exec, s[4:5]
	s_waitcnt lgkmcnt(0)
	; wave barrier
	s_waitcnt lgkmcnt(0)
	buffer_load_dword v116, off, s[0:3], 0 offset:112
	buffer_load_dword v117, off, s[0:3], 0 offset:116
	;; [unrolled: 1-line block ×16, first 2 shown]
	ds_read2_b64 v[122:125], v120 offset0:73 offset1:74
	v_cmp_lt_u32_e32 vcc, 13, v0
	s_waitcnt vmcnt(12) lgkmcnt(0)
	v_fma_f64 v[118:119], v[118:119], v[122:123], 0
	s_waitcnt vmcnt(10)
	v_fmac_f64_e32 v[118:119], v[126:127], v[124:125]
	ds_read2_b64 v[122:125], v120 offset0:75 offset1:76
	s_waitcnt vmcnt(8) lgkmcnt(0)
	v_fmac_f64_e32 v[118:119], v[128:129], v[122:123]
	s_waitcnt vmcnt(6)
	v_fmac_f64_e32 v[118:119], v[130:131], v[124:125]
	ds_read2_b64 v[122:125], v120 offset0:77 offset1:78
	s_waitcnt vmcnt(4) lgkmcnt(0)
	v_fmac_f64_e32 v[118:119], v[132:133], v[122:123]
	;; [unrolled: 5-line block ×3, first 2 shown]
	buffer_load_dword v123, off, s[0:3], 0 offset:180
	buffer_load_dword v122, off, s[0:3], 0 offset:176
	buffer_load_dword v127, off, s[0:3], 0 offset:188
	buffer_load_dword v126, off, s[0:3], 0 offset:184
	s_waitcnt vmcnt(2)
	v_fmac_f64_e32 v[118:119], v[122:123], v[124:125]
	ds_read2_b64 v[122:125], v120 offset0:81 offset1:82
	s_waitcnt vmcnt(0) lgkmcnt(0)
	v_fmac_f64_e32 v[118:119], v[126:127], v[122:123]
	buffer_load_dword v123, off, s[0:3], 0 offset:196
	buffer_load_dword v122, off, s[0:3], 0 offset:192
	buffer_load_dword v127, off, s[0:3], 0 offset:204
	buffer_load_dword v126, off, s[0:3], 0 offset:200
	s_waitcnt vmcnt(2)
	v_fmac_f64_e32 v[118:119], v[122:123], v[124:125]
	ds_read2_b64 v[122:125], v120 offset0:83 offset1:84
	s_waitcnt vmcnt(0) lgkmcnt(0)
	v_fmac_f64_e32 v[118:119], v[126:127], v[122:123]
	;; [unrolled: 9-line block ×16, first 2 shown]
	buffer_load_dword v123, off, s[0:3], 0 offset:436
	buffer_load_dword v122, off, s[0:3], 0 offset:432
	s_waitcnt vmcnt(0)
	v_fmac_f64_e32 v[118:119], v[122:123], v[124:125]
	buffer_load_dword v125, off, s[0:3], 0 offset:444
	buffer_load_dword v124, off, s[0:3], 0 offset:440
	ds_read2_b64 v[120:123], v120 offset0:113 offset1:114
	s_waitcnt vmcnt(0) lgkmcnt(0)
	v_fmac_f64_e32 v[118:119], v[124:125], v[120:121]
	buffer_load_dword v121, off, s[0:3], 0 offset:452
	buffer_load_dword v120, off, s[0:3], 0 offset:448
	s_waitcnt vmcnt(0)
	v_fmac_f64_e32 v[118:119], v[120:121], v[122:123]
	v_add_f64 v[116:117], v[116:117], -v[118:119]
	buffer_store_dword v117, off, s[0:3], 0 offset:116
	buffer_store_dword v116, off, s[0:3], 0 offset:112
	s_and_saveexec_b64 s[4:5], vcc
	s_cbranch_execz .LBB120_323
; %bb.322:
	buffer_load_dword v116, off, s[0:3], 0 offset:104
	buffer_load_dword v117, off, s[0:3], 0 offset:108
	v_mov_b32_e32 v118, 0
	buffer_store_dword v118, off, s[0:3], 0 offset:104
	buffer_store_dword v118, off, s[0:3], 0 offset:108
	s_waitcnt vmcnt(2)
	ds_write_b64 v1, v[116:117]
.LBB120_323:
	s_or_b64 exec, exec, s[4:5]
	s_waitcnt lgkmcnt(0)
	; wave barrier
	s_waitcnt lgkmcnt(0)
	buffer_load_dword v116, off, s[0:3], 0 offset:104
	buffer_load_dword v117, off, s[0:3], 0 offset:108
	;; [unrolled: 1-line block ×16, first 2 shown]
	v_mov_b32_e32 v120, 0
	ds_read_b128 v[122:125], v120 offset:576
	ds_read_b128 v[126:129], v120 offset:592
	ds_read_b128 v[130:133], v120 offset:608
	ds_read_b128 v[134:137], v120 offset:624
	v_cmp_lt_u32_e32 vcc, 12, v0
	s_waitcnt vmcnt(12) lgkmcnt(3)
	v_fma_f64 v[118:119], v[118:119], v[122:123], 0
	buffer_load_dword v123, off, s[0:3], 0 offset:172
	buffer_load_dword v122, off, s[0:3], 0 offset:168
	s_waitcnt vmcnt(12)
	v_fmac_f64_e32 v[118:119], v[138:139], v[124:125]
	s_waitcnt vmcnt(10) lgkmcnt(2)
	v_fmac_f64_e32 v[118:119], v[140:141], v[126:127]
	buffer_load_dword v127, off, s[0:3], 0 offset:180
	buffer_load_dword v126, off, s[0:3], 0 offset:176
	s_waitcnt vmcnt(10)
	v_fmac_f64_e32 v[118:119], v[142:143], v[128:129]
	s_waitcnt vmcnt(8) lgkmcnt(1)
	v_fmac_f64_e32 v[118:119], v[144:145], v[130:131]
	s_waitcnt vmcnt(6)
	v_fmac_f64_e32 v[118:119], v[146:147], v[132:133]
	s_waitcnt vmcnt(4) lgkmcnt(0)
	v_fmac_f64_e32 v[118:119], v[148:149], v[134:135]
	s_waitcnt vmcnt(2)
	v_fmac_f64_e32 v[118:119], v[122:123], v[136:137]
	ds_read_b128 v[122:125], v120 offset:640
	s_waitcnt vmcnt(0) lgkmcnt(0)
	v_fmac_f64_e32 v[118:119], v[126:127], v[122:123]
	buffer_load_dword v123, off, s[0:3], 0 offset:188
	buffer_load_dword v122, off, s[0:3], 0 offset:184
	buffer_load_dword v127, off, s[0:3], 0 offset:196
	buffer_load_dword v126, off, s[0:3], 0 offset:192
	s_waitcnt vmcnt(2)
	v_fmac_f64_e32 v[118:119], v[122:123], v[124:125]
	ds_read_b128 v[122:125], v120 offset:656
	s_waitcnt vmcnt(0) lgkmcnt(0)
	v_fmac_f64_e32 v[118:119], v[126:127], v[122:123]
	buffer_load_dword v123, off, s[0:3], 0 offset:204
	buffer_load_dword v122, off, s[0:3], 0 offset:200
	buffer_load_dword v127, off, s[0:3], 0 offset:212
	buffer_load_dword v126, off, s[0:3], 0 offset:208
	;; [unrolled: 9-line block ×16, first 2 shown]
	s_waitcnt vmcnt(2)
	v_fmac_f64_e32 v[118:119], v[122:123], v[124:125]
	ds_read_b128 v[122:125], v120 offset:896
	s_waitcnt vmcnt(0) lgkmcnt(0)
	v_fmac_f64_e32 v[118:119], v[126:127], v[122:123]
	buffer_load_dword v123, off, s[0:3], 0 offset:444
	buffer_load_dword v122, off, s[0:3], 0 offset:440
	s_waitcnt vmcnt(0)
	v_fmac_f64_e32 v[118:119], v[122:123], v[124:125]
	buffer_load_dword v123, off, s[0:3], 0 offset:452
	buffer_load_dword v122, off, s[0:3], 0 offset:448
	ds_read_b64 v[124:125], v120 offset:912
	s_waitcnt vmcnt(0) lgkmcnt(0)
	v_fmac_f64_e32 v[118:119], v[122:123], v[124:125]
	v_add_f64 v[116:117], v[116:117], -v[118:119]
	buffer_store_dword v117, off, s[0:3], 0 offset:108
	buffer_store_dword v116, off, s[0:3], 0 offset:104
	s_and_saveexec_b64 s[4:5], vcc
	s_cbranch_execz .LBB120_325
; %bb.324:
	buffer_load_dword v116, off, s[0:3], 0 offset:96
	buffer_load_dword v117, off, s[0:3], 0 offset:100
	s_waitcnt vmcnt(0)
	ds_write_b64 v1, v[116:117]
	buffer_store_dword v120, off, s[0:3], 0 offset:96
	buffer_store_dword v120, off, s[0:3], 0 offset:100
.LBB120_325:
	s_or_b64 exec, exec, s[4:5]
	s_waitcnt lgkmcnt(0)
	; wave barrier
	s_waitcnt lgkmcnt(0)
	buffer_load_dword v116, off, s[0:3], 0 offset:96
	buffer_load_dword v117, off, s[0:3], 0 offset:100
	;; [unrolled: 1-line block ×16, first 2 shown]
	ds_read2_b64 v[122:125], v120 offset0:71 offset1:72
	v_cmp_lt_u32_e32 vcc, 11, v0
	s_waitcnt vmcnt(12) lgkmcnt(0)
	v_fma_f64 v[118:119], v[118:119], v[122:123], 0
	s_waitcnt vmcnt(10)
	v_fmac_f64_e32 v[118:119], v[126:127], v[124:125]
	ds_read2_b64 v[122:125], v120 offset0:73 offset1:74
	s_waitcnt vmcnt(8) lgkmcnt(0)
	v_fmac_f64_e32 v[118:119], v[128:129], v[122:123]
	s_waitcnt vmcnt(6)
	v_fmac_f64_e32 v[118:119], v[130:131], v[124:125]
	ds_read2_b64 v[122:125], v120 offset0:75 offset1:76
	s_waitcnt vmcnt(4) lgkmcnt(0)
	v_fmac_f64_e32 v[118:119], v[132:133], v[122:123]
	;; [unrolled: 5-line block ×3, first 2 shown]
	buffer_load_dword v123, off, s[0:3], 0 offset:164
	buffer_load_dword v122, off, s[0:3], 0 offset:160
	buffer_load_dword v127, off, s[0:3], 0 offset:172
	buffer_load_dword v126, off, s[0:3], 0 offset:168
	s_waitcnt vmcnt(2)
	v_fmac_f64_e32 v[118:119], v[122:123], v[124:125]
	ds_read2_b64 v[122:125], v120 offset0:79 offset1:80
	s_waitcnt vmcnt(0) lgkmcnt(0)
	v_fmac_f64_e32 v[118:119], v[126:127], v[122:123]
	buffer_load_dword v123, off, s[0:3], 0 offset:180
	buffer_load_dword v122, off, s[0:3], 0 offset:176
	buffer_load_dword v127, off, s[0:3], 0 offset:188
	buffer_load_dword v126, off, s[0:3], 0 offset:184
	s_waitcnt vmcnt(2)
	v_fmac_f64_e32 v[118:119], v[122:123], v[124:125]
	ds_read2_b64 v[122:125], v120 offset0:81 offset1:82
	s_waitcnt vmcnt(0) lgkmcnt(0)
	v_fmac_f64_e32 v[118:119], v[126:127], v[122:123]
	;; [unrolled: 9-line block ×17, first 2 shown]
	buffer_load_dword v123, off, s[0:3], 0 offset:436
	buffer_load_dword v122, off, s[0:3], 0 offset:432
	s_waitcnt vmcnt(0)
	v_fmac_f64_e32 v[118:119], v[122:123], v[124:125]
	buffer_load_dword v125, off, s[0:3], 0 offset:444
	buffer_load_dword v124, off, s[0:3], 0 offset:440
	ds_read2_b64 v[120:123], v120 offset0:113 offset1:114
	s_waitcnt vmcnt(0) lgkmcnt(0)
	v_fmac_f64_e32 v[118:119], v[124:125], v[120:121]
	buffer_load_dword v121, off, s[0:3], 0 offset:452
	buffer_load_dword v120, off, s[0:3], 0 offset:448
	s_waitcnt vmcnt(0)
	v_fmac_f64_e32 v[118:119], v[120:121], v[122:123]
	v_add_f64 v[116:117], v[116:117], -v[118:119]
	buffer_store_dword v117, off, s[0:3], 0 offset:100
	buffer_store_dword v116, off, s[0:3], 0 offset:96
	s_and_saveexec_b64 s[4:5], vcc
	s_cbranch_execz .LBB120_327
; %bb.326:
	buffer_load_dword v116, off, s[0:3], 0 offset:88
	buffer_load_dword v117, off, s[0:3], 0 offset:92
	v_mov_b32_e32 v118, 0
	buffer_store_dword v118, off, s[0:3], 0 offset:88
	buffer_store_dword v118, off, s[0:3], 0 offset:92
	s_waitcnt vmcnt(2)
	ds_write_b64 v1, v[116:117]
.LBB120_327:
	s_or_b64 exec, exec, s[4:5]
	s_waitcnt lgkmcnt(0)
	; wave barrier
	s_waitcnt lgkmcnt(0)
	buffer_load_dword v116, off, s[0:3], 0 offset:88
	buffer_load_dword v117, off, s[0:3], 0 offset:92
	;; [unrolled: 1-line block ×16, first 2 shown]
	v_mov_b32_e32 v120, 0
	ds_read_b128 v[122:125], v120 offset:560
	ds_read_b128 v[126:129], v120 offset:576
	;; [unrolled: 1-line block ×4, first 2 shown]
	v_cmp_lt_u32_e32 vcc, 10, v0
	s_waitcnt vmcnt(12) lgkmcnt(3)
	v_fma_f64 v[118:119], v[118:119], v[122:123], 0
	buffer_load_dword v123, off, s[0:3], 0 offset:156
	buffer_load_dword v122, off, s[0:3], 0 offset:152
	s_waitcnt vmcnt(12)
	v_fmac_f64_e32 v[118:119], v[138:139], v[124:125]
	s_waitcnt vmcnt(10) lgkmcnt(2)
	v_fmac_f64_e32 v[118:119], v[140:141], v[126:127]
	buffer_load_dword v127, off, s[0:3], 0 offset:164
	buffer_load_dword v126, off, s[0:3], 0 offset:160
	s_waitcnt vmcnt(10)
	v_fmac_f64_e32 v[118:119], v[142:143], v[128:129]
	s_waitcnt vmcnt(8) lgkmcnt(1)
	v_fmac_f64_e32 v[118:119], v[144:145], v[130:131]
	s_waitcnt vmcnt(6)
	v_fmac_f64_e32 v[118:119], v[146:147], v[132:133]
	s_waitcnt vmcnt(4) lgkmcnt(0)
	v_fmac_f64_e32 v[118:119], v[148:149], v[134:135]
	s_waitcnt vmcnt(2)
	v_fmac_f64_e32 v[118:119], v[122:123], v[136:137]
	ds_read_b128 v[122:125], v120 offset:624
	s_waitcnt vmcnt(0) lgkmcnt(0)
	v_fmac_f64_e32 v[118:119], v[126:127], v[122:123]
	buffer_load_dword v123, off, s[0:3], 0 offset:172
	buffer_load_dword v122, off, s[0:3], 0 offset:168
	buffer_load_dword v127, off, s[0:3], 0 offset:180
	buffer_load_dword v126, off, s[0:3], 0 offset:176
	s_waitcnt vmcnt(2)
	v_fmac_f64_e32 v[118:119], v[122:123], v[124:125]
	ds_read_b128 v[122:125], v120 offset:640
	s_waitcnt vmcnt(0) lgkmcnt(0)
	v_fmac_f64_e32 v[118:119], v[126:127], v[122:123]
	buffer_load_dword v123, off, s[0:3], 0 offset:188
	buffer_load_dword v122, off, s[0:3], 0 offset:184
	buffer_load_dword v127, off, s[0:3], 0 offset:196
	buffer_load_dword v126, off, s[0:3], 0 offset:192
	;; [unrolled: 9-line block ×17, first 2 shown]
	s_waitcnt vmcnt(2)
	v_fmac_f64_e32 v[118:119], v[122:123], v[124:125]
	ds_read_b128 v[122:125], v120 offset:896
	s_waitcnt vmcnt(0) lgkmcnt(0)
	v_fmac_f64_e32 v[118:119], v[126:127], v[122:123]
	buffer_load_dword v123, off, s[0:3], 0 offset:444
	buffer_load_dword v122, off, s[0:3], 0 offset:440
	s_waitcnt vmcnt(0)
	v_fmac_f64_e32 v[118:119], v[122:123], v[124:125]
	buffer_load_dword v123, off, s[0:3], 0 offset:452
	buffer_load_dword v122, off, s[0:3], 0 offset:448
	ds_read_b64 v[124:125], v120 offset:912
	s_waitcnt vmcnt(0) lgkmcnt(0)
	v_fmac_f64_e32 v[118:119], v[122:123], v[124:125]
	v_add_f64 v[116:117], v[116:117], -v[118:119]
	buffer_store_dword v117, off, s[0:3], 0 offset:92
	buffer_store_dword v116, off, s[0:3], 0 offset:88
	s_and_saveexec_b64 s[4:5], vcc
	s_cbranch_execz .LBB120_329
; %bb.328:
	buffer_load_dword v116, off, s[0:3], 0 offset:80
	buffer_load_dword v117, off, s[0:3], 0 offset:84
	s_waitcnt vmcnt(0)
	ds_write_b64 v1, v[116:117]
	buffer_store_dword v120, off, s[0:3], 0 offset:80
	buffer_store_dword v120, off, s[0:3], 0 offset:84
.LBB120_329:
	s_or_b64 exec, exec, s[4:5]
	s_waitcnt lgkmcnt(0)
	; wave barrier
	s_waitcnt lgkmcnt(0)
	buffer_load_dword v116, off, s[0:3], 0 offset:80
	buffer_load_dword v117, off, s[0:3], 0 offset:84
	;; [unrolled: 1-line block ×16, first 2 shown]
	ds_read2_b64 v[122:125], v120 offset0:69 offset1:70
	v_cmp_lt_u32_e32 vcc, 9, v0
	s_waitcnt vmcnt(12) lgkmcnt(0)
	v_fma_f64 v[118:119], v[118:119], v[122:123], 0
	s_waitcnt vmcnt(10)
	v_fmac_f64_e32 v[118:119], v[126:127], v[124:125]
	ds_read2_b64 v[122:125], v120 offset0:71 offset1:72
	s_waitcnt vmcnt(8) lgkmcnt(0)
	v_fmac_f64_e32 v[118:119], v[128:129], v[122:123]
	s_waitcnt vmcnt(6)
	v_fmac_f64_e32 v[118:119], v[130:131], v[124:125]
	ds_read2_b64 v[122:125], v120 offset0:73 offset1:74
	s_waitcnt vmcnt(4) lgkmcnt(0)
	v_fmac_f64_e32 v[118:119], v[132:133], v[122:123]
	s_waitcnt vmcnt(2)
	v_fmac_f64_e32 v[118:119], v[134:135], v[124:125]
	ds_read2_b64 v[122:125], v120 offset0:75 offset1:76
	s_waitcnt vmcnt(0) lgkmcnt(0)
	v_fmac_f64_e32 v[118:119], v[136:137], v[122:123]
	buffer_load_dword v123, off, s[0:3], 0 offset:148
	buffer_load_dword v122, off, s[0:3], 0 offset:144
	buffer_load_dword v127, off, s[0:3], 0 offset:156
	buffer_load_dword v126, off, s[0:3], 0 offset:152
	s_waitcnt vmcnt(2)
	v_fmac_f64_e32 v[118:119], v[122:123], v[124:125]
	ds_read2_b64 v[122:125], v120 offset0:77 offset1:78
	s_waitcnt vmcnt(0) lgkmcnt(0)
	v_fmac_f64_e32 v[118:119], v[126:127], v[122:123]
	buffer_load_dword v123, off, s[0:3], 0 offset:164
	buffer_load_dword v122, off, s[0:3], 0 offset:160
	buffer_load_dword v127, off, s[0:3], 0 offset:172
	buffer_load_dword v126, off, s[0:3], 0 offset:168
	s_waitcnt vmcnt(2)
	v_fmac_f64_e32 v[118:119], v[122:123], v[124:125]
	ds_read2_b64 v[122:125], v120 offset0:79 offset1:80
	s_waitcnt vmcnt(0) lgkmcnt(0)
	v_fmac_f64_e32 v[118:119], v[126:127], v[122:123]
	;; [unrolled: 9-line block ×18, first 2 shown]
	buffer_load_dword v123, off, s[0:3], 0 offset:436
	buffer_load_dword v122, off, s[0:3], 0 offset:432
	s_waitcnt vmcnt(0)
	v_fmac_f64_e32 v[118:119], v[122:123], v[124:125]
	buffer_load_dword v125, off, s[0:3], 0 offset:444
	buffer_load_dword v124, off, s[0:3], 0 offset:440
	ds_read2_b64 v[120:123], v120 offset0:113 offset1:114
	s_waitcnt vmcnt(0) lgkmcnt(0)
	v_fmac_f64_e32 v[118:119], v[124:125], v[120:121]
	buffer_load_dword v121, off, s[0:3], 0 offset:452
	buffer_load_dword v120, off, s[0:3], 0 offset:448
	s_waitcnt vmcnt(0)
	v_fmac_f64_e32 v[118:119], v[120:121], v[122:123]
	v_add_f64 v[116:117], v[116:117], -v[118:119]
	buffer_store_dword v117, off, s[0:3], 0 offset:84
	buffer_store_dword v116, off, s[0:3], 0 offset:80
	s_and_saveexec_b64 s[4:5], vcc
	s_cbranch_execz .LBB120_331
; %bb.330:
	buffer_load_dword v116, off, s[0:3], 0 offset:72
	buffer_load_dword v117, off, s[0:3], 0 offset:76
	v_mov_b32_e32 v118, 0
	buffer_store_dword v118, off, s[0:3], 0 offset:72
	buffer_store_dword v118, off, s[0:3], 0 offset:76
	s_waitcnt vmcnt(2)
	ds_write_b64 v1, v[116:117]
.LBB120_331:
	s_or_b64 exec, exec, s[4:5]
	s_waitcnt lgkmcnt(0)
	; wave barrier
	s_waitcnt lgkmcnt(0)
	buffer_load_dword v116, off, s[0:3], 0 offset:72
	buffer_load_dword v117, off, s[0:3], 0 offset:76
	buffer_load_dword v118, off, s[0:3], 0 offset:80
	buffer_load_dword v119, off, s[0:3], 0 offset:84
	buffer_load_dword v138, off, s[0:3], 0 offset:88
	buffer_load_dword v139, off, s[0:3], 0 offset:92
	buffer_load_dword v140, off, s[0:3], 0 offset:96
	buffer_load_dword v141, off, s[0:3], 0 offset:100
	buffer_load_dword v142, off, s[0:3], 0 offset:104
	buffer_load_dword v143, off, s[0:3], 0 offset:108
	buffer_load_dword v144, off, s[0:3], 0 offset:112
	buffer_load_dword v145, off, s[0:3], 0 offset:116
	buffer_load_dword v146, off, s[0:3], 0 offset:120
	buffer_load_dword v147, off, s[0:3], 0 offset:124
	buffer_load_dword v148, off, s[0:3], 0 offset:128
	buffer_load_dword v149, off, s[0:3], 0 offset:132
	v_mov_b32_e32 v120, 0
	ds_read_b128 v[122:125], v120 offset:544
	ds_read_b128 v[126:129], v120 offset:560
	;; [unrolled: 1-line block ×4, first 2 shown]
	v_cmp_lt_u32_e32 vcc, 8, v0
	s_waitcnt vmcnt(12) lgkmcnt(3)
	v_fma_f64 v[118:119], v[118:119], v[122:123], 0
	buffer_load_dword v123, off, s[0:3], 0 offset:140
	buffer_load_dword v122, off, s[0:3], 0 offset:136
	s_waitcnt vmcnt(12)
	v_fmac_f64_e32 v[118:119], v[138:139], v[124:125]
	s_waitcnt vmcnt(10) lgkmcnt(2)
	v_fmac_f64_e32 v[118:119], v[140:141], v[126:127]
	buffer_load_dword v127, off, s[0:3], 0 offset:148
	buffer_load_dword v126, off, s[0:3], 0 offset:144
	s_waitcnt vmcnt(10)
	v_fmac_f64_e32 v[118:119], v[142:143], v[128:129]
	s_waitcnt vmcnt(8) lgkmcnt(1)
	v_fmac_f64_e32 v[118:119], v[144:145], v[130:131]
	s_waitcnt vmcnt(6)
	v_fmac_f64_e32 v[118:119], v[146:147], v[132:133]
	s_waitcnt vmcnt(4) lgkmcnt(0)
	v_fmac_f64_e32 v[118:119], v[148:149], v[134:135]
	s_waitcnt vmcnt(2)
	v_fmac_f64_e32 v[118:119], v[122:123], v[136:137]
	ds_read_b128 v[122:125], v120 offset:608
	s_waitcnt vmcnt(0) lgkmcnt(0)
	v_fmac_f64_e32 v[118:119], v[126:127], v[122:123]
	buffer_load_dword v123, off, s[0:3], 0 offset:156
	buffer_load_dword v122, off, s[0:3], 0 offset:152
	buffer_load_dword v127, off, s[0:3], 0 offset:164
	buffer_load_dword v126, off, s[0:3], 0 offset:160
	s_waitcnt vmcnt(2)
	v_fmac_f64_e32 v[118:119], v[122:123], v[124:125]
	ds_read_b128 v[122:125], v120 offset:624
	s_waitcnt vmcnt(0) lgkmcnt(0)
	v_fmac_f64_e32 v[118:119], v[126:127], v[122:123]
	buffer_load_dword v123, off, s[0:3], 0 offset:172
	buffer_load_dword v122, off, s[0:3], 0 offset:168
	buffer_load_dword v127, off, s[0:3], 0 offset:180
	buffer_load_dword v126, off, s[0:3], 0 offset:176
	;; [unrolled: 9-line block ×18, first 2 shown]
	s_waitcnt vmcnt(2)
	v_fmac_f64_e32 v[118:119], v[122:123], v[124:125]
	ds_read_b128 v[122:125], v120 offset:896
	s_waitcnt vmcnt(0) lgkmcnt(0)
	v_fmac_f64_e32 v[118:119], v[126:127], v[122:123]
	buffer_load_dword v123, off, s[0:3], 0 offset:444
	buffer_load_dword v122, off, s[0:3], 0 offset:440
	s_waitcnt vmcnt(0)
	v_fmac_f64_e32 v[118:119], v[122:123], v[124:125]
	buffer_load_dword v123, off, s[0:3], 0 offset:452
	buffer_load_dword v122, off, s[0:3], 0 offset:448
	ds_read_b64 v[124:125], v120 offset:912
	s_waitcnt vmcnt(0) lgkmcnt(0)
	v_fmac_f64_e32 v[118:119], v[122:123], v[124:125]
	v_add_f64 v[116:117], v[116:117], -v[118:119]
	buffer_store_dword v117, off, s[0:3], 0 offset:76
	buffer_store_dword v116, off, s[0:3], 0 offset:72
	s_and_saveexec_b64 s[4:5], vcc
	s_cbranch_execz .LBB120_333
; %bb.332:
	buffer_load_dword v116, off, s[0:3], 0 offset:64
	buffer_load_dword v117, off, s[0:3], 0 offset:68
	s_waitcnt vmcnt(0)
	ds_write_b64 v1, v[116:117]
	buffer_store_dword v120, off, s[0:3], 0 offset:64
	buffer_store_dword v120, off, s[0:3], 0 offset:68
.LBB120_333:
	s_or_b64 exec, exec, s[4:5]
	s_waitcnt lgkmcnt(0)
	; wave barrier
	s_waitcnt lgkmcnt(0)
	buffer_load_dword v116, off, s[0:3], 0 offset:64
	buffer_load_dword v117, off, s[0:3], 0 offset:68
	;; [unrolled: 1-line block ×16, first 2 shown]
	ds_read2_b64 v[122:125], v120 offset0:67 offset1:68
	v_cmp_lt_u32_e32 vcc, 7, v0
	s_waitcnt vmcnt(12) lgkmcnt(0)
	v_fma_f64 v[118:119], v[118:119], v[122:123], 0
	s_waitcnt vmcnt(10)
	v_fmac_f64_e32 v[118:119], v[126:127], v[124:125]
	ds_read2_b64 v[122:125], v120 offset0:69 offset1:70
	s_waitcnt vmcnt(8) lgkmcnt(0)
	v_fmac_f64_e32 v[118:119], v[128:129], v[122:123]
	s_waitcnt vmcnt(6)
	v_fmac_f64_e32 v[118:119], v[130:131], v[124:125]
	ds_read2_b64 v[122:125], v120 offset0:71 offset1:72
	s_waitcnt vmcnt(4) lgkmcnt(0)
	v_fmac_f64_e32 v[118:119], v[132:133], v[122:123]
	;; [unrolled: 5-line block ×3, first 2 shown]
	buffer_load_dword v123, off, s[0:3], 0 offset:132
	buffer_load_dword v122, off, s[0:3], 0 offset:128
	buffer_load_dword v127, off, s[0:3], 0 offset:140
	buffer_load_dword v126, off, s[0:3], 0 offset:136
	s_waitcnt vmcnt(2)
	v_fmac_f64_e32 v[118:119], v[122:123], v[124:125]
	ds_read2_b64 v[122:125], v120 offset0:75 offset1:76
	s_waitcnt vmcnt(0) lgkmcnt(0)
	v_fmac_f64_e32 v[118:119], v[126:127], v[122:123]
	buffer_load_dword v123, off, s[0:3], 0 offset:148
	buffer_load_dword v122, off, s[0:3], 0 offset:144
	buffer_load_dword v127, off, s[0:3], 0 offset:156
	buffer_load_dword v126, off, s[0:3], 0 offset:152
	s_waitcnt vmcnt(2)
	v_fmac_f64_e32 v[118:119], v[122:123], v[124:125]
	ds_read2_b64 v[122:125], v120 offset0:77 offset1:78
	s_waitcnt vmcnt(0) lgkmcnt(0)
	v_fmac_f64_e32 v[118:119], v[126:127], v[122:123]
	buffer_load_dword v123, off, s[0:3], 0 offset:164
	buffer_load_dword v122, off, s[0:3], 0 offset:160
	buffer_load_dword v127, off, s[0:3], 0 offset:172
	buffer_load_dword v126, off, s[0:3], 0 offset:168
	s_waitcnt vmcnt(2)
	v_fmac_f64_e32 v[118:119], v[122:123], v[124:125]
	ds_read2_b64 v[122:125], v120 offset0:79 offset1:80
	s_waitcnt vmcnt(0) lgkmcnt(0)
	v_fmac_f64_e32 v[118:119], v[126:127], v[122:123]
	buffer_load_dword v123, off, s[0:3], 0 offset:180
	buffer_load_dword v122, off, s[0:3], 0 offset:176
	buffer_load_dword v127, off, s[0:3], 0 offset:188
	buffer_load_dword v126, off, s[0:3], 0 offset:184
	s_waitcnt vmcnt(2)
	v_fmac_f64_e32 v[118:119], v[122:123], v[124:125]
	ds_read2_b64 v[122:125], v120 offset0:81 offset1:82
	s_waitcnt vmcnt(0) lgkmcnt(0)
	v_fmac_f64_e32 v[118:119], v[126:127], v[122:123]
	buffer_load_dword v123, off, s[0:3], 0 offset:196
	buffer_load_dword v122, off, s[0:3], 0 offset:192
	buffer_load_dword v127, off, s[0:3], 0 offset:204
	buffer_load_dword v126, off, s[0:3], 0 offset:200
	s_waitcnt vmcnt(2)
	v_fmac_f64_e32 v[118:119], v[122:123], v[124:125]
	ds_read2_b64 v[122:125], v120 offset0:83 offset1:84
	s_waitcnt vmcnt(0) lgkmcnt(0)
	v_fmac_f64_e32 v[118:119], v[126:127], v[122:123]
	buffer_load_dword v123, off, s[0:3], 0 offset:212
	buffer_load_dword v122, off, s[0:3], 0 offset:208
	buffer_load_dword v127, off, s[0:3], 0 offset:220
	buffer_load_dword v126, off, s[0:3], 0 offset:216
	s_waitcnt vmcnt(2)
	v_fmac_f64_e32 v[118:119], v[122:123], v[124:125]
	ds_read2_b64 v[122:125], v120 offset0:85 offset1:86
	s_waitcnt vmcnt(0) lgkmcnt(0)
	v_fmac_f64_e32 v[118:119], v[126:127], v[122:123]
	buffer_load_dword v123, off, s[0:3], 0 offset:228
	buffer_load_dword v122, off, s[0:3], 0 offset:224
	buffer_load_dword v127, off, s[0:3], 0 offset:236
	buffer_load_dword v126, off, s[0:3], 0 offset:232
	s_waitcnt vmcnt(2)
	v_fmac_f64_e32 v[118:119], v[122:123], v[124:125]
	ds_read2_b64 v[122:125], v120 offset0:87 offset1:88
	s_waitcnt vmcnt(0) lgkmcnt(0)
	v_fmac_f64_e32 v[118:119], v[126:127], v[122:123]
	buffer_load_dword v123, off, s[0:3], 0 offset:244
	buffer_load_dword v122, off, s[0:3], 0 offset:240
	buffer_load_dword v127, off, s[0:3], 0 offset:252
	buffer_load_dword v126, off, s[0:3], 0 offset:248
	s_waitcnt vmcnt(2)
	v_fmac_f64_e32 v[118:119], v[122:123], v[124:125]
	ds_read2_b64 v[122:125], v120 offset0:89 offset1:90
	s_waitcnt vmcnt(0) lgkmcnt(0)
	v_fmac_f64_e32 v[118:119], v[126:127], v[122:123]
	buffer_load_dword v123, off, s[0:3], 0 offset:260
	buffer_load_dword v122, off, s[0:3], 0 offset:256
	buffer_load_dword v127, off, s[0:3], 0 offset:268
	buffer_load_dword v126, off, s[0:3], 0 offset:264
	s_waitcnt vmcnt(2)
	v_fmac_f64_e32 v[118:119], v[122:123], v[124:125]
	ds_read2_b64 v[122:125], v120 offset0:91 offset1:92
	s_waitcnt vmcnt(0) lgkmcnt(0)
	v_fmac_f64_e32 v[118:119], v[126:127], v[122:123]
	buffer_load_dword v123, off, s[0:3], 0 offset:276
	buffer_load_dword v122, off, s[0:3], 0 offset:272
	buffer_load_dword v127, off, s[0:3], 0 offset:284
	buffer_load_dword v126, off, s[0:3], 0 offset:280
	s_waitcnt vmcnt(2)
	v_fmac_f64_e32 v[118:119], v[122:123], v[124:125]
	ds_read2_b64 v[122:125], v120 offset0:93 offset1:94
	s_waitcnt vmcnt(0) lgkmcnt(0)
	v_fmac_f64_e32 v[118:119], v[126:127], v[122:123]
	buffer_load_dword v123, off, s[0:3], 0 offset:292
	buffer_load_dword v122, off, s[0:3], 0 offset:288
	buffer_load_dword v127, off, s[0:3], 0 offset:300
	buffer_load_dword v126, off, s[0:3], 0 offset:296
	s_waitcnt vmcnt(2)
	v_fmac_f64_e32 v[118:119], v[122:123], v[124:125]
	ds_read2_b64 v[122:125], v120 offset0:95 offset1:96
	s_waitcnt vmcnt(0) lgkmcnt(0)
	v_fmac_f64_e32 v[118:119], v[126:127], v[122:123]
	buffer_load_dword v123, off, s[0:3], 0 offset:308
	buffer_load_dword v122, off, s[0:3], 0 offset:304
	buffer_load_dword v127, off, s[0:3], 0 offset:316
	buffer_load_dword v126, off, s[0:3], 0 offset:312
	s_waitcnt vmcnt(2)
	v_fmac_f64_e32 v[118:119], v[122:123], v[124:125]
	ds_read2_b64 v[122:125], v120 offset0:97 offset1:98
	s_waitcnt vmcnt(0) lgkmcnt(0)
	v_fmac_f64_e32 v[118:119], v[126:127], v[122:123]
	buffer_load_dword v123, off, s[0:3], 0 offset:324
	buffer_load_dword v122, off, s[0:3], 0 offset:320
	buffer_load_dword v127, off, s[0:3], 0 offset:332
	buffer_load_dword v126, off, s[0:3], 0 offset:328
	s_waitcnt vmcnt(2)
	v_fmac_f64_e32 v[118:119], v[122:123], v[124:125]
	ds_read2_b64 v[122:125], v120 offset0:99 offset1:100
	s_waitcnt vmcnt(0) lgkmcnt(0)
	v_fmac_f64_e32 v[118:119], v[126:127], v[122:123]
	buffer_load_dword v123, off, s[0:3], 0 offset:340
	buffer_load_dword v122, off, s[0:3], 0 offset:336
	buffer_load_dword v127, off, s[0:3], 0 offset:348
	buffer_load_dword v126, off, s[0:3], 0 offset:344
	s_waitcnt vmcnt(2)
	v_fmac_f64_e32 v[118:119], v[122:123], v[124:125]
	ds_read2_b64 v[122:125], v120 offset0:101 offset1:102
	s_waitcnt vmcnt(0) lgkmcnt(0)
	v_fmac_f64_e32 v[118:119], v[126:127], v[122:123]
	buffer_load_dword v123, off, s[0:3], 0 offset:356
	buffer_load_dword v122, off, s[0:3], 0 offset:352
	buffer_load_dword v127, off, s[0:3], 0 offset:364
	buffer_load_dword v126, off, s[0:3], 0 offset:360
	s_waitcnt vmcnt(2)
	v_fmac_f64_e32 v[118:119], v[122:123], v[124:125]
	ds_read2_b64 v[122:125], v120 offset0:103 offset1:104
	s_waitcnt vmcnt(0) lgkmcnt(0)
	v_fmac_f64_e32 v[118:119], v[126:127], v[122:123]
	buffer_load_dword v123, off, s[0:3], 0 offset:372
	buffer_load_dword v122, off, s[0:3], 0 offset:368
	buffer_load_dword v127, off, s[0:3], 0 offset:380
	buffer_load_dword v126, off, s[0:3], 0 offset:376
	s_waitcnt vmcnt(2)
	v_fmac_f64_e32 v[118:119], v[122:123], v[124:125]
	ds_read2_b64 v[122:125], v120 offset0:105 offset1:106
	s_waitcnt vmcnt(0) lgkmcnt(0)
	v_fmac_f64_e32 v[118:119], v[126:127], v[122:123]
	buffer_load_dword v123, off, s[0:3], 0 offset:388
	buffer_load_dword v122, off, s[0:3], 0 offset:384
	buffer_load_dword v127, off, s[0:3], 0 offset:396
	buffer_load_dword v126, off, s[0:3], 0 offset:392
	s_waitcnt vmcnt(2)
	v_fmac_f64_e32 v[118:119], v[122:123], v[124:125]
	ds_read2_b64 v[122:125], v120 offset0:107 offset1:108
	s_waitcnt vmcnt(0) lgkmcnt(0)
	v_fmac_f64_e32 v[118:119], v[126:127], v[122:123]
	buffer_load_dword v123, off, s[0:3], 0 offset:404
	buffer_load_dword v122, off, s[0:3], 0 offset:400
	buffer_load_dword v127, off, s[0:3], 0 offset:412
	buffer_load_dword v126, off, s[0:3], 0 offset:408
	s_waitcnt vmcnt(2)
	v_fmac_f64_e32 v[118:119], v[122:123], v[124:125]
	ds_read2_b64 v[122:125], v120 offset0:109 offset1:110
	s_waitcnt vmcnt(0) lgkmcnt(0)
	v_fmac_f64_e32 v[118:119], v[126:127], v[122:123]
	buffer_load_dword v123, off, s[0:3], 0 offset:420
	buffer_load_dword v122, off, s[0:3], 0 offset:416
	buffer_load_dword v127, off, s[0:3], 0 offset:428
	buffer_load_dword v126, off, s[0:3], 0 offset:424
	s_waitcnt vmcnt(2)
	v_fmac_f64_e32 v[118:119], v[122:123], v[124:125]
	ds_read2_b64 v[122:125], v120 offset0:111 offset1:112
	s_waitcnt vmcnt(0) lgkmcnt(0)
	v_fmac_f64_e32 v[118:119], v[126:127], v[122:123]
	buffer_load_dword v123, off, s[0:3], 0 offset:436
	buffer_load_dword v122, off, s[0:3], 0 offset:432
	s_waitcnt vmcnt(0)
	v_fmac_f64_e32 v[118:119], v[122:123], v[124:125]
	buffer_load_dword v125, off, s[0:3], 0 offset:444
	buffer_load_dword v124, off, s[0:3], 0 offset:440
	ds_read2_b64 v[120:123], v120 offset0:113 offset1:114
	s_waitcnt vmcnt(0) lgkmcnt(0)
	v_fmac_f64_e32 v[118:119], v[124:125], v[120:121]
	buffer_load_dword v121, off, s[0:3], 0 offset:452
	buffer_load_dword v120, off, s[0:3], 0 offset:448
	s_waitcnt vmcnt(0)
	v_fmac_f64_e32 v[118:119], v[120:121], v[122:123]
	v_add_f64 v[116:117], v[116:117], -v[118:119]
	buffer_store_dword v117, off, s[0:3], 0 offset:68
	buffer_store_dword v116, off, s[0:3], 0 offset:64
	s_and_saveexec_b64 s[4:5], vcc
	s_cbranch_execz .LBB120_335
; %bb.334:
	buffer_load_dword v116, off, s[0:3], 0 offset:56
	buffer_load_dword v117, off, s[0:3], 0 offset:60
	v_mov_b32_e32 v118, 0
	buffer_store_dword v118, off, s[0:3], 0 offset:56
	buffer_store_dword v118, off, s[0:3], 0 offset:60
	s_waitcnt vmcnt(2)
	ds_write_b64 v1, v[116:117]
.LBB120_335:
	s_or_b64 exec, exec, s[4:5]
	s_waitcnt lgkmcnt(0)
	; wave barrier
	s_waitcnt lgkmcnt(0)
	buffer_load_dword v116, off, s[0:3], 0 offset:56
	buffer_load_dword v117, off, s[0:3], 0 offset:60
	;; [unrolled: 1-line block ×16, first 2 shown]
	v_mov_b32_e32 v120, 0
	ds_read_b128 v[122:125], v120 offset:528
	v_cmp_lt_u32_e32 vcc, 6, v0
	s_waitcnt vmcnt(12) lgkmcnt(0)
	v_fma_f64 v[118:119], v[118:119], v[122:123], 0
	s_waitcnt vmcnt(10)
	v_fmac_f64_e32 v[118:119], v[126:127], v[124:125]
	ds_read_b128 v[122:125], v120 offset:544
	s_waitcnt vmcnt(8) lgkmcnt(0)
	v_fmac_f64_e32 v[118:119], v[128:129], v[122:123]
	s_waitcnt vmcnt(6)
	v_fmac_f64_e32 v[118:119], v[130:131], v[124:125]
	ds_read_b128 v[122:125], v120 offset:560
	s_waitcnt vmcnt(4) lgkmcnt(0)
	v_fmac_f64_e32 v[118:119], v[132:133], v[122:123]
	;; [unrolled: 5-line block ×3, first 2 shown]
	buffer_load_dword v123, off, s[0:3], 0 offset:124
	buffer_load_dword v122, off, s[0:3], 0 offset:120
	buffer_load_dword v127, off, s[0:3], 0 offset:132
	buffer_load_dword v126, off, s[0:3], 0 offset:128
	s_waitcnt vmcnt(2)
	v_fmac_f64_e32 v[118:119], v[122:123], v[124:125]
	ds_read_b128 v[122:125], v120 offset:592
	s_waitcnt vmcnt(0) lgkmcnt(0)
	v_fmac_f64_e32 v[118:119], v[126:127], v[122:123]
	buffer_load_dword v123, off, s[0:3], 0 offset:140
	buffer_load_dword v122, off, s[0:3], 0 offset:136
	buffer_load_dword v127, off, s[0:3], 0 offset:148
	buffer_load_dword v126, off, s[0:3], 0 offset:144
	s_waitcnt vmcnt(2)
	v_fmac_f64_e32 v[118:119], v[122:123], v[124:125]
	ds_read_b128 v[122:125], v120 offset:608
	s_waitcnt vmcnt(0) lgkmcnt(0)
	v_fmac_f64_e32 v[118:119], v[126:127], v[122:123]
	;; [unrolled: 9-line block ×20, first 2 shown]
	buffer_load_dword v123, off, s[0:3], 0 offset:444
	buffer_load_dword v122, off, s[0:3], 0 offset:440
	s_waitcnt vmcnt(0)
	v_fmac_f64_e32 v[118:119], v[122:123], v[124:125]
	buffer_load_dword v123, off, s[0:3], 0 offset:452
	buffer_load_dword v122, off, s[0:3], 0 offset:448
	ds_read_b64 v[124:125], v120 offset:912
	s_waitcnt vmcnt(0) lgkmcnt(0)
	v_fmac_f64_e32 v[118:119], v[122:123], v[124:125]
	v_add_f64 v[116:117], v[116:117], -v[118:119]
	buffer_store_dword v117, off, s[0:3], 0 offset:60
	buffer_store_dword v116, off, s[0:3], 0 offset:56
	s_and_saveexec_b64 s[4:5], vcc
	s_cbranch_execz .LBB120_337
; %bb.336:
	buffer_load_dword v116, off, s[0:3], 0 offset:48
	buffer_load_dword v117, off, s[0:3], 0 offset:52
	s_waitcnt vmcnt(0)
	ds_write_b64 v1, v[116:117]
	buffer_store_dword v120, off, s[0:3], 0 offset:48
	buffer_store_dword v120, off, s[0:3], 0 offset:52
.LBB120_337:
	s_or_b64 exec, exec, s[4:5]
	s_waitcnt lgkmcnt(0)
	; wave barrier
	s_waitcnt lgkmcnt(0)
	buffer_load_dword v116, off, s[0:3], 0 offset:48
	buffer_load_dword v117, off, s[0:3], 0 offset:52
	;; [unrolled: 1-line block ×16, first 2 shown]
	ds_read2_b64 v[122:125], v120 offset0:65 offset1:66
	v_cmp_lt_u32_e32 vcc, 5, v0
	s_waitcnt vmcnt(12) lgkmcnt(0)
	v_fma_f64 v[118:119], v[118:119], v[122:123], 0
	s_waitcnt vmcnt(10)
	v_fmac_f64_e32 v[118:119], v[126:127], v[124:125]
	ds_read2_b64 v[122:125], v120 offset0:67 offset1:68
	s_waitcnt vmcnt(8) lgkmcnt(0)
	v_fmac_f64_e32 v[118:119], v[128:129], v[122:123]
	s_waitcnt vmcnt(6)
	v_fmac_f64_e32 v[118:119], v[130:131], v[124:125]
	ds_read2_b64 v[122:125], v120 offset0:69 offset1:70
	s_waitcnt vmcnt(4) lgkmcnt(0)
	v_fmac_f64_e32 v[118:119], v[132:133], v[122:123]
	;; [unrolled: 5-line block ×3, first 2 shown]
	buffer_load_dword v123, off, s[0:3], 0 offset:116
	buffer_load_dword v122, off, s[0:3], 0 offset:112
	buffer_load_dword v127, off, s[0:3], 0 offset:124
	buffer_load_dword v126, off, s[0:3], 0 offset:120
	s_waitcnt vmcnt(2)
	v_fmac_f64_e32 v[118:119], v[122:123], v[124:125]
	ds_read2_b64 v[122:125], v120 offset0:73 offset1:74
	s_waitcnt vmcnt(0) lgkmcnt(0)
	v_fmac_f64_e32 v[118:119], v[126:127], v[122:123]
	buffer_load_dword v123, off, s[0:3], 0 offset:132
	buffer_load_dword v122, off, s[0:3], 0 offset:128
	buffer_load_dword v127, off, s[0:3], 0 offset:140
	buffer_load_dword v126, off, s[0:3], 0 offset:136
	s_waitcnt vmcnt(2)
	v_fmac_f64_e32 v[118:119], v[122:123], v[124:125]
	ds_read2_b64 v[122:125], v120 offset0:75 offset1:76
	s_waitcnt vmcnt(0) lgkmcnt(0)
	v_fmac_f64_e32 v[118:119], v[126:127], v[122:123]
	;; [unrolled: 9-line block ×20, first 2 shown]
	buffer_load_dword v123, off, s[0:3], 0 offset:436
	buffer_load_dword v122, off, s[0:3], 0 offset:432
	s_waitcnt vmcnt(0)
	v_fmac_f64_e32 v[118:119], v[122:123], v[124:125]
	buffer_load_dword v125, off, s[0:3], 0 offset:444
	buffer_load_dword v124, off, s[0:3], 0 offset:440
	ds_read2_b64 v[120:123], v120 offset0:113 offset1:114
	s_waitcnt vmcnt(0) lgkmcnt(0)
	v_fmac_f64_e32 v[118:119], v[124:125], v[120:121]
	buffer_load_dword v121, off, s[0:3], 0 offset:452
	buffer_load_dword v120, off, s[0:3], 0 offset:448
	s_waitcnt vmcnt(0)
	v_fmac_f64_e32 v[118:119], v[120:121], v[122:123]
	v_add_f64 v[116:117], v[116:117], -v[118:119]
	buffer_store_dword v117, off, s[0:3], 0 offset:52
	buffer_store_dword v116, off, s[0:3], 0 offset:48
	s_and_saveexec_b64 s[4:5], vcc
	s_cbranch_execz .LBB120_339
; %bb.338:
	buffer_load_dword v116, off, s[0:3], 0 offset:40
	buffer_load_dword v117, off, s[0:3], 0 offset:44
	v_mov_b32_e32 v118, 0
	buffer_store_dword v118, off, s[0:3], 0 offset:40
	buffer_store_dword v118, off, s[0:3], 0 offset:44
	s_waitcnt vmcnt(2)
	ds_write_b64 v1, v[116:117]
.LBB120_339:
	s_or_b64 exec, exec, s[4:5]
	s_waitcnt lgkmcnt(0)
	; wave barrier
	s_waitcnt lgkmcnt(0)
	buffer_load_dword v116, off, s[0:3], 0 offset:40
	buffer_load_dword v117, off, s[0:3], 0 offset:44
	;; [unrolled: 1-line block ×16, first 2 shown]
	v_mov_b32_e32 v120, 0
	ds_read_b128 v[122:125], v120 offset:512
	v_cmp_lt_u32_e32 vcc, 4, v0
	s_waitcnt vmcnt(12) lgkmcnt(0)
	v_fma_f64 v[118:119], v[118:119], v[122:123], 0
	s_waitcnt vmcnt(10)
	v_fmac_f64_e32 v[118:119], v[126:127], v[124:125]
	ds_read_b128 v[122:125], v120 offset:528
	s_waitcnt vmcnt(8) lgkmcnt(0)
	v_fmac_f64_e32 v[118:119], v[128:129], v[122:123]
	s_waitcnt vmcnt(6)
	v_fmac_f64_e32 v[118:119], v[130:131], v[124:125]
	ds_read_b128 v[122:125], v120 offset:544
	s_waitcnt vmcnt(4) lgkmcnt(0)
	v_fmac_f64_e32 v[118:119], v[132:133], v[122:123]
	s_waitcnt vmcnt(2)
	v_fmac_f64_e32 v[118:119], v[134:135], v[124:125]
	ds_read_b128 v[122:125], v120 offset:560
	s_waitcnt vmcnt(0) lgkmcnt(0)
	v_fmac_f64_e32 v[118:119], v[136:137], v[122:123]
	buffer_load_dword v123, off, s[0:3], 0 offset:108
	buffer_load_dword v122, off, s[0:3], 0 offset:104
	buffer_load_dword v127, off, s[0:3], 0 offset:116
	buffer_load_dword v126, off, s[0:3], 0 offset:112
	s_waitcnt vmcnt(2)
	v_fmac_f64_e32 v[118:119], v[122:123], v[124:125]
	ds_read_b128 v[122:125], v120 offset:576
	s_waitcnt vmcnt(0) lgkmcnt(0)
	v_fmac_f64_e32 v[118:119], v[126:127], v[122:123]
	buffer_load_dword v123, off, s[0:3], 0 offset:124
	buffer_load_dword v122, off, s[0:3], 0 offset:120
	buffer_load_dword v127, off, s[0:3], 0 offset:132
	buffer_load_dword v126, off, s[0:3], 0 offset:128
	s_waitcnt vmcnt(2)
	v_fmac_f64_e32 v[118:119], v[122:123], v[124:125]
	ds_read_b128 v[122:125], v120 offset:592
	s_waitcnt vmcnt(0) lgkmcnt(0)
	v_fmac_f64_e32 v[118:119], v[126:127], v[122:123]
	;; [unrolled: 9-line block ×21, first 2 shown]
	buffer_load_dword v123, off, s[0:3], 0 offset:444
	buffer_load_dword v122, off, s[0:3], 0 offset:440
	s_waitcnt vmcnt(0)
	v_fmac_f64_e32 v[118:119], v[122:123], v[124:125]
	buffer_load_dword v123, off, s[0:3], 0 offset:452
	buffer_load_dword v122, off, s[0:3], 0 offset:448
	ds_read_b64 v[124:125], v120 offset:912
	s_waitcnt vmcnt(0) lgkmcnt(0)
	v_fmac_f64_e32 v[118:119], v[122:123], v[124:125]
	v_add_f64 v[116:117], v[116:117], -v[118:119]
	buffer_store_dword v117, off, s[0:3], 0 offset:44
	buffer_store_dword v116, off, s[0:3], 0 offset:40
	s_and_saveexec_b64 s[4:5], vcc
	s_cbranch_execz .LBB120_341
; %bb.340:
	buffer_load_dword v116, off, s[0:3], 0 offset:32
	buffer_load_dword v117, off, s[0:3], 0 offset:36
	s_waitcnt vmcnt(0)
	ds_write_b64 v1, v[116:117]
	buffer_store_dword v120, off, s[0:3], 0 offset:32
	buffer_store_dword v120, off, s[0:3], 0 offset:36
.LBB120_341:
	s_or_b64 exec, exec, s[4:5]
	s_waitcnt lgkmcnt(0)
	; wave barrier
	s_waitcnt lgkmcnt(0)
	buffer_load_dword v116, off, s[0:3], 0 offset:32
	buffer_load_dword v117, off, s[0:3], 0 offset:36
	;; [unrolled: 1-line block ×16, first 2 shown]
	ds_read2_b64 v[122:125], v120 offset0:63 offset1:64
	v_cmp_lt_u32_e32 vcc, 3, v0
	s_waitcnt vmcnt(12) lgkmcnt(0)
	v_fma_f64 v[118:119], v[118:119], v[122:123], 0
	s_waitcnt vmcnt(10)
	v_fmac_f64_e32 v[118:119], v[126:127], v[124:125]
	ds_read2_b64 v[122:125], v120 offset0:65 offset1:66
	s_waitcnt vmcnt(8) lgkmcnt(0)
	v_fmac_f64_e32 v[118:119], v[128:129], v[122:123]
	s_waitcnt vmcnt(6)
	v_fmac_f64_e32 v[118:119], v[130:131], v[124:125]
	ds_read2_b64 v[122:125], v120 offset0:67 offset1:68
	s_waitcnt vmcnt(4) lgkmcnt(0)
	v_fmac_f64_e32 v[118:119], v[132:133], v[122:123]
	;; [unrolled: 5-line block ×3, first 2 shown]
	buffer_load_dword v123, off, s[0:3], 0 offset:100
	buffer_load_dword v122, off, s[0:3], 0 offset:96
	buffer_load_dword v127, off, s[0:3], 0 offset:108
	buffer_load_dword v126, off, s[0:3], 0 offset:104
	s_waitcnt vmcnt(2)
	v_fmac_f64_e32 v[118:119], v[122:123], v[124:125]
	ds_read2_b64 v[122:125], v120 offset0:71 offset1:72
	s_waitcnt vmcnt(0) lgkmcnt(0)
	v_fmac_f64_e32 v[118:119], v[126:127], v[122:123]
	buffer_load_dword v123, off, s[0:3], 0 offset:116
	buffer_load_dword v122, off, s[0:3], 0 offset:112
	buffer_load_dword v127, off, s[0:3], 0 offset:124
	buffer_load_dword v126, off, s[0:3], 0 offset:120
	s_waitcnt vmcnt(2)
	v_fmac_f64_e32 v[118:119], v[122:123], v[124:125]
	ds_read2_b64 v[122:125], v120 offset0:73 offset1:74
	s_waitcnt vmcnt(0) lgkmcnt(0)
	v_fmac_f64_e32 v[118:119], v[126:127], v[122:123]
	;; [unrolled: 9-line block ×21, first 2 shown]
	buffer_load_dword v123, off, s[0:3], 0 offset:436
	buffer_load_dword v122, off, s[0:3], 0 offset:432
	s_waitcnt vmcnt(0)
	v_fmac_f64_e32 v[118:119], v[122:123], v[124:125]
	buffer_load_dword v125, off, s[0:3], 0 offset:444
	buffer_load_dword v124, off, s[0:3], 0 offset:440
	ds_read2_b64 v[120:123], v120 offset0:113 offset1:114
	s_waitcnt vmcnt(0) lgkmcnt(0)
	v_fmac_f64_e32 v[118:119], v[124:125], v[120:121]
	buffer_load_dword v121, off, s[0:3], 0 offset:452
	buffer_load_dword v120, off, s[0:3], 0 offset:448
	s_waitcnt vmcnt(0)
	v_fmac_f64_e32 v[118:119], v[120:121], v[122:123]
	v_add_f64 v[116:117], v[116:117], -v[118:119]
	buffer_store_dword v117, off, s[0:3], 0 offset:36
	buffer_store_dword v116, off, s[0:3], 0 offset:32
	s_and_saveexec_b64 s[4:5], vcc
	s_cbranch_execz .LBB120_343
; %bb.342:
	buffer_load_dword v116, off, s[0:3], 0 offset:24
	buffer_load_dword v117, off, s[0:3], 0 offset:28
	v_mov_b32_e32 v118, 0
	buffer_store_dword v118, off, s[0:3], 0 offset:24
	buffer_store_dword v118, off, s[0:3], 0 offset:28
	s_waitcnt vmcnt(2)
	ds_write_b64 v1, v[116:117]
.LBB120_343:
	s_or_b64 exec, exec, s[4:5]
	s_waitcnt lgkmcnt(0)
	; wave barrier
	s_waitcnt lgkmcnt(0)
	buffer_load_dword v116, off, s[0:3], 0 offset:24
	buffer_load_dword v117, off, s[0:3], 0 offset:28
	;; [unrolled: 1-line block ×16, first 2 shown]
	v_mov_b32_e32 v120, 0
	ds_read_b128 v[122:125], v120 offset:496
	v_cmp_lt_u32_e32 vcc, 2, v0
	s_waitcnt vmcnt(12) lgkmcnt(0)
	v_fma_f64 v[118:119], v[118:119], v[122:123], 0
	s_waitcnt vmcnt(10)
	v_fmac_f64_e32 v[118:119], v[126:127], v[124:125]
	ds_read_b128 v[122:125], v120 offset:512
	s_waitcnt vmcnt(8) lgkmcnt(0)
	v_fmac_f64_e32 v[118:119], v[128:129], v[122:123]
	s_waitcnt vmcnt(6)
	v_fmac_f64_e32 v[118:119], v[130:131], v[124:125]
	ds_read_b128 v[122:125], v120 offset:528
	s_waitcnt vmcnt(4) lgkmcnt(0)
	v_fmac_f64_e32 v[118:119], v[132:133], v[122:123]
	;; [unrolled: 5-line block ×3, first 2 shown]
	buffer_load_dword v123, off, s[0:3], 0 offset:92
	buffer_load_dword v122, off, s[0:3], 0 offset:88
	buffer_load_dword v127, off, s[0:3], 0 offset:100
	buffer_load_dword v126, off, s[0:3], 0 offset:96
	s_waitcnt vmcnt(2)
	v_fmac_f64_e32 v[118:119], v[122:123], v[124:125]
	ds_read_b128 v[122:125], v120 offset:560
	s_waitcnt vmcnt(0) lgkmcnt(0)
	v_fmac_f64_e32 v[118:119], v[126:127], v[122:123]
	buffer_load_dword v123, off, s[0:3], 0 offset:108
	buffer_load_dword v122, off, s[0:3], 0 offset:104
	buffer_load_dword v127, off, s[0:3], 0 offset:116
	buffer_load_dword v126, off, s[0:3], 0 offset:112
	s_waitcnt vmcnt(2)
	v_fmac_f64_e32 v[118:119], v[122:123], v[124:125]
	ds_read_b128 v[122:125], v120 offset:576
	s_waitcnt vmcnt(0) lgkmcnt(0)
	v_fmac_f64_e32 v[118:119], v[126:127], v[122:123]
	;; [unrolled: 9-line block ×22, first 2 shown]
	buffer_load_dword v123, off, s[0:3], 0 offset:444
	buffer_load_dword v122, off, s[0:3], 0 offset:440
	s_waitcnt vmcnt(0)
	v_fmac_f64_e32 v[118:119], v[122:123], v[124:125]
	buffer_load_dword v123, off, s[0:3], 0 offset:452
	buffer_load_dword v122, off, s[0:3], 0 offset:448
	ds_read_b64 v[124:125], v120 offset:912
	s_waitcnt vmcnt(0) lgkmcnt(0)
	v_fmac_f64_e32 v[118:119], v[122:123], v[124:125]
	v_add_f64 v[116:117], v[116:117], -v[118:119]
	buffer_store_dword v117, off, s[0:3], 0 offset:28
	buffer_store_dword v116, off, s[0:3], 0 offset:24
	s_and_saveexec_b64 s[4:5], vcc
	s_cbranch_execz .LBB120_345
; %bb.344:
	buffer_load_dword v116, off, s[0:3], 0 offset:16
	buffer_load_dword v117, off, s[0:3], 0 offset:20
	s_waitcnt vmcnt(0)
	ds_write_b64 v1, v[116:117]
	buffer_store_dword v120, off, s[0:3], 0 offset:16
	buffer_store_dword v120, off, s[0:3], 0 offset:20
.LBB120_345:
	s_or_b64 exec, exec, s[4:5]
	s_waitcnt lgkmcnt(0)
	; wave barrier
	s_waitcnt lgkmcnt(0)
	buffer_load_dword v116, off, s[0:3], 0 offset:16
	buffer_load_dword v117, off, s[0:3], 0 offset:20
	;; [unrolled: 1-line block ×16, first 2 shown]
	ds_read2_b64 v[122:125], v120 offset0:61 offset1:62
	v_cmp_lt_u32_e32 vcc, 1, v0
	s_waitcnt vmcnt(12) lgkmcnt(0)
	v_fma_f64 v[118:119], v[118:119], v[122:123], 0
	s_waitcnt vmcnt(10)
	v_fmac_f64_e32 v[118:119], v[126:127], v[124:125]
	ds_read2_b64 v[122:125], v120 offset0:63 offset1:64
	s_waitcnt vmcnt(8) lgkmcnt(0)
	v_fmac_f64_e32 v[118:119], v[128:129], v[122:123]
	s_waitcnt vmcnt(6)
	v_fmac_f64_e32 v[118:119], v[130:131], v[124:125]
	ds_read2_b64 v[122:125], v120 offset0:65 offset1:66
	s_waitcnt vmcnt(4) lgkmcnt(0)
	v_fmac_f64_e32 v[118:119], v[132:133], v[122:123]
	;; [unrolled: 5-line block ×3, first 2 shown]
	buffer_load_dword v123, off, s[0:3], 0 offset:84
	buffer_load_dword v122, off, s[0:3], 0 offset:80
	buffer_load_dword v127, off, s[0:3], 0 offset:92
	buffer_load_dword v126, off, s[0:3], 0 offset:88
	s_waitcnt vmcnt(2)
	v_fmac_f64_e32 v[118:119], v[122:123], v[124:125]
	ds_read2_b64 v[122:125], v120 offset0:69 offset1:70
	s_waitcnt vmcnt(0) lgkmcnt(0)
	v_fmac_f64_e32 v[118:119], v[126:127], v[122:123]
	buffer_load_dword v123, off, s[0:3], 0 offset:100
	buffer_load_dword v122, off, s[0:3], 0 offset:96
	buffer_load_dword v127, off, s[0:3], 0 offset:108
	buffer_load_dword v126, off, s[0:3], 0 offset:104
	s_waitcnt vmcnt(2)
	v_fmac_f64_e32 v[118:119], v[122:123], v[124:125]
	ds_read2_b64 v[122:125], v120 offset0:71 offset1:72
	s_waitcnt vmcnt(0) lgkmcnt(0)
	v_fmac_f64_e32 v[118:119], v[126:127], v[122:123]
	;; [unrolled: 9-line block ×22, first 2 shown]
	buffer_load_dword v123, off, s[0:3], 0 offset:436
	buffer_load_dword v122, off, s[0:3], 0 offset:432
	s_waitcnt vmcnt(0)
	v_fmac_f64_e32 v[118:119], v[122:123], v[124:125]
	buffer_load_dword v125, off, s[0:3], 0 offset:444
	buffer_load_dword v124, off, s[0:3], 0 offset:440
	ds_read2_b64 v[120:123], v120 offset0:113 offset1:114
	s_waitcnt vmcnt(0) lgkmcnt(0)
	v_fmac_f64_e32 v[118:119], v[124:125], v[120:121]
	buffer_load_dword v121, off, s[0:3], 0 offset:452
	buffer_load_dword v120, off, s[0:3], 0 offset:448
	s_waitcnt vmcnt(0)
	v_fmac_f64_e32 v[118:119], v[120:121], v[122:123]
	v_add_f64 v[116:117], v[116:117], -v[118:119]
	buffer_store_dword v117, off, s[0:3], 0 offset:20
	buffer_store_dword v116, off, s[0:3], 0 offset:16
	s_and_saveexec_b64 s[4:5], vcc
	s_cbranch_execz .LBB120_347
; %bb.346:
	buffer_load_dword v116, off, s[0:3], 0 offset:8
	buffer_load_dword v117, off, s[0:3], 0 offset:12
	v_mov_b32_e32 v118, 0
	buffer_store_dword v118, off, s[0:3], 0 offset:8
	buffer_store_dword v118, off, s[0:3], 0 offset:12
	s_waitcnt vmcnt(2)
	ds_write_b64 v1, v[116:117]
.LBB120_347:
	s_or_b64 exec, exec, s[4:5]
	s_waitcnt lgkmcnt(0)
	; wave barrier
	s_waitcnt lgkmcnt(0)
	buffer_load_dword v116, off, s[0:3], 0 offset:8
	buffer_load_dword v117, off, s[0:3], 0 offset:12
	;; [unrolled: 1-line block ×16, first 2 shown]
	v_mov_b32_e32 v120, 0
	ds_read_b128 v[122:125], v120 offset:480
	v_cmp_ne_u32_e32 vcc, 0, v0
	s_waitcnt vmcnt(12) lgkmcnt(0)
	v_fma_f64 v[118:119], v[118:119], v[122:123], 0
	s_waitcnt vmcnt(10)
	v_fmac_f64_e32 v[118:119], v[126:127], v[124:125]
	ds_read_b128 v[122:125], v120 offset:496
	s_waitcnt vmcnt(8) lgkmcnt(0)
	v_fmac_f64_e32 v[118:119], v[128:129], v[122:123]
	s_waitcnt vmcnt(6)
	v_fmac_f64_e32 v[118:119], v[130:131], v[124:125]
	ds_read_b128 v[122:125], v120 offset:512
	s_waitcnt vmcnt(4) lgkmcnt(0)
	v_fmac_f64_e32 v[118:119], v[132:133], v[122:123]
	;; [unrolled: 5-line block ×3, first 2 shown]
	buffer_load_dword v123, off, s[0:3], 0 offset:76
	buffer_load_dword v122, off, s[0:3], 0 offset:72
	buffer_load_dword v127, off, s[0:3], 0 offset:84
	buffer_load_dword v126, off, s[0:3], 0 offset:80
	s_waitcnt vmcnt(2)
	v_fmac_f64_e32 v[118:119], v[122:123], v[124:125]
	ds_read_b128 v[122:125], v120 offset:544
	s_waitcnt vmcnt(0) lgkmcnt(0)
	v_fmac_f64_e32 v[118:119], v[126:127], v[122:123]
	buffer_load_dword v123, off, s[0:3], 0 offset:92
	buffer_load_dword v122, off, s[0:3], 0 offset:88
	buffer_load_dword v127, off, s[0:3], 0 offset:100
	buffer_load_dword v126, off, s[0:3], 0 offset:96
	s_waitcnt vmcnt(2)
	v_fmac_f64_e32 v[118:119], v[122:123], v[124:125]
	ds_read_b128 v[122:125], v120 offset:560
	s_waitcnt vmcnt(0) lgkmcnt(0)
	v_fmac_f64_e32 v[118:119], v[126:127], v[122:123]
	;; [unrolled: 9-line block ×23, first 2 shown]
	buffer_load_dword v123, off, s[0:3], 0 offset:444
	buffer_load_dword v122, off, s[0:3], 0 offset:440
	s_waitcnt vmcnt(0)
	v_fmac_f64_e32 v[118:119], v[122:123], v[124:125]
	buffer_load_dword v123, off, s[0:3], 0 offset:452
	buffer_load_dword v122, off, s[0:3], 0 offset:448
	ds_read_b64 v[124:125], v120 offset:912
	s_waitcnt vmcnt(0) lgkmcnt(0)
	v_fmac_f64_e32 v[118:119], v[122:123], v[124:125]
	v_add_f64 v[116:117], v[116:117], -v[118:119]
	buffer_store_dword v117, off, s[0:3], 0 offset:12
	buffer_store_dword v116, off, s[0:3], 0 offset:8
	s_and_saveexec_b64 s[4:5], vcc
	s_cbranch_execz .LBB120_349
; %bb.348:
	buffer_load_dword v116, off, s[0:3], 0
	buffer_load_dword v117, off, s[0:3], 0 offset:4
	s_waitcnt vmcnt(0)
	ds_write_b64 v1, v[116:117]
	buffer_store_dword v120, off, s[0:3], 0
	buffer_store_dword v120, off, s[0:3], 0 offset:4
.LBB120_349:
	s_or_b64 exec, exec, s[4:5]
	s_waitcnt lgkmcnt(0)
	; wave barrier
	s_waitcnt lgkmcnt(0)
	buffer_load_dword v0, off, s[0:3], 0
	buffer_load_dword v1, off, s[0:3], 0 offset:4
	buffer_load_dword v122, off, s[0:3], 0 offset:8
	;; [unrolled: 1-line block ×15, first 2 shown]
	ds_read2_b64 v[116:119], v120 offset0:59 offset1:60
	s_and_b64 vcc, exec, s[16:17]
	s_waitcnt vmcnt(12) lgkmcnt(0)
	v_fma_f64 v[116:117], v[122:123], v[116:117], 0
	s_waitcnt vmcnt(10)
	v_fmac_f64_e32 v[116:117], v[124:125], v[118:119]
	ds_read2_b64 v[122:125], v120 offset0:61 offset1:62
	s_waitcnt vmcnt(8) lgkmcnt(0)
	v_fmac_f64_e32 v[116:117], v[126:127], v[122:123]
	s_waitcnt vmcnt(6)
	v_fmac_f64_e32 v[116:117], v[128:129], v[124:125]
	ds_read2_b64 v[122:125], v120 offset0:63 offset1:64
	s_waitcnt vmcnt(4) lgkmcnt(0)
	v_fmac_f64_e32 v[116:117], v[130:131], v[122:123]
	s_waitcnt vmcnt(2)
	v_fmac_f64_e32 v[116:117], v[132:133], v[124:125]
	ds_read2_b64 v[122:125], v120 offset0:65 offset1:66
	buffer_load_dword v119, off, s[0:3], 0 offset:68
	buffer_load_dword v118, off, s[0:3], 0 offset:64
	s_waitcnt vmcnt(2) lgkmcnt(0)
	v_fmac_f64_e32 v[116:117], v[134:135], v[122:123]
	s_waitcnt vmcnt(0)
	v_fmac_f64_e32 v[116:117], v[118:119], v[124:125]
	buffer_load_dword v119, off, s[0:3], 0 offset:76
	buffer_load_dword v118, off, s[0:3], 0 offset:72
	ds_read2_b64 v[122:125], v120 offset0:67 offset1:68
	s_waitcnt vmcnt(0) lgkmcnt(0)
	v_fmac_f64_e32 v[116:117], v[118:119], v[122:123]
	buffer_load_dword v119, off, s[0:3], 0 offset:84
	buffer_load_dword v118, off, s[0:3], 0 offset:80
	s_waitcnt vmcnt(0)
	v_fmac_f64_e32 v[116:117], v[118:119], v[124:125]
	buffer_load_dword v119, off, s[0:3], 0 offset:92
	buffer_load_dword v118, off, s[0:3], 0 offset:88
	ds_read2_b64 v[122:125], v120 offset0:69 offset1:70
	s_waitcnt vmcnt(0) lgkmcnt(0)
	v_fmac_f64_e32 v[116:117], v[118:119], v[122:123]
	buffer_load_dword v119, off, s[0:3], 0 offset:100
	buffer_load_dword v118, off, s[0:3], 0 offset:96
	;; [unrolled: 9-line block ×24, first 2 shown]
	s_waitcnt vmcnt(0)
	v_fmac_f64_e32 v[116:117], v[120:121], v[122:123]
	v_add_f64 v[0:1], v[0:1], -v[116:117]
	buffer_store_dword v1, off, s[0:3], 0 offset:4
	buffer_store_dword v0, off, s[0:3], 0
	s_cbranch_vccz .LBB120_463
; %bb.350:
	v_pk_mov_b32 v[0:1], s[10:11], s[10:11] op_sel:[0,1]
	flat_load_dword v0, v[0:1] offset:220
	s_waitcnt vmcnt(0) lgkmcnt(0)
	v_add_u32_e32 v0, -1, v0
	v_cmp_ne_u32_e32 vcc, 55, v0
	s_and_saveexec_b64 s[4:5], vcc
	s_cbranch_execz .LBB120_352
; %bb.351:
	v_mov_b32_e32 v1, 0
	v_lshl_add_u32 v0, v0, 3, v1
	buffer_load_dword v1, v0, s[0:3], 0 offen
	buffer_load_dword v116, v0, s[0:3], 0 offen offset:4
	s_waitcnt vmcnt(1)
	buffer_store_dword v1, off, s[0:3], 0 offset:440
	s_waitcnt vmcnt(1)
	buffer_store_dword v116, off, s[0:3], 0 offset:444
	buffer_store_dword v118, v0, s[0:3], 0 offen
	buffer_store_dword v119, v0, s[0:3], 0 offen offset:4
.LBB120_352:
	s_or_b64 exec, exec, s[4:5]
	v_pk_mov_b32 v[0:1], s[10:11], s[10:11] op_sel:[0,1]
	flat_load_dword v0, v[0:1] offset:216
	s_waitcnt vmcnt(0) lgkmcnt(0)
	v_add_u32_e32 v0, -1, v0
	v_cmp_ne_u32_e32 vcc, 54, v0
	s_and_saveexec_b64 s[4:5], vcc
	s_cbranch_execz .LBB120_354
; %bb.353:
	v_mov_b32_e32 v1, 0
	v_lshl_add_u32 v0, v0, 3, v1
	buffer_load_dword v1, v0, s[0:3], 0 offen
	buffer_load_dword v116, v0, s[0:3], 0 offen offset:4
	buffer_load_dword v117, off, s[0:3], 0 offset:436
	buffer_load_dword v118, off, s[0:3], 0 offset:432
	s_waitcnt vmcnt(3)
	buffer_store_dword v1, off, s[0:3], 0 offset:432
	s_waitcnt vmcnt(3)
	buffer_store_dword v116, off, s[0:3], 0 offset:436
	s_waitcnt vmcnt(3)
	buffer_store_dword v117, v0, s[0:3], 0 offen offset:4
	s_waitcnt vmcnt(3)
	buffer_store_dword v118, v0, s[0:3], 0 offen
.LBB120_354:
	s_or_b64 exec, exec, s[4:5]
	v_pk_mov_b32 v[0:1], s[10:11], s[10:11] op_sel:[0,1]
	flat_load_dword v0, v[0:1] offset:212
	s_waitcnt vmcnt(0) lgkmcnt(0)
	v_add_u32_e32 v0, -1, v0
	v_cmp_ne_u32_e32 vcc, 53, v0
	s_and_saveexec_b64 s[4:5], vcc
	s_cbranch_execz .LBB120_356
; %bb.355:
	v_mov_b32_e32 v1, 0
	v_lshl_add_u32 v0, v0, 3, v1
	buffer_load_dword v1, v0, s[0:3], 0 offen
	buffer_load_dword v116, v0, s[0:3], 0 offen offset:4
	buffer_load_dword v117, off, s[0:3], 0 offset:424
	buffer_load_dword v118, off, s[0:3], 0 offset:428
	s_waitcnt vmcnt(3)
	buffer_store_dword v1, off, s[0:3], 0 offset:424
	s_waitcnt vmcnt(3)
	buffer_store_dword v116, off, s[0:3], 0 offset:428
	s_waitcnt vmcnt(3)
	buffer_store_dword v117, v0, s[0:3], 0 offen
	s_waitcnt vmcnt(3)
	buffer_store_dword v118, v0, s[0:3], 0 offen offset:4
.LBB120_356:
	s_or_b64 exec, exec, s[4:5]
	v_pk_mov_b32 v[0:1], s[10:11], s[10:11] op_sel:[0,1]
	flat_load_dword v0, v[0:1] offset:208
	s_waitcnt vmcnt(0) lgkmcnt(0)
	v_add_u32_e32 v0, -1, v0
	v_cmp_ne_u32_e32 vcc, 52, v0
	s_and_saveexec_b64 s[4:5], vcc
	s_cbranch_execz .LBB120_358
; %bb.357:
	v_mov_b32_e32 v1, 0
	v_lshl_add_u32 v0, v0, 3, v1
	buffer_load_dword v1, v0, s[0:3], 0 offen
	buffer_load_dword v116, v0, s[0:3], 0 offen offset:4
	buffer_load_dword v117, off, s[0:3], 0 offset:420
	buffer_load_dword v118, off, s[0:3], 0 offset:416
	s_waitcnt vmcnt(3)
	buffer_store_dword v1, off, s[0:3], 0 offset:416
	s_waitcnt vmcnt(3)
	buffer_store_dword v116, off, s[0:3], 0 offset:420
	s_waitcnt vmcnt(3)
	buffer_store_dword v117, v0, s[0:3], 0 offen offset:4
	s_waitcnt vmcnt(3)
	buffer_store_dword v118, v0, s[0:3], 0 offen
.LBB120_358:
	s_or_b64 exec, exec, s[4:5]
	v_pk_mov_b32 v[0:1], s[10:11], s[10:11] op_sel:[0,1]
	flat_load_dword v0, v[0:1] offset:204
	s_waitcnt vmcnt(0) lgkmcnt(0)
	v_add_u32_e32 v0, -1, v0
	v_cmp_ne_u32_e32 vcc, 51, v0
	s_and_saveexec_b64 s[4:5], vcc
	s_cbranch_execz .LBB120_360
; %bb.359:
	v_mov_b32_e32 v1, 0
	v_lshl_add_u32 v0, v0, 3, v1
	buffer_load_dword v1, v0, s[0:3], 0 offen
	buffer_load_dword v116, v0, s[0:3], 0 offen offset:4
	buffer_load_dword v117, off, s[0:3], 0 offset:408
	buffer_load_dword v118, off, s[0:3], 0 offset:412
	s_waitcnt vmcnt(3)
	buffer_store_dword v1, off, s[0:3], 0 offset:408
	s_waitcnt vmcnt(3)
	buffer_store_dword v116, off, s[0:3], 0 offset:412
	s_waitcnt vmcnt(3)
	buffer_store_dword v117, v0, s[0:3], 0 offen
	s_waitcnt vmcnt(3)
	buffer_store_dword v118, v0, s[0:3], 0 offen offset:4
.LBB120_360:
	;; [unrolled: 48-line block ×27, first 2 shown]
	s_or_b64 exec, exec, s[4:5]
	v_pk_mov_b32 v[0:1], s[10:11], s[10:11] op_sel:[0,1]
	flat_load_dword v116, v[0:1]
	s_nop 0
	buffer_load_dword v0, off, s[0:3], 0
	buffer_load_dword v1, off, s[0:3], 0 offset:4
	s_waitcnt vmcnt(0) lgkmcnt(0)
	v_add_u32_e32 v116, -1, v116
	v_cmp_ne_u32_e32 vcc, 0, v116
	s_and_saveexec_b64 s[4:5], vcc
	s_cbranch_execz .LBB120_462
; %bb.461:
	v_mov_b32_e32 v117, 0
	v_lshl_add_u32 v116, v116, 3, v117
	buffer_load_dword v117, v116, s[0:3], 0 offen offset:4
	buffer_load_dword v118, v116, s[0:3], 0 offen
	s_waitcnt vmcnt(1)
	buffer_store_dword v117, off, s[0:3], 0 offset:4
	s_waitcnt vmcnt(1)
	buffer_store_dword v118, off, s[0:3], 0
	buffer_store_dword v1, v116, s[0:3], 0 offen offset:4
	buffer_store_dword v0, v116, s[0:3], 0 offen
	buffer_load_dword v0, off, s[0:3], 0
	s_nop 0
	buffer_load_dword v1, off, s[0:3], 0 offset:4
.LBB120_462:
	s_or_b64 exec, exec, s[4:5]
.LBB120_463:
	s_waitcnt vmcnt(0)
	global_store_dwordx2 v[114:115], v[0:1], off
	buffer_load_dword v0, off, s[0:3], 0 offset:8
	s_nop 0
	buffer_load_dword v1, off, s[0:3], 0 offset:12
	buffer_load_dword v114, off, s[0:3], 0 offset:16
	;; [unrolled: 1-line block ×15, first 2 shown]
	s_waitcnt vmcnt(14)
	global_store_dwordx2 v[112:113], v[0:1], off
	s_waitcnt vmcnt(13)
	global_store_dwordx2 v[2:3], v[114:115], off
	;; [unrolled: 2-line block ×8, first 2 shown]
	buffer_load_dword v0, off, s[0:3], 0 offset:72
	buffer_load_dword v1, off, s[0:3], 0 offset:76
	s_waitcnt vmcnt(0)
	global_store_dwordx2 v[14:15], v[0:1], off
	buffer_load_dword v0, off, s[0:3], 0 offset:80
	s_nop 0
	buffer_load_dword v1, off, s[0:3], 0 offset:84
	s_waitcnt vmcnt(0)
	global_store_dwordx2 v[16:17], v[0:1], off
	buffer_load_dword v0, off, s[0:3], 0 offset:88
	s_nop 0
	;; [unrolled: 5-line block ×47, first 2 shown]
	buffer_load_dword v1, off, s[0:3], 0 offset:452
	s_waitcnt vmcnt(0)
	global_store_dwordx2 v[102:103], v[0:1], off
	s_endpgm
	.section	.rodata,"a",@progbits
	.p2align	6, 0x0
	.amdhsa_kernel _ZN9rocsolver6v33100L18getri_kernel_smallILi57EdPKPdEEvT1_iilPiilS6_bb
		.amdhsa_group_segment_fixed_size 920
		.amdhsa_private_segment_fixed_size 464
		.amdhsa_kernarg_size 60
		.amdhsa_user_sgpr_count 8
		.amdhsa_user_sgpr_private_segment_buffer 1
		.amdhsa_user_sgpr_dispatch_ptr 0
		.amdhsa_user_sgpr_queue_ptr 0
		.amdhsa_user_sgpr_kernarg_segment_ptr 1
		.amdhsa_user_sgpr_dispatch_id 0
		.amdhsa_user_sgpr_flat_scratch_init 1
		.amdhsa_user_sgpr_kernarg_preload_length 0
		.amdhsa_user_sgpr_kernarg_preload_offset 0
		.amdhsa_user_sgpr_private_segment_size 0
		.amdhsa_uses_dynamic_stack 0
		.amdhsa_system_sgpr_private_segment_wavefront_offset 1
		.amdhsa_system_sgpr_workgroup_id_x 1
		.amdhsa_system_sgpr_workgroup_id_y 0
		.amdhsa_system_sgpr_workgroup_id_z 0
		.amdhsa_system_sgpr_workgroup_info 0
		.amdhsa_system_vgpr_workitem_id 0
		.amdhsa_next_free_vgpr 168
		.amdhsa_next_free_sgpr 22
		.amdhsa_accum_offset 168
		.amdhsa_reserve_vcc 1
		.amdhsa_reserve_flat_scratch 1
		.amdhsa_float_round_mode_32 0
		.amdhsa_float_round_mode_16_64 0
		.amdhsa_float_denorm_mode_32 3
		.amdhsa_float_denorm_mode_16_64 3
		.amdhsa_dx10_clamp 1
		.amdhsa_ieee_mode 1
		.amdhsa_fp16_overflow 0
		.amdhsa_tg_split 0
		.amdhsa_exception_fp_ieee_invalid_op 0
		.amdhsa_exception_fp_denorm_src 0
		.amdhsa_exception_fp_ieee_div_zero 0
		.amdhsa_exception_fp_ieee_overflow 0
		.amdhsa_exception_fp_ieee_underflow 0
		.amdhsa_exception_fp_ieee_inexact 0
		.amdhsa_exception_int_div_zero 0
	.end_amdhsa_kernel
	.section	.text._ZN9rocsolver6v33100L18getri_kernel_smallILi57EdPKPdEEvT1_iilPiilS6_bb,"axG",@progbits,_ZN9rocsolver6v33100L18getri_kernel_smallILi57EdPKPdEEvT1_iilPiilS6_bb,comdat
.Lfunc_end120:
	.size	_ZN9rocsolver6v33100L18getri_kernel_smallILi57EdPKPdEEvT1_iilPiilS6_bb, .Lfunc_end120-_ZN9rocsolver6v33100L18getri_kernel_smallILi57EdPKPdEEvT1_iilPiilS6_bb
                                        ; -- End function
	.section	.AMDGPU.csdata,"",@progbits
; Kernel info:
; codeLenInByte = 74608
; NumSgprs: 28
; NumVgprs: 168
; NumAgprs: 0
; TotalNumVgprs: 168
; ScratchSize: 464
; MemoryBound: 1
; FloatMode: 240
; IeeeMode: 1
; LDSByteSize: 920 bytes/workgroup (compile time only)
; SGPRBlocks: 3
; VGPRBlocks: 20
; NumSGPRsForWavesPerEU: 28
; NumVGPRsForWavesPerEU: 168
; AccumOffset: 168
; Occupancy: 3
; WaveLimiterHint : 1
; COMPUTE_PGM_RSRC2:SCRATCH_EN: 1
; COMPUTE_PGM_RSRC2:USER_SGPR: 8
; COMPUTE_PGM_RSRC2:TRAP_HANDLER: 0
; COMPUTE_PGM_RSRC2:TGID_X_EN: 1
; COMPUTE_PGM_RSRC2:TGID_Y_EN: 0
; COMPUTE_PGM_RSRC2:TGID_Z_EN: 0
; COMPUTE_PGM_RSRC2:TIDIG_COMP_CNT: 0
; COMPUTE_PGM_RSRC3_GFX90A:ACCUM_OFFSET: 41
; COMPUTE_PGM_RSRC3_GFX90A:TG_SPLIT: 0
	.section	.text._ZN9rocsolver6v33100L18getri_kernel_smallILi58EdPKPdEEvT1_iilPiilS6_bb,"axG",@progbits,_ZN9rocsolver6v33100L18getri_kernel_smallILi58EdPKPdEEvT1_iilPiilS6_bb,comdat
	.globl	_ZN9rocsolver6v33100L18getri_kernel_smallILi58EdPKPdEEvT1_iilPiilS6_bb ; -- Begin function _ZN9rocsolver6v33100L18getri_kernel_smallILi58EdPKPdEEvT1_iilPiilS6_bb
	.p2align	8
	.type	_ZN9rocsolver6v33100L18getri_kernel_smallILi58EdPKPdEEvT1_iilPiilS6_bb,@function
_ZN9rocsolver6v33100L18getri_kernel_smallILi58EdPKPdEEvT1_iilPiilS6_bb: ; @_ZN9rocsolver6v33100L18getri_kernel_smallILi58EdPKPdEEvT1_iilPiilS6_bb
; %bb.0:
	s_add_u32 flat_scratch_lo, s6, s9
	s_addc_u32 flat_scratch_hi, s7, 0
	s_add_u32 s0, s0, s9
	s_addc_u32 s1, s1, 0
	v_cmp_gt_u32_e32 vcc, 58, v0
	s_and_saveexec_b64 s[6:7], vcc
	s_cbranch_execz .LBB121_240
; %bb.1:
	s_load_dword s20, s[4:5], 0x38
	s_load_dwordx2 s[6:7], s[4:5], 0x0
	s_load_dwordx4 s[12:15], s[4:5], 0x28
	s_waitcnt lgkmcnt(0)
	s_bitcmp1_b32 s20, 8
	s_cselect_b64 s[16:17], -1, 0
	s_ashr_i32 s9, s8, 31
	s_lshl_b64 s[10:11], s[8:9], 3
	s_add_u32 s6, s6, s10
	s_addc_u32 s7, s7, s11
	s_load_dwordx2 s[18:19], s[6:7], 0x0
	s_bfe_u32 s6, s20, 0x10008
	s_cmp_eq_u32 s6, 0
                                        ; implicit-def: $sgpr10_sgpr11
	s_cbranch_scc1 .LBB121_3
; %bb.2:
	s_load_dword s6, s[4:5], 0x20
	s_load_dwordx2 s[10:11], s[4:5], 0x18
	s_mul_i32 s7, s8, s13
	s_mul_hi_u32 s13, s8, s12
	s_add_i32 s13, s13, s7
	s_mul_i32 s21, s9, s12
	s_add_i32 s13, s13, s21
	s_mul_i32 s12, s8, s12
	s_waitcnt lgkmcnt(0)
	s_ashr_i32 s7, s6, 31
	s_lshl_b64 s[12:13], s[12:13], 2
	s_add_u32 s10, s10, s12
	s_addc_u32 s11, s11, s13
	s_lshl_b64 s[6:7], s[6:7], 2
	s_add_u32 s10, s10, s6
	s_addc_u32 s11, s11, s7
.LBB121_3:
	s_load_dwordx2 s[6:7], s[4:5], 0x8
	s_waitcnt lgkmcnt(0)
	s_ashr_i32 s5, s6, 31
	s_mov_b32 s4, s6
	s_lshl_b64 s[4:5], s[4:5], 3
	s_add_u32 s4, s18, s4
	s_addc_u32 s5, s19, s5
	s_add_i32 s6, s7, s7
	v_add_u32_e32 v4, s6, v0
	v_ashrrev_i32_e32 v5, 31, v4
	v_lshlrev_b64 v[2:3], 3, v[4:5]
	v_add_u32_e32 v6, s7, v4
	v_mov_b32_e32 v1, s5
	v_add_co_u32_e32 v2, vcc, s4, v2
	v_ashrrev_i32_e32 v7, 31, v6
	v_addc_co_u32_e32 v3, vcc, v1, v3, vcc
	v_lshlrev_b64 v[4:5], 3, v[6:7]
	v_add_u32_e32 v8, s7, v6
	v_add_co_u32_e32 v4, vcc, s4, v4
	v_ashrrev_i32_e32 v9, 31, v8
	v_addc_co_u32_e32 v5, vcc, v1, v5, vcc
	v_lshlrev_b64 v[6:7], 3, v[8:9]
	v_add_u32_e32 v10, s7, v8
	;; [unrolled: 5-line block ×5, first 2 shown]
	v_add_co_u32_e32 v12, vcc, s4, v12
	v_ashrrev_i32_e32 v15, 31, v14
	v_addc_co_u32_e32 v13, vcc, v1, v13, vcc
	v_lshlrev_b64 v[16:17], 3, v[14:15]
	v_add_co_u32_e32 v18, vcc, s4, v16
	v_add_u32_e32 v16, s7, v14
	v_addc_co_u32_e32 v19, vcc, v1, v17, vcc
	v_ashrrev_i32_e32 v17, 31, v16
	v_lshlrev_b64 v[14:15], 3, v[16:17]
	v_add_u32_e32 v20, s7, v16
	v_add_co_u32_e32 v14, vcc, s4, v14
	v_ashrrev_i32_e32 v21, 31, v20
	v_addc_co_u32_e32 v15, vcc, v1, v15, vcc
	v_lshlrev_b64 v[16:17], 3, v[20:21]
	v_add_u32_e32 v22, s7, v20
	v_add_co_u32_e32 v16, vcc, s4, v16
	v_ashrrev_i32_e32 v23, 31, v22
	v_addc_co_u32_e32 v17, vcc, v1, v17, vcc
	;; [unrolled: 5-line block ×40, first 2 shown]
	v_lshlrev_b64 v[96:97], 3, v[98:99]
	v_add_co_u32_e32 v96, vcc, s4, v96
	v_add_u32_e32 v98, s7, v98
	v_addc_co_u32_e32 v97, vcc, v1, v97, vcc
	v_ashrrev_i32_e32 v99, 31, v98
	v_lshlrev_b32_e32 v1, 3, v0
	v_lshlrev_b64 v[100:101], 3, v[98:99]
	v_mov_b32_e32 v99, s5
	v_add_co_u32_e32 v116, vcc, s4, v1
	s_ashr_i32 s13, s7, 31
	s_mov_b32 s12, s7
	v_addc_co_u32_e32 v117, vcc, 0, v99, vcc
	s_lshl_b64 s[12:13], s[12:13], 3
	v_mov_b32_e32 v99, s13
	v_add_co_u32_e32 v114, vcc, s12, v116
	global_load_dwordx2 v[118:119], v1, s[4:5]
	global_load_dwordx2 v[122:123], v[2:3], off
	global_load_dwordx2 v[124:125], v[4:5], off
	;; [unrolled: 1-line block ×3, first 2 shown]
	v_addc_co_u32_e32 v115, vcc, v117, v99, vcc
	global_load_dwordx2 v[120:121], v[114:115], off
	global_load_dwordx2 v[128:129], v[8:9], off
	;; [unrolled: 1-line block ×9, first 2 shown]
	v_add_u32_e32 v98, s7, v98
	v_mov_b32_e32 v102, s5
	v_add_co_u32_e32 v100, vcc, s4, v100
	v_ashrrev_i32_e32 v99, 31, v98
	v_addc_co_u32_e32 v101, vcc, v102, v101, vcc
	v_lshlrev_b64 v[102:103], 3, v[98:99]
	v_add_u32_e32 v98, s7, v98
	v_mov_b32_e32 v104, s5
	v_add_co_u32_e32 v102, vcc, s4, v102
	v_ashrrev_i32_e32 v99, 31, v98
	v_addc_co_u32_e32 v103, vcc, v104, v103, vcc
	v_lshlrev_b64 v[104:105], 3, v[98:99]
	;; [unrolled: 6-line block ×7, first 2 shown]
	v_mov_b32_e32 v152, s5
	v_add_co_u32_e32 v98, vcc, s4, v98
	global_load_dwordx2 v[144:145], v[24:25], off
	global_load_dwordx2 v[146:147], v[26:27], off
	;; [unrolled: 1-line block ×4, first 2 shown]
	v_addc_co_u32_e32 v99, vcc, v152, v99, vcc
	global_load_dwordx2 v[152:153], v[32:33], off
	global_load_dwordx2 v[154:155], v[98:99], off
	global_load_dwordx2 v[156:157], v[34:35], off
	global_load_dwordx2 v[162:163], v[44:45], off
	global_load_dwordx2 v[158:159], v[36:37], off
	global_load_dwordx2 v[160:161], v[40:41], off
	s_bitcmp0_b32 s20, 0
	s_waitcnt vmcnt(21)
	buffer_store_dword v123, off, s[0:3], 0 offset:20
	buffer_store_dword v122, off, s[0:3], 0 offset:16
	global_load_dwordx2 v[122:123], v[46:47], off
	s_mov_b64 s[6:7], -1
	buffer_store_dword v119, off, s[0:3], 0 offset:4
	buffer_store_dword v118, off, s[0:3], 0
	global_load_dwordx2 v[118:119], v[38:39], off
	s_waitcnt vmcnt(24)
	buffer_store_dword v121, off, s[0:3], 0 offset:12
	buffer_store_dword v120, off, s[0:3], 0 offset:8
	global_load_dwordx2 v[120:121], v[42:43], off
	s_nop 0
	buffer_store_dword v125, off, s[0:3], 0 offset:28
	buffer_store_dword v124, off, s[0:3], 0 offset:24
	global_load_dwordx2 v[124:125], v[48:49], off
	s_nop 0
	buffer_store_dword v127, off, s[0:3], 0 offset:36
	buffer_store_dword v126, off, s[0:3], 0 offset:32
	global_load_dwordx2 v[126:127], v[50:51], off
	s_waitcnt vmcnt(32)
	buffer_store_dword v129, off, s[0:3], 0 offset:44
	buffer_store_dword v128, off, s[0:3], 0 offset:40
	global_load_dwordx2 v[128:129], v[52:53], off
	s_waitcnt vmcnt(34)
	;; [unrolled: 4-line block ×4, first 2 shown]
	buffer_store_dword v135, off, s[0:3], 0 offset:68
	buffer_store_dword v134, off, s[0:3], 0 offset:64
	global_load_dwordx2 v[134:135], v[58:59], off
	s_nop 0
	buffer_store_dword v136, off, s[0:3], 0 offset:72
	buffer_store_dword v137, off, s[0:3], 0 offset:76
	global_load_dwordx2 v[136:137], v[60:61], off
	s_nop 0
	buffer_store_dword v138, off, s[0:3], 0 offset:80
	buffer_store_dword v139, off, s[0:3], 0 offset:84
	global_load_dwordx2 v[138:139], v[62:63], off
	s_waitcnt vmcnt(44)
	buffer_store_dword v140, off, s[0:3], 0 offset:88
	buffer_store_dword v141, off, s[0:3], 0 offset:92
	global_load_dwordx2 v[140:141], v[64:65], off
	s_waitcnt vmcnt(46)
	;; [unrolled: 4-line block ×3, first 2 shown]
	buffer_store_dword v144, off, s[0:3], 0 offset:104
	buffer_store_dword v145, off, s[0:3], 0 offset:108
	s_waitcnt vmcnt(49)
	buffer_store_dword v147, off, s[0:3], 0 offset:116
	buffer_store_dword v146, off, s[0:3], 0 offset:112
	s_waitcnt vmcnt(50)
	;; [unrolled: 3-line block ×7, first 2 shown]
	buffer_store_dword v119, off, s[0:3], 0 offset:164
	buffer_store_dword v118, off, s[0:3], 0 offset:160
	;; [unrolled: 1-line block ×4, first 2 shown]
	s_waitcnt vmcnt(48)
	buffer_store_dword v120, off, s[0:3], 0 offset:176
	buffer_store_dword v121, off, s[0:3], 0 offset:180
	;; [unrolled: 1-line block ×5, first 2 shown]
	global_load_dwordx2 v[118:119], v[68:69], off
	s_nop 0
	global_load_dwordx2 v[120:121], v[70:71], off
	global_load_dwordx2 v[144:145], v[76:77], off
	;; [unrolled: 1-line block ×10, first 2 shown]
	s_nop 0
	buffer_store_dword v123, off, s[0:3], 0 offset:196
	global_load_dwordx2 v[122:123], v[72:73], off
	s_waitcnt vmcnt(62)
	buffer_store_dword v125, off, s[0:3], 0 offset:204
	buffer_store_dword v124, off, s[0:3], 0 offset:200
	global_load_dwordx2 v[124:125], v[74:75], off
	s_waitcnt vmcnt(62)
	buffer_store_dword v127, off, s[0:3], 0 offset:212
	;; [unrolled: 4-line block ×11, first 2 shown]
	buffer_store_dword v119, off, s[0:3], 0 offset:284
	s_waitcnt vmcnt(43)
	buffer_store_dword v120, off, s[0:3], 0 offset:288
	buffer_store_dword v121, off, s[0:3], 0 offset:292
	s_waitcnt vmcnt(34)
	buffer_store_dword v123, off, s[0:3], 0 offset:300
	;; [unrolled: 3-line block ×3, first 2 shown]
	buffer_store_dword v124, off, s[0:3], 0 offset:304
	buffer_store_dword v144, off, s[0:3], 0 offset:312
	buffer_store_dword v145, off, s[0:3], 0 offset:316
	s_waitcnt vmcnt(34)
	buffer_store_dword v126, off, s[0:3], 0 offset:320
	buffer_store_dword v127, off, s[0:3], 0 offset:324
	buffer_store_dword v146, off, s[0:3], 0 offset:328
	buffer_store_dword v147, off, s[0:3], 0 offset:332
	s_waitcnt vmcnt(35)
	buffer_store_dword v128, off, s[0:3], 0 offset:336
	;; [unrolled: 5-line block ×9, first 2 shown]
	buffer_store_dword v142, off, s[0:3], 0 offset:448
	buffer_store_dword v154, off, s[0:3], 0 offset:456
	;; [unrolled: 1-line block ×3, first 2 shown]
	s_cbranch_scc1 .LBB121_238
; %bb.4:
	v_cmp_eq_u32_e64 s[4:5], 0, v0
	s_and_saveexec_b64 s[6:7], s[4:5]
	s_cbranch_execz .LBB121_6
; %bb.5:
	v_mov_b32_e32 v118, 0
	ds_write_b32 v118, v118 offset:928
.LBB121_6:
	s_or_b64 exec, exec, s[6:7]
	v_mov_b32_e32 v118, 0
	v_lshl_add_u32 v118, v0, 3, v118
	s_waitcnt lgkmcnt(0)
	; wave barrier
	s_waitcnt lgkmcnt(0)
	buffer_load_dword v120, v118, s[0:3], 0 offen
	buffer_load_dword v121, v118, s[0:3], 0 offen offset:4
	s_waitcnt vmcnt(0)
	v_cmp_eq_f64_e32 vcc, 0, v[120:121]
	s_and_saveexec_b64 s[12:13], vcc
	s_cbranch_execz .LBB121_10
; %bb.7:
	v_mov_b32_e32 v119, 0
	ds_read_b32 v121, v119 offset:928
	v_add_u32_e32 v120, 1, v0
	s_waitcnt lgkmcnt(0)
	v_readfirstlane_b32 s6, v121
	s_cmp_eq_u32 s6, 0
	s_cselect_b64 s[18:19], -1, 0
	v_cmp_gt_i32_e32 vcc, s6, v120
	s_or_b64 s[18:19], s[18:19], vcc
	s_and_b64 exec, exec, s[18:19]
	s_cbranch_execz .LBB121_10
; %bb.8:
	s_mov_b64 s[18:19], 0
	v_mov_b32_e32 v121, s6
.LBB121_9:                              ; =>This Inner Loop Header: Depth=1
	ds_cmpst_rtn_b32 v121, v119, v121, v120 offset:928
	s_waitcnt lgkmcnt(0)
	v_cmp_ne_u32_e32 vcc, 0, v121
	v_cmp_le_i32_e64 s[6:7], v121, v120
	s_and_b64 s[6:7], vcc, s[6:7]
	s_and_b64 s[6:7], exec, s[6:7]
	s_or_b64 s[18:19], s[6:7], s[18:19]
	s_andn2_b64 exec, exec, s[18:19]
	s_cbranch_execnz .LBB121_9
.LBB121_10:
	s_or_b64 exec, exec, s[12:13]
	v_mov_b32_e32 v120, 0
	s_waitcnt lgkmcnt(0)
	; wave barrier
	ds_read_b32 v119, v120 offset:928
	s_and_saveexec_b64 s[6:7], s[4:5]
	s_cbranch_execz .LBB121_12
; %bb.11:
	s_lshl_b64 s[12:13], s[8:9], 2
	s_add_u32 s12, s14, s12
	s_addc_u32 s13, s15, s13
	s_waitcnt lgkmcnt(0)
	global_store_dword v120, v119, s[12:13]
.LBB121_12:
	s_or_b64 exec, exec, s[6:7]
	s_waitcnt lgkmcnt(0)
	v_cmp_ne_u32_e32 vcc, 0, v119
	s_mov_b64 s[6:7], 0
	s_cbranch_vccnz .LBB121_238
; %bb.13:
	buffer_load_dword v120, v118, s[0:3], 0 offen
	buffer_load_dword v121, v118, s[0:3], 0 offen offset:4
	s_waitcnt vmcnt(0)
	v_div_scale_f64 v[122:123], s[6:7], v[120:121], v[120:121], 1.0
	v_rcp_f64_e32 v[124:125], v[122:123]
	v_div_scale_f64 v[126:127], vcc, 1.0, v[120:121], 1.0
	v_fma_f64 v[128:129], -v[122:123], v[124:125], 1.0
	v_fmac_f64_e32 v[124:125], v[124:125], v[128:129]
	v_fma_f64 v[128:129], -v[122:123], v[124:125], 1.0
	v_fmac_f64_e32 v[124:125], v[124:125], v[128:129]
	v_mul_f64 v[128:129], v[126:127], v[124:125]
	v_fma_f64 v[122:123], -v[122:123], v[128:129], v[126:127]
	v_div_fmas_f64 v[122:123], v[122:123], v[124:125], v[128:129]
	v_div_fixup_f64 v[122:123], v[122:123], v[120:121], 1.0
	buffer_store_dword v123, v118, s[0:3], 0 offen offset:4
	buffer_store_dword v122, v118, s[0:3], 0 offen
	buffer_load_dword v125, off, s[0:3], 0 offset:12
	buffer_load_dword v124, off, s[0:3], 0 offset:8
	v_add_u32_e32 v120, 0x1d0, v1
	v_xor_b32_e32 v123, 0x80000000, v123
	s_waitcnt vmcnt(0)
	ds_write2_b64 v1, v[122:123], v[124:125] offset1:58
	s_waitcnt lgkmcnt(0)
	; wave barrier
	s_waitcnt lgkmcnt(0)
	s_and_saveexec_b64 s[6:7], s[4:5]
	s_cbranch_execz .LBB121_15
; %bb.14:
	buffer_load_dword v122, v118, s[0:3], 0 offen
	buffer_load_dword v123, v118, s[0:3], 0 offen offset:4
	v_mov_b32_e32 v119, 0
	ds_read_b64 v[124:125], v120
	ds_read_b64 v[126:127], v119 offset:8
	s_waitcnt vmcnt(0) lgkmcnt(1)
	v_fma_f64 v[122:123], v[122:123], v[124:125], 0
	s_waitcnt lgkmcnt(0)
	v_mul_f64 v[122:123], v[122:123], v[126:127]
	buffer_store_dword v122, off, s[0:3], 0 offset:8
	buffer_store_dword v123, off, s[0:3], 0 offset:12
.LBB121_15:
	s_or_b64 exec, exec, s[6:7]
	s_waitcnt lgkmcnt(0)
	; wave barrier
	buffer_load_dword v122, off, s[0:3], 0 offset:16
	buffer_load_dword v123, off, s[0:3], 0 offset:20
	v_cmp_gt_u32_e32 vcc, 2, v0
	s_waitcnt vmcnt(0)
	ds_write_b64 v120, v[122:123]
	s_waitcnt lgkmcnt(0)
	; wave barrier
	s_waitcnt lgkmcnt(0)
	s_and_saveexec_b64 s[6:7], vcc
	s_cbranch_execz .LBB121_17
; %bb.16:
	buffer_load_dword v119, v118, s[0:3], 0 offen offset:4
	buffer_load_dword v126, off, s[0:3], 0 offset:8
	s_nop 0
	buffer_load_dword v118, v118, s[0:3], 0 offen
	s_nop 0
	buffer_load_dword v127, off, s[0:3], 0 offset:12
	ds_read_b64 v[128:129], v120
	v_mov_b32_e32 v121, 0
	ds_read2_b64 v[122:125], v121 offset0:2 offset1:59
	s_waitcnt vmcnt(1) lgkmcnt(1)
	v_fma_f64 v[118:119], v[118:119], v[128:129], 0
	s_waitcnt vmcnt(0) lgkmcnt(0)
	v_fma_f64 v[124:125], v[126:127], v[124:125], v[118:119]
	v_cndmask_b32_e64 v119, v119, v125, s[4:5]
	v_cndmask_b32_e64 v118, v118, v124, s[4:5]
	v_mul_f64 v[118:119], v[118:119], v[122:123]
	buffer_store_dword v119, off, s[0:3], 0 offset:20
	buffer_store_dword v118, off, s[0:3], 0 offset:16
.LBB121_17:
	s_or_b64 exec, exec, s[6:7]
	s_waitcnt lgkmcnt(0)
	; wave barrier
	buffer_load_dword v118, off, s[0:3], 0 offset:24
	buffer_load_dword v119, off, s[0:3], 0 offset:28
	v_cmp_gt_u32_e32 vcc, 3, v0
	v_add_u32_e32 v121, -1, v0
	s_waitcnt vmcnt(0)
	ds_write_b64 v120, v[118:119]
	s_waitcnt lgkmcnt(0)
	; wave barrier
	s_waitcnt lgkmcnt(0)
	s_and_saveexec_b64 s[4:5], vcc
	s_cbranch_execz .LBB121_21
; %bb.18:
	v_add_u32_e32 v122, -1, v0
	v_add_u32_e32 v123, 0x1d0, v1
	v_add_u32_e32 v124, 0, v1
	s_mov_b64 s[6:7], 0
	v_pk_mov_b32 v[118:119], 0, 0
.LBB121_19:                             ; =>This Inner Loop Header: Depth=1
	buffer_load_dword v126, v124, s[0:3], 0 offen
	buffer_load_dword v127, v124, s[0:3], 0 offen offset:4
	ds_read_b64 v[128:129], v123
	v_add_u32_e32 v122, 1, v122
	v_cmp_lt_u32_e32 vcc, 1, v122
	v_add_u32_e32 v123, 8, v123
	v_add_u32_e32 v124, 8, v124
	s_or_b64 s[6:7], vcc, s[6:7]
	s_waitcnt vmcnt(0) lgkmcnt(0)
	v_fmac_f64_e32 v[118:119], v[126:127], v[128:129]
	s_andn2_b64 exec, exec, s[6:7]
	s_cbranch_execnz .LBB121_19
; %bb.20:
	s_or_b64 exec, exec, s[6:7]
	v_mov_b32_e32 v122, 0
	ds_read_b64 v[122:123], v122 offset:24
	s_waitcnt lgkmcnt(0)
	v_mul_f64 v[118:119], v[118:119], v[122:123]
	buffer_store_dword v119, off, s[0:3], 0 offset:28
	buffer_store_dword v118, off, s[0:3], 0 offset:24
.LBB121_21:
	s_or_b64 exec, exec, s[4:5]
	s_waitcnt lgkmcnt(0)
	; wave barrier
	buffer_load_dword v118, off, s[0:3], 0 offset:32
	buffer_load_dword v119, off, s[0:3], 0 offset:36
	v_cmp_gt_u32_e32 vcc, 4, v0
	s_waitcnt vmcnt(0)
	ds_write_b64 v120, v[118:119]
	s_waitcnt lgkmcnt(0)
	; wave barrier
	s_waitcnt lgkmcnt(0)
	s_and_saveexec_b64 s[4:5], vcc
	s_cbranch_execz .LBB121_25
; %bb.22:
	v_add_u32_e32 v122, -1, v0
	v_add_u32_e32 v123, 0x1d0, v1
	v_add_u32_e32 v124, 0, v1
	s_mov_b64 s[6:7], 0
	v_pk_mov_b32 v[118:119], 0, 0
.LBB121_23:                             ; =>This Inner Loop Header: Depth=1
	buffer_load_dword v126, v124, s[0:3], 0 offen
	buffer_load_dword v127, v124, s[0:3], 0 offen offset:4
	ds_read_b64 v[128:129], v123
	v_add_u32_e32 v122, 1, v122
	v_cmp_lt_u32_e32 vcc, 2, v122
	v_add_u32_e32 v123, 8, v123
	v_add_u32_e32 v124, 8, v124
	s_or_b64 s[6:7], vcc, s[6:7]
	s_waitcnt vmcnt(0) lgkmcnt(0)
	v_fmac_f64_e32 v[118:119], v[126:127], v[128:129]
	s_andn2_b64 exec, exec, s[6:7]
	s_cbranch_execnz .LBB121_23
; %bb.24:
	s_or_b64 exec, exec, s[6:7]
	v_mov_b32_e32 v122, 0
	ds_read_b64 v[122:123], v122 offset:32
	s_waitcnt lgkmcnt(0)
	v_mul_f64 v[118:119], v[118:119], v[122:123]
	buffer_store_dword v119, off, s[0:3], 0 offset:36
	buffer_store_dword v118, off, s[0:3], 0 offset:32
.LBB121_25:
	s_or_b64 exec, exec, s[4:5]
	s_waitcnt lgkmcnt(0)
	; wave barrier
	buffer_load_dword v118, off, s[0:3], 0 offset:40
	buffer_load_dword v119, off, s[0:3], 0 offset:44
	v_cmp_gt_u32_e32 vcc, 5, v0
	;; [unrolled: 41-line block ×21, first 2 shown]
	s_waitcnt vmcnt(0)
	ds_write_b64 v120, v[118:119]
	s_waitcnt lgkmcnt(0)
	; wave barrier
	s_waitcnt lgkmcnt(0)
	s_and_saveexec_b64 s[4:5], vcc
	s_cbranch_execz .LBB121_105
; %bb.102:
	v_add_u32_e32 v122, -1, v0
	v_add_u32_e32 v123, 0x1d0, v1
	v_add_u32_e32 v124, 0, v1
	s_mov_b64 s[6:7], 0
	v_pk_mov_b32 v[118:119], 0, 0
.LBB121_103:                            ; =>This Inner Loop Header: Depth=1
	buffer_load_dword v126, v124, s[0:3], 0 offen
	buffer_load_dword v127, v124, s[0:3], 0 offen offset:4
	ds_read_b64 v[128:129], v123
	v_add_u32_e32 v122, 1, v122
	v_cmp_lt_u32_e32 vcc, 22, v122
	v_add_u32_e32 v123, 8, v123
	v_add_u32_e32 v124, 8, v124
	s_or_b64 s[6:7], vcc, s[6:7]
	s_waitcnt vmcnt(0) lgkmcnt(0)
	v_fmac_f64_e32 v[118:119], v[126:127], v[128:129]
	s_andn2_b64 exec, exec, s[6:7]
	s_cbranch_execnz .LBB121_103
; %bb.104:
	s_or_b64 exec, exec, s[6:7]
	v_mov_b32_e32 v122, 0
	ds_read_b64 v[122:123], v122 offset:192
	s_waitcnt lgkmcnt(0)
	v_mul_f64 v[118:119], v[118:119], v[122:123]
	buffer_store_dword v119, off, s[0:3], 0 offset:196
	buffer_store_dword v118, off, s[0:3], 0 offset:192
.LBB121_105:
	s_or_b64 exec, exec, s[4:5]
	s_waitcnt lgkmcnt(0)
	; wave barrier
	buffer_load_dword v118, off, s[0:3], 0 offset:200
	buffer_load_dword v119, off, s[0:3], 0 offset:204
	v_cmp_gt_u32_e32 vcc, 25, v0
	s_waitcnt vmcnt(0)
	ds_write_b64 v120, v[118:119]
	s_waitcnt lgkmcnt(0)
	; wave barrier
	s_waitcnt lgkmcnt(0)
	s_and_saveexec_b64 s[4:5], vcc
	s_cbranch_execz .LBB121_109
; %bb.106:
	v_add_u32_e32 v122, -1, v0
	v_add_u32_e32 v123, 0x1d0, v1
	v_add_u32_e32 v124, 0, v1
	s_mov_b64 s[6:7], 0
	v_pk_mov_b32 v[118:119], 0, 0
.LBB121_107:                            ; =>This Inner Loop Header: Depth=1
	buffer_load_dword v126, v124, s[0:3], 0 offen
	buffer_load_dword v127, v124, s[0:3], 0 offen offset:4
	ds_read_b64 v[128:129], v123
	v_add_u32_e32 v122, 1, v122
	v_cmp_lt_u32_e32 vcc, 23, v122
	v_add_u32_e32 v123, 8, v123
	v_add_u32_e32 v124, 8, v124
	s_or_b64 s[6:7], vcc, s[6:7]
	s_waitcnt vmcnt(0) lgkmcnt(0)
	v_fmac_f64_e32 v[118:119], v[126:127], v[128:129]
	s_andn2_b64 exec, exec, s[6:7]
	s_cbranch_execnz .LBB121_107
; %bb.108:
	s_or_b64 exec, exec, s[6:7]
	v_mov_b32_e32 v122, 0
	ds_read_b64 v[122:123], v122 offset:200
	s_waitcnt lgkmcnt(0)
	v_mul_f64 v[118:119], v[118:119], v[122:123]
	buffer_store_dword v119, off, s[0:3], 0 offset:204
	buffer_store_dword v118, off, s[0:3], 0 offset:200
.LBB121_109:
	s_or_b64 exec, exec, s[4:5]
	s_waitcnt lgkmcnt(0)
	; wave barrier
	buffer_load_dword v118, off, s[0:3], 0 offset:208
	buffer_load_dword v119, off, s[0:3], 0 offset:212
	v_cmp_gt_u32_e32 vcc, 26, v0
	;; [unrolled: 41-line block ×32, first 2 shown]
	s_waitcnt vmcnt(0)
	ds_write_b64 v120, v[118:119]
	s_waitcnt lgkmcnt(0)
	; wave barrier
	s_waitcnt lgkmcnt(0)
	s_and_saveexec_b64 s[4:5], vcc
	s_cbranch_execz .LBB121_233
; %bb.230:
	v_add_u32_e32 v122, -1, v0
	v_add_u32_e32 v123, 0x1d0, v1
	v_add_u32_e32 v124, 0, v1
	s_mov_b64 s[6:7], 0
	v_pk_mov_b32 v[118:119], 0, 0
.LBB121_231:                            ; =>This Inner Loop Header: Depth=1
	buffer_load_dword v126, v124, s[0:3], 0 offen
	buffer_load_dword v127, v124, s[0:3], 0 offen offset:4
	ds_read_b64 v[128:129], v123
	v_add_u32_e32 v122, 1, v122
	v_cmp_lt_u32_e32 vcc, 54, v122
	v_add_u32_e32 v123, 8, v123
	v_add_u32_e32 v124, 8, v124
	s_or_b64 s[6:7], vcc, s[6:7]
	s_waitcnt vmcnt(0) lgkmcnt(0)
	v_fmac_f64_e32 v[118:119], v[126:127], v[128:129]
	s_andn2_b64 exec, exec, s[6:7]
	s_cbranch_execnz .LBB121_231
; %bb.232:
	s_or_b64 exec, exec, s[6:7]
	v_mov_b32_e32 v122, 0
	ds_read_b64 v[122:123], v122 offset:448
	s_waitcnt lgkmcnt(0)
	v_mul_f64 v[118:119], v[118:119], v[122:123]
	buffer_store_dword v119, off, s[0:3], 0 offset:452
	buffer_store_dword v118, off, s[0:3], 0 offset:448
.LBB121_233:
	s_or_b64 exec, exec, s[4:5]
	s_waitcnt lgkmcnt(0)
	; wave barrier
	buffer_load_dword v118, off, s[0:3], 0 offset:456
	buffer_load_dword v119, off, s[0:3], 0 offset:460
	v_cmp_ne_u32_e32 vcc, 57, v0
	s_waitcnt vmcnt(0)
	ds_write_b64 v120, v[118:119]
	s_waitcnt lgkmcnt(0)
	; wave barrier
	s_waitcnt lgkmcnt(0)
	s_and_saveexec_b64 s[4:5], vcc
	s_cbranch_execz .LBB121_237
; %bb.234:
	v_add_u32_e32 v120, 0x1d0, v1
	v_add_u32_e32 v1, 0, v1
	s_mov_b64 s[6:7], 0
	v_pk_mov_b32 v[118:119], 0, 0
.LBB121_235:                            ; =>This Inner Loop Header: Depth=1
	buffer_load_dword v122, v1, s[0:3], 0 offen
	buffer_load_dword v123, v1, s[0:3], 0 offen offset:4
	ds_read_b64 v[124:125], v120
	v_add_u32_e32 v121, 1, v121
	v_cmp_lt_u32_e32 vcc, 55, v121
	v_add_u32_e32 v120, 8, v120
	v_add_u32_e32 v1, 8, v1
	s_or_b64 s[6:7], vcc, s[6:7]
	s_waitcnt vmcnt(0) lgkmcnt(0)
	v_fmac_f64_e32 v[118:119], v[122:123], v[124:125]
	s_andn2_b64 exec, exec, s[6:7]
	s_cbranch_execnz .LBB121_235
; %bb.236:
	s_or_b64 exec, exec, s[6:7]
	v_mov_b32_e32 v1, 0
	ds_read_b64 v[120:121], v1 offset:456
	s_waitcnt lgkmcnt(0)
	v_mul_f64 v[118:119], v[118:119], v[120:121]
	buffer_store_dword v119, off, s[0:3], 0 offset:460
	buffer_store_dword v118, off, s[0:3], 0 offset:456
.LBB121_237:
	s_or_b64 exec, exec, s[4:5]
	s_mov_b64 s[6:7], -1
	s_waitcnt lgkmcnt(0)
	; wave barrier
.LBB121_238:
	s_and_b64 vcc, exec, s[6:7]
	s_cbranch_vccz .LBB121_240
; %bb.239:
	s_lshl_b64 s[4:5], s[8:9], 2
	s_add_u32 s4, s14, s4
	s_addc_u32 s5, s15, s5
	v_mov_b32_e32 v1, 0
	global_load_dword v1, v1, s[4:5]
	s_waitcnt vmcnt(0)
	v_cmp_ne_u32_e32 vcc, 0, v1
	s_cbranch_vccz .LBB121_241
.LBB121_240:
	s_endpgm
.LBB121_241:
	v_mov_b32_e32 v1, 0x1d0
	v_lshl_add_u32 v1, v0, 3, v1
	v_cmp_eq_u32_e32 vcc, 57, v0
	s_and_saveexec_b64 s[4:5], vcc
	s_cbranch_execz .LBB121_243
; %bb.242:
	buffer_load_dword v118, off, s[0:3], 0 offset:448
	buffer_load_dword v119, off, s[0:3], 0 offset:452
	v_mov_b32_e32 v120, 0
	buffer_store_dword v120, off, s[0:3], 0 offset:448
	buffer_store_dword v120, off, s[0:3], 0 offset:452
	s_waitcnt vmcnt(2)
	ds_write_b64 v1, v[118:119]
.LBB121_243:
	s_or_b64 exec, exec, s[4:5]
	s_waitcnt lgkmcnt(0)
	; wave barrier
	s_waitcnt lgkmcnt(0)
	buffer_load_dword v120, off, s[0:3], 0 offset:456
	buffer_load_dword v121, off, s[0:3], 0 offset:460
	buffer_load_dword v122, off, s[0:3], 0 offset:448
	buffer_load_dword v123, off, s[0:3], 0 offset:452
	v_mov_b32_e32 v118, 0
	ds_read_b64 v[124:125], v118 offset:920
	v_cmp_lt_u32_e32 vcc, 55, v0
	s_waitcnt vmcnt(2) lgkmcnt(0)
	v_fma_f64 v[120:121], v[120:121], v[124:125], 0
	s_waitcnt vmcnt(0)
	v_add_f64 v[120:121], v[122:123], -v[120:121]
	buffer_store_dword v120, off, s[0:3], 0 offset:448
	buffer_store_dword v121, off, s[0:3], 0 offset:452
	s_and_saveexec_b64 s[4:5], vcc
	s_cbranch_execz .LBB121_245
; %bb.244:
	buffer_load_dword v120, off, s[0:3], 0 offset:440
	buffer_load_dword v121, off, s[0:3], 0 offset:444
	s_waitcnt vmcnt(0)
	ds_write_b64 v1, v[120:121]
	buffer_store_dword v118, off, s[0:3], 0 offset:440
	buffer_store_dword v118, off, s[0:3], 0 offset:444
.LBB121_245:
	s_or_b64 exec, exec, s[4:5]
	s_waitcnt lgkmcnt(0)
	; wave barrier
	s_waitcnt lgkmcnt(0)
	buffer_load_dword v122, off, s[0:3], 0 offset:448
	buffer_load_dword v123, off, s[0:3], 0 offset:452
	;; [unrolled: 1-line block ×6, first 2 shown]
	ds_read_b128 v[118:121], v118 offset:912
	v_cmp_lt_u32_e32 vcc, 54, v0
	s_waitcnt vmcnt(4) lgkmcnt(0)
	v_fma_f64 v[118:119], v[122:123], v[118:119], 0
	s_waitcnt vmcnt(2)
	v_fmac_f64_e32 v[118:119], v[124:125], v[120:121]
	s_waitcnt vmcnt(0)
	v_add_f64 v[118:119], v[126:127], -v[118:119]
	buffer_store_dword v118, off, s[0:3], 0 offset:440
	buffer_store_dword v119, off, s[0:3], 0 offset:444
	s_and_saveexec_b64 s[4:5], vcc
	s_cbranch_execz .LBB121_247
; %bb.246:
	buffer_load_dword v118, off, s[0:3], 0 offset:432
	buffer_load_dword v119, off, s[0:3], 0 offset:436
	v_mov_b32_e32 v120, 0
	buffer_store_dword v120, off, s[0:3], 0 offset:432
	buffer_store_dword v120, off, s[0:3], 0 offset:436
	s_waitcnt vmcnt(2)
	ds_write_b64 v1, v[118:119]
.LBB121_247:
	s_or_b64 exec, exec, s[4:5]
	s_waitcnt lgkmcnt(0)
	; wave barrier
	s_waitcnt lgkmcnt(0)
	buffer_load_dword v124, off, s[0:3], 0 offset:440
	buffer_load_dword v125, off, s[0:3], 0 offset:444
	;; [unrolled: 1-line block ×8, first 2 shown]
	v_mov_b32_e32 v118, 0
	ds_read2_b64 v[120:123], v118 offset0:113 offset1:114
	ds_read_b64 v[132:133], v118 offset:920
	v_cmp_lt_u32_e32 vcc, 53, v0
	s_waitcnt vmcnt(6) lgkmcnt(1)
	v_fma_f64 v[120:121], v[124:125], v[120:121], 0
	s_waitcnt vmcnt(4)
	v_fmac_f64_e32 v[120:121], v[126:127], v[122:123]
	s_waitcnt vmcnt(2) lgkmcnt(0)
	v_fmac_f64_e32 v[120:121], v[128:129], v[132:133]
	s_waitcnt vmcnt(0)
	v_add_f64 v[120:121], v[130:131], -v[120:121]
	buffer_store_dword v120, off, s[0:3], 0 offset:432
	buffer_store_dword v121, off, s[0:3], 0 offset:436
	s_and_saveexec_b64 s[4:5], vcc
	s_cbranch_execz .LBB121_249
; %bb.248:
	buffer_load_dword v120, off, s[0:3], 0 offset:424
	buffer_load_dword v121, off, s[0:3], 0 offset:428
	s_waitcnt vmcnt(0)
	ds_write_b64 v1, v[120:121]
	buffer_store_dword v118, off, s[0:3], 0 offset:424
	buffer_store_dword v118, off, s[0:3], 0 offset:428
.LBB121_249:
	s_or_b64 exec, exec, s[4:5]
	s_waitcnt lgkmcnt(0)
	; wave barrier
	s_waitcnt lgkmcnt(0)
	buffer_load_dword v128, off, s[0:3], 0 offset:432
	buffer_load_dword v129, off, s[0:3], 0 offset:436
	;; [unrolled: 1-line block ×10, first 2 shown]
	ds_read_b128 v[120:123], v118 offset:896
	ds_read_b128 v[124:127], v118 offset:912
	v_cmp_lt_u32_e32 vcc, 52, v0
	s_waitcnt vmcnt(8) lgkmcnt(1)
	v_fma_f64 v[118:119], v[128:129], v[120:121], 0
	s_waitcnt vmcnt(6)
	v_fmac_f64_e32 v[118:119], v[130:131], v[122:123]
	s_waitcnt vmcnt(4) lgkmcnt(0)
	v_fmac_f64_e32 v[118:119], v[132:133], v[124:125]
	s_waitcnt vmcnt(2)
	v_fmac_f64_e32 v[118:119], v[134:135], v[126:127]
	s_waitcnt vmcnt(0)
	v_add_f64 v[118:119], v[136:137], -v[118:119]
	buffer_store_dword v118, off, s[0:3], 0 offset:424
	buffer_store_dword v119, off, s[0:3], 0 offset:428
	s_and_saveexec_b64 s[4:5], vcc
	s_cbranch_execz .LBB121_251
; %bb.250:
	buffer_load_dword v118, off, s[0:3], 0 offset:416
	buffer_load_dword v119, off, s[0:3], 0 offset:420
	v_mov_b32_e32 v120, 0
	buffer_store_dword v120, off, s[0:3], 0 offset:416
	buffer_store_dword v120, off, s[0:3], 0 offset:420
	s_waitcnt vmcnt(2)
	ds_write_b64 v1, v[118:119]
.LBB121_251:
	s_or_b64 exec, exec, s[4:5]
	s_waitcnt lgkmcnt(0)
	; wave barrier
	s_waitcnt lgkmcnt(0)
	buffer_load_dword v128, off, s[0:3], 0 offset:424
	buffer_load_dword v129, off, s[0:3], 0 offset:428
	;; [unrolled: 1-line block ×12, first 2 shown]
	v_mov_b32_e32 v118, 0
	ds_read2_b64 v[120:123], v118 offset0:111 offset1:112
	ds_read2_b64 v[124:127], v118 offset0:113 offset1:114
	ds_read_b64 v[140:141], v118 offset:920
	v_cmp_lt_u32_e32 vcc, 51, v0
	s_waitcnt vmcnt(10) lgkmcnt(2)
	v_fma_f64 v[120:121], v[128:129], v[120:121], 0
	s_waitcnt vmcnt(8)
	v_fmac_f64_e32 v[120:121], v[130:131], v[122:123]
	s_waitcnt vmcnt(6) lgkmcnt(1)
	v_fmac_f64_e32 v[120:121], v[132:133], v[124:125]
	s_waitcnt vmcnt(4)
	v_fmac_f64_e32 v[120:121], v[134:135], v[126:127]
	s_waitcnt vmcnt(2) lgkmcnt(0)
	v_fmac_f64_e32 v[120:121], v[136:137], v[140:141]
	s_waitcnt vmcnt(0)
	v_add_f64 v[120:121], v[138:139], -v[120:121]
	buffer_store_dword v120, off, s[0:3], 0 offset:416
	buffer_store_dword v121, off, s[0:3], 0 offset:420
	s_and_saveexec_b64 s[4:5], vcc
	s_cbranch_execz .LBB121_253
; %bb.252:
	buffer_load_dword v120, off, s[0:3], 0 offset:408
	buffer_load_dword v121, off, s[0:3], 0 offset:412
	s_waitcnt vmcnt(0)
	ds_write_b64 v1, v[120:121]
	buffer_store_dword v118, off, s[0:3], 0 offset:408
	buffer_store_dword v118, off, s[0:3], 0 offset:412
.LBB121_253:
	s_or_b64 exec, exec, s[4:5]
	s_waitcnt lgkmcnt(0)
	; wave barrier
	s_waitcnt lgkmcnt(0)
	buffer_load_dword v132, off, s[0:3], 0 offset:416
	buffer_load_dword v133, off, s[0:3], 0 offset:420
	;; [unrolled: 1-line block ×14, first 2 shown]
	ds_read_b128 v[120:123], v118 offset:880
	ds_read_b128 v[124:127], v118 offset:896
	;; [unrolled: 1-line block ×3, first 2 shown]
	v_cmp_lt_u32_e32 vcc, 50, v0
	s_waitcnt vmcnt(12) lgkmcnt(2)
	v_fma_f64 v[118:119], v[132:133], v[120:121], 0
	s_waitcnt vmcnt(10)
	v_fmac_f64_e32 v[118:119], v[134:135], v[122:123]
	s_waitcnt vmcnt(8) lgkmcnt(1)
	v_fmac_f64_e32 v[118:119], v[136:137], v[124:125]
	s_waitcnt vmcnt(6)
	v_fmac_f64_e32 v[118:119], v[138:139], v[126:127]
	s_waitcnt vmcnt(4) lgkmcnt(0)
	v_fmac_f64_e32 v[118:119], v[140:141], v[128:129]
	s_waitcnt vmcnt(2)
	v_fmac_f64_e32 v[118:119], v[142:143], v[130:131]
	s_waitcnt vmcnt(0)
	v_add_f64 v[118:119], v[144:145], -v[118:119]
	buffer_store_dword v118, off, s[0:3], 0 offset:408
	buffer_store_dword v119, off, s[0:3], 0 offset:412
	s_and_saveexec_b64 s[4:5], vcc
	s_cbranch_execz .LBB121_255
; %bb.254:
	buffer_load_dword v118, off, s[0:3], 0 offset:400
	buffer_load_dword v119, off, s[0:3], 0 offset:404
	v_mov_b32_e32 v120, 0
	buffer_store_dword v120, off, s[0:3], 0 offset:400
	buffer_store_dword v120, off, s[0:3], 0 offset:404
	s_waitcnt vmcnt(2)
	ds_write_b64 v1, v[118:119]
.LBB121_255:
	s_or_b64 exec, exec, s[4:5]
	s_waitcnt lgkmcnt(0)
	; wave barrier
	s_waitcnt lgkmcnt(0)
	buffer_load_dword v132, off, s[0:3], 0 offset:408
	buffer_load_dword v133, off, s[0:3], 0 offset:412
	;; [unrolled: 1-line block ×16, first 2 shown]
	v_mov_b32_e32 v118, 0
	ds_read2_b64 v[120:123], v118 offset0:109 offset1:110
	ds_read2_b64 v[124:127], v118 offset0:111 offset1:112
	;; [unrolled: 1-line block ×3, first 2 shown]
	ds_read_b64 v[148:149], v118 offset:920
	v_cmp_lt_u32_e32 vcc, 49, v0
	s_waitcnt vmcnt(14) lgkmcnt(3)
	v_fma_f64 v[120:121], v[132:133], v[120:121], 0
	s_waitcnt vmcnt(12)
	v_fmac_f64_e32 v[120:121], v[134:135], v[122:123]
	s_waitcnt vmcnt(10) lgkmcnt(2)
	v_fmac_f64_e32 v[120:121], v[136:137], v[124:125]
	s_waitcnt vmcnt(8)
	v_fmac_f64_e32 v[120:121], v[138:139], v[126:127]
	s_waitcnt vmcnt(6) lgkmcnt(1)
	v_fmac_f64_e32 v[120:121], v[140:141], v[128:129]
	;; [unrolled: 4-line block ×3, first 2 shown]
	s_waitcnt vmcnt(0)
	v_add_f64 v[120:121], v[146:147], -v[120:121]
	buffer_store_dword v120, off, s[0:3], 0 offset:400
	buffer_store_dword v121, off, s[0:3], 0 offset:404
	s_and_saveexec_b64 s[4:5], vcc
	s_cbranch_execz .LBB121_257
; %bb.256:
	buffer_load_dword v120, off, s[0:3], 0 offset:392
	buffer_load_dword v121, off, s[0:3], 0 offset:396
	s_waitcnt vmcnt(0)
	ds_write_b64 v1, v[120:121]
	buffer_store_dword v118, off, s[0:3], 0 offset:392
	buffer_store_dword v118, off, s[0:3], 0 offset:396
.LBB121_257:
	s_or_b64 exec, exec, s[4:5]
	s_waitcnt lgkmcnt(0)
	; wave barrier
	s_waitcnt lgkmcnt(0)
	buffer_load_dword v136, off, s[0:3], 0 offset:400
	buffer_load_dword v137, off, s[0:3], 0 offset:404
	;; [unrolled: 1-line block ×18, first 2 shown]
	ds_read_b128 v[120:123], v118 offset:864
	ds_read_b128 v[124:127], v118 offset:880
	;; [unrolled: 1-line block ×4, first 2 shown]
	v_cmp_lt_u32_e32 vcc, 48, v0
	s_waitcnt vmcnt(16) lgkmcnt(3)
	v_fma_f64 v[118:119], v[136:137], v[120:121], 0
	s_waitcnt vmcnt(14)
	v_fmac_f64_e32 v[118:119], v[138:139], v[122:123]
	s_waitcnt vmcnt(12) lgkmcnt(2)
	v_fmac_f64_e32 v[118:119], v[140:141], v[124:125]
	s_waitcnt vmcnt(10)
	v_fmac_f64_e32 v[118:119], v[142:143], v[126:127]
	s_waitcnt vmcnt(8) lgkmcnt(1)
	v_fmac_f64_e32 v[118:119], v[144:145], v[128:129]
	;; [unrolled: 4-line block ×3, first 2 shown]
	s_waitcnt vmcnt(2)
	v_fmac_f64_e32 v[118:119], v[150:151], v[134:135]
	s_waitcnt vmcnt(0)
	v_add_f64 v[118:119], v[152:153], -v[118:119]
	buffer_store_dword v118, off, s[0:3], 0 offset:392
	buffer_store_dword v119, off, s[0:3], 0 offset:396
	s_and_saveexec_b64 s[4:5], vcc
	s_cbranch_execz .LBB121_259
; %bb.258:
	buffer_load_dword v118, off, s[0:3], 0 offset:384
	buffer_load_dword v119, off, s[0:3], 0 offset:388
	v_mov_b32_e32 v120, 0
	buffer_store_dword v120, off, s[0:3], 0 offset:384
	buffer_store_dword v120, off, s[0:3], 0 offset:388
	s_waitcnt vmcnt(2)
	ds_write_b64 v1, v[118:119]
.LBB121_259:
	s_or_b64 exec, exec, s[4:5]
	s_waitcnt lgkmcnt(0)
	; wave barrier
	s_waitcnt lgkmcnt(0)
	buffer_load_dword v136, off, s[0:3], 0 offset:392
	buffer_load_dword v137, off, s[0:3], 0 offset:396
	;; [unrolled: 1-line block ×20, first 2 shown]
	v_mov_b32_e32 v118, 0
	ds_read2_b64 v[120:123], v118 offset0:107 offset1:108
	ds_read2_b64 v[124:127], v118 offset0:109 offset1:110
	;; [unrolled: 1-line block ×4, first 2 shown]
	ds_read_b64 v[156:157], v118 offset:920
	v_cmp_lt_u32_e32 vcc, 47, v0
	s_waitcnt vmcnt(18) lgkmcnt(4)
	v_fma_f64 v[120:121], v[136:137], v[120:121], 0
	s_waitcnt vmcnt(16)
	v_fmac_f64_e32 v[120:121], v[138:139], v[122:123]
	s_waitcnt vmcnt(14) lgkmcnt(3)
	v_fmac_f64_e32 v[120:121], v[140:141], v[124:125]
	s_waitcnt vmcnt(12)
	v_fmac_f64_e32 v[120:121], v[142:143], v[126:127]
	s_waitcnt vmcnt(10) lgkmcnt(2)
	v_fmac_f64_e32 v[120:121], v[144:145], v[128:129]
	;; [unrolled: 4-line block ×3, first 2 shown]
	s_waitcnt vmcnt(2)
	v_fmac_f64_e32 v[120:121], v[152:153], v[134:135]
	s_waitcnt lgkmcnt(0)
	v_fmac_f64_e32 v[120:121], v[150:151], v[156:157]
	s_waitcnt vmcnt(0)
	v_add_f64 v[120:121], v[154:155], -v[120:121]
	buffer_store_dword v120, off, s[0:3], 0 offset:384
	buffer_store_dword v121, off, s[0:3], 0 offset:388
	s_and_saveexec_b64 s[4:5], vcc
	s_cbranch_execz .LBB121_261
; %bb.260:
	buffer_load_dword v120, off, s[0:3], 0 offset:376
	buffer_load_dword v121, off, s[0:3], 0 offset:380
	s_waitcnt vmcnt(0)
	ds_write_b64 v1, v[120:121]
	buffer_store_dword v118, off, s[0:3], 0 offset:376
	buffer_store_dword v118, off, s[0:3], 0 offset:380
.LBB121_261:
	s_or_b64 exec, exec, s[4:5]
	s_waitcnt lgkmcnt(0)
	; wave barrier
	s_waitcnt lgkmcnt(0)
	buffer_load_dword v140, off, s[0:3], 0 offset:384
	buffer_load_dword v141, off, s[0:3], 0 offset:388
	;; [unrolled: 1-line block ×22, first 2 shown]
	ds_read_b128 v[120:123], v118 offset:848
	ds_read_b128 v[124:127], v118 offset:864
	;; [unrolled: 1-line block ×5, first 2 shown]
	v_cmp_lt_u32_e32 vcc, 46, v0
	s_waitcnt vmcnt(20) lgkmcnt(4)
	v_fma_f64 v[118:119], v[140:141], v[120:121], 0
	s_waitcnt vmcnt(18)
	v_fmac_f64_e32 v[118:119], v[142:143], v[122:123]
	s_waitcnt vmcnt(16) lgkmcnt(3)
	v_fmac_f64_e32 v[118:119], v[144:145], v[124:125]
	s_waitcnt vmcnt(14)
	v_fmac_f64_e32 v[118:119], v[146:147], v[126:127]
	s_waitcnt vmcnt(12) lgkmcnt(2)
	v_fmac_f64_e32 v[118:119], v[148:149], v[128:129]
	s_waitcnt vmcnt(10)
	v_fmac_f64_e32 v[118:119], v[150:151], v[130:131]
	s_waitcnt vmcnt(8) lgkmcnt(1)
	v_fmac_f64_e32 v[118:119], v[152:153], v[132:133]
	s_waitcnt vmcnt(3)
	v_fmac_f64_e32 v[118:119], v[158:159], v[134:135]
	s_waitcnt lgkmcnt(0)
	v_fmac_f64_e32 v[118:119], v[156:157], v[136:137]
	s_waitcnt vmcnt(2)
	v_fmac_f64_e32 v[118:119], v[154:155], v[138:139]
	s_waitcnt vmcnt(0)
	v_add_f64 v[118:119], v[160:161], -v[118:119]
	buffer_store_dword v118, off, s[0:3], 0 offset:376
	buffer_store_dword v119, off, s[0:3], 0 offset:380
	s_and_saveexec_b64 s[4:5], vcc
	s_cbranch_execz .LBB121_263
; %bb.262:
	buffer_load_dword v118, off, s[0:3], 0 offset:368
	buffer_load_dword v119, off, s[0:3], 0 offset:372
	v_mov_b32_e32 v120, 0
	buffer_store_dword v120, off, s[0:3], 0 offset:368
	buffer_store_dword v120, off, s[0:3], 0 offset:372
	s_waitcnt vmcnt(2)
	ds_write_b64 v1, v[118:119]
.LBB121_263:
	s_or_b64 exec, exec, s[4:5]
	s_waitcnt lgkmcnt(0)
	; wave barrier
	s_waitcnt lgkmcnt(0)
	buffer_load_dword v140, off, s[0:3], 0 offset:376
	buffer_load_dword v141, off, s[0:3], 0 offset:380
	;; [unrolled: 1-line block ×24, first 2 shown]
	v_mov_b32_e32 v118, 0
	ds_read2_b64 v[120:123], v118 offset0:105 offset1:106
	ds_read2_b64 v[124:127], v118 offset0:107 offset1:108
	;; [unrolled: 1-line block ×5, first 2 shown]
	ds_read_b64 v[164:165], v118 offset:920
	v_cmp_lt_u32_e32 vcc, 45, v0
	s_waitcnt vmcnt(22) lgkmcnt(5)
	v_fma_f64 v[120:121], v[140:141], v[120:121], 0
	s_waitcnt vmcnt(20)
	v_fmac_f64_e32 v[120:121], v[142:143], v[122:123]
	s_waitcnt vmcnt(18) lgkmcnt(4)
	v_fmac_f64_e32 v[120:121], v[144:145], v[124:125]
	s_waitcnt vmcnt(16)
	v_fmac_f64_e32 v[120:121], v[146:147], v[126:127]
	s_waitcnt vmcnt(14) lgkmcnt(3)
	v_fmac_f64_e32 v[120:121], v[148:149], v[128:129]
	;; [unrolled: 4-line block ×3, first 2 shown]
	s_waitcnt vmcnt(4)
	v_fmac_f64_e32 v[120:121], v[160:161], v[134:135]
	s_waitcnt lgkmcnt(1)
	v_fmac_f64_e32 v[120:121], v[158:159], v[136:137]
	s_waitcnt vmcnt(3)
	v_fmac_f64_e32 v[120:121], v[156:157], v[138:139]
	s_waitcnt vmcnt(2) lgkmcnt(0)
	v_fmac_f64_e32 v[120:121], v[154:155], v[164:165]
	s_waitcnt vmcnt(0)
	v_add_f64 v[120:121], v[162:163], -v[120:121]
	buffer_store_dword v121, off, s[0:3], 0 offset:372
	buffer_store_dword v120, off, s[0:3], 0 offset:368
	s_and_saveexec_b64 s[4:5], vcc
	s_cbranch_execz .LBB121_265
; %bb.264:
	buffer_load_dword v120, off, s[0:3], 0 offset:360
	buffer_load_dword v121, off, s[0:3], 0 offset:364
	s_waitcnt vmcnt(0)
	ds_write_b64 v1, v[120:121]
	buffer_store_dword v118, off, s[0:3], 0 offset:360
	buffer_store_dword v118, off, s[0:3], 0 offset:364
.LBB121_265:
	s_or_b64 exec, exec, s[4:5]
	s_waitcnt lgkmcnt(0)
	; wave barrier
	s_waitcnt lgkmcnt(0)
	buffer_load_dword v136, off, s[0:3], 0 offset:360
	buffer_load_dword v137, off, s[0:3], 0 offset:364
	;; [unrolled: 1-line block ×16, first 2 shown]
	ds_read_b128 v[120:123], v118 offset:832
	ds_read_b128 v[124:127], v118 offset:848
	;; [unrolled: 1-line block ×4, first 2 shown]
	v_cmp_lt_u32_e32 vcc, 44, v0
	s_waitcnt vmcnt(12) lgkmcnt(3)
	v_fma_f64 v[138:139], v[138:139], v[120:121], 0
	buffer_load_dword v121, off, s[0:3], 0 offset:428
	buffer_load_dword v120, off, s[0:3], 0 offset:424
	s_waitcnt vmcnt(12)
	v_fmac_f64_e32 v[138:139], v[140:141], v[122:123]
	s_waitcnt vmcnt(10) lgkmcnt(2)
	v_fmac_f64_e32 v[138:139], v[142:143], v[124:125]
	buffer_load_dword v125, off, s[0:3], 0 offset:436
	buffer_load_dword v124, off, s[0:3], 0 offset:432
	s_waitcnt vmcnt(10)
	v_fmac_f64_e32 v[138:139], v[144:145], v[126:127]
	s_waitcnt vmcnt(8) lgkmcnt(1)
	v_fmac_f64_e32 v[138:139], v[146:147], v[128:129]
	s_waitcnt vmcnt(6)
	v_fmac_f64_e32 v[138:139], v[148:149], v[130:131]
	s_waitcnt vmcnt(4) lgkmcnt(0)
	v_fmac_f64_e32 v[138:139], v[150:151], v[132:133]
	s_waitcnt vmcnt(2)
	v_fmac_f64_e32 v[138:139], v[120:121], v[134:135]
	ds_read_b128 v[120:123], v118 offset:896
	s_waitcnt vmcnt(0) lgkmcnt(0)
	v_fmac_f64_e32 v[138:139], v[124:125], v[120:121]
	buffer_load_dword v121, off, s[0:3], 0 offset:444
	buffer_load_dword v120, off, s[0:3], 0 offset:440
	s_waitcnt vmcnt(0)
	v_fmac_f64_e32 v[138:139], v[120:121], v[122:123]
	buffer_load_dword v123, off, s[0:3], 0 offset:452
	buffer_load_dword v122, off, s[0:3], 0 offset:448
	ds_read_b128 v[118:121], v118 offset:912
	s_waitcnt vmcnt(0) lgkmcnt(0)
	v_fmac_f64_e32 v[138:139], v[122:123], v[118:119]
	buffer_load_dword v119, off, s[0:3], 0 offset:460
	buffer_load_dword v118, off, s[0:3], 0 offset:456
	s_waitcnt vmcnt(0)
	v_fmac_f64_e32 v[138:139], v[118:119], v[120:121]
	v_add_f64 v[118:119], v[136:137], -v[138:139]
	buffer_store_dword v119, off, s[0:3], 0 offset:364
	buffer_store_dword v118, off, s[0:3], 0 offset:360
	s_and_saveexec_b64 s[4:5], vcc
	s_cbranch_execz .LBB121_267
; %bb.266:
	buffer_load_dword v118, off, s[0:3], 0 offset:352
	buffer_load_dword v119, off, s[0:3], 0 offset:356
	v_mov_b32_e32 v120, 0
	buffer_store_dword v120, off, s[0:3], 0 offset:352
	buffer_store_dword v120, off, s[0:3], 0 offset:356
	s_waitcnt vmcnt(2)
	ds_write_b64 v1, v[118:119]
.LBB121_267:
	s_or_b64 exec, exec, s[4:5]
	s_waitcnt lgkmcnt(0)
	; wave barrier
	s_waitcnt lgkmcnt(0)
	buffer_load_dword v124, off, s[0:3], 0 offset:352
	buffer_load_dword v125, off, s[0:3], 0 offset:356
	;; [unrolled: 1-line block ×16, first 2 shown]
	v_mov_b32_e32 v118, 0
	ds_read2_b64 v[120:123], v118 offset0:103 offset1:104
	v_cmp_lt_u32_e32 vcc, 43, v0
	s_waitcnt vmcnt(12) lgkmcnt(0)
	v_fma_f64 v[126:127], v[126:127], v[120:121], 0
	s_waitcnt vmcnt(10)
	v_fmac_f64_e32 v[126:127], v[128:129], v[122:123]
	ds_read2_b64 v[120:123], v118 offset0:105 offset1:106
	s_waitcnt vmcnt(8) lgkmcnt(0)
	v_fmac_f64_e32 v[126:127], v[130:131], v[120:121]
	s_waitcnt vmcnt(6)
	v_fmac_f64_e32 v[126:127], v[132:133], v[122:123]
	ds_read2_b64 v[120:123], v118 offset0:107 offset1:108
	s_waitcnt vmcnt(4) lgkmcnt(0)
	v_fmac_f64_e32 v[126:127], v[134:135], v[120:121]
	;; [unrolled: 5-line block ×3, first 2 shown]
	buffer_load_dword v121, off, s[0:3], 0 offset:420
	buffer_load_dword v120, off, s[0:3], 0 offset:416
	;; [unrolled: 1-line block ×4, first 2 shown]
	s_waitcnt vmcnt(2)
	v_fmac_f64_e32 v[126:127], v[120:121], v[122:123]
	ds_read2_b64 v[120:123], v118 offset0:111 offset1:112
	s_waitcnt vmcnt(0) lgkmcnt(0)
	v_fmac_f64_e32 v[126:127], v[128:129], v[120:121]
	buffer_load_dword v121, off, s[0:3], 0 offset:436
	buffer_load_dword v120, off, s[0:3], 0 offset:432
	;; [unrolled: 1-line block ×4, first 2 shown]
	s_waitcnt vmcnt(2)
	v_fmac_f64_e32 v[126:127], v[120:121], v[122:123]
	ds_read2_b64 v[120:123], v118 offset0:113 offset1:114
	s_waitcnt vmcnt(0) lgkmcnt(0)
	v_fmac_f64_e32 v[126:127], v[128:129], v[120:121]
	buffer_load_dword v121, off, s[0:3], 0 offset:452
	buffer_load_dword v120, off, s[0:3], 0 offset:448
	s_waitcnt vmcnt(0)
	v_fmac_f64_e32 v[126:127], v[120:121], v[122:123]
	buffer_load_dword v121, off, s[0:3], 0 offset:460
	buffer_load_dword v120, off, s[0:3], 0 offset:456
	ds_read_b64 v[122:123], v118 offset:920
	s_waitcnt vmcnt(0) lgkmcnt(0)
	v_fmac_f64_e32 v[126:127], v[120:121], v[122:123]
	v_add_f64 v[120:121], v[124:125], -v[126:127]
	buffer_store_dword v121, off, s[0:3], 0 offset:356
	buffer_store_dword v120, off, s[0:3], 0 offset:352
	s_and_saveexec_b64 s[4:5], vcc
	s_cbranch_execz .LBB121_269
; %bb.268:
	buffer_load_dword v120, off, s[0:3], 0 offset:344
	buffer_load_dword v121, off, s[0:3], 0 offset:348
	s_waitcnt vmcnt(0)
	ds_write_b64 v1, v[120:121]
	buffer_store_dword v118, off, s[0:3], 0 offset:344
	buffer_store_dword v118, off, s[0:3], 0 offset:348
.LBB121_269:
	s_or_b64 exec, exec, s[4:5]
	s_waitcnt lgkmcnt(0)
	; wave barrier
	s_waitcnt lgkmcnt(0)
	buffer_load_dword v136, off, s[0:3], 0 offset:344
	buffer_load_dword v137, off, s[0:3], 0 offset:348
	;; [unrolled: 1-line block ×16, first 2 shown]
	ds_read_b128 v[120:123], v118 offset:816
	ds_read_b128 v[124:127], v118 offset:832
	;; [unrolled: 1-line block ×4, first 2 shown]
	v_cmp_lt_u32_e32 vcc, 42, v0
	s_waitcnt vmcnt(12) lgkmcnt(3)
	v_fma_f64 v[138:139], v[138:139], v[120:121], 0
	buffer_load_dword v121, off, s[0:3], 0 offset:412
	buffer_load_dword v120, off, s[0:3], 0 offset:408
	s_waitcnt vmcnt(12)
	v_fmac_f64_e32 v[138:139], v[140:141], v[122:123]
	s_waitcnt vmcnt(10) lgkmcnt(2)
	v_fmac_f64_e32 v[138:139], v[142:143], v[124:125]
	buffer_load_dword v125, off, s[0:3], 0 offset:420
	buffer_load_dword v124, off, s[0:3], 0 offset:416
	s_waitcnt vmcnt(10)
	v_fmac_f64_e32 v[138:139], v[144:145], v[126:127]
	s_waitcnt vmcnt(8) lgkmcnt(1)
	v_fmac_f64_e32 v[138:139], v[146:147], v[128:129]
	s_waitcnt vmcnt(6)
	v_fmac_f64_e32 v[138:139], v[148:149], v[130:131]
	s_waitcnt vmcnt(4) lgkmcnt(0)
	v_fmac_f64_e32 v[138:139], v[150:151], v[132:133]
	s_waitcnt vmcnt(2)
	v_fmac_f64_e32 v[138:139], v[120:121], v[134:135]
	ds_read_b128 v[120:123], v118 offset:880
	s_waitcnt vmcnt(0) lgkmcnt(0)
	v_fmac_f64_e32 v[138:139], v[124:125], v[120:121]
	buffer_load_dword v121, off, s[0:3], 0 offset:428
	buffer_load_dword v120, off, s[0:3], 0 offset:424
	;; [unrolled: 1-line block ×4, first 2 shown]
	s_waitcnt vmcnt(2)
	v_fmac_f64_e32 v[138:139], v[120:121], v[122:123]
	ds_read_b128 v[120:123], v118 offset:896
	s_waitcnt vmcnt(0) lgkmcnt(0)
	v_fmac_f64_e32 v[138:139], v[124:125], v[120:121]
	buffer_load_dword v121, off, s[0:3], 0 offset:444
	buffer_load_dword v120, off, s[0:3], 0 offset:440
	s_waitcnt vmcnt(0)
	v_fmac_f64_e32 v[138:139], v[120:121], v[122:123]
	buffer_load_dword v123, off, s[0:3], 0 offset:452
	buffer_load_dword v122, off, s[0:3], 0 offset:448
	ds_read_b128 v[118:121], v118 offset:912
	s_waitcnt vmcnt(0) lgkmcnt(0)
	v_fmac_f64_e32 v[138:139], v[122:123], v[118:119]
	buffer_load_dword v119, off, s[0:3], 0 offset:460
	buffer_load_dword v118, off, s[0:3], 0 offset:456
	s_waitcnt vmcnt(0)
	v_fmac_f64_e32 v[138:139], v[118:119], v[120:121]
	v_add_f64 v[118:119], v[136:137], -v[138:139]
	buffer_store_dword v119, off, s[0:3], 0 offset:348
	buffer_store_dword v118, off, s[0:3], 0 offset:344
	s_and_saveexec_b64 s[4:5], vcc
	s_cbranch_execz .LBB121_271
; %bb.270:
	buffer_load_dword v118, off, s[0:3], 0 offset:336
	buffer_load_dword v119, off, s[0:3], 0 offset:340
	v_mov_b32_e32 v120, 0
	buffer_store_dword v120, off, s[0:3], 0 offset:336
	buffer_store_dword v120, off, s[0:3], 0 offset:340
	s_waitcnt vmcnt(2)
	ds_write_b64 v1, v[118:119]
.LBB121_271:
	s_or_b64 exec, exec, s[4:5]
	s_waitcnt lgkmcnt(0)
	; wave barrier
	s_waitcnt lgkmcnt(0)
	buffer_load_dword v124, off, s[0:3], 0 offset:336
	buffer_load_dword v125, off, s[0:3], 0 offset:340
	;; [unrolled: 1-line block ×16, first 2 shown]
	v_mov_b32_e32 v118, 0
	ds_read2_b64 v[120:123], v118 offset0:101 offset1:102
	v_cmp_lt_u32_e32 vcc, 41, v0
	s_waitcnt vmcnt(12) lgkmcnt(0)
	v_fma_f64 v[126:127], v[126:127], v[120:121], 0
	s_waitcnt vmcnt(10)
	v_fmac_f64_e32 v[126:127], v[128:129], v[122:123]
	ds_read2_b64 v[120:123], v118 offset0:103 offset1:104
	s_waitcnt vmcnt(8) lgkmcnt(0)
	v_fmac_f64_e32 v[126:127], v[130:131], v[120:121]
	s_waitcnt vmcnt(6)
	v_fmac_f64_e32 v[126:127], v[132:133], v[122:123]
	ds_read2_b64 v[120:123], v118 offset0:105 offset1:106
	s_waitcnt vmcnt(4) lgkmcnt(0)
	v_fmac_f64_e32 v[126:127], v[134:135], v[120:121]
	;; [unrolled: 5-line block ×3, first 2 shown]
	buffer_load_dword v121, off, s[0:3], 0 offset:404
	buffer_load_dword v120, off, s[0:3], 0 offset:400
	buffer_load_dword v129, off, s[0:3], 0 offset:412
	buffer_load_dword v128, off, s[0:3], 0 offset:408
	s_waitcnt vmcnt(2)
	v_fmac_f64_e32 v[126:127], v[120:121], v[122:123]
	ds_read2_b64 v[120:123], v118 offset0:109 offset1:110
	s_waitcnt vmcnt(0) lgkmcnt(0)
	v_fmac_f64_e32 v[126:127], v[128:129], v[120:121]
	buffer_load_dword v121, off, s[0:3], 0 offset:420
	buffer_load_dword v120, off, s[0:3], 0 offset:416
	buffer_load_dword v129, off, s[0:3], 0 offset:428
	buffer_load_dword v128, off, s[0:3], 0 offset:424
	s_waitcnt vmcnt(2)
	v_fmac_f64_e32 v[126:127], v[120:121], v[122:123]
	ds_read2_b64 v[120:123], v118 offset0:111 offset1:112
	s_waitcnt vmcnt(0) lgkmcnt(0)
	v_fmac_f64_e32 v[126:127], v[128:129], v[120:121]
	;; [unrolled: 9-line block ×3, first 2 shown]
	buffer_load_dword v121, off, s[0:3], 0 offset:452
	buffer_load_dword v120, off, s[0:3], 0 offset:448
	s_waitcnt vmcnt(0)
	v_fmac_f64_e32 v[126:127], v[120:121], v[122:123]
	buffer_load_dword v121, off, s[0:3], 0 offset:460
	buffer_load_dword v120, off, s[0:3], 0 offset:456
	ds_read_b64 v[122:123], v118 offset:920
	s_waitcnt vmcnt(0) lgkmcnt(0)
	v_fmac_f64_e32 v[126:127], v[120:121], v[122:123]
	v_add_f64 v[120:121], v[124:125], -v[126:127]
	buffer_store_dword v121, off, s[0:3], 0 offset:340
	buffer_store_dword v120, off, s[0:3], 0 offset:336
	s_and_saveexec_b64 s[4:5], vcc
	s_cbranch_execz .LBB121_273
; %bb.272:
	buffer_load_dword v120, off, s[0:3], 0 offset:328
	buffer_load_dword v121, off, s[0:3], 0 offset:332
	s_waitcnt vmcnt(0)
	ds_write_b64 v1, v[120:121]
	buffer_store_dword v118, off, s[0:3], 0 offset:328
	buffer_store_dword v118, off, s[0:3], 0 offset:332
.LBB121_273:
	s_or_b64 exec, exec, s[4:5]
	s_waitcnt lgkmcnt(0)
	; wave barrier
	s_waitcnt lgkmcnt(0)
	buffer_load_dword v136, off, s[0:3], 0 offset:328
	buffer_load_dword v137, off, s[0:3], 0 offset:332
	;; [unrolled: 1-line block ×16, first 2 shown]
	ds_read_b128 v[120:123], v118 offset:800
	ds_read_b128 v[124:127], v118 offset:816
	ds_read_b128 v[128:131], v118 offset:832
	ds_read_b128 v[132:135], v118 offset:848
	v_cmp_lt_u32_e32 vcc, 40, v0
	s_waitcnt vmcnt(12) lgkmcnt(3)
	v_fma_f64 v[138:139], v[138:139], v[120:121], 0
	buffer_load_dword v121, off, s[0:3], 0 offset:396
	buffer_load_dword v120, off, s[0:3], 0 offset:392
	s_waitcnt vmcnt(12)
	v_fmac_f64_e32 v[138:139], v[140:141], v[122:123]
	s_waitcnt vmcnt(10) lgkmcnt(2)
	v_fmac_f64_e32 v[138:139], v[142:143], v[124:125]
	buffer_load_dword v125, off, s[0:3], 0 offset:404
	buffer_load_dword v124, off, s[0:3], 0 offset:400
	s_waitcnt vmcnt(10)
	v_fmac_f64_e32 v[138:139], v[144:145], v[126:127]
	s_waitcnt vmcnt(8) lgkmcnt(1)
	v_fmac_f64_e32 v[138:139], v[146:147], v[128:129]
	s_waitcnt vmcnt(6)
	v_fmac_f64_e32 v[138:139], v[148:149], v[130:131]
	s_waitcnt vmcnt(4) lgkmcnt(0)
	v_fmac_f64_e32 v[138:139], v[150:151], v[132:133]
	s_waitcnt vmcnt(2)
	v_fmac_f64_e32 v[138:139], v[120:121], v[134:135]
	ds_read_b128 v[120:123], v118 offset:864
	s_waitcnt vmcnt(0) lgkmcnt(0)
	v_fmac_f64_e32 v[138:139], v[124:125], v[120:121]
	buffer_load_dword v121, off, s[0:3], 0 offset:412
	buffer_load_dword v120, off, s[0:3], 0 offset:408
	;; [unrolled: 1-line block ×4, first 2 shown]
	s_waitcnt vmcnt(2)
	v_fmac_f64_e32 v[138:139], v[120:121], v[122:123]
	ds_read_b128 v[120:123], v118 offset:880
	s_waitcnt vmcnt(0) lgkmcnt(0)
	v_fmac_f64_e32 v[138:139], v[124:125], v[120:121]
	buffer_load_dword v121, off, s[0:3], 0 offset:428
	buffer_load_dword v120, off, s[0:3], 0 offset:424
	buffer_load_dword v125, off, s[0:3], 0 offset:436
	buffer_load_dword v124, off, s[0:3], 0 offset:432
	s_waitcnt vmcnt(2)
	v_fmac_f64_e32 v[138:139], v[120:121], v[122:123]
	ds_read_b128 v[120:123], v118 offset:896
	s_waitcnt vmcnt(0) lgkmcnt(0)
	v_fmac_f64_e32 v[138:139], v[124:125], v[120:121]
	buffer_load_dword v121, off, s[0:3], 0 offset:444
	buffer_load_dword v120, off, s[0:3], 0 offset:440
	s_waitcnt vmcnt(0)
	v_fmac_f64_e32 v[138:139], v[120:121], v[122:123]
	buffer_load_dword v123, off, s[0:3], 0 offset:452
	buffer_load_dword v122, off, s[0:3], 0 offset:448
	ds_read_b128 v[118:121], v118 offset:912
	s_waitcnt vmcnt(0) lgkmcnt(0)
	v_fmac_f64_e32 v[138:139], v[122:123], v[118:119]
	buffer_load_dword v119, off, s[0:3], 0 offset:460
	buffer_load_dword v118, off, s[0:3], 0 offset:456
	s_waitcnt vmcnt(0)
	v_fmac_f64_e32 v[138:139], v[118:119], v[120:121]
	v_add_f64 v[118:119], v[136:137], -v[138:139]
	buffer_store_dword v119, off, s[0:3], 0 offset:332
	buffer_store_dword v118, off, s[0:3], 0 offset:328
	s_and_saveexec_b64 s[4:5], vcc
	s_cbranch_execz .LBB121_275
; %bb.274:
	buffer_load_dword v118, off, s[0:3], 0 offset:320
	buffer_load_dword v119, off, s[0:3], 0 offset:324
	v_mov_b32_e32 v120, 0
	buffer_store_dword v120, off, s[0:3], 0 offset:320
	buffer_store_dword v120, off, s[0:3], 0 offset:324
	s_waitcnt vmcnt(2)
	ds_write_b64 v1, v[118:119]
.LBB121_275:
	s_or_b64 exec, exec, s[4:5]
	s_waitcnt lgkmcnt(0)
	; wave barrier
	s_waitcnt lgkmcnt(0)
	buffer_load_dword v118, off, s[0:3], 0 offset:320
	buffer_load_dword v119, off, s[0:3], 0 offset:324
	;; [unrolled: 1-line block ×16, first 2 shown]
	v_mov_b32_e32 v122, 0
	ds_read2_b64 v[124:127], v122 offset0:99 offset1:100
	v_cmp_lt_u32_e32 vcc, 39, v0
	s_waitcnt vmcnt(12) lgkmcnt(0)
	v_fma_f64 v[120:121], v[120:121], v[124:125], 0
	s_waitcnt vmcnt(10)
	v_fmac_f64_e32 v[120:121], v[128:129], v[126:127]
	ds_read2_b64 v[124:127], v122 offset0:101 offset1:102
	s_waitcnt vmcnt(8) lgkmcnt(0)
	v_fmac_f64_e32 v[120:121], v[130:131], v[124:125]
	s_waitcnt vmcnt(6)
	v_fmac_f64_e32 v[120:121], v[132:133], v[126:127]
	ds_read2_b64 v[124:127], v122 offset0:103 offset1:104
	s_waitcnt vmcnt(4) lgkmcnt(0)
	v_fmac_f64_e32 v[120:121], v[134:135], v[124:125]
	s_waitcnt vmcnt(2)
	v_fmac_f64_e32 v[120:121], v[136:137], v[126:127]
	ds_read2_b64 v[124:127], v122 offset0:105 offset1:106
	s_waitcnt vmcnt(0) lgkmcnt(0)
	v_fmac_f64_e32 v[120:121], v[138:139], v[124:125]
	buffer_load_dword v125, off, s[0:3], 0 offset:388
	buffer_load_dword v124, off, s[0:3], 0 offset:384
	buffer_load_dword v129, off, s[0:3], 0 offset:396
	buffer_load_dword v128, off, s[0:3], 0 offset:392
	s_waitcnt vmcnt(2)
	v_fmac_f64_e32 v[120:121], v[124:125], v[126:127]
	ds_read2_b64 v[124:127], v122 offset0:107 offset1:108
	s_waitcnt vmcnt(0) lgkmcnt(0)
	v_fmac_f64_e32 v[120:121], v[128:129], v[124:125]
	buffer_load_dword v125, off, s[0:3], 0 offset:404
	buffer_load_dword v124, off, s[0:3], 0 offset:400
	buffer_load_dword v129, off, s[0:3], 0 offset:412
	buffer_load_dword v128, off, s[0:3], 0 offset:408
	s_waitcnt vmcnt(2)
	v_fmac_f64_e32 v[120:121], v[124:125], v[126:127]
	ds_read2_b64 v[124:127], v122 offset0:109 offset1:110
	s_waitcnt vmcnt(0) lgkmcnt(0)
	v_fmac_f64_e32 v[120:121], v[128:129], v[124:125]
	buffer_load_dword v125, off, s[0:3], 0 offset:420
	buffer_load_dword v124, off, s[0:3], 0 offset:416
	buffer_load_dword v129, off, s[0:3], 0 offset:428
	buffer_load_dword v128, off, s[0:3], 0 offset:424
	s_waitcnt vmcnt(2)
	v_fmac_f64_e32 v[120:121], v[124:125], v[126:127]
	ds_read2_b64 v[124:127], v122 offset0:111 offset1:112
	s_waitcnt vmcnt(0) lgkmcnt(0)
	v_fmac_f64_e32 v[120:121], v[128:129], v[124:125]
	buffer_load_dword v125, off, s[0:3], 0 offset:436
	buffer_load_dword v124, off, s[0:3], 0 offset:432
	buffer_load_dword v129, off, s[0:3], 0 offset:444
	buffer_load_dword v128, off, s[0:3], 0 offset:440
	s_waitcnt vmcnt(2)
	v_fmac_f64_e32 v[120:121], v[124:125], v[126:127]
	ds_read2_b64 v[124:127], v122 offset0:113 offset1:114
	s_waitcnt vmcnt(0) lgkmcnt(0)
	v_fmac_f64_e32 v[120:121], v[128:129], v[124:125]
	buffer_load_dword v125, off, s[0:3], 0 offset:452
	buffer_load_dword v124, off, s[0:3], 0 offset:448
	s_waitcnt vmcnt(0)
	v_fmac_f64_e32 v[120:121], v[124:125], v[126:127]
	buffer_load_dword v125, off, s[0:3], 0 offset:460
	buffer_load_dword v124, off, s[0:3], 0 offset:456
	ds_read_b64 v[126:127], v122 offset:920
	s_waitcnt vmcnt(0) lgkmcnt(0)
	v_fmac_f64_e32 v[120:121], v[124:125], v[126:127]
	v_add_f64 v[118:119], v[118:119], -v[120:121]
	buffer_store_dword v119, off, s[0:3], 0 offset:324
	buffer_store_dword v118, off, s[0:3], 0 offset:320
	s_and_saveexec_b64 s[4:5], vcc
	s_cbranch_execz .LBB121_277
; %bb.276:
	buffer_load_dword v118, off, s[0:3], 0 offset:312
	buffer_load_dword v119, off, s[0:3], 0 offset:316
	s_waitcnt vmcnt(0)
	ds_write_b64 v1, v[118:119]
	buffer_store_dword v122, off, s[0:3], 0 offset:312
	buffer_store_dword v122, off, s[0:3], 0 offset:316
.LBB121_277:
	s_or_b64 exec, exec, s[4:5]
	s_waitcnt lgkmcnt(0)
	; wave barrier
	s_waitcnt lgkmcnt(0)
	buffer_load_dword v118, off, s[0:3], 0 offset:312
	buffer_load_dword v119, off, s[0:3], 0 offset:316
	;; [unrolled: 1-line block ×16, first 2 shown]
	ds_read_b128 v[124:127], v122 offset:784
	ds_read_b128 v[128:131], v122 offset:800
	ds_read_b128 v[132:135], v122 offset:816
	ds_read_b128 v[136:139], v122 offset:832
	v_cmp_lt_u32_e32 vcc, 38, v0
	s_waitcnt vmcnt(12) lgkmcnt(3)
	v_fma_f64 v[120:121], v[120:121], v[124:125], 0
	buffer_load_dword v125, off, s[0:3], 0 offset:380
	buffer_load_dword v124, off, s[0:3], 0 offset:376
	s_waitcnt vmcnt(12)
	v_fmac_f64_e32 v[120:121], v[140:141], v[126:127]
	s_waitcnt vmcnt(10) lgkmcnt(2)
	v_fmac_f64_e32 v[120:121], v[142:143], v[128:129]
	buffer_load_dword v129, off, s[0:3], 0 offset:388
	buffer_load_dword v128, off, s[0:3], 0 offset:384
	s_waitcnt vmcnt(10)
	v_fmac_f64_e32 v[120:121], v[144:145], v[130:131]
	s_waitcnt vmcnt(8) lgkmcnt(1)
	v_fmac_f64_e32 v[120:121], v[146:147], v[132:133]
	s_waitcnt vmcnt(6)
	v_fmac_f64_e32 v[120:121], v[148:149], v[134:135]
	s_waitcnt vmcnt(4) lgkmcnt(0)
	v_fmac_f64_e32 v[120:121], v[150:151], v[136:137]
	s_waitcnt vmcnt(2)
	v_fmac_f64_e32 v[120:121], v[124:125], v[138:139]
	ds_read_b128 v[124:127], v122 offset:848
	s_waitcnt vmcnt(0) lgkmcnt(0)
	v_fmac_f64_e32 v[120:121], v[128:129], v[124:125]
	buffer_load_dword v125, off, s[0:3], 0 offset:396
	buffer_load_dword v124, off, s[0:3], 0 offset:392
	buffer_load_dword v129, off, s[0:3], 0 offset:404
	buffer_load_dword v128, off, s[0:3], 0 offset:400
	s_waitcnt vmcnt(2)
	v_fmac_f64_e32 v[120:121], v[124:125], v[126:127]
	ds_read_b128 v[124:127], v122 offset:864
	s_waitcnt vmcnt(0) lgkmcnt(0)
	v_fmac_f64_e32 v[120:121], v[128:129], v[124:125]
	buffer_load_dword v125, off, s[0:3], 0 offset:412
	buffer_load_dword v124, off, s[0:3], 0 offset:408
	buffer_load_dword v129, off, s[0:3], 0 offset:420
	buffer_load_dword v128, off, s[0:3], 0 offset:416
	;; [unrolled: 9-line block ×3, first 2 shown]
	s_waitcnt vmcnt(2)
	v_fmac_f64_e32 v[120:121], v[124:125], v[126:127]
	ds_read_b128 v[124:127], v122 offset:896
	s_waitcnt vmcnt(0) lgkmcnt(0)
	v_fmac_f64_e32 v[120:121], v[128:129], v[124:125]
	buffer_load_dword v125, off, s[0:3], 0 offset:444
	buffer_load_dword v124, off, s[0:3], 0 offset:440
	s_waitcnt vmcnt(0)
	v_fmac_f64_e32 v[120:121], v[124:125], v[126:127]
	buffer_load_dword v127, off, s[0:3], 0 offset:452
	buffer_load_dword v126, off, s[0:3], 0 offset:448
	ds_read_b128 v[122:125], v122 offset:912
	s_waitcnt vmcnt(0) lgkmcnt(0)
	v_fmac_f64_e32 v[120:121], v[126:127], v[122:123]
	buffer_load_dword v123, off, s[0:3], 0 offset:460
	buffer_load_dword v122, off, s[0:3], 0 offset:456
	s_waitcnt vmcnt(0)
	v_fmac_f64_e32 v[120:121], v[122:123], v[124:125]
	v_add_f64 v[118:119], v[118:119], -v[120:121]
	buffer_store_dword v119, off, s[0:3], 0 offset:316
	buffer_store_dword v118, off, s[0:3], 0 offset:312
	s_and_saveexec_b64 s[4:5], vcc
	s_cbranch_execz .LBB121_279
; %bb.278:
	buffer_load_dword v118, off, s[0:3], 0 offset:304
	buffer_load_dword v119, off, s[0:3], 0 offset:308
	v_mov_b32_e32 v120, 0
	buffer_store_dword v120, off, s[0:3], 0 offset:304
	buffer_store_dword v120, off, s[0:3], 0 offset:308
	s_waitcnt vmcnt(2)
	ds_write_b64 v1, v[118:119]
.LBB121_279:
	s_or_b64 exec, exec, s[4:5]
	s_waitcnt lgkmcnt(0)
	; wave barrier
	s_waitcnt lgkmcnt(0)
	buffer_load_dword v118, off, s[0:3], 0 offset:304
	buffer_load_dword v119, off, s[0:3], 0 offset:308
	;; [unrolled: 1-line block ×16, first 2 shown]
	v_mov_b32_e32 v122, 0
	ds_read2_b64 v[124:127], v122 offset0:97 offset1:98
	v_cmp_lt_u32_e32 vcc, 37, v0
	s_waitcnt vmcnt(12) lgkmcnt(0)
	v_fma_f64 v[120:121], v[120:121], v[124:125], 0
	s_waitcnt vmcnt(10)
	v_fmac_f64_e32 v[120:121], v[128:129], v[126:127]
	ds_read2_b64 v[124:127], v122 offset0:99 offset1:100
	s_waitcnt vmcnt(8) lgkmcnt(0)
	v_fmac_f64_e32 v[120:121], v[130:131], v[124:125]
	s_waitcnt vmcnt(6)
	v_fmac_f64_e32 v[120:121], v[132:133], v[126:127]
	ds_read2_b64 v[124:127], v122 offset0:101 offset1:102
	s_waitcnt vmcnt(4) lgkmcnt(0)
	v_fmac_f64_e32 v[120:121], v[134:135], v[124:125]
	;; [unrolled: 5-line block ×3, first 2 shown]
	buffer_load_dword v125, off, s[0:3], 0 offset:372
	buffer_load_dword v124, off, s[0:3], 0 offset:368
	buffer_load_dword v129, off, s[0:3], 0 offset:380
	buffer_load_dword v128, off, s[0:3], 0 offset:376
	s_waitcnt vmcnt(2)
	v_fmac_f64_e32 v[120:121], v[124:125], v[126:127]
	ds_read2_b64 v[124:127], v122 offset0:105 offset1:106
	s_waitcnt vmcnt(0) lgkmcnt(0)
	v_fmac_f64_e32 v[120:121], v[128:129], v[124:125]
	buffer_load_dword v125, off, s[0:3], 0 offset:388
	buffer_load_dword v124, off, s[0:3], 0 offset:384
	buffer_load_dword v129, off, s[0:3], 0 offset:396
	buffer_load_dword v128, off, s[0:3], 0 offset:392
	s_waitcnt vmcnt(2)
	v_fmac_f64_e32 v[120:121], v[124:125], v[126:127]
	ds_read2_b64 v[124:127], v122 offset0:107 offset1:108
	s_waitcnt vmcnt(0) lgkmcnt(0)
	v_fmac_f64_e32 v[120:121], v[128:129], v[124:125]
	;; [unrolled: 9-line block ×5, first 2 shown]
	buffer_load_dword v125, off, s[0:3], 0 offset:452
	buffer_load_dword v124, off, s[0:3], 0 offset:448
	s_waitcnt vmcnt(0)
	v_fmac_f64_e32 v[120:121], v[124:125], v[126:127]
	buffer_load_dword v125, off, s[0:3], 0 offset:460
	buffer_load_dword v124, off, s[0:3], 0 offset:456
	ds_read_b64 v[126:127], v122 offset:920
	s_waitcnt vmcnt(0) lgkmcnt(0)
	v_fmac_f64_e32 v[120:121], v[124:125], v[126:127]
	v_add_f64 v[118:119], v[118:119], -v[120:121]
	buffer_store_dword v119, off, s[0:3], 0 offset:308
	buffer_store_dword v118, off, s[0:3], 0 offset:304
	s_and_saveexec_b64 s[4:5], vcc
	s_cbranch_execz .LBB121_281
; %bb.280:
	buffer_load_dword v118, off, s[0:3], 0 offset:296
	buffer_load_dword v119, off, s[0:3], 0 offset:300
	s_waitcnt vmcnt(0)
	ds_write_b64 v1, v[118:119]
	buffer_store_dword v122, off, s[0:3], 0 offset:296
	buffer_store_dword v122, off, s[0:3], 0 offset:300
.LBB121_281:
	s_or_b64 exec, exec, s[4:5]
	s_waitcnt lgkmcnt(0)
	; wave barrier
	s_waitcnt lgkmcnt(0)
	buffer_load_dword v118, off, s[0:3], 0 offset:296
	buffer_load_dword v119, off, s[0:3], 0 offset:300
	buffer_load_dword v120, off, s[0:3], 0 offset:304
	buffer_load_dword v121, off, s[0:3], 0 offset:308
	buffer_load_dword v140, off, s[0:3], 0 offset:312
	buffer_load_dword v141, off, s[0:3], 0 offset:316
	buffer_load_dword v142, off, s[0:3], 0 offset:320
	buffer_load_dword v143, off, s[0:3], 0 offset:324
	buffer_load_dword v144, off, s[0:3], 0 offset:328
	buffer_load_dword v145, off, s[0:3], 0 offset:332
	buffer_load_dword v146, off, s[0:3], 0 offset:336
	buffer_load_dword v147, off, s[0:3], 0 offset:340
	buffer_load_dword v148, off, s[0:3], 0 offset:344
	buffer_load_dword v149, off, s[0:3], 0 offset:348
	buffer_load_dword v150, off, s[0:3], 0 offset:352
	buffer_load_dword v151, off, s[0:3], 0 offset:356
	ds_read_b128 v[124:127], v122 offset:768
	ds_read_b128 v[128:131], v122 offset:784
	;; [unrolled: 1-line block ×4, first 2 shown]
	v_cmp_lt_u32_e32 vcc, 36, v0
	s_waitcnt vmcnt(12) lgkmcnt(3)
	v_fma_f64 v[120:121], v[120:121], v[124:125], 0
	buffer_load_dword v125, off, s[0:3], 0 offset:364
	buffer_load_dword v124, off, s[0:3], 0 offset:360
	s_waitcnt vmcnt(12)
	v_fmac_f64_e32 v[120:121], v[140:141], v[126:127]
	s_waitcnt vmcnt(10) lgkmcnt(2)
	v_fmac_f64_e32 v[120:121], v[142:143], v[128:129]
	buffer_load_dword v129, off, s[0:3], 0 offset:372
	buffer_load_dword v128, off, s[0:3], 0 offset:368
	s_waitcnt vmcnt(10)
	v_fmac_f64_e32 v[120:121], v[144:145], v[130:131]
	s_waitcnt vmcnt(8) lgkmcnt(1)
	v_fmac_f64_e32 v[120:121], v[146:147], v[132:133]
	s_waitcnt vmcnt(6)
	v_fmac_f64_e32 v[120:121], v[148:149], v[134:135]
	s_waitcnt vmcnt(4) lgkmcnt(0)
	v_fmac_f64_e32 v[120:121], v[150:151], v[136:137]
	s_waitcnt vmcnt(2)
	v_fmac_f64_e32 v[120:121], v[124:125], v[138:139]
	ds_read_b128 v[124:127], v122 offset:832
	s_waitcnt vmcnt(0) lgkmcnt(0)
	v_fmac_f64_e32 v[120:121], v[128:129], v[124:125]
	buffer_load_dword v125, off, s[0:3], 0 offset:380
	buffer_load_dword v124, off, s[0:3], 0 offset:376
	buffer_load_dword v129, off, s[0:3], 0 offset:388
	buffer_load_dword v128, off, s[0:3], 0 offset:384
	s_waitcnt vmcnt(2)
	v_fmac_f64_e32 v[120:121], v[124:125], v[126:127]
	ds_read_b128 v[124:127], v122 offset:848
	s_waitcnt vmcnt(0) lgkmcnt(0)
	v_fmac_f64_e32 v[120:121], v[128:129], v[124:125]
	buffer_load_dword v125, off, s[0:3], 0 offset:396
	buffer_load_dword v124, off, s[0:3], 0 offset:392
	buffer_load_dword v129, off, s[0:3], 0 offset:404
	buffer_load_dword v128, off, s[0:3], 0 offset:400
	;; [unrolled: 9-line block ×4, first 2 shown]
	s_waitcnt vmcnt(2)
	v_fmac_f64_e32 v[120:121], v[124:125], v[126:127]
	ds_read_b128 v[124:127], v122 offset:896
	s_waitcnt vmcnt(0) lgkmcnt(0)
	v_fmac_f64_e32 v[120:121], v[128:129], v[124:125]
	buffer_load_dword v125, off, s[0:3], 0 offset:444
	buffer_load_dword v124, off, s[0:3], 0 offset:440
	s_waitcnt vmcnt(0)
	v_fmac_f64_e32 v[120:121], v[124:125], v[126:127]
	buffer_load_dword v127, off, s[0:3], 0 offset:452
	buffer_load_dword v126, off, s[0:3], 0 offset:448
	ds_read_b128 v[122:125], v122 offset:912
	s_waitcnt vmcnt(0) lgkmcnt(0)
	v_fmac_f64_e32 v[120:121], v[126:127], v[122:123]
	buffer_load_dword v123, off, s[0:3], 0 offset:460
	buffer_load_dword v122, off, s[0:3], 0 offset:456
	s_waitcnt vmcnt(0)
	v_fmac_f64_e32 v[120:121], v[122:123], v[124:125]
	v_add_f64 v[118:119], v[118:119], -v[120:121]
	buffer_store_dword v119, off, s[0:3], 0 offset:300
	buffer_store_dword v118, off, s[0:3], 0 offset:296
	s_and_saveexec_b64 s[4:5], vcc
	s_cbranch_execz .LBB121_283
; %bb.282:
	buffer_load_dword v118, off, s[0:3], 0 offset:288
	buffer_load_dword v119, off, s[0:3], 0 offset:292
	v_mov_b32_e32 v120, 0
	buffer_store_dword v120, off, s[0:3], 0 offset:288
	buffer_store_dword v120, off, s[0:3], 0 offset:292
	s_waitcnt vmcnt(2)
	ds_write_b64 v1, v[118:119]
.LBB121_283:
	s_or_b64 exec, exec, s[4:5]
	s_waitcnt lgkmcnt(0)
	; wave barrier
	s_waitcnt lgkmcnt(0)
	buffer_load_dword v118, off, s[0:3], 0 offset:288
	buffer_load_dword v119, off, s[0:3], 0 offset:292
	buffer_load_dword v120, off, s[0:3], 0 offset:296
	buffer_load_dword v121, off, s[0:3], 0 offset:300
	buffer_load_dword v128, off, s[0:3], 0 offset:304
	buffer_load_dword v129, off, s[0:3], 0 offset:308
	buffer_load_dword v130, off, s[0:3], 0 offset:312
	buffer_load_dword v131, off, s[0:3], 0 offset:316
	buffer_load_dword v132, off, s[0:3], 0 offset:320
	buffer_load_dword v133, off, s[0:3], 0 offset:324
	buffer_load_dword v134, off, s[0:3], 0 offset:328
	buffer_load_dword v135, off, s[0:3], 0 offset:332
	buffer_load_dword v136, off, s[0:3], 0 offset:336
	buffer_load_dword v137, off, s[0:3], 0 offset:340
	buffer_load_dword v138, off, s[0:3], 0 offset:344
	buffer_load_dword v139, off, s[0:3], 0 offset:348
	v_mov_b32_e32 v122, 0
	ds_read2_b64 v[124:127], v122 offset0:95 offset1:96
	v_cmp_lt_u32_e32 vcc, 35, v0
	s_waitcnt vmcnt(12) lgkmcnt(0)
	v_fma_f64 v[120:121], v[120:121], v[124:125], 0
	s_waitcnt vmcnt(10)
	v_fmac_f64_e32 v[120:121], v[128:129], v[126:127]
	ds_read2_b64 v[124:127], v122 offset0:97 offset1:98
	s_waitcnt vmcnt(8) lgkmcnt(0)
	v_fmac_f64_e32 v[120:121], v[130:131], v[124:125]
	s_waitcnt vmcnt(6)
	v_fmac_f64_e32 v[120:121], v[132:133], v[126:127]
	ds_read2_b64 v[124:127], v122 offset0:99 offset1:100
	s_waitcnt vmcnt(4) lgkmcnt(0)
	v_fmac_f64_e32 v[120:121], v[134:135], v[124:125]
	;; [unrolled: 5-line block ×3, first 2 shown]
	buffer_load_dword v125, off, s[0:3], 0 offset:356
	buffer_load_dword v124, off, s[0:3], 0 offset:352
	buffer_load_dword v129, off, s[0:3], 0 offset:364
	buffer_load_dword v128, off, s[0:3], 0 offset:360
	s_waitcnt vmcnt(2)
	v_fmac_f64_e32 v[120:121], v[124:125], v[126:127]
	ds_read2_b64 v[124:127], v122 offset0:103 offset1:104
	s_waitcnt vmcnt(0) lgkmcnt(0)
	v_fmac_f64_e32 v[120:121], v[128:129], v[124:125]
	buffer_load_dword v125, off, s[0:3], 0 offset:372
	buffer_load_dword v124, off, s[0:3], 0 offset:368
	buffer_load_dword v129, off, s[0:3], 0 offset:380
	buffer_load_dword v128, off, s[0:3], 0 offset:376
	s_waitcnt vmcnt(2)
	v_fmac_f64_e32 v[120:121], v[124:125], v[126:127]
	ds_read2_b64 v[124:127], v122 offset0:105 offset1:106
	s_waitcnt vmcnt(0) lgkmcnt(0)
	v_fmac_f64_e32 v[120:121], v[128:129], v[124:125]
	;; [unrolled: 9-line block ×6, first 2 shown]
	buffer_load_dword v125, off, s[0:3], 0 offset:452
	buffer_load_dword v124, off, s[0:3], 0 offset:448
	s_waitcnt vmcnt(0)
	v_fmac_f64_e32 v[120:121], v[124:125], v[126:127]
	buffer_load_dword v125, off, s[0:3], 0 offset:460
	buffer_load_dword v124, off, s[0:3], 0 offset:456
	ds_read_b64 v[126:127], v122 offset:920
	s_waitcnt vmcnt(0) lgkmcnt(0)
	v_fmac_f64_e32 v[120:121], v[124:125], v[126:127]
	v_add_f64 v[118:119], v[118:119], -v[120:121]
	buffer_store_dword v119, off, s[0:3], 0 offset:292
	buffer_store_dword v118, off, s[0:3], 0 offset:288
	s_and_saveexec_b64 s[4:5], vcc
	s_cbranch_execz .LBB121_285
; %bb.284:
	buffer_load_dword v118, off, s[0:3], 0 offset:280
	buffer_load_dword v119, off, s[0:3], 0 offset:284
	s_waitcnt vmcnt(0)
	ds_write_b64 v1, v[118:119]
	buffer_store_dword v122, off, s[0:3], 0 offset:280
	buffer_store_dword v122, off, s[0:3], 0 offset:284
.LBB121_285:
	s_or_b64 exec, exec, s[4:5]
	s_waitcnt lgkmcnt(0)
	; wave barrier
	s_waitcnt lgkmcnt(0)
	buffer_load_dword v118, off, s[0:3], 0 offset:280
	buffer_load_dword v119, off, s[0:3], 0 offset:284
	;; [unrolled: 1-line block ×16, first 2 shown]
	ds_read_b128 v[124:127], v122 offset:752
	ds_read_b128 v[128:131], v122 offset:768
	;; [unrolled: 1-line block ×4, first 2 shown]
	v_cmp_lt_u32_e32 vcc, 34, v0
	s_waitcnt vmcnt(12) lgkmcnt(3)
	v_fma_f64 v[120:121], v[120:121], v[124:125], 0
	buffer_load_dword v125, off, s[0:3], 0 offset:348
	buffer_load_dword v124, off, s[0:3], 0 offset:344
	s_waitcnt vmcnt(12)
	v_fmac_f64_e32 v[120:121], v[140:141], v[126:127]
	s_waitcnt vmcnt(10) lgkmcnt(2)
	v_fmac_f64_e32 v[120:121], v[142:143], v[128:129]
	buffer_load_dword v129, off, s[0:3], 0 offset:356
	buffer_load_dword v128, off, s[0:3], 0 offset:352
	s_waitcnt vmcnt(10)
	v_fmac_f64_e32 v[120:121], v[144:145], v[130:131]
	s_waitcnt vmcnt(8) lgkmcnt(1)
	v_fmac_f64_e32 v[120:121], v[146:147], v[132:133]
	s_waitcnt vmcnt(6)
	v_fmac_f64_e32 v[120:121], v[148:149], v[134:135]
	s_waitcnt vmcnt(4) lgkmcnt(0)
	v_fmac_f64_e32 v[120:121], v[150:151], v[136:137]
	s_waitcnt vmcnt(2)
	v_fmac_f64_e32 v[120:121], v[124:125], v[138:139]
	ds_read_b128 v[124:127], v122 offset:816
	s_waitcnt vmcnt(0) lgkmcnt(0)
	v_fmac_f64_e32 v[120:121], v[128:129], v[124:125]
	buffer_load_dword v125, off, s[0:3], 0 offset:364
	buffer_load_dword v124, off, s[0:3], 0 offset:360
	buffer_load_dword v129, off, s[0:3], 0 offset:372
	buffer_load_dword v128, off, s[0:3], 0 offset:368
	s_waitcnt vmcnt(2)
	v_fmac_f64_e32 v[120:121], v[124:125], v[126:127]
	ds_read_b128 v[124:127], v122 offset:832
	s_waitcnt vmcnt(0) lgkmcnt(0)
	v_fmac_f64_e32 v[120:121], v[128:129], v[124:125]
	buffer_load_dword v125, off, s[0:3], 0 offset:380
	buffer_load_dword v124, off, s[0:3], 0 offset:376
	buffer_load_dword v129, off, s[0:3], 0 offset:388
	buffer_load_dword v128, off, s[0:3], 0 offset:384
	;; [unrolled: 9-line block ×5, first 2 shown]
	s_waitcnt vmcnt(2)
	v_fmac_f64_e32 v[120:121], v[124:125], v[126:127]
	ds_read_b128 v[124:127], v122 offset:896
	s_waitcnt vmcnt(0) lgkmcnt(0)
	v_fmac_f64_e32 v[120:121], v[128:129], v[124:125]
	buffer_load_dword v125, off, s[0:3], 0 offset:444
	buffer_load_dword v124, off, s[0:3], 0 offset:440
	s_waitcnt vmcnt(0)
	v_fmac_f64_e32 v[120:121], v[124:125], v[126:127]
	buffer_load_dword v127, off, s[0:3], 0 offset:452
	buffer_load_dword v126, off, s[0:3], 0 offset:448
	ds_read_b128 v[122:125], v122 offset:912
	s_waitcnt vmcnt(0) lgkmcnt(0)
	v_fmac_f64_e32 v[120:121], v[126:127], v[122:123]
	buffer_load_dword v123, off, s[0:3], 0 offset:460
	buffer_load_dword v122, off, s[0:3], 0 offset:456
	s_waitcnt vmcnt(0)
	v_fmac_f64_e32 v[120:121], v[122:123], v[124:125]
	v_add_f64 v[118:119], v[118:119], -v[120:121]
	buffer_store_dword v119, off, s[0:3], 0 offset:284
	buffer_store_dword v118, off, s[0:3], 0 offset:280
	s_and_saveexec_b64 s[4:5], vcc
	s_cbranch_execz .LBB121_287
; %bb.286:
	buffer_load_dword v118, off, s[0:3], 0 offset:272
	buffer_load_dword v119, off, s[0:3], 0 offset:276
	v_mov_b32_e32 v120, 0
	buffer_store_dword v120, off, s[0:3], 0 offset:272
	buffer_store_dword v120, off, s[0:3], 0 offset:276
	s_waitcnt vmcnt(2)
	ds_write_b64 v1, v[118:119]
.LBB121_287:
	s_or_b64 exec, exec, s[4:5]
	s_waitcnt lgkmcnt(0)
	; wave barrier
	s_waitcnt lgkmcnt(0)
	buffer_load_dword v118, off, s[0:3], 0 offset:272
	buffer_load_dword v119, off, s[0:3], 0 offset:276
	;; [unrolled: 1-line block ×16, first 2 shown]
	v_mov_b32_e32 v122, 0
	ds_read2_b64 v[124:127], v122 offset0:93 offset1:94
	v_cmp_lt_u32_e32 vcc, 33, v0
	s_waitcnt vmcnt(12) lgkmcnt(0)
	v_fma_f64 v[120:121], v[120:121], v[124:125], 0
	s_waitcnt vmcnt(10)
	v_fmac_f64_e32 v[120:121], v[128:129], v[126:127]
	ds_read2_b64 v[124:127], v122 offset0:95 offset1:96
	s_waitcnt vmcnt(8) lgkmcnt(0)
	v_fmac_f64_e32 v[120:121], v[130:131], v[124:125]
	s_waitcnt vmcnt(6)
	v_fmac_f64_e32 v[120:121], v[132:133], v[126:127]
	ds_read2_b64 v[124:127], v122 offset0:97 offset1:98
	s_waitcnt vmcnt(4) lgkmcnt(0)
	v_fmac_f64_e32 v[120:121], v[134:135], v[124:125]
	;; [unrolled: 5-line block ×3, first 2 shown]
	buffer_load_dword v125, off, s[0:3], 0 offset:340
	buffer_load_dword v124, off, s[0:3], 0 offset:336
	buffer_load_dword v129, off, s[0:3], 0 offset:348
	buffer_load_dword v128, off, s[0:3], 0 offset:344
	s_waitcnt vmcnt(2)
	v_fmac_f64_e32 v[120:121], v[124:125], v[126:127]
	ds_read2_b64 v[124:127], v122 offset0:101 offset1:102
	s_waitcnt vmcnt(0) lgkmcnt(0)
	v_fmac_f64_e32 v[120:121], v[128:129], v[124:125]
	buffer_load_dword v125, off, s[0:3], 0 offset:356
	buffer_load_dword v124, off, s[0:3], 0 offset:352
	buffer_load_dword v129, off, s[0:3], 0 offset:364
	buffer_load_dword v128, off, s[0:3], 0 offset:360
	s_waitcnt vmcnt(2)
	v_fmac_f64_e32 v[120:121], v[124:125], v[126:127]
	ds_read2_b64 v[124:127], v122 offset0:103 offset1:104
	s_waitcnt vmcnt(0) lgkmcnt(0)
	v_fmac_f64_e32 v[120:121], v[128:129], v[124:125]
	buffer_load_dword v125, off, s[0:3], 0 offset:372
	buffer_load_dword v124, off, s[0:3], 0 offset:368
	buffer_load_dword v129, off, s[0:3], 0 offset:380
	buffer_load_dword v128, off, s[0:3], 0 offset:376
	s_waitcnt vmcnt(2)
	v_fmac_f64_e32 v[120:121], v[124:125], v[126:127]
	ds_read2_b64 v[124:127], v122 offset0:105 offset1:106
	s_waitcnt vmcnt(0) lgkmcnt(0)
	v_fmac_f64_e32 v[120:121], v[128:129], v[124:125]
	buffer_load_dword v125, off, s[0:3], 0 offset:388
	buffer_load_dword v124, off, s[0:3], 0 offset:384
	buffer_load_dword v129, off, s[0:3], 0 offset:396
	buffer_load_dword v128, off, s[0:3], 0 offset:392
	s_waitcnt vmcnt(2)
	v_fmac_f64_e32 v[120:121], v[124:125], v[126:127]
	ds_read2_b64 v[124:127], v122 offset0:107 offset1:108
	s_waitcnt vmcnt(0) lgkmcnt(0)
	v_fmac_f64_e32 v[120:121], v[128:129], v[124:125]
	buffer_load_dword v125, off, s[0:3], 0 offset:404
	buffer_load_dword v124, off, s[0:3], 0 offset:400
	buffer_load_dword v129, off, s[0:3], 0 offset:412
	buffer_load_dword v128, off, s[0:3], 0 offset:408
	s_waitcnt vmcnt(2)
	v_fmac_f64_e32 v[120:121], v[124:125], v[126:127]
	ds_read2_b64 v[124:127], v122 offset0:109 offset1:110
	s_waitcnt vmcnt(0) lgkmcnt(0)
	v_fmac_f64_e32 v[120:121], v[128:129], v[124:125]
	buffer_load_dword v125, off, s[0:3], 0 offset:420
	buffer_load_dword v124, off, s[0:3], 0 offset:416
	buffer_load_dword v129, off, s[0:3], 0 offset:428
	buffer_load_dword v128, off, s[0:3], 0 offset:424
	s_waitcnt vmcnt(2)
	v_fmac_f64_e32 v[120:121], v[124:125], v[126:127]
	ds_read2_b64 v[124:127], v122 offset0:111 offset1:112
	s_waitcnt vmcnt(0) lgkmcnt(0)
	v_fmac_f64_e32 v[120:121], v[128:129], v[124:125]
	buffer_load_dword v125, off, s[0:3], 0 offset:436
	buffer_load_dword v124, off, s[0:3], 0 offset:432
	buffer_load_dword v129, off, s[0:3], 0 offset:444
	buffer_load_dword v128, off, s[0:3], 0 offset:440
	s_waitcnt vmcnt(2)
	v_fmac_f64_e32 v[120:121], v[124:125], v[126:127]
	ds_read2_b64 v[124:127], v122 offset0:113 offset1:114
	s_waitcnt vmcnt(0) lgkmcnt(0)
	v_fmac_f64_e32 v[120:121], v[128:129], v[124:125]
	buffer_load_dword v125, off, s[0:3], 0 offset:452
	buffer_load_dword v124, off, s[0:3], 0 offset:448
	s_waitcnt vmcnt(0)
	v_fmac_f64_e32 v[120:121], v[124:125], v[126:127]
	buffer_load_dword v125, off, s[0:3], 0 offset:460
	buffer_load_dword v124, off, s[0:3], 0 offset:456
	ds_read_b64 v[126:127], v122 offset:920
	s_waitcnt vmcnt(0) lgkmcnt(0)
	v_fmac_f64_e32 v[120:121], v[124:125], v[126:127]
	v_add_f64 v[118:119], v[118:119], -v[120:121]
	buffer_store_dword v119, off, s[0:3], 0 offset:276
	buffer_store_dword v118, off, s[0:3], 0 offset:272
	s_and_saveexec_b64 s[4:5], vcc
	s_cbranch_execz .LBB121_289
; %bb.288:
	buffer_load_dword v118, off, s[0:3], 0 offset:264
	buffer_load_dword v119, off, s[0:3], 0 offset:268
	s_waitcnt vmcnt(0)
	ds_write_b64 v1, v[118:119]
	buffer_store_dword v122, off, s[0:3], 0 offset:264
	buffer_store_dword v122, off, s[0:3], 0 offset:268
.LBB121_289:
	s_or_b64 exec, exec, s[4:5]
	s_waitcnt lgkmcnt(0)
	; wave barrier
	s_waitcnt lgkmcnt(0)
	buffer_load_dword v118, off, s[0:3], 0 offset:264
	buffer_load_dword v119, off, s[0:3], 0 offset:268
	;; [unrolled: 1-line block ×16, first 2 shown]
	ds_read_b128 v[124:127], v122 offset:736
	ds_read_b128 v[128:131], v122 offset:752
	;; [unrolled: 1-line block ×4, first 2 shown]
	v_cmp_lt_u32_e32 vcc, 32, v0
	s_waitcnt vmcnt(12) lgkmcnt(3)
	v_fma_f64 v[120:121], v[120:121], v[124:125], 0
	buffer_load_dword v125, off, s[0:3], 0 offset:332
	buffer_load_dword v124, off, s[0:3], 0 offset:328
	s_waitcnt vmcnt(12)
	v_fmac_f64_e32 v[120:121], v[140:141], v[126:127]
	s_waitcnt vmcnt(10) lgkmcnt(2)
	v_fmac_f64_e32 v[120:121], v[142:143], v[128:129]
	buffer_load_dword v129, off, s[0:3], 0 offset:340
	buffer_load_dword v128, off, s[0:3], 0 offset:336
	s_waitcnt vmcnt(10)
	v_fmac_f64_e32 v[120:121], v[144:145], v[130:131]
	s_waitcnt vmcnt(8) lgkmcnt(1)
	v_fmac_f64_e32 v[120:121], v[146:147], v[132:133]
	s_waitcnt vmcnt(6)
	v_fmac_f64_e32 v[120:121], v[148:149], v[134:135]
	s_waitcnt vmcnt(4) lgkmcnt(0)
	v_fmac_f64_e32 v[120:121], v[150:151], v[136:137]
	s_waitcnt vmcnt(2)
	v_fmac_f64_e32 v[120:121], v[124:125], v[138:139]
	ds_read_b128 v[124:127], v122 offset:800
	s_waitcnt vmcnt(0) lgkmcnt(0)
	v_fmac_f64_e32 v[120:121], v[128:129], v[124:125]
	buffer_load_dword v125, off, s[0:3], 0 offset:348
	buffer_load_dword v124, off, s[0:3], 0 offset:344
	buffer_load_dword v129, off, s[0:3], 0 offset:356
	buffer_load_dword v128, off, s[0:3], 0 offset:352
	s_waitcnt vmcnt(2)
	v_fmac_f64_e32 v[120:121], v[124:125], v[126:127]
	ds_read_b128 v[124:127], v122 offset:816
	s_waitcnt vmcnt(0) lgkmcnt(0)
	v_fmac_f64_e32 v[120:121], v[128:129], v[124:125]
	buffer_load_dword v125, off, s[0:3], 0 offset:364
	buffer_load_dword v124, off, s[0:3], 0 offset:360
	buffer_load_dword v129, off, s[0:3], 0 offset:372
	buffer_load_dword v128, off, s[0:3], 0 offset:368
	;; [unrolled: 9-line block ×6, first 2 shown]
	s_waitcnt vmcnt(2)
	v_fmac_f64_e32 v[120:121], v[124:125], v[126:127]
	ds_read_b128 v[124:127], v122 offset:896
	s_waitcnt vmcnt(0) lgkmcnt(0)
	v_fmac_f64_e32 v[120:121], v[128:129], v[124:125]
	buffer_load_dword v125, off, s[0:3], 0 offset:444
	buffer_load_dword v124, off, s[0:3], 0 offset:440
	s_waitcnt vmcnt(0)
	v_fmac_f64_e32 v[120:121], v[124:125], v[126:127]
	buffer_load_dword v127, off, s[0:3], 0 offset:452
	buffer_load_dword v126, off, s[0:3], 0 offset:448
	ds_read_b128 v[122:125], v122 offset:912
	s_waitcnt vmcnt(0) lgkmcnt(0)
	v_fmac_f64_e32 v[120:121], v[126:127], v[122:123]
	buffer_load_dword v123, off, s[0:3], 0 offset:460
	buffer_load_dword v122, off, s[0:3], 0 offset:456
	s_waitcnt vmcnt(0)
	v_fmac_f64_e32 v[120:121], v[122:123], v[124:125]
	v_add_f64 v[118:119], v[118:119], -v[120:121]
	buffer_store_dword v119, off, s[0:3], 0 offset:268
	buffer_store_dword v118, off, s[0:3], 0 offset:264
	s_and_saveexec_b64 s[4:5], vcc
	s_cbranch_execz .LBB121_291
; %bb.290:
	buffer_load_dword v118, off, s[0:3], 0 offset:256
	buffer_load_dword v119, off, s[0:3], 0 offset:260
	v_mov_b32_e32 v120, 0
	buffer_store_dword v120, off, s[0:3], 0 offset:256
	buffer_store_dword v120, off, s[0:3], 0 offset:260
	s_waitcnt vmcnt(2)
	ds_write_b64 v1, v[118:119]
.LBB121_291:
	s_or_b64 exec, exec, s[4:5]
	s_waitcnt lgkmcnt(0)
	; wave barrier
	s_waitcnt lgkmcnt(0)
	buffer_load_dword v118, off, s[0:3], 0 offset:256
	buffer_load_dword v119, off, s[0:3], 0 offset:260
	;; [unrolled: 1-line block ×16, first 2 shown]
	v_mov_b32_e32 v122, 0
	ds_read2_b64 v[124:127], v122 offset0:91 offset1:92
	v_cmp_lt_u32_e32 vcc, 31, v0
	s_waitcnt vmcnt(12) lgkmcnt(0)
	v_fma_f64 v[120:121], v[120:121], v[124:125], 0
	s_waitcnt vmcnt(10)
	v_fmac_f64_e32 v[120:121], v[128:129], v[126:127]
	ds_read2_b64 v[124:127], v122 offset0:93 offset1:94
	s_waitcnt vmcnt(8) lgkmcnt(0)
	v_fmac_f64_e32 v[120:121], v[130:131], v[124:125]
	s_waitcnt vmcnt(6)
	v_fmac_f64_e32 v[120:121], v[132:133], v[126:127]
	ds_read2_b64 v[124:127], v122 offset0:95 offset1:96
	s_waitcnt vmcnt(4) lgkmcnt(0)
	v_fmac_f64_e32 v[120:121], v[134:135], v[124:125]
	;; [unrolled: 5-line block ×3, first 2 shown]
	buffer_load_dword v125, off, s[0:3], 0 offset:324
	buffer_load_dword v124, off, s[0:3], 0 offset:320
	buffer_load_dword v129, off, s[0:3], 0 offset:332
	buffer_load_dword v128, off, s[0:3], 0 offset:328
	s_waitcnt vmcnt(2)
	v_fmac_f64_e32 v[120:121], v[124:125], v[126:127]
	ds_read2_b64 v[124:127], v122 offset0:99 offset1:100
	s_waitcnt vmcnt(0) lgkmcnt(0)
	v_fmac_f64_e32 v[120:121], v[128:129], v[124:125]
	buffer_load_dword v125, off, s[0:3], 0 offset:340
	buffer_load_dword v124, off, s[0:3], 0 offset:336
	buffer_load_dword v129, off, s[0:3], 0 offset:348
	buffer_load_dword v128, off, s[0:3], 0 offset:344
	s_waitcnt vmcnt(2)
	v_fmac_f64_e32 v[120:121], v[124:125], v[126:127]
	ds_read2_b64 v[124:127], v122 offset0:101 offset1:102
	s_waitcnt vmcnt(0) lgkmcnt(0)
	v_fmac_f64_e32 v[120:121], v[128:129], v[124:125]
	;; [unrolled: 9-line block ×8, first 2 shown]
	buffer_load_dword v125, off, s[0:3], 0 offset:452
	buffer_load_dword v124, off, s[0:3], 0 offset:448
	s_waitcnt vmcnt(0)
	v_fmac_f64_e32 v[120:121], v[124:125], v[126:127]
	buffer_load_dword v125, off, s[0:3], 0 offset:460
	buffer_load_dword v124, off, s[0:3], 0 offset:456
	ds_read_b64 v[126:127], v122 offset:920
	s_waitcnt vmcnt(0) lgkmcnt(0)
	v_fmac_f64_e32 v[120:121], v[124:125], v[126:127]
	v_add_f64 v[118:119], v[118:119], -v[120:121]
	buffer_store_dword v119, off, s[0:3], 0 offset:260
	buffer_store_dword v118, off, s[0:3], 0 offset:256
	s_and_saveexec_b64 s[4:5], vcc
	s_cbranch_execz .LBB121_293
; %bb.292:
	buffer_load_dword v118, off, s[0:3], 0 offset:248
	buffer_load_dword v119, off, s[0:3], 0 offset:252
	s_waitcnt vmcnt(0)
	ds_write_b64 v1, v[118:119]
	buffer_store_dword v122, off, s[0:3], 0 offset:248
	buffer_store_dword v122, off, s[0:3], 0 offset:252
.LBB121_293:
	s_or_b64 exec, exec, s[4:5]
	s_waitcnt lgkmcnt(0)
	; wave barrier
	s_waitcnt lgkmcnt(0)
	buffer_load_dword v118, off, s[0:3], 0 offset:248
	buffer_load_dword v119, off, s[0:3], 0 offset:252
	;; [unrolled: 1-line block ×16, first 2 shown]
	ds_read_b128 v[124:127], v122 offset:720
	ds_read_b128 v[128:131], v122 offset:736
	;; [unrolled: 1-line block ×4, first 2 shown]
	v_cmp_lt_u32_e32 vcc, 30, v0
	s_waitcnt vmcnt(12) lgkmcnt(3)
	v_fma_f64 v[120:121], v[120:121], v[124:125], 0
	buffer_load_dword v125, off, s[0:3], 0 offset:316
	buffer_load_dword v124, off, s[0:3], 0 offset:312
	s_waitcnt vmcnt(12)
	v_fmac_f64_e32 v[120:121], v[140:141], v[126:127]
	s_waitcnt vmcnt(10) lgkmcnt(2)
	v_fmac_f64_e32 v[120:121], v[142:143], v[128:129]
	buffer_load_dword v129, off, s[0:3], 0 offset:324
	buffer_load_dword v128, off, s[0:3], 0 offset:320
	s_waitcnt vmcnt(10)
	v_fmac_f64_e32 v[120:121], v[144:145], v[130:131]
	s_waitcnt vmcnt(8) lgkmcnt(1)
	v_fmac_f64_e32 v[120:121], v[146:147], v[132:133]
	s_waitcnt vmcnt(6)
	v_fmac_f64_e32 v[120:121], v[148:149], v[134:135]
	s_waitcnt vmcnt(4) lgkmcnt(0)
	v_fmac_f64_e32 v[120:121], v[150:151], v[136:137]
	s_waitcnt vmcnt(2)
	v_fmac_f64_e32 v[120:121], v[124:125], v[138:139]
	ds_read_b128 v[124:127], v122 offset:784
	s_waitcnt vmcnt(0) lgkmcnt(0)
	v_fmac_f64_e32 v[120:121], v[128:129], v[124:125]
	buffer_load_dword v125, off, s[0:3], 0 offset:332
	buffer_load_dword v124, off, s[0:3], 0 offset:328
	buffer_load_dword v129, off, s[0:3], 0 offset:340
	buffer_load_dword v128, off, s[0:3], 0 offset:336
	s_waitcnt vmcnt(2)
	v_fmac_f64_e32 v[120:121], v[124:125], v[126:127]
	ds_read_b128 v[124:127], v122 offset:800
	s_waitcnt vmcnt(0) lgkmcnt(0)
	v_fmac_f64_e32 v[120:121], v[128:129], v[124:125]
	buffer_load_dword v125, off, s[0:3], 0 offset:348
	buffer_load_dword v124, off, s[0:3], 0 offset:344
	buffer_load_dword v129, off, s[0:3], 0 offset:356
	buffer_load_dword v128, off, s[0:3], 0 offset:352
	;; [unrolled: 9-line block ×7, first 2 shown]
	s_waitcnt vmcnt(2)
	v_fmac_f64_e32 v[120:121], v[124:125], v[126:127]
	ds_read_b128 v[124:127], v122 offset:896
	s_waitcnt vmcnt(0) lgkmcnt(0)
	v_fmac_f64_e32 v[120:121], v[128:129], v[124:125]
	buffer_load_dword v125, off, s[0:3], 0 offset:444
	buffer_load_dword v124, off, s[0:3], 0 offset:440
	s_waitcnt vmcnt(0)
	v_fmac_f64_e32 v[120:121], v[124:125], v[126:127]
	buffer_load_dword v127, off, s[0:3], 0 offset:452
	buffer_load_dword v126, off, s[0:3], 0 offset:448
	ds_read_b128 v[122:125], v122 offset:912
	s_waitcnt vmcnt(0) lgkmcnt(0)
	v_fmac_f64_e32 v[120:121], v[126:127], v[122:123]
	buffer_load_dword v123, off, s[0:3], 0 offset:460
	buffer_load_dword v122, off, s[0:3], 0 offset:456
	s_waitcnt vmcnt(0)
	v_fmac_f64_e32 v[120:121], v[122:123], v[124:125]
	v_add_f64 v[118:119], v[118:119], -v[120:121]
	buffer_store_dword v119, off, s[0:3], 0 offset:252
	buffer_store_dword v118, off, s[0:3], 0 offset:248
	s_and_saveexec_b64 s[4:5], vcc
	s_cbranch_execz .LBB121_295
; %bb.294:
	buffer_load_dword v118, off, s[0:3], 0 offset:240
	buffer_load_dword v119, off, s[0:3], 0 offset:244
	v_mov_b32_e32 v120, 0
	buffer_store_dword v120, off, s[0:3], 0 offset:240
	buffer_store_dword v120, off, s[0:3], 0 offset:244
	s_waitcnt vmcnt(2)
	ds_write_b64 v1, v[118:119]
.LBB121_295:
	s_or_b64 exec, exec, s[4:5]
	s_waitcnt lgkmcnt(0)
	; wave barrier
	s_waitcnt lgkmcnt(0)
	buffer_load_dword v118, off, s[0:3], 0 offset:240
	buffer_load_dword v119, off, s[0:3], 0 offset:244
	;; [unrolled: 1-line block ×16, first 2 shown]
	v_mov_b32_e32 v122, 0
	ds_read2_b64 v[124:127], v122 offset0:89 offset1:90
	v_cmp_lt_u32_e32 vcc, 29, v0
	s_waitcnt vmcnt(12) lgkmcnt(0)
	v_fma_f64 v[120:121], v[120:121], v[124:125], 0
	s_waitcnt vmcnt(10)
	v_fmac_f64_e32 v[120:121], v[128:129], v[126:127]
	ds_read2_b64 v[124:127], v122 offset0:91 offset1:92
	s_waitcnt vmcnt(8) lgkmcnt(0)
	v_fmac_f64_e32 v[120:121], v[130:131], v[124:125]
	s_waitcnt vmcnt(6)
	v_fmac_f64_e32 v[120:121], v[132:133], v[126:127]
	ds_read2_b64 v[124:127], v122 offset0:93 offset1:94
	s_waitcnt vmcnt(4) lgkmcnt(0)
	v_fmac_f64_e32 v[120:121], v[134:135], v[124:125]
	;; [unrolled: 5-line block ×3, first 2 shown]
	buffer_load_dword v125, off, s[0:3], 0 offset:308
	buffer_load_dword v124, off, s[0:3], 0 offset:304
	buffer_load_dword v129, off, s[0:3], 0 offset:316
	buffer_load_dword v128, off, s[0:3], 0 offset:312
	s_waitcnt vmcnt(2)
	v_fmac_f64_e32 v[120:121], v[124:125], v[126:127]
	ds_read2_b64 v[124:127], v122 offset0:97 offset1:98
	s_waitcnt vmcnt(0) lgkmcnt(0)
	v_fmac_f64_e32 v[120:121], v[128:129], v[124:125]
	buffer_load_dword v125, off, s[0:3], 0 offset:324
	buffer_load_dword v124, off, s[0:3], 0 offset:320
	buffer_load_dword v129, off, s[0:3], 0 offset:332
	buffer_load_dword v128, off, s[0:3], 0 offset:328
	s_waitcnt vmcnt(2)
	v_fmac_f64_e32 v[120:121], v[124:125], v[126:127]
	ds_read2_b64 v[124:127], v122 offset0:99 offset1:100
	s_waitcnt vmcnt(0) lgkmcnt(0)
	v_fmac_f64_e32 v[120:121], v[128:129], v[124:125]
	;; [unrolled: 9-line block ×9, first 2 shown]
	buffer_load_dword v125, off, s[0:3], 0 offset:452
	buffer_load_dword v124, off, s[0:3], 0 offset:448
	s_waitcnt vmcnt(0)
	v_fmac_f64_e32 v[120:121], v[124:125], v[126:127]
	buffer_load_dword v125, off, s[0:3], 0 offset:460
	buffer_load_dword v124, off, s[0:3], 0 offset:456
	ds_read_b64 v[126:127], v122 offset:920
	s_waitcnt vmcnt(0) lgkmcnt(0)
	v_fmac_f64_e32 v[120:121], v[124:125], v[126:127]
	v_add_f64 v[118:119], v[118:119], -v[120:121]
	buffer_store_dword v119, off, s[0:3], 0 offset:244
	buffer_store_dword v118, off, s[0:3], 0 offset:240
	s_and_saveexec_b64 s[4:5], vcc
	s_cbranch_execz .LBB121_297
; %bb.296:
	buffer_load_dword v118, off, s[0:3], 0 offset:232
	buffer_load_dword v119, off, s[0:3], 0 offset:236
	s_waitcnt vmcnt(0)
	ds_write_b64 v1, v[118:119]
	buffer_store_dword v122, off, s[0:3], 0 offset:232
	buffer_store_dword v122, off, s[0:3], 0 offset:236
.LBB121_297:
	s_or_b64 exec, exec, s[4:5]
	s_waitcnt lgkmcnt(0)
	; wave barrier
	s_waitcnt lgkmcnt(0)
	buffer_load_dword v118, off, s[0:3], 0 offset:232
	buffer_load_dword v119, off, s[0:3], 0 offset:236
	;; [unrolled: 1-line block ×16, first 2 shown]
	ds_read_b128 v[124:127], v122 offset:704
	ds_read_b128 v[128:131], v122 offset:720
	;; [unrolled: 1-line block ×4, first 2 shown]
	v_cmp_lt_u32_e32 vcc, 28, v0
	s_waitcnt vmcnt(12) lgkmcnt(3)
	v_fma_f64 v[120:121], v[120:121], v[124:125], 0
	buffer_load_dword v125, off, s[0:3], 0 offset:300
	buffer_load_dword v124, off, s[0:3], 0 offset:296
	s_waitcnt vmcnt(12)
	v_fmac_f64_e32 v[120:121], v[140:141], v[126:127]
	s_waitcnt vmcnt(10) lgkmcnt(2)
	v_fmac_f64_e32 v[120:121], v[142:143], v[128:129]
	buffer_load_dword v129, off, s[0:3], 0 offset:308
	buffer_load_dword v128, off, s[0:3], 0 offset:304
	s_waitcnt vmcnt(10)
	v_fmac_f64_e32 v[120:121], v[144:145], v[130:131]
	s_waitcnt vmcnt(8) lgkmcnt(1)
	v_fmac_f64_e32 v[120:121], v[146:147], v[132:133]
	s_waitcnt vmcnt(6)
	v_fmac_f64_e32 v[120:121], v[148:149], v[134:135]
	s_waitcnt vmcnt(4) lgkmcnt(0)
	v_fmac_f64_e32 v[120:121], v[150:151], v[136:137]
	s_waitcnt vmcnt(2)
	v_fmac_f64_e32 v[120:121], v[124:125], v[138:139]
	ds_read_b128 v[124:127], v122 offset:768
	s_waitcnt vmcnt(0) lgkmcnt(0)
	v_fmac_f64_e32 v[120:121], v[128:129], v[124:125]
	buffer_load_dword v125, off, s[0:3], 0 offset:316
	buffer_load_dword v124, off, s[0:3], 0 offset:312
	buffer_load_dword v129, off, s[0:3], 0 offset:324
	buffer_load_dword v128, off, s[0:3], 0 offset:320
	s_waitcnt vmcnt(2)
	v_fmac_f64_e32 v[120:121], v[124:125], v[126:127]
	ds_read_b128 v[124:127], v122 offset:784
	s_waitcnt vmcnt(0) lgkmcnt(0)
	v_fmac_f64_e32 v[120:121], v[128:129], v[124:125]
	buffer_load_dword v125, off, s[0:3], 0 offset:332
	buffer_load_dword v124, off, s[0:3], 0 offset:328
	buffer_load_dword v129, off, s[0:3], 0 offset:340
	buffer_load_dword v128, off, s[0:3], 0 offset:336
	;; [unrolled: 9-line block ×8, first 2 shown]
	s_waitcnt vmcnt(2)
	v_fmac_f64_e32 v[120:121], v[124:125], v[126:127]
	ds_read_b128 v[124:127], v122 offset:896
	s_waitcnt vmcnt(0) lgkmcnt(0)
	v_fmac_f64_e32 v[120:121], v[128:129], v[124:125]
	buffer_load_dword v125, off, s[0:3], 0 offset:444
	buffer_load_dword v124, off, s[0:3], 0 offset:440
	s_waitcnt vmcnt(0)
	v_fmac_f64_e32 v[120:121], v[124:125], v[126:127]
	buffer_load_dword v127, off, s[0:3], 0 offset:452
	buffer_load_dword v126, off, s[0:3], 0 offset:448
	ds_read_b128 v[122:125], v122 offset:912
	s_waitcnt vmcnt(0) lgkmcnt(0)
	v_fmac_f64_e32 v[120:121], v[126:127], v[122:123]
	buffer_load_dword v123, off, s[0:3], 0 offset:460
	buffer_load_dword v122, off, s[0:3], 0 offset:456
	s_waitcnt vmcnt(0)
	v_fmac_f64_e32 v[120:121], v[122:123], v[124:125]
	v_add_f64 v[118:119], v[118:119], -v[120:121]
	buffer_store_dword v119, off, s[0:3], 0 offset:236
	buffer_store_dword v118, off, s[0:3], 0 offset:232
	s_and_saveexec_b64 s[4:5], vcc
	s_cbranch_execz .LBB121_299
; %bb.298:
	buffer_load_dword v118, off, s[0:3], 0 offset:224
	buffer_load_dword v119, off, s[0:3], 0 offset:228
	v_mov_b32_e32 v120, 0
	buffer_store_dword v120, off, s[0:3], 0 offset:224
	buffer_store_dword v120, off, s[0:3], 0 offset:228
	s_waitcnt vmcnt(2)
	ds_write_b64 v1, v[118:119]
.LBB121_299:
	s_or_b64 exec, exec, s[4:5]
	s_waitcnt lgkmcnt(0)
	; wave barrier
	s_waitcnt lgkmcnt(0)
	buffer_load_dword v118, off, s[0:3], 0 offset:224
	buffer_load_dword v119, off, s[0:3], 0 offset:228
	;; [unrolled: 1-line block ×16, first 2 shown]
	v_mov_b32_e32 v122, 0
	ds_read2_b64 v[124:127], v122 offset0:87 offset1:88
	v_cmp_lt_u32_e32 vcc, 27, v0
	s_waitcnt vmcnt(12) lgkmcnt(0)
	v_fma_f64 v[120:121], v[120:121], v[124:125], 0
	s_waitcnt vmcnt(10)
	v_fmac_f64_e32 v[120:121], v[128:129], v[126:127]
	ds_read2_b64 v[124:127], v122 offset0:89 offset1:90
	s_waitcnt vmcnt(8) lgkmcnt(0)
	v_fmac_f64_e32 v[120:121], v[130:131], v[124:125]
	s_waitcnt vmcnt(6)
	v_fmac_f64_e32 v[120:121], v[132:133], v[126:127]
	ds_read2_b64 v[124:127], v122 offset0:91 offset1:92
	s_waitcnt vmcnt(4) lgkmcnt(0)
	v_fmac_f64_e32 v[120:121], v[134:135], v[124:125]
	;; [unrolled: 5-line block ×3, first 2 shown]
	buffer_load_dword v125, off, s[0:3], 0 offset:292
	buffer_load_dword v124, off, s[0:3], 0 offset:288
	buffer_load_dword v129, off, s[0:3], 0 offset:300
	buffer_load_dword v128, off, s[0:3], 0 offset:296
	s_waitcnt vmcnt(2)
	v_fmac_f64_e32 v[120:121], v[124:125], v[126:127]
	ds_read2_b64 v[124:127], v122 offset0:95 offset1:96
	s_waitcnt vmcnt(0) lgkmcnt(0)
	v_fmac_f64_e32 v[120:121], v[128:129], v[124:125]
	buffer_load_dword v125, off, s[0:3], 0 offset:308
	buffer_load_dword v124, off, s[0:3], 0 offset:304
	buffer_load_dword v129, off, s[0:3], 0 offset:316
	buffer_load_dword v128, off, s[0:3], 0 offset:312
	s_waitcnt vmcnt(2)
	v_fmac_f64_e32 v[120:121], v[124:125], v[126:127]
	ds_read2_b64 v[124:127], v122 offset0:97 offset1:98
	s_waitcnt vmcnt(0) lgkmcnt(0)
	v_fmac_f64_e32 v[120:121], v[128:129], v[124:125]
	;; [unrolled: 9-line block ×10, first 2 shown]
	buffer_load_dword v125, off, s[0:3], 0 offset:452
	buffer_load_dword v124, off, s[0:3], 0 offset:448
	s_waitcnt vmcnt(0)
	v_fmac_f64_e32 v[120:121], v[124:125], v[126:127]
	buffer_load_dword v125, off, s[0:3], 0 offset:460
	buffer_load_dword v124, off, s[0:3], 0 offset:456
	ds_read_b64 v[126:127], v122 offset:920
	s_waitcnt vmcnt(0) lgkmcnt(0)
	v_fmac_f64_e32 v[120:121], v[124:125], v[126:127]
	v_add_f64 v[118:119], v[118:119], -v[120:121]
	buffer_store_dword v119, off, s[0:3], 0 offset:228
	buffer_store_dword v118, off, s[0:3], 0 offset:224
	s_and_saveexec_b64 s[4:5], vcc
	s_cbranch_execz .LBB121_301
; %bb.300:
	buffer_load_dword v118, off, s[0:3], 0 offset:216
	buffer_load_dword v119, off, s[0:3], 0 offset:220
	s_waitcnt vmcnt(0)
	ds_write_b64 v1, v[118:119]
	buffer_store_dword v122, off, s[0:3], 0 offset:216
	buffer_store_dword v122, off, s[0:3], 0 offset:220
.LBB121_301:
	s_or_b64 exec, exec, s[4:5]
	s_waitcnt lgkmcnt(0)
	; wave barrier
	s_waitcnt lgkmcnt(0)
	buffer_load_dword v118, off, s[0:3], 0 offset:216
	buffer_load_dword v119, off, s[0:3], 0 offset:220
	;; [unrolled: 1-line block ×16, first 2 shown]
	ds_read_b128 v[124:127], v122 offset:688
	ds_read_b128 v[128:131], v122 offset:704
	;; [unrolled: 1-line block ×4, first 2 shown]
	v_cmp_lt_u32_e32 vcc, 26, v0
	s_waitcnt vmcnt(12) lgkmcnt(3)
	v_fma_f64 v[120:121], v[120:121], v[124:125], 0
	buffer_load_dword v125, off, s[0:3], 0 offset:284
	buffer_load_dword v124, off, s[0:3], 0 offset:280
	s_waitcnt vmcnt(12)
	v_fmac_f64_e32 v[120:121], v[140:141], v[126:127]
	s_waitcnt vmcnt(10) lgkmcnt(2)
	v_fmac_f64_e32 v[120:121], v[142:143], v[128:129]
	buffer_load_dword v129, off, s[0:3], 0 offset:292
	buffer_load_dword v128, off, s[0:3], 0 offset:288
	s_waitcnt vmcnt(10)
	v_fmac_f64_e32 v[120:121], v[144:145], v[130:131]
	s_waitcnt vmcnt(8) lgkmcnt(1)
	v_fmac_f64_e32 v[120:121], v[146:147], v[132:133]
	s_waitcnt vmcnt(6)
	v_fmac_f64_e32 v[120:121], v[148:149], v[134:135]
	s_waitcnt vmcnt(4) lgkmcnt(0)
	v_fmac_f64_e32 v[120:121], v[150:151], v[136:137]
	s_waitcnt vmcnt(2)
	v_fmac_f64_e32 v[120:121], v[124:125], v[138:139]
	ds_read_b128 v[124:127], v122 offset:752
	s_waitcnt vmcnt(0) lgkmcnt(0)
	v_fmac_f64_e32 v[120:121], v[128:129], v[124:125]
	buffer_load_dword v125, off, s[0:3], 0 offset:300
	buffer_load_dword v124, off, s[0:3], 0 offset:296
	buffer_load_dword v129, off, s[0:3], 0 offset:308
	buffer_load_dword v128, off, s[0:3], 0 offset:304
	s_waitcnt vmcnt(2)
	v_fmac_f64_e32 v[120:121], v[124:125], v[126:127]
	ds_read_b128 v[124:127], v122 offset:768
	s_waitcnt vmcnt(0) lgkmcnt(0)
	v_fmac_f64_e32 v[120:121], v[128:129], v[124:125]
	buffer_load_dword v125, off, s[0:3], 0 offset:316
	buffer_load_dword v124, off, s[0:3], 0 offset:312
	buffer_load_dword v129, off, s[0:3], 0 offset:324
	buffer_load_dword v128, off, s[0:3], 0 offset:320
	;; [unrolled: 9-line block ×9, first 2 shown]
	s_waitcnt vmcnt(2)
	v_fmac_f64_e32 v[120:121], v[124:125], v[126:127]
	ds_read_b128 v[124:127], v122 offset:896
	s_waitcnt vmcnt(0) lgkmcnt(0)
	v_fmac_f64_e32 v[120:121], v[128:129], v[124:125]
	buffer_load_dword v125, off, s[0:3], 0 offset:444
	buffer_load_dword v124, off, s[0:3], 0 offset:440
	s_waitcnt vmcnt(0)
	v_fmac_f64_e32 v[120:121], v[124:125], v[126:127]
	buffer_load_dword v127, off, s[0:3], 0 offset:452
	buffer_load_dword v126, off, s[0:3], 0 offset:448
	ds_read_b128 v[122:125], v122 offset:912
	s_waitcnt vmcnt(0) lgkmcnt(0)
	v_fmac_f64_e32 v[120:121], v[126:127], v[122:123]
	buffer_load_dword v123, off, s[0:3], 0 offset:460
	buffer_load_dword v122, off, s[0:3], 0 offset:456
	s_waitcnt vmcnt(0)
	v_fmac_f64_e32 v[120:121], v[122:123], v[124:125]
	v_add_f64 v[118:119], v[118:119], -v[120:121]
	buffer_store_dword v119, off, s[0:3], 0 offset:220
	buffer_store_dword v118, off, s[0:3], 0 offset:216
	s_and_saveexec_b64 s[4:5], vcc
	s_cbranch_execz .LBB121_303
; %bb.302:
	buffer_load_dword v118, off, s[0:3], 0 offset:208
	buffer_load_dword v119, off, s[0:3], 0 offset:212
	v_mov_b32_e32 v120, 0
	buffer_store_dword v120, off, s[0:3], 0 offset:208
	buffer_store_dword v120, off, s[0:3], 0 offset:212
	s_waitcnt vmcnt(2)
	ds_write_b64 v1, v[118:119]
.LBB121_303:
	s_or_b64 exec, exec, s[4:5]
	s_waitcnt lgkmcnt(0)
	; wave barrier
	s_waitcnt lgkmcnt(0)
	buffer_load_dword v118, off, s[0:3], 0 offset:208
	buffer_load_dword v119, off, s[0:3], 0 offset:212
	;; [unrolled: 1-line block ×16, first 2 shown]
	v_mov_b32_e32 v122, 0
	ds_read2_b64 v[124:127], v122 offset0:85 offset1:86
	v_cmp_lt_u32_e32 vcc, 25, v0
	s_waitcnt vmcnt(12) lgkmcnt(0)
	v_fma_f64 v[120:121], v[120:121], v[124:125], 0
	s_waitcnt vmcnt(10)
	v_fmac_f64_e32 v[120:121], v[128:129], v[126:127]
	ds_read2_b64 v[124:127], v122 offset0:87 offset1:88
	s_waitcnt vmcnt(8) lgkmcnt(0)
	v_fmac_f64_e32 v[120:121], v[130:131], v[124:125]
	s_waitcnt vmcnt(6)
	v_fmac_f64_e32 v[120:121], v[132:133], v[126:127]
	ds_read2_b64 v[124:127], v122 offset0:89 offset1:90
	s_waitcnt vmcnt(4) lgkmcnt(0)
	v_fmac_f64_e32 v[120:121], v[134:135], v[124:125]
	;; [unrolled: 5-line block ×3, first 2 shown]
	buffer_load_dword v125, off, s[0:3], 0 offset:276
	buffer_load_dword v124, off, s[0:3], 0 offset:272
	buffer_load_dword v129, off, s[0:3], 0 offset:284
	buffer_load_dword v128, off, s[0:3], 0 offset:280
	s_waitcnt vmcnt(2)
	v_fmac_f64_e32 v[120:121], v[124:125], v[126:127]
	ds_read2_b64 v[124:127], v122 offset0:93 offset1:94
	s_waitcnt vmcnt(0) lgkmcnt(0)
	v_fmac_f64_e32 v[120:121], v[128:129], v[124:125]
	buffer_load_dword v125, off, s[0:3], 0 offset:292
	buffer_load_dword v124, off, s[0:3], 0 offset:288
	buffer_load_dword v129, off, s[0:3], 0 offset:300
	buffer_load_dword v128, off, s[0:3], 0 offset:296
	s_waitcnt vmcnt(2)
	v_fmac_f64_e32 v[120:121], v[124:125], v[126:127]
	ds_read2_b64 v[124:127], v122 offset0:95 offset1:96
	s_waitcnt vmcnt(0) lgkmcnt(0)
	v_fmac_f64_e32 v[120:121], v[128:129], v[124:125]
	;; [unrolled: 9-line block ×11, first 2 shown]
	buffer_load_dword v125, off, s[0:3], 0 offset:452
	buffer_load_dword v124, off, s[0:3], 0 offset:448
	s_waitcnt vmcnt(0)
	v_fmac_f64_e32 v[120:121], v[124:125], v[126:127]
	buffer_load_dword v125, off, s[0:3], 0 offset:460
	buffer_load_dword v124, off, s[0:3], 0 offset:456
	ds_read_b64 v[126:127], v122 offset:920
	s_waitcnt vmcnt(0) lgkmcnt(0)
	v_fmac_f64_e32 v[120:121], v[124:125], v[126:127]
	v_add_f64 v[118:119], v[118:119], -v[120:121]
	buffer_store_dword v119, off, s[0:3], 0 offset:212
	buffer_store_dword v118, off, s[0:3], 0 offset:208
	s_and_saveexec_b64 s[4:5], vcc
	s_cbranch_execz .LBB121_305
; %bb.304:
	buffer_load_dword v118, off, s[0:3], 0 offset:200
	buffer_load_dword v119, off, s[0:3], 0 offset:204
	s_waitcnt vmcnt(0)
	ds_write_b64 v1, v[118:119]
	buffer_store_dword v122, off, s[0:3], 0 offset:200
	buffer_store_dword v122, off, s[0:3], 0 offset:204
.LBB121_305:
	s_or_b64 exec, exec, s[4:5]
	s_waitcnt lgkmcnt(0)
	; wave barrier
	s_waitcnt lgkmcnt(0)
	buffer_load_dword v118, off, s[0:3], 0 offset:200
	buffer_load_dword v119, off, s[0:3], 0 offset:204
	;; [unrolled: 1-line block ×16, first 2 shown]
	ds_read_b128 v[124:127], v122 offset:672
	ds_read_b128 v[128:131], v122 offset:688
	;; [unrolled: 1-line block ×4, first 2 shown]
	v_cmp_lt_u32_e32 vcc, 24, v0
	s_waitcnt vmcnt(12) lgkmcnt(3)
	v_fma_f64 v[120:121], v[120:121], v[124:125], 0
	buffer_load_dword v125, off, s[0:3], 0 offset:268
	buffer_load_dword v124, off, s[0:3], 0 offset:264
	s_waitcnt vmcnt(12)
	v_fmac_f64_e32 v[120:121], v[140:141], v[126:127]
	s_waitcnt vmcnt(10) lgkmcnt(2)
	v_fmac_f64_e32 v[120:121], v[142:143], v[128:129]
	buffer_load_dword v129, off, s[0:3], 0 offset:276
	buffer_load_dword v128, off, s[0:3], 0 offset:272
	s_waitcnt vmcnt(10)
	v_fmac_f64_e32 v[120:121], v[144:145], v[130:131]
	s_waitcnt vmcnt(8) lgkmcnt(1)
	v_fmac_f64_e32 v[120:121], v[146:147], v[132:133]
	s_waitcnt vmcnt(6)
	v_fmac_f64_e32 v[120:121], v[148:149], v[134:135]
	s_waitcnt vmcnt(4) lgkmcnt(0)
	v_fmac_f64_e32 v[120:121], v[150:151], v[136:137]
	s_waitcnt vmcnt(2)
	v_fmac_f64_e32 v[120:121], v[124:125], v[138:139]
	ds_read_b128 v[124:127], v122 offset:736
	s_waitcnt vmcnt(0) lgkmcnt(0)
	v_fmac_f64_e32 v[120:121], v[128:129], v[124:125]
	buffer_load_dword v125, off, s[0:3], 0 offset:284
	buffer_load_dword v124, off, s[0:3], 0 offset:280
	buffer_load_dword v129, off, s[0:3], 0 offset:292
	buffer_load_dword v128, off, s[0:3], 0 offset:288
	s_waitcnt vmcnt(2)
	v_fmac_f64_e32 v[120:121], v[124:125], v[126:127]
	ds_read_b128 v[124:127], v122 offset:752
	s_waitcnt vmcnt(0) lgkmcnt(0)
	v_fmac_f64_e32 v[120:121], v[128:129], v[124:125]
	buffer_load_dword v125, off, s[0:3], 0 offset:300
	buffer_load_dword v124, off, s[0:3], 0 offset:296
	buffer_load_dword v129, off, s[0:3], 0 offset:308
	buffer_load_dword v128, off, s[0:3], 0 offset:304
	;; [unrolled: 9-line block ×10, first 2 shown]
	s_waitcnt vmcnt(2)
	v_fmac_f64_e32 v[120:121], v[124:125], v[126:127]
	ds_read_b128 v[124:127], v122 offset:896
	s_waitcnt vmcnt(0) lgkmcnt(0)
	v_fmac_f64_e32 v[120:121], v[128:129], v[124:125]
	buffer_load_dword v125, off, s[0:3], 0 offset:444
	buffer_load_dword v124, off, s[0:3], 0 offset:440
	s_waitcnt vmcnt(0)
	v_fmac_f64_e32 v[120:121], v[124:125], v[126:127]
	buffer_load_dword v127, off, s[0:3], 0 offset:452
	buffer_load_dword v126, off, s[0:3], 0 offset:448
	ds_read_b128 v[122:125], v122 offset:912
	s_waitcnt vmcnt(0) lgkmcnt(0)
	v_fmac_f64_e32 v[120:121], v[126:127], v[122:123]
	buffer_load_dword v123, off, s[0:3], 0 offset:460
	buffer_load_dword v122, off, s[0:3], 0 offset:456
	s_waitcnt vmcnt(0)
	v_fmac_f64_e32 v[120:121], v[122:123], v[124:125]
	v_add_f64 v[118:119], v[118:119], -v[120:121]
	buffer_store_dword v119, off, s[0:3], 0 offset:204
	buffer_store_dword v118, off, s[0:3], 0 offset:200
	s_and_saveexec_b64 s[4:5], vcc
	s_cbranch_execz .LBB121_307
; %bb.306:
	buffer_load_dword v118, off, s[0:3], 0 offset:192
	buffer_load_dword v119, off, s[0:3], 0 offset:196
	v_mov_b32_e32 v120, 0
	buffer_store_dword v120, off, s[0:3], 0 offset:192
	buffer_store_dword v120, off, s[0:3], 0 offset:196
	s_waitcnt vmcnt(2)
	ds_write_b64 v1, v[118:119]
.LBB121_307:
	s_or_b64 exec, exec, s[4:5]
	s_waitcnt lgkmcnt(0)
	; wave barrier
	s_waitcnt lgkmcnt(0)
	buffer_load_dword v118, off, s[0:3], 0 offset:192
	buffer_load_dword v119, off, s[0:3], 0 offset:196
	;; [unrolled: 1-line block ×16, first 2 shown]
	v_mov_b32_e32 v122, 0
	ds_read2_b64 v[124:127], v122 offset0:83 offset1:84
	v_cmp_lt_u32_e32 vcc, 23, v0
	s_waitcnt vmcnt(12) lgkmcnt(0)
	v_fma_f64 v[120:121], v[120:121], v[124:125], 0
	s_waitcnt vmcnt(10)
	v_fmac_f64_e32 v[120:121], v[128:129], v[126:127]
	ds_read2_b64 v[124:127], v122 offset0:85 offset1:86
	s_waitcnt vmcnt(8) lgkmcnt(0)
	v_fmac_f64_e32 v[120:121], v[130:131], v[124:125]
	s_waitcnt vmcnt(6)
	v_fmac_f64_e32 v[120:121], v[132:133], v[126:127]
	ds_read2_b64 v[124:127], v122 offset0:87 offset1:88
	s_waitcnt vmcnt(4) lgkmcnt(0)
	v_fmac_f64_e32 v[120:121], v[134:135], v[124:125]
	;; [unrolled: 5-line block ×3, first 2 shown]
	buffer_load_dword v125, off, s[0:3], 0 offset:260
	buffer_load_dword v124, off, s[0:3], 0 offset:256
	buffer_load_dword v129, off, s[0:3], 0 offset:268
	buffer_load_dword v128, off, s[0:3], 0 offset:264
	s_waitcnt vmcnt(2)
	v_fmac_f64_e32 v[120:121], v[124:125], v[126:127]
	ds_read2_b64 v[124:127], v122 offset0:91 offset1:92
	s_waitcnt vmcnt(0) lgkmcnt(0)
	v_fmac_f64_e32 v[120:121], v[128:129], v[124:125]
	buffer_load_dword v125, off, s[0:3], 0 offset:276
	buffer_load_dword v124, off, s[0:3], 0 offset:272
	buffer_load_dword v129, off, s[0:3], 0 offset:284
	buffer_load_dword v128, off, s[0:3], 0 offset:280
	s_waitcnt vmcnt(2)
	v_fmac_f64_e32 v[120:121], v[124:125], v[126:127]
	ds_read2_b64 v[124:127], v122 offset0:93 offset1:94
	s_waitcnt vmcnt(0) lgkmcnt(0)
	v_fmac_f64_e32 v[120:121], v[128:129], v[124:125]
	;; [unrolled: 9-line block ×12, first 2 shown]
	buffer_load_dword v125, off, s[0:3], 0 offset:452
	buffer_load_dword v124, off, s[0:3], 0 offset:448
	s_waitcnt vmcnt(0)
	v_fmac_f64_e32 v[120:121], v[124:125], v[126:127]
	buffer_load_dword v125, off, s[0:3], 0 offset:460
	buffer_load_dword v124, off, s[0:3], 0 offset:456
	ds_read_b64 v[126:127], v122 offset:920
	s_waitcnt vmcnt(0) lgkmcnt(0)
	v_fmac_f64_e32 v[120:121], v[124:125], v[126:127]
	v_add_f64 v[118:119], v[118:119], -v[120:121]
	buffer_store_dword v119, off, s[0:3], 0 offset:196
	buffer_store_dword v118, off, s[0:3], 0 offset:192
	s_and_saveexec_b64 s[4:5], vcc
	s_cbranch_execz .LBB121_309
; %bb.308:
	buffer_load_dword v118, off, s[0:3], 0 offset:184
	buffer_load_dword v119, off, s[0:3], 0 offset:188
	s_waitcnt vmcnt(0)
	ds_write_b64 v1, v[118:119]
	buffer_store_dword v122, off, s[0:3], 0 offset:184
	buffer_store_dword v122, off, s[0:3], 0 offset:188
.LBB121_309:
	s_or_b64 exec, exec, s[4:5]
	s_waitcnt lgkmcnt(0)
	; wave barrier
	s_waitcnt lgkmcnt(0)
	buffer_load_dword v118, off, s[0:3], 0 offset:184
	buffer_load_dword v119, off, s[0:3], 0 offset:188
	buffer_load_dword v120, off, s[0:3], 0 offset:192
	buffer_load_dword v121, off, s[0:3], 0 offset:196
	buffer_load_dword v140, off, s[0:3], 0 offset:200
	buffer_load_dword v141, off, s[0:3], 0 offset:204
	buffer_load_dword v142, off, s[0:3], 0 offset:208
	buffer_load_dword v143, off, s[0:3], 0 offset:212
	buffer_load_dword v144, off, s[0:3], 0 offset:216
	buffer_load_dword v145, off, s[0:3], 0 offset:220
	buffer_load_dword v146, off, s[0:3], 0 offset:224
	buffer_load_dword v147, off, s[0:3], 0 offset:228
	buffer_load_dword v148, off, s[0:3], 0 offset:232
	buffer_load_dword v149, off, s[0:3], 0 offset:236
	buffer_load_dword v150, off, s[0:3], 0 offset:240
	buffer_load_dword v151, off, s[0:3], 0 offset:244
	ds_read_b128 v[124:127], v122 offset:656
	ds_read_b128 v[128:131], v122 offset:672
	;; [unrolled: 1-line block ×4, first 2 shown]
	v_cmp_lt_u32_e32 vcc, 22, v0
	s_waitcnt vmcnt(12) lgkmcnt(3)
	v_fma_f64 v[120:121], v[120:121], v[124:125], 0
	buffer_load_dword v125, off, s[0:3], 0 offset:252
	buffer_load_dword v124, off, s[0:3], 0 offset:248
	s_waitcnt vmcnt(12)
	v_fmac_f64_e32 v[120:121], v[140:141], v[126:127]
	s_waitcnt vmcnt(10) lgkmcnt(2)
	v_fmac_f64_e32 v[120:121], v[142:143], v[128:129]
	buffer_load_dword v129, off, s[0:3], 0 offset:260
	buffer_load_dword v128, off, s[0:3], 0 offset:256
	s_waitcnt vmcnt(10)
	v_fmac_f64_e32 v[120:121], v[144:145], v[130:131]
	s_waitcnt vmcnt(8) lgkmcnt(1)
	v_fmac_f64_e32 v[120:121], v[146:147], v[132:133]
	s_waitcnt vmcnt(6)
	v_fmac_f64_e32 v[120:121], v[148:149], v[134:135]
	s_waitcnt vmcnt(4) lgkmcnt(0)
	v_fmac_f64_e32 v[120:121], v[150:151], v[136:137]
	s_waitcnt vmcnt(2)
	v_fmac_f64_e32 v[120:121], v[124:125], v[138:139]
	ds_read_b128 v[124:127], v122 offset:720
	s_waitcnt vmcnt(0) lgkmcnt(0)
	v_fmac_f64_e32 v[120:121], v[128:129], v[124:125]
	buffer_load_dword v125, off, s[0:3], 0 offset:268
	buffer_load_dword v124, off, s[0:3], 0 offset:264
	buffer_load_dword v129, off, s[0:3], 0 offset:276
	buffer_load_dword v128, off, s[0:3], 0 offset:272
	s_waitcnt vmcnt(2)
	v_fmac_f64_e32 v[120:121], v[124:125], v[126:127]
	ds_read_b128 v[124:127], v122 offset:736
	s_waitcnt vmcnt(0) lgkmcnt(0)
	v_fmac_f64_e32 v[120:121], v[128:129], v[124:125]
	buffer_load_dword v125, off, s[0:3], 0 offset:284
	buffer_load_dword v124, off, s[0:3], 0 offset:280
	buffer_load_dword v129, off, s[0:3], 0 offset:292
	buffer_load_dword v128, off, s[0:3], 0 offset:288
	;; [unrolled: 9-line block ×11, first 2 shown]
	s_waitcnt vmcnt(2)
	v_fmac_f64_e32 v[120:121], v[124:125], v[126:127]
	ds_read_b128 v[124:127], v122 offset:896
	s_waitcnt vmcnt(0) lgkmcnt(0)
	v_fmac_f64_e32 v[120:121], v[128:129], v[124:125]
	buffer_load_dword v125, off, s[0:3], 0 offset:444
	buffer_load_dword v124, off, s[0:3], 0 offset:440
	s_waitcnt vmcnt(0)
	v_fmac_f64_e32 v[120:121], v[124:125], v[126:127]
	buffer_load_dword v127, off, s[0:3], 0 offset:452
	buffer_load_dword v126, off, s[0:3], 0 offset:448
	ds_read_b128 v[122:125], v122 offset:912
	s_waitcnt vmcnt(0) lgkmcnt(0)
	v_fmac_f64_e32 v[120:121], v[126:127], v[122:123]
	buffer_load_dword v123, off, s[0:3], 0 offset:460
	buffer_load_dword v122, off, s[0:3], 0 offset:456
	s_waitcnt vmcnt(0)
	v_fmac_f64_e32 v[120:121], v[122:123], v[124:125]
	v_add_f64 v[118:119], v[118:119], -v[120:121]
	buffer_store_dword v119, off, s[0:3], 0 offset:188
	buffer_store_dword v118, off, s[0:3], 0 offset:184
	s_and_saveexec_b64 s[4:5], vcc
	s_cbranch_execz .LBB121_311
; %bb.310:
	buffer_load_dword v118, off, s[0:3], 0 offset:176
	buffer_load_dword v119, off, s[0:3], 0 offset:180
	v_mov_b32_e32 v120, 0
	buffer_store_dword v120, off, s[0:3], 0 offset:176
	buffer_store_dword v120, off, s[0:3], 0 offset:180
	s_waitcnt vmcnt(2)
	ds_write_b64 v1, v[118:119]
.LBB121_311:
	s_or_b64 exec, exec, s[4:5]
	s_waitcnt lgkmcnt(0)
	; wave barrier
	s_waitcnt lgkmcnt(0)
	buffer_load_dword v118, off, s[0:3], 0 offset:176
	buffer_load_dword v119, off, s[0:3], 0 offset:180
	;; [unrolled: 1-line block ×16, first 2 shown]
	v_mov_b32_e32 v122, 0
	ds_read2_b64 v[124:127], v122 offset0:81 offset1:82
	v_cmp_lt_u32_e32 vcc, 21, v0
	s_waitcnt vmcnt(12) lgkmcnt(0)
	v_fma_f64 v[120:121], v[120:121], v[124:125], 0
	s_waitcnt vmcnt(10)
	v_fmac_f64_e32 v[120:121], v[128:129], v[126:127]
	ds_read2_b64 v[124:127], v122 offset0:83 offset1:84
	s_waitcnt vmcnt(8) lgkmcnt(0)
	v_fmac_f64_e32 v[120:121], v[130:131], v[124:125]
	s_waitcnt vmcnt(6)
	v_fmac_f64_e32 v[120:121], v[132:133], v[126:127]
	ds_read2_b64 v[124:127], v122 offset0:85 offset1:86
	s_waitcnt vmcnt(4) lgkmcnt(0)
	v_fmac_f64_e32 v[120:121], v[134:135], v[124:125]
	;; [unrolled: 5-line block ×3, first 2 shown]
	buffer_load_dword v125, off, s[0:3], 0 offset:244
	buffer_load_dword v124, off, s[0:3], 0 offset:240
	buffer_load_dword v129, off, s[0:3], 0 offset:252
	buffer_load_dword v128, off, s[0:3], 0 offset:248
	s_waitcnt vmcnt(2)
	v_fmac_f64_e32 v[120:121], v[124:125], v[126:127]
	ds_read2_b64 v[124:127], v122 offset0:89 offset1:90
	s_waitcnt vmcnt(0) lgkmcnt(0)
	v_fmac_f64_e32 v[120:121], v[128:129], v[124:125]
	buffer_load_dword v125, off, s[0:3], 0 offset:260
	buffer_load_dword v124, off, s[0:3], 0 offset:256
	buffer_load_dword v129, off, s[0:3], 0 offset:268
	buffer_load_dword v128, off, s[0:3], 0 offset:264
	s_waitcnt vmcnt(2)
	v_fmac_f64_e32 v[120:121], v[124:125], v[126:127]
	ds_read2_b64 v[124:127], v122 offset0:91 offset1:92
	s_waitcnt vmcnt(0) lgkmcnt(0)
	v_fmac_f64_e32 v[120:121], v[128:129], v[124:125]
	;; [unrolled: 9-line block ×13, first 2 shown]
	buffer_load_dword v125, off, s[0:3], 0 offset:452
	buffer_load_dword v124, off, s[0:3], 0 offset:448
	s_waitcnt vmcnt(0)
	v_fmac_f64_e32 v[120:121], v[124:125], v[126:127]
	buffer_load_dword v125, off, s[0:3], 0 offset:460
	buffer_load_dword v124, off, s[0:3], 0 offset:456
	ds_read_b64 v[126:127], v122 offset:920
	s_waitcnt vmcnt(0) lgkmcnt(0)
	v_fmac_f64_e32 v[120:121], v[124:125], v[126:127]
	v_add_f64 v[118:119], v[118:119], -v[120:121]
	buffer_store_dword v119, off, s[0:3], 0 offset:180
	buffer_store_dword v118, off, s[0:3], 0 offset:176
	s_and_saveexec_b64 s[4:5], vcc
	s_cbranch_execz .LBB121_313
; %bb.312:
	buffer_load_dword v118, off, s[0:3], 0 offset:168
	buffer_load_dword v119, off, s[0:3], 0 offset:172
	s_waitcnt vmcnt(0)
	ds_write_b64 v1, v[118:119]
	buffer_store_dword v122, off, s[0:3], 0 offset:168
	buffer_store_dword v122, off, s[0:3], 0 offset:172
.LBB121_313:
	s_or_b64 exec, exec, s[4:5]
	s_waitcnt lgkmcnt(0)
	; wave barrier
	s_waitcnt lgkmcnt(0)
	buffer_load_dword v118, off, s[0:3], 0 offset:168
	buffer_load_dword v119, off, s[0:3], 0 offset:172
	;; [unrolled: 1-line block ×16, first 2 shown]
	ds_read_b128 v[124:127], v122 offset:640
	ds_read_b128 v[128:131], v122 offset:656
	;; [unrolled: 1-line block ×4, first 2 shown]
	v_cmp_lt_u32_e32 vcc, 20, v0
	s_waitcnt vmcnt(12) lgkmcnt(3)
	v_fma_f64 v[120:121], v[120:121], v[124:125], 0
	buffer_load_dword v125, off, s[0:3], 0 offset:236
	buffer_load_dword v124, off, s[0:3], 0 offset:232
	s_waitcnt vmcnt(12)
	v_fmac_f64_e32 v[120:121], v[140:141], v[126:127]
	s_waitcnt vmcnt(10) lgkmcnt(2)
	v_fmac_f64_e32 v[120:121], v[142:143], v[128:129]
	buffer_load_dword v129, off, s[0:3], 0 offset:244
	buffer_load_dword v128, off, s[0:3], 0 offset:240
	s_waitcnt vmcnt(10)
	v_fmac_f64_e32 v[120:121], v[144:145], v[130:131]
	s_waitcnt vmcnt(8) lgkmcnt(1)
	v_fmac_f64_e32 v[120:121], v[146:147], v[132:133]
	s_waitcnt vmcnt(6)
	v_fmac_f64_e32 v[120:121], v[148:149], v[134:135]
	s_waitcnt vmcnt(4) lgkmcnt(0)
	v_fmac_f64_e32 v[120:121], v[150:151], v[136:137]
	s_waitcnt vmcnt(2)
	v_fmac_f64_e32 v[120:121], v[124:125], v[138:139]
	ds_read_b128 v[124:127], v122 offset:704
	s_waitcnt vmcnt(0) lgkmcnt(0)
	v_fmac_f64_e32 v[120:121], v[128:129], v[124:125]
	buffer_load_dword v125, off, s[0:3], 0 offset:252
	buffer_load_dword v124, off, s[0:3], 0 offset:248
	buffer_load_dword v129, off, s[0:3], 0 offset:260
	buffer_load_dword v128, off, s[0:3], 0 offset:256
	s_waitcnt vmcnt(2)
	v_fmac_f64_e32 v[120:121], v[124:125], v[126:127]
	ds_read_b128 v[124:127], v122 offset:720
	s_waitcnt vmcnt(0) lgkmcnt(0)
	v_fmac_f64_e32 v[120:121], v[128:129], v[124:125]
	buffer_load_dword v125, off, s[0:3], 0 offset:268
	buffer_load_dword v124, off, s[0:3], 0 offset:264
	buffer_load_dword v129, off, s[0:3], 0 offset:276
	buffer_load_dword v128, off, s[0:3], 0 offset:272
	;; [unrolled: 9-line block ×12, first 2 shown]
	s_waitcnt vmcnt(2)
	v_fmac_f64_e32 v[120:121], v[124:125], v[126:127]
	ds_read_b128 v[124:127], v122 offset:896
	s_waitcnt vmcnt(0) lgkmcnt(0)
	v_fmac_f64_e32 v[120:121], v[128:129], v[124:125]
	buffer_load_dword v125, off, s[0:3], 0 offset:444
	buffer_load_dword v124, off, s[0:3], 0 offset:440
	s_waitcnt vmcnt(0)
	v_fmac_f64_e32 v[120:121], v[124:125], v[126:127]
	buffer_load_dword v127, off, s[0:3], 0 offset:452
	buffer_load_dword v126, off, s[0:3], 0 offset:448
	ds_read_b128 v[122:125], v122 offset:912
	s_waitcnt vmcnt(0) lgkmcnt(0)
	v_fmac_f64_e32 v[120:121], v[126:127], v[122:123]
	buffer_load_dword v123, off, s[0:3], 0 offset:460
	buffer_load_dword v122, off, s[0:3], 0 offset:456
	s_waitcnt vmcnt(0)
	v_fmac_f64_e32 v[120:121], v[122:123], v[124:125]
	v_add_f64 v[118:119], v[118:119], -v[120:121]
	buffer_store_dword v119, off, s[0:3], 0 offset:172
	buffer_store_dword v118, off, s[0:3], 0 offset:168
	s_and_saveexec_b64 s[4:5], vcc
	s_cbranch_execz .LBB121_315
; %bb.314:
	buffer_load_dword v118, off, s[0:3], 0 offset:160
	buffer_load_dword v119, off, s[0:3], 0 offset:164
	v_mov_b32_e32 v120, 0
	buffer_store_dword v120, off, s[0:3], 0 offset:160
	buffer_store_dword v120, off, s[0:3], 0 offset:164
	s_waitcnt vmcnt(2)
	ds_write_b64 v1, v[118:119]
.LBB121_315:
	s_or_b64 exec, exec, s[4:5]
	s_waitcnt lgkmcnt(0)
	; wave barrier
	s_waitcnt lgkmcnt(0)
	buffer_load_dword v118, off, s[0:3], 0 offset:160
	buffer_load_dword v119, off, s[0:3], 0 offset:164
	;; [unrolled: 1-line block ×16, first 2 shown]
	v_mov_b32_e32 v122, 0
	ds_read2_b64 v[124:127], v122 offset0:79 offset1:80
	v_cmp_lt_u32_e32 vcc, 19, v0
	s_waitcnt vmcnt(12) lgkmcnt(0)
	v_fma_f64 v[120:121], v[120:121], v[124:125], 0
	s_waitcnt vmcnt(10)
	v_fmac_f64_e32 v[120:121], v[128:129], v[126:127]
	ds_read2_b64 v[124:127], v122 offset0:81 offset1:82
	s_waitcnt vmcnt(8) lgkmcnt(0)
	v_fmac_f64_e32 v[120:121], v[130:131], v[124:125]
	s_waitcnt vmcnt(6)
	v_fmac_f64_e32 v[120:121], v[132:133], v[126:127]
	ds_read2_b64 v[124:127], v122 offset0:83 offset1:84
	s_waitcnt vmcnt(4) lgkmcnt(0)
	v_fmac_f64_e32 v[120:121], v[134:135], v[124:125]
	;; [unrolled: 5-line block ×3, first 2 shown]
	buffer_load_dword v125, off, s[0:3], 0 offset:228
	buffer_load_dword v124, off, s[0:3], 0 offset:224
	buffer_load_dword v129, off, s[0:3], 0 offset:236
	buffer_load_dword v128, off, s[0:3], 0 offset:232
	s_waitcnt vmcnt(2)
	v_fmac_f64_e32 v[120:121], v[124:125], v[126:127]
	ds_read2_b64 v[124:127], v122 offset0:87 offset1:88
	s_waitcnt vmcnt(0) lgkmcnt(0)
	v_fmac_f64_e32 v[120:121], v[128:129], v[124:125]
	buffer_load_dword v125, off, s[0:3], 0 offset:244
	buffer_load_dword v124, off, s[0:3], 0 offset:240
	buffer_load_dword v129, off, s[0:3], 0 offset:252
	buffer_load_dword v128, off, s[0:3], 0 offset:248
	s_waitcnt vmcnt(2)
	v_fmac_f64_e32 v[120:121], v[124:125], v[126:127]
	ds_read2_b64 v[124:127], v122 offset0:89 offset1:90
	s_waitcnt vmcnt(0) lgkmcnt(0)
	v_fmac_f64_e32 v[120:121], v[128:129], v[124:125]
	buffer_load_dword v125, off, s[0:3], 0 offset:260
	buffer_load_dword v124, off, s[0:3], 0 offset:256
	buffer_load_dword v129, off, s[0:3], 0 offset:268
	buffer_load_dword v128, off, s[0:3], 0 offset:264
	s_waitcnt vmcnt(2)
	v_fmac_f64_e32 v[120:121], v[124:125], v[126:127]
	ds_read2_b64 v[124:127], v122 offset0:91 offset1:92
	s_waitcnt vmcnt(0) lgkmcnt(0)
	v_fmac_f64_e32 v[120:121], v[128:129], v[124:125]
	buffer_load_dword v125, off, s[0:3], 0 offset:276
	buffer_load_dword v124, off, s[0:3], 0 offset:272
	buffer_load_dword v129, off, s[0:3], 0 offset:284
	buffer_load_dword v128, off, s[0:3], 0 offset:280
	s_waitcnt vmcnt(2)
	v_fmac_f64_e32 v[120:121], v[124:125], v[126:127]
	ds_read2_b64 v[124:127], v122 offset0:93 offset1:94
	s_waitcnt vmcnt(0) lgkmcnt(0)
	v_fmac_f64_e32 v[120:121], v[128:129], v[124:125]
	buffer_load_dword v125, off, s[0:3], 0 offset:292
	buffer_load_dword v124, off, s[0:3], 0 offset:288
	buffer_load_dword v129, off, s[0:3], 0 offset:300
	buffer_load_dword v128, off, s[0:3], 0 offset:296
	s_waitcnt vmcnt(2)
	v_fmac_f64_e32 v[120:121], v[124:125], v[126:127]
	ds_read2_b64 v[124:127], v122 offset0:95 offset1:96
	s_waitcnt vmcnt(0) lgkmcnt(0)
	v_fmac_f64_e32 v[120:121], v[128:129], v[124:125]
	buffer_load_dword v125, off, s[0:3], 0 offset:308
	buffer_load_dword v124, off, s[0:3], 0 offset:304
	buffer_load_dword v129, off, s[0:3], 0 offset:316
	buffer_load_dword v128, off, s[0:3], 0 offset:312
	s_waitcnt vmcnt(2)
	v_fmac_f64_e32 v[120:121], v[124:125], v[126:127]
	ds_read2_b64 v[124:127], v122 offset0:97 offset1:98
	s_waitcnt vmcnt(0) lgkmcnt(0)
	v_fmac_f64_e32 v[120:121], v[128:129], v[124:125]
	buffer_load_dword v125, off, s[0:3], 0 offset:324
	buffer_load_dword v124, off, s[0:3], 0 offset:320
	buffer_load_dword v129, off, s[0:3], 0 offset:332
	buffer_load_dword v128, off, s[0:3], 0 offset:328
	s_waitcnt vmcnt(2)
	v_fmac_f64_e32 v[120:121], v[124:125], v[126:127]
	ds_read2_b64 v[124:127], v122 offset0:99 offset1:100
	s_waitcnt vmcnt(0) lgkmcnt(0)
	v_fmac_f64_e32 v[120:121], v[128:129], v[124:125]
	buffer_load_dword v125, off, s[0:3], 0 offset:340
	buffer_load_dword v124, off, s[0:3], 0 offset:336
	buffer_load_dword v129, off, s[0:3], 0 offset:348
	buffer_load_dword v128, off, s[0:3], 0 offset:344
	s_waitcnt vmcnt(2)
	v_fmac_f64_e32 v[120:121], v[124:125], v[126:127]
	ds_read2_b64 v[124:127], v122 offset0:101 offset1:102
	s_waitcnt vmcnt(0) lgkmcnt(0)
	v_fmac_f64_e32 v[120:121], v[128:129], v[124:125]
	buffer_load_dword v125, off, s[0:3], 0 offset:356
	buffer_load_dword v124, off, s[0:3], 0 offset:352
	buffer_load_dword v129, off, s[0:3], 0 offset:364
	buffer_load_dword v128, off, s[0:3], 0 offset:360
	s_waitcnt vmcnt(2)
	v_fmac_f64_e32 v[120:121], v[124:125], v[126:127]
	ds_read2_b64 v[124:127], v122 offset0:103 offset1:104
	s_waitcnt vmcnt(0) lgkmcnt(0)
	v_fmac_f64_e32 v[120:121], v[128:129], v[124:125]
	buffer_load_dword v125, off, s[0:3], 0 offset:372
	buffer_load_dword v124, off, s[0:3], 0 offset:368
	buffer_load_dword v129, off, s[0:3], 0 offset:380
	buffer_load_dword v128, off, s[0:3], 0 offset:376
	s_waitcnt vmcnt(2)
	v_fmac_f64_e32 v[120:121], v[124:125], v[126:127]
	ds_read2_b64 v[124:127], v122 offset0:105 offset1:106
	s_waitcnt vmcnt(0) lgkmcnt(0)
	v_fmac_f64_e32 v[120:121], v[128:129], v[124:125]
	buffer_load_dword v125, off, s[0:3], 0 offset:388
	buffer_load_dword v124, off, s[0:3], 0 offset:384
	buffer_load_dword v129, off, s[0:3], 0 offset:396
	buffer_load_dword v128, off, s[0:3], 0 offset:392
	s_waitcnt vmcnt(2)
	v_fmac_f64_e32 v[120:121], v[124:125], v[126:127]
	ds_read2_b64 v[124:127], v122 offset0:107 offset1:108
	s_waitcnt vmcnt(0) lgkmcnt(0)
	v_fmac_f64_e32 v[120:121], v[128:129], v[124:125]
	buffer_load_dword v125, off, s[0:3], 0 offset:404
	buffer_load_dword v124, off, s[0:3], 0 offset:400
	buffer_load_dword v129, off, s[0:3], 0 offset:412
	buffer_load_dword v128, off, s[0:3], 0 offset:408
	s_waitcnt vmcnt(2)
	v_fmac_f64_e32 v[120:121], v[124:125], v[126:127]
	ds_read2_b64 v[124:127], v122 offset0:109 offset1:110
	s_waitcnt vmcnt(0) lgkmcnt(0)
	v_fmac_f64_e32 v[120:121], v[128:129], v[124:125]
	buffer_load_dword v125, off, s[0:3], 0 offset:420
	buffer_load_dword v124, off, s[0:3], 0 offset:416
	buffer_load_dword v129, off, s[0:3], 0 offset:428
	buffer_load_dword v128, off, s[0:3], 0 offset:424
	s_waitcnt vmcnt(2)
	v_fmac_f64_e32 v[120:121], v[124:125], v[126:127]
	ds_read2_b64 v[124:127], v122 offset0:111 offset1:112
	s_waitcnt vmcnt(0) lgkmcnt(0)
	v_fmac_f64_e32 v[120:121], v[128:129], v[124:125]
	buffer_load_dword v125, off, s[0:3], 0 offset:436
	buffer_load_dword v124, off, s[0:3], 0 offset:432
	buffer_load_dword v129, off, s[0:3], 0 offset:444
	buffer_load_dword v128, off, s[0:3], 0 offset:440
	s_waitcnt vmcnt(2)
	v_fmac_f64_e32 v[120:121], v[124:125], v[126:127]
	ds_read2_b64 v[124:127], v122 offset0:113 offset1:114
	s_waitcnt vmcnt(0) lgkmcnt(0)
	v_fmac_f64_e32 v[120:121], v[128:129], v[124:125]
	buffer_load_dword v125, off, s[0:3], 0 offset:452
	buffer_load_dword v124, off, s[0:3], 0 offset:448
	s_waitcnt vmcnt(0)
	v_fmac_f64_e32 v[120:121], v[124:125], v[126:127]
	buffer_load_dword v125, off, s[0:3], 0 offset:460
	buffer_load_dword v124, off, s[0:3], 0 offset:456
	ds_read_b64 v[126:127], v122 offset:920
	s_waitcnt vmcnt(0) lgkmcnt(0)
	v_fmac_f64_e32 v[120:121], v[124:125], v[126:127]
	v_add_f64 v[118:119], v[118:119], -v[120:121]
	buffer_store_dword v119, off, s[0:3], 0 offset:164
	buffer_store_dword v118, off, s[0:3], 0 offset:160
	s_and_saveexec_b64 s[4:5], vcc
	s_cbranch_execz .LBB121_317
; %bb.316:
	buffer_load_dword v118, off, s[0:3], 0 offset:152
	buffer_load_dword v119, off, s[0:3], 0 offset:156
	s_waitcnt vmcnt(0)
	ds_write_b64 v1, v[118:119]
	buffer_store_dword v122, off, s[0:3], 0 offset:152
	buffer_store_dword v122, off, s[0:3], 0 offset:156
.LBB121_317:
	s_or_b64 exec, exec, s[4:5]
	s_waitcnt lgkmcnt(0)
	; wave barrier
	s_waitcnt lgkmcnt(0)
	buffer_load_dword v118, off, s[0:3], 0 offset:152
	buffer_load_dword v119, off, s[0:3], 0 offset:156
	;; [unrolled: 1-line block ×16, first 2 shown]
	ds_read_b128 v[124:127], v122 offset:624
	ds_read_b128 v[128:131], v122 offset:640
	ds_read_b128 v[132:135], v122 offset:656
	ds_read_b128 v[136:139], v122 offset:672
	v_cmp_lt_u32_e32 vcc, 18, v0
	s_waitcnt vmcnt(12) lgkmcnt(3)
	v_fma_f64 v[120:121], v[120:121], v[124:125], 0
	buffer_load_dword v125, off, s[0:3], 0 offset:220
	buffer_load_dword v124, off, s[0:3], 0 offset:216
	s_waitcnt vmcnt(12)
	v_fmac_f64_e32 v[120:121], v[140:141], v[126:127]
	s_waitcnt vmcnt(10) lgkmcnt(2)
	v_fmac_f64_e32 v[120:121], v[142:143], v[128:129]
	buffer_load_dword v129, off, s[0:3], 0 offset:228
	buffer_load_dword v128, off, s[0:3], 0 offset:224
	s_waitcnt vmcnt(10)
	v_fmac_f64_e32 v[120:121], v[144:145], v[130:131]
	s_waitcnt vmcnt(8) lgkmcnt(1)
	v_fmac_f64_e32 v[120:121], v[146:147], v[132:133]
	s_waitcnt vmcnt(6)
	v_fmac_f64_e32 v[120:121], v[148:149], v[134:135]
	s_waitcnt vmcnt(4) lgkmcnt(0)
	v_fmac_f64_e32 v[120:121], v[150:151], v[136:137]
	s_waitcnt vmcnt(2)
	v_fmac_f64_e32 v[120:121], v[124:125], v[138:139]
	ds_read_b128 v[124:127], v122 offset:688
	s_waitcnt vmcnt(0) lgkmcnt(0)
	v_fmac_f64_e32 v[120:121], v[128:129], v[124:125]
	buffer_load_dword v125, off, s[0:3], 0 offset:236
	buffer_load_dword v124, off, s[0:3], 0 offset:232
	buffer_load_dword v129, off, s[0:3], 0 offset:244
	buffer_load_dword v128, off, s[0:3], 0 offset:240
	s_waitcnt vmcnt(2)
	v_fmac_f64_e32 v[120:121], v[124:125], v[126:127]
	ds_read_b128 v[124:127], v122 offset:704
	s_waitcnt vmcnt(0) lgkmcnt(0)
	v_fmac_f64_e32 v[120:121], v[128:129], v[124:125]
	buffer_load_dword v125, off, s[0:3], 0 offset:252
	buffer_load_dword v124, off, s[0:3], 0 offset:248
	buffer_load_dword v129, off, s[0:3], 0 offset:260
	buffer_load_dword v128, off, s[0:3], 0 offset:256
	;; [unrolled: 9-line block ×13, first 2 shown]
	s_waitcnt vmcnt(2)
	v_fmac_f64_e32 v[120:121], v[124:125], v[126:127]
	ds_read_b128 v[124:127], v122 offset:896
	s_waitcnt vmcnt(0) lgkmcnt(0)
	v_fmac_f64_e32 v[120:121], v[128:129], v[124:125]
	buffer_load_dword v125, off, s[0:3], 0 offset:444
	buffer_load_dword v124, off, s[0:3], 0 offset:440
	s_waitcnt vmcnt(0)
	v_fmac_f64_e32 v[120:121], v[124:125], v[126:127]
	buffer_load_dword v127, off, s[0:3], 0 offset:452
	buffer_load_dword v126, off, s[0:3], 0 offset:448
	ds_read_b128 v[122:125], v122 offset:912
	s_waitcnt vmcnt(0) lgkmcnt(0)
	v_fmac_f64_e32 v[120:121], v[126:127], v[122:123]
	buffer_load_dword v123, off, s[0:3], 0 offset:460
	buffer_load_dword v122, off, s[0:3], 0 offset:456
	s_waitcnt vmcnt(0)
	v_fmac_f64_e32 v[120:121], v[122:123], v[124:125]
	v_add_f64 v[118:119], v[118:119], -v[120:121]
	buffer_store_dword v119, off, s[0:3], 0 offset:156
	buffer_store_dword v118, off, s[0:3], 0 offset:152
	s_and_saveexec_b64 s[4:5], vcc
	s_cbranch_execz .LBB121_319
; %bb.318:
	buffer_load_dword v118, off, s[0:3], 0 offset:144
	buffer_load_dword v119, off, s[0:3], 0 offset:148
	v_mov_b32_e32 v120, 0
	buffer_store_dword v120, off, s[0:3], 0 offset:144
	buffer_store_dword v120, off, s[0:3], 0 offset:148
	s_waitcnt vmcnt(2)
	ds_write_b64 v1, v[118:119]
.LBB121_319:
	s_or_b64 exec, exec, s[4:5]
	s_waitcnt lgkmcnt(0)
	; wave barrier
	s_waitcnt lgkmcnt(0)
	buffer_load_dword v118, off, s[0:3], 0 offset:144
	buffer_load_dword v119, off, s[0:3], 0 offset:148
	;; [unrolled: 1-line block ×16, first 2 shown]
	v_mov_b32_e32 v122, 0
	ds_read2_b64 v[124:127], v122 offset0:77 offset1:78
	v_cmp_lt_u32_e32 vcc, 17, v0
	s_waitcnt vmcnt(12) lgkmcnt(0)
	v_fma_f64 v[120:121], v[120:121], v[124:125], 0
	s_waitcnt vmcnt(10)
	v_fmac_f64_e32 v[120:121], v[128:129], v[126:127]
	ds_read2_b64 v[124:127], v122 offset0:79 offset1:80
	s_waitcnt vmcnt(8) lgkmcnt(0)
	v_fmac_f64_e32 v[120:121], v[130:131], v[124:125]
	s_waitcnt vmcnt(6)
	v_fmac_f64_e32 v[120:121], v[132:133], v[126:127]
	ds_read2_b64 v[124:127], v122 offset0:81 offset1:82
	s_waitcnt vmcnt(4) lgkmcnt(0)
	v_fmac_f64_e32 v[120:121], v[134:135], v[124:125]
	;; [unrolled: 5-line block ×3, first 2 shown]
	buffer_load_dword v125, off, s[0:3], 0 offset:212
	buffer_load_dword v124, off, s[0:3], 0 offset:208
	buffer_load_dword v129, off, s[0:3], 0 offset:220
	buffer_load_dword v128, off, s[0:3], 0 offset:216
	s_waitcnt vmcnt(2)
	v_fmac_f64_e32 v[120:121], v[124:125], v[126:127]
	ds_read2_b64 v[124:127], v122 offset0:85 offset1:86
	s_waitcnt vmcnt(0) lgkmcnt(0)
	v_fmac_f64_e32 v[120:121], v[128:129], v[124:125]
	buffer_load_dword v125, off, s[0:3], 0 offset:228
	buffer_load_dword v124, off, s[0:3], 0 offset:224
	buffer_load_dword v129, off, s[0:3], 0 offset:236
	buffer_load_dword v128, off, s[0:3], 0 offset:232
	s_waitcnt vmcnt(2)
	v_fmac_f64_e32 v[120:121], v[124:125], v[126:127]
	ds_read2_b64 v[124:127], v122 offset0:87 offset1:88
	s_waitcnt vmcnt(0) lgkmcnt(0)
	v_fmac_f64_e32 v[120:121], v[128:129], v[124:125]
	;; [unrolled: 9-line block ×15, first 2 shown]
	buffer_load_dword v125, off, s[0:3], 0 offset:452
	buffer_load_dword v124, off, s[0:3], 0 offset:448
	s_waitcnt vmcnt(0)
	v_fmac_f64_e32 v[120:121], v[124:125], v[126:127]
	buffer_load_dword v125, off, s[0:3], 0 offset:460
	buffer_load_dword v124, off, s[0:3], 0 offset:456
	ds_read_b64 v[126:127], v122 offset:920
	s_waitcnt vmcnt(0) lgkmcnt(0)
	v_fmac_f64_e32 v[120:121], v[124:125], v[126:127]
	v_add_f64 v[118:119], v[118:119], -v[120:121]
	buffer_store_dword v119, off, s[0:3], 0 offset:148
	buffer_store_dword v118, off, s[0:3], 0 offset:144
	s_and_saveexec_b64 s[4:5], vcc
	s_cbranch_execz .LBB121_321
; %bb.320:
	buffer_load_dword v118, off, s[0:3], 0 offset:136
	buffer_load_dword v119, off, s[0:3], 0 offset:140
	s_waitcnt vmcnt(0)
	ds_write_b64 v1, v[118:119]
	buffer_store_dword v122, off, s[0:3], 0 offset:136
	buffer_store_dword v122, off, s[0:3], 0 offset:140
.LBB121_321:
	s_or_b64 exec, exec, s[4:5]
	s_waitcnt lgkmcnt(0)
	; wave barrier
	s_waitcnt lgkmcnt(0)
	buffer_load_dword v118, off, s[0:3], 0 offset:136
	buffer_load_dword v119, off, s[0:3], 0 offset:140
	buffer_load_dword v120, off, s[0:3], 0 offset:144
	buffer_load_dword v121, off, s[0:3], 0 offset:148
	buffer_load_dword v140, off, s[0:3], 0 offset:152
	buffer_load_dword v141, off, s[0:3], 0 offset:156
	buffer_load_dword v142, off, s[0:3], 0 offset:160
	buffer_load_dword v143, off, s[0:3], 0 offset:164
	buffer_load_dword v144, off, s[0:3], 0 offset:168
	buffer_load_dword v145, off, s[0:3], 0 offset:172
	buffer_load_dword v146, off, s[0:3], 0 offset:176
	buffer_load_dword v147, off, s[0:3], 0 offset:180
	buffer_load_dword v148, off, s[0:3], 0 offset:184
	buffer_load_dword v149, off, s[0:3], 0 offset:188
	buffer_load_dword v150, off, s[0:3], 0 offset:192
	buffer_load_dword v151, off, s[0:3], 0 offset:196
	ds_read_b128 v[124:127], v122 offset:608
	ds_read_b128 v[128:131], v122 offset:624
	;; [unrolled: 1-line block ×4, first 2 shown]
	v_cmp_lt_u32_e32 vcc, 16, v0
	s_waitcnt vmcnt(12) lgkmcnt(3)
	v_fma_f64 v[120:121], v[120:121], v[124:125], 0
	buffer_load_dword v125, off, s[0:3], 0 offset:204
	buffer_load_dword v124, off, s[0:3], 0 offset:200
	s_waitcnt vmcnt(12)
	v_fmac_f64_e32 v[120:121], v[140:141], v[126:127]
	s_waitcnt vmcnt(10) lgkmcnt(2)
	v_fmac_f64_e32 v[120:121], v[142:143], v[128:129]
	buffer_load_dword v129, off, s[0:3], 0 offset:212
	buffer_load_dword v128, off, s[0:3], 0 offset:208
	s_waitcnt vmcnt(10)
	v_fmac_f64_e32 v[120:121], v[144:145], v[130:131]
	s_waitcnt vmcnt(8) lgkmcnt(1)
	v_fmac_f64_e32 v[120:121], v[146:147], v[132:133]
	s_waitcnt vmcnt(6)
	v_fmac_f64_e32 v[120:121], v[148:149], v[134:135]
	s_waitcnt vmcnt(4) lgkmcnt(0)
	v_fmac_f64_e32 v[120:121], v[150:151], v[136:137]
	s_waitcnt vmcnt(2)
	v_fmac_f64_e32 v[120:121], v[124:125], v[138:139]
	ds_read_b128 v[124:127], v122 offset:672
	s_waitcnt vmcnt(0) lgkmcnt(0)
	v_fmac_f64_e32 v[120:121], v[128:129], v[124:125]
	buffer_load_dword v125, off, s[0:3], 0 offset:220
	buffer_load_dword v124, off, s[0:3], 0 offset:216
	buffer_load_dword v129, off, s[0:3], 0 offset:228
	buffer_load_dword v128, off, s[0:3], 0 offset:224
	s_waitcnt vmcnt(2)
	v_fmac_f64_e32 v[120:121], v[124:125], v[126:127]
	ds_read_b128 v[124:127], v122 offset:688
	s_waitcnt vmcnt(0) lgkmcnt(0)
	v_fmac_f64_e32 v[120:121], v[128:129], v[124:125]
	buffer_load_dword v125, off, s[0:3], 0 offset:236
	buffer_load_dword v124, off, s[0:3], 0 offset:232
	buffer_load_dword v129, off, s[0:3], 0 offset:244
	buffer_load_dword v128, off, s[0:3], 0 offset:240
	;; [unrolled: 9-line block ×14, first 2 shown]
	s_waitcnt vmcnt(2)
	v_fmac_f64_e32 v[120:121], v[124:125], v[126:127]
	ds_read_b128 v[124:127], v122 offset:896
	s_waitcnt vmcnt(0) lgkmcnt(0)
	v_fmac_f64_e32 v[120:121], v[128:129], v[124:125]
	buffer_load_dword v125, off, s[0:3], 0 offset:444
	buffer_load_dword v124, off, s[0:3], 0 offset:440
	s_waitcnt vmcnt(0)
	v_fmac_f64_e32 v[120:121], v[124:125], v[126:127]
	buffer_load_dword v127, off, s[0:3], 0 offset:452
	buffer_load_dword v126, off, s[0:3], 0 offset:448
	ds_read_b128 v[122:125], v122 offset:912
	s_waitcnt vmcnt(0) lgkmcnt(0)
	v_fmac_f64_e32 v[120:121], v[126:127], v[122:123]
	buffer_load_dword v123, off, s[0:3], 0 offset:460
	buffer_load_dword v122, off, s[0:3], 0 offset:456
	s_waitcnt vmcnt(0)
	v_fmac_f64_e32 v[120:121], v[122:123], v[124:125]
	v_add_f64 v[118:119], v[118:119], -v[120:121]
	buffer_store_dword v119, off, s[0:3], 0 offset:140
	buffer_store_dword v118, off, s[0:3], 0 offset:136
	s_and_saveexec_b64 s[4:5], vcc
	s_cbranch_execz .LBB121_323
; %bb.322:
	buffer_load_dword v118, off, s[0:3], 0 offset:128
	buffer_load_dword v119, off, s[0:3], 0 offset:132
	v_mov_b32_e32 v120, 0
	buffer_store_dword v120, off, s[0:3], 0 offset:128
	buffer_store_dword v120, off, s[0:3], 0 offset:132
	s_waitcnt vmcnt(2)
	ds_write_b64 v1, v[118:119]
.LBB121_323:
	s_or_b64 exec, exec, s[4:5]
	s_waitcnt lgkmcnt(0)
	; wave barrier
	s_waitcnt lgkmcnt(0)
	buffer_load_dword v118, off, s[0:3], 0 offset:128
	buffer_load_dword v119, off, s[0:3], 0 offset:132
	;; [unrolled: 1-line block ×16, first 2 shown]
	v_mov_b32_e32 v122, 0
	ds_read2_b64 v[124:127], v122 offset0:75 offset1:76
	v_cmp_lt_u32_e32 vcc, 15, v0
	s_waitcnt vmcnt(12) lgkmcnt(0)
	v_fma_f64 v[120:121], v[120:121], v[124:125], 0
	s_waitcnt vmcnt(10)
	v_fmac_f64_e32 v[120:121], v[128:129], v[126:127]
	ds_read2_b64 v[124:127], v122 offset0:77 offset1:78
	s_waitcnt vmcnt(8) lgkmcnt(0)
	v_fmac_f64_e32 v[120:121], v[130:131], v[124:125]
	s_waitcnt vmcnt(6)
	v_fmac_f64_e32 v[120:121], v[132:133], v[126:127]
	ds_read2_b64 v[124:127], v122 offset0:79 offset1:80
	s_waitcnt vmcnt(4) lgkmcnt(0)
	v_fmac_f64_e32 v[120:121], v[134:135], v[124:125]
	;; [unrolled: 5-line block ×3, first 2 shown]
	buffer_load_dword v125, off, s[0:3], 0 offset:196
	buffer_load_dword v124, off, s[0:3], 0 offset:192
	buffer_load_dword v129, off, s[0:3], 0 offset:204
	buffer_load_dword v128, off, s[0:3], 0 offset:200
	s_waitcnt vmcnt(2)
	v_fmac_f64_e32 v[120:121], v[124:125], v[126:127]
	ds_read2_b64 v[124:127], v122 offset0:83 offset1:84
	s_waitcnt vmcnt(0) lgkmcnt(0)
	v_fmac_f64_e32 v[120:121], v[128:129], v[124:125]
	buffer_load_dword v125, off, s[0:3], 0 offset:212
	buffer_load_dword v124, off, s[0:3], 0 offset:208
	buffer_load_dword v129, off, s[0:3], 0 offset:220
	buffer_load_dword v128, off, s[0:3], 0 offset:216
	s_waitcnt vmcnt(2)
	v_fmac_f64_e32 v[120:121], v[124:125], v[126:127]
	ds_read2_b64 v[124:127], v122 offset0:85 offset1:86
	s_waitcnt vmcnt(0) lgkmcnt(0)
	v_fmac_f64_e32 v[120:121], v[128:129], v[124:125]
	;; [unrolled: 9-line block ×16, first 2 shown]
	buffer_load_dword v125, off, s[0:3], 0 offset:452
	buffer_load_dword v124, off, s[0:3], 0 offset:448
	s_waitcnt vmcnt(0)
	v_fmac_f64_e32 v[120:121], v[124:125], v[126:127]
	buffer_load_dword v125, off, s[0:3], 0 offset:460
	buffer_load_dword v124, off, s[0:3], 0 offset:456
	ds_read_b64 v[126:127], v122 offset:920
	s_waitcnt vmcnt(0) lgkmcnt(0)
	v_fmac_f64_e32 v[120:121], v[124:125], v[126:127]
	v_add_f64 v[118:119], v[118:119], -v[120:121]
	buffer_store_dword v119, off, s[0:3], 0 offset:132
	buffer_store_dword v118, off, s[0:3], 0 offset:128
	s_and_saveexec_b64 s[4:5], vcc
	s_cbranch_execz .LBB121_325
; %bb.324:
	buffer_load_dword v118, off, s[0:3], 0 offset:120
	buffer_load_dword v119, off, s[0:3], 0 offset:124
	s_waitcnt vmcnt(0)
	ds_write_b64 v1, v[118:119]
	buffer_store_dword v122, off, s[0:3], 0 offset:120
	buffer_store_dword v122, off, s[0:3], 0 offset:124
.LBB121_325:
	s_or_b64 exec, exec, s[4:5]
	s_waitcnt lgkmcnt(0)
	; wave barrier
	s_waitcnt lgkmcnt(0)
	buffer_load_dword v118, off, s[0:3], 0 offset:120
	buffer_load_dword v119, off, s[0:3], 0 offset:124
	;; [unrolled: 1-line block ×16, first 2 shown]
	ds_read_b128 v[124:127], v122 offset:592
	ds_read_b128 v[128:131], v122 offset:608
	;; [unrolled: 1-line block ×4, first 2 shown]
	v_cmp_lt_u32_e32 vcc, 14, v0
	s_waitcnt vmcnt(12) lgkmcnt(3)
	v_fma_f64 v[120:121], v[120:121], v[124:125], 0
	buffer_load_dword v125, off, s[0:3], 0 offset:188
	buffer_load_dword v124, off, s[0:3], 0 offset:184
	s_waitcnt vmcnt(12)
	v_fmac_f64_e32 v[120:121], v[140:141], v[126:127]
	s_waitcnt vmcnt(10) lgkmcnt(2)
	v_fmac_f64_e32 v[120:121], v[142:143], v[128:129]
	buffer_load_dword v129, off, s[0:3], 0 offset:196
	buffer_load_dword v128, off, s[0:3], 0 offset:192
	s_waitcnt vmcnt(10)
	v_fmac_f64_e32 v[120:121], v[144:145], v[130:131]
	s_waitcnt vmcnt(8) lgkmcnt(1)
	v_fmac_f64_e32 v[120:121], v[146:147], v[132:133]
	s_waitcnt vmcnt(6)
	v_fmac_f64_e32 v[120:121], v[148:149], v[134:135]
	s_waitcnt vmcnt(4) lgkmcnt(0)
	v_fmac_f64_e32 v[120:121], v[150:151], v[136:137]
	s_waitcnt vmcnt(2)
	v_fmac_f64_e32 v[120:121], v[124:125], v[138:139]
	ds_read_b128 v[124:127], v122 offset:656
	s_waitcnt vmcnt(0) lgkmcnt(0)
	v_fmac_f64_e32 v[120:121], v[128:129], v[124:125]
	buffer_load_dword v125, off, s[0:3], 0 offset:204
	buffer_load_dword v124, off, s[0:3], 0 offset:200
	buffer_load_dword v129, off, s[0:3], 0 offset:212
	buffer_load_dword v128, off, s[0:3], 0 offset:208
	s_waitcnt vmcnt(2)
	v_fmac_f64_e32 v[120:121], v[124:125], v[126:127]
	ds_read_b128 v[124:127], v122 offset:672
	s_waitcnt vmcnt(0) lgkmcnt(0)
	v_fmac_f64_e32 v[120:121], v[128:129], v[124:125]
	buffer_load_dword v125, off, s[0:3], 0 offset:220
	buffer_load_dword v124, off, s[0:3], 0 offset:216
	buffer_load_dword v129, off, s[0:3], 0 offset:228
	buffer_load_dword v128, off, s[0:3], 0 offset:224
	;; [unrolled: 9-line block ×15, first 2 shown]
	s_waitcnt vmcnt(2)
	v_fmac_f64_e32 v[120:121], v[124:125], v[126:127]
	ds_read_b128 v[124:127], v122 offset:896
	s_waitcnt vmcnt(0) lgkmcnt(0)
	v_fmac_f64_e32 v[120:121], v[128:129], v[124:125]
	buffer_load_dword v125, off, s[0:3], 0 offset:444
	buffer_load_dword v124, off, s[0:3], 0 offset:440
	s_waitcnt vmcnt(0)
	v_fmac_f64_e32 v[120:121], v[124:125], v[126:127]
	buffer_load_dword v127, off, s[0:3], 0 offset:452
	buffer_load_dword v126, off, s[0:3], 0 offset:448
	ds_read_b128 v[122:125], v122 offset:912
	s_waitcnt vmcnt(0) lgkmcnt(0)
	v_fmac_f64_e32 v[120:121], v[126:127], v[122:123]
	buffer_load_dword v123, off, s[0:3], 0 offset:460
	buffer_load_dword v122, off, s[0:3], 0 offset:456
	s_waitcnt vmcnt(0)
	v_fmac_f64_e32 v[120:121], v[122:123], v[124:125]
	v_add_f64 v[118:119], v[118:119], -v[120:121]
	buffer_store_dword v119, off, s[0:3], 0 offset:124
	buffer_store_dword v118, off, s[0:3], 0 offset:120
	s_and_saveexec_b64 s[4:5], vcc
	s_cbranch_execz .LBB121_327
; %bb.326:
	buffer_load_dword v118, off, s[0:3], 0 offset:112
	buffer_load_dword v119, off, s[0:3], 0 offset:116
	v_mov_b32_e32 v120, 0
	buffer_store_dword v120, off, s[0:3], 0 offset:112
	buffer_store_dword v120, off, s[0:3], 0 offset:116
	s_waitcnt vmcnt(2)
	ds_write_b64 v1, v[118:119]
.LBB121_327:
	s_or_b64 exec, exec, s[4:5]
	s_waitcnt lgkmcnt(0)
	; wave barrier
	s_waitcnt lgkmcnt(0)
	buffer_load_dword v118, off, s[0:3], 0 offset:112
	buffer_load_dword v119, off, s[0:3], 0 offset:116
	;; [unrolled: 1-line block ×16, first 2 shown]
	v_mov_b32_e32 v122, 0
	ds_read2_b64 v[124:127], v122 offset0:73 offset1:74
	v_cmp_lt_u32_e32 vcc, 13, v0
	s_waitcnt vmcnt(12) lgkmcnt(0)
	v_fma_f64 v[120:121], v[120:121], v[124:125], 0
	s_waitcnt vmcnt(10)
	v_fmac_f64_e32 v[120:121], v[128:129], v[126:127]
	ds_read2_b64 v[124:127], v122 offset0:75 offset1:76
	s_waitcnt vmcnt(8) lgkmcnt(0)
	v_fmac_f64_e32 v[120:121], v[130:131], v[124:125]
	s_waitcnt vmcnt(6)
	v_fmac_f64_e32 v[120:121], v[132:133], v[126:127]
	ds_read2_b64 v[124:127], v122 offset0:77 offset1:78
	s_waitcnt vmcnt(4) lgkmcnt(0)
	v_fmac_f64_e32 v[120:121], v[134:135], v[124:125]
	;; [unrolled: 5-line block ×3, first 2 shown]
	buffer_load_dword v125, off, s[0:3], 0 offset:180
	buffer_load_dword v124, off, s[0:3], 0 offset:176
	buffer_load_dword v129, off, s[0:3], 0 offset:188
	buffer_load_dword v128, off, s[0:3], 0 offset:184
	s_waitcnt vmcnt(2)
	v_fmac_f64_e32 v[120:121], v[124:125], v[126:127]
	ds_read2_b64 v[124:127], v122 offset0:81 offset1:82
	s_waitcnt vmcnt(0) lgkmcnt(0)
	v_fmac_f64_e32 v[120:121], v[128:129], v[124:125]
	buffer_load_dword v125, off, s[0:3], 0 offset:196
	buffer_load_dword v124, off, s[0:3], 0 offset:192
	buffer_load_dword v129, off, s[0:3], 0 offset:204
	buffer_load_dword v128, off, s[0:3], 0 offset:200
	s_waitcnt vmcnt(2)
	v_fmac_f64_e32 v[120:121], v[124:125], v[126:127]
	ds_read2_b64 v[124:127], v122 offset0:83 offset1:84
	s_waitcnt vmcnt(0) lgkmcnt(0)
	v_fmac_f64_e32 v[120:121], v[128:129], v[124:125]
	;; [unrolled: 9-line block ×17, first 2 shown]
	buffer_load_dword v125, off, s[0:3], 0 offset:452
	buffer_load_dword v124, off, s[0:3], 0 offset:448
	s_waitcnt vmcnt(0)
	v_fmac_f64_e32 v[120:121], v[124:125], v[126:127]
	buffer_load_dword v125, off, s[0:3], 0 offset:460
	buffer_load_dword v124, off, s[0:3], 0 offset:456
	ds_read_b64 v[126:127], v122 offset:920
	s_waitcnt vmcnt(0) lgkmcnt(0)
	v_fmac_f64_e32 v[120:121], v[124:125], v[126:127]
	v_add_f64 v[118:119], v[118:119], -v[120:121]
	buffer_store_dword v119, off, s[0:3], 0 offset:116
	buffer_store_dword v118, off, s[0:3], 0 offset:112
	s_and_saveexec_b64 s[4:5], vcc
	s_cbranch_execz .LBB121_329
; %bb.328:
	buffer_load_dword v118, off, s[0:3], 0 offset:104
	buffer_load_dword v119, off, s[0:3], 0 offset:108
	s_waitcnt vmcnt(0)
	ds_write_b64 v1, v[118:119]
	buffer_store_dword v122, off, s[0:3], 0 offset:104
	buffer_store_dword v122, off, s[0:3], 0 offset:108
.LBB121_329:
	s_or_b64 exec, exec, s[4:5]
	s_waitcnt lgkmcnt(0)
	; wave barrier
	s_waitcnt lgkmcnt(0)
	buffer_load_dword v118, off, s[0:3], 0 offset:104
	buffer_load_dword v119, off, s[0:3], 0 offset:108
	;; [unrolled: 1-line block ×16, first 2 shown]
	ds_read_b128 v[124:127], v122 offset:576
	ds_read_b128 v[128:131], v122 offset:592
	;; [unrolled: 1-line block ×4, first 2 shown]
	v_cmp_lt_u32_e32 vcc, 12, v0
	s_waitcnt vmcnt(12) lgkmcnt(3)
	v_fma_f64 v[120:121], v[120:121], v[124:125], 0
	buffer_load_dword v125, off, s[0:3], 0 offset:172
	buffer_load_dword v124, off, s[0:3], 0 offset:168
	s_waitcnt vmcnt(12)
	v_fmac_f64_e32 v[120:121], v[140:141], v[126:127]
	s_waitcnt vmcnt(10) lgkmcnt(2)
	v_fmac_f64_e32 v[120:121], v[142:143], v[128:129]
	buffer_load_dword v129, off, s[0:3], 0 offset:180
	buffer_load_dword v128, off, s[0:3], 0 offset:176
	s_waitcnt vmcnt(10)
	v_fmac_f64_e32 v[120:121], v[144:145], v[130:131]
	s_waitcnt vmcnt(8) lgkmcnt(1)
	v_fmac_f64_e32 v[120:121], v[146:147], v[132:133]
	s_waitcnt vmcnt(6)
	v_fmac_f64_e32 v[120:121], v[148:149], v[134:135]
	s_waitcnt vmcnt(4) lgkmcnt(0)
	v_fmac_f64_e32 v[120:121], v[150:151], v[136:137]
	s_waitcnt vmcnt(2)
	v_fmac_f64_e32 v[120:121], v[124:125], v[138:139]
	ds_read_b128 v[124:127], v122 offset:640
	s_waitcnt vmcnt(0) lgkmcnt(0)
	v_fmac_f64_e32 v[120:121], v[128:129], v[124:125]
	buffer_load_dword v125, off, s[0:3], 0 offset:188
	buffer_load_dword v124, off, s[0:3], 0 offset:184
	buffer_load_dword v129, off, s[0:3], 0 offset:196
	buffer_load_dword v128, off, s[0:3], 0 offset:192
	s_waitcnt vmcnt(2)
	v_fmac_f64_e32 v[120:121], v[124:125], v[126:127]
	ds_read_b128 v[124:127], v122 offset:656
	s_waitcnt vmcnt(0) lgkmcnt(0)
	v_fmac_f64_e32 v[120:121], v[128:129], v[124:125]
	buffer_load_dword v125, off, s[0:3], 0 offset:204
	buffer_load_dword v124, off, s[0:3], 0 offset:200
	buffer_load_dword v129, off, s[0:3], 0 offset:212
	buffer_load_dword v128, off, s[0:3], 0 offset:208
	;; [unrolled: 9-line block ×16, first 2 shown]
	s_waitcnt vmcnt(2)
	v_fmac_f64_e32 v[120:121], v[124:125], v[126:127]
	ds_read_b128 v[124:127], v122 offset:896
	s_waitcnt vmcnt(0) lgkmcnt(0)
	v_fmac_f64_e32 v[120:121], v[128:129], v[124:125]
	buffer_load_dword v125, off, s[0:3], 0 offset:444
	buffer_load_dword v124, off, s[0:3], 0 offset:440
	s_waitcnt vmcnt(0)
	v_fmac_f64_e32 v[120:121], v[124:125], v[126:127]
	buffer_load_dword v127, off, s[0:3], 0 offset:452
	buffer_load_dword v126, off, s[0:3], 0 offset:448
	ds_read_b128 v[122:125], v122 offset:912
	s_waitcnt vmcnt(0) lgkmcnt(0)
	v_fmac_f64_e32 v[120:121], v[126:127], v[122:123]
	buffer_load_dword v123, off, s[0:3], 0 offset:460
	buffer_load_dword v122, off, s[0:3], 0 offset:456
	s_waitcnt vmcnt(0)
	v_fmac_f64_e32 v[120:121], v[122:123], v[124:125]
	v_add_f64 v[118:119], v[118:119], -v[120:121]
	buffer_store_dword v119, off, s[0:3], 0 offset:108
	buffer_store_dword v118, off, s[0:3], 0 offset:104
	s_and_saveexec_b64 s[4:5], vcc
	s_cbranch_execz .LBB121_331
; %bb.330:
	buffer_load_dword v118, off, s[0:3], 0 offset:96
	buffer_load_dword v119, off, s[0:3], 0 offset:100
	v_mov_b32_e32 v120, 0
	buffer_store_dword v120, off, s[0:3], 0 offset:96
	buffer_store_dword v120, off, s[0:3], 0 offset:100
	s_waitcnt vmcnt(2)
	ds_write_b64 v1, v[118:119]
.LBB121_331:
	s_or_b64 exec, exec, s[4:5]
	s_waitcnt lgkmcnt(0)
	; wave barrier
	s_waitcnt lgkmcnt(0)
	buffer_load_dword v118, off, s[0:3], 0 offset:96
	buffer_load_dword v119, off, s[0:3], 0 offset:100
	;; [unrolled: 1-line block ×16, first 2 shown]
	v_mov_b32_e32 v122, 0
	ds_read2_b64 v[124:127], v122 offset0:71 offset1:72
	v_cmp_lt_u32_e32 vcc, 11, v0
	s_waitcnt vmcnt(12) lgkmcnt(0)
	v_fma_f64 v[120:121], v[120:121], v[124:125], 0
	s_waitcnt vmcnt(10)
	v_fmac_f64_e32 v[120:121], v[128:129], v[126:127]
	ds_read2_b64 v[124:127], v122 offset0:73 offset1:74
	s_waitcnt vmcnt(8) lgkmcnt(0)
	v_fmac_f64_e32 v[120:121], v[130:131], v[124:125]
	s_waitcnt vmcnt(6)
	v_fmac_f64_e32 v[120:121], v[132:133], v[126:127]
	ds_read2_b64 v[124:127], v122 offset0:75 offset1:76
	s_waitcnt vmcnt(4) lgkmcnt(0)
	v_fmac_f64_e32 v[120:121], v[134:135], v[124:125]
	;; [unrolled: 5-line block ×3, first 2 shown]
	buffer_load_dword v125, off, s[0:3], 0 offset:164
	buffer_load_dword v124, off, s[0:3], 0 offset:160
	buffer_load_dword v129, off, s[0:3], 0 offset:172
	buffer_load_dword v128, off, s[0:3], 0 offset:168
	s_waitcnt vmcnt(2)
	v_fmac_f64_e32 v[120:121], v[124:125], v[126:127]
	ds_read2_b64 v[124:127], v122 offset0:79 offset1:80
	s_waitcnt vmcnt(0) lgkmcnt(0)
	v_fmac_f64_e32 v[120:121], v[128:129], v[124:125]
	buffer_load_dword v125, off, s[0:3], 0 offset:180
	buffer_load_dword v124, off, s[0:3], 0 offset:176
	buffer_load_dword v129, off, s[0:3], 0 offset:188
	buffer_load_dword v128, off, s[0:3], 0 offset:184
	s_waitcnt vmcnt(2)
	v_fmac_f64_e32 v[120:121], v[124:125], v[126:127]
	ds_read2_b64 v[124:127], v122 offset0:81 offset1:82
	s_waitcnt vmcnt(0) lgkmcnt(0)
	v_fmac_f64_e32 v[120:121], v[128:129], v[124:125]
	;; [unrolled: 9-line block ×18, first 2 shown]
	buffer_load_dword v125, off, s[0:3], 0 offset:452
	buffer_load_dword v124, off, s[0:3], 0 offset:448
	s_waitcnt vmcnt(0)
	v_fmac_f64_e32 v[120:121], v[124:125], v[126:127]
	buffer_load_dword v125, off, s[0:3], 0 offset:460
	buffer_load_dword v124, off, s[0:3], 0 offset:456
	ds_read_b64 v[126:127], v122 offset:920
	s_waitcnt vmcnt(0) lgkmcnt(0)
	v_fmac_f64_e32 v[120:121], v[124:125], v[126:127]
	v_add_f64 v[118:119], v[118:119], -v[120:121]
	buffer_store_dword v119, off, s[0:3], 0 offset:100
	buffer_store_dword v118, off, s[0:3], 0 offset:96
	s_and_saveexec_b64 s[4:5], vcc
	s_cbranch_execz .LBB121_333
; %bb.332:
	buffer_load_dword v118, off, s[0:3], 0 offset:88
	buffer_load_dword v119, off, s[0:3], 0 offset:92
	s_waitcnt vmcnt(0)
	ds_write_b64 v1, v[118:119]
	buffer_store_dword v122, off, s[0:3], 0 offset:88
	buffer_store_dword v122, off, s[0:3], 0 offset:92
.LBB121_333:
	s_or_b64 exec, exec, s[4:5]
	s_waitcnt lgkmcnt(0)
	; wave barrier
	s_waitcnt lgkmcnt(0)
	buffer_load_dword v118, off, s[0:3], 0 offset:88
	buffer_load_dword v119, off, s[0:3], 0 offset:92
	;; [unrolled: 1-line block ×16, first 2 shown]
	ds_read_b128 v[124:127], v122 offset:560
	ds_read_b128 v[128:131], v122 offset:576
	;; [unrolled: 1-line block ×4, first 2 shown]
	v_cmp_lt_u32_e32 vcc, 10, v0
	s_waitcnt vmcnt(12) lgkmcnt(3)
	v_fma_f64 v[120:121], v[120:121], v[124:125], 0
	buffer_load_dword v125, off, s[0:3], 0 offset:156
	buffer_load_dword v124, off, s[0:3], 0 offset:152
	s_waitcnt vmcnt(12)
	v_fmac_f64_e32 v[120:121], v[140:141], v[126:127]
	s_waitcnt vmcnt(10) lgkmcnt(2)
	v_fmac_f64_e32 v[120:121], v[142:143], v[128:129]
	buffer_load_dword v129, off, s[0:3], 0 offset:164
	buffer_load_dword v128, off, s[0:3], 0 offset:160
	s_waitcnt vmcnt(10)
	v_fmac_f64_e32 v[120:121], v[144:145], v[130:131]
	s_waitcnt vmcnt(8) lgkmcnt(1)
	v_fmac_f64_e32 v[120:121], v[146:147], v[132:133]
	s_waitcnt vmcnt(6)
	v_fmac_f64_e32 v[120:121], v[148:149], v[134:135]
	s_waitcnt vmcnt(4) lgkmcnt(0)
	v_fmac_f64_e32 v[120:121], v[150:151], v[136:137]
	s_waitcnt vmcnt(2)
	v_fmac_f64_e32 v[120:121], v[124:125], v[138:139]
	ds_read_b128 v[124:127], v122 offset:624
	s_waitcnt vmcnt(0) lgkmcnt(0)
	v_fmac_f64_e32 v[120:121], v[128:129], v[124:125]
	buffer_load_dword v125, off, s[0:3], 0 offset:172
	buffer_load_dword v124, off, s[0:3], 0 offset:168
	buffer_load_dword v129, off, s[0:3], 0 offset:180
	buffer_load_dword v128, off, s[0:3], 0 offset:176
	s_waitcnt vmcnt(2)
	v_fmac_f64_e32 v[120:121], v[124:125], v[126:127]
	ds_read_b128 v[124:127], v122 offset:640
	s_waitcnt vmcnt(0) lgkmcnt(0)
	v_fmac_f64_e32 v[120:121], v[128:129], v[124:125]
	buffer_load_dword v125, off, s[0:3], 0 offset:188
	buffer_load_dword v124, off, s[0:3], 0 offset:184
	buffer_load_dword v129, off, s[0:3], 0 offset:196
	buffer_load_dword v128, off, s[0:3], 0 offset:192
	;; [unrolled: 9-line block ×17, first 2 shown]
	s_waitcnt vmcnt(2)
	v_fmac_f64_e32 v[120:121], v[124:125], v[126:127]
	ds_read_b128 v[124:127], v122 offset:896
	s_waitcnt vmcnt(0) lgkmcnt(0)
	v_fmac_f64_e32 v[120:121], v[128:129], v[124:125]
	buffer_load_dword v125, off, s[0:3], 0 offset:444
	buffer_load_dword v124, off, s[0:3], 0 offset:440
	s_waitcnt vmcnt(0)
	v_fmac_f64_e32 v[120:121], v[124:125], v[126:127]
	buffer_load_dword v127, off, s[0:3], 0 offset:452
	buffer_load_dword v126, off, s[0:3], 0 offset:448
	ds_read_b128 v[122:125], v122 offset:912
	s_waitcnt vmcnt(0) lgkmcnt(0)
	v_fmac_f64_e32 v[120:121], v[126:127], v[122:123]
	buffer_load_dword v123, off, s[0:3], 0 offset:460
	buffer_load_dword v122, off, s[0:3], 0 offset:456
	s_waitcnt vmcnt(0)
	v_fmac_f64_e32 v[120:121], v[122:123], v[124:125]
	v_add_f64 v[118:119], v[118:119], -v[120:121]
	buffer_store_dword v119, off, s[0:3], 0 offset:92
	buffer_store_dword v118, off, s[0:3], 0 offset:88
	s_and_saveexec_b64 s[4:5], vcc
	s_cbranch_execz .LBB121_335
; %bb.334:
	buffer_load_dword v118, off, s[0:3], 0 offset:80
	buffer_load_dword v119, off, s[0:3], 0 offset:84
	v_mov_b32_e32 v120, 0
	buffer_store_dword v120, off, s[0:3], 0 offset:80
	buffer_store_dword v120, off, s[0:3], 0 offset:84
	s_waitcnt vmcnt(2)
	ds_write_b64 v1, v[118:119]
.LBB121_335:
	s_or_b64 exec, exec, s[4:5]
	s_waitcnt lgkmcnt(0)
	; wave barrier
	s_waitcnt lgkmcnt(0)
	buffer_load_dword v118, off, s[0:3], 0 offset:80
	buffer_load_dword v119, off, s[0:3], 0 offset:84
	;; [unrolled: 1-line block ×16, first 2 shown]
	v_mov_b32_e32 v122, 0
	ds_read2_b64 v[124:127], v122 offset0:69 offset1:70
	v_cmp_lt_u32_e32 vcc, 9, v0
	s_waitcnt vmcnt(12) lgkmcnt(0)
	v_fma_f64 v[120:121], v[120:121], v[124:125], 0
	s_waitcnt vmcnt(10)
	v_fmac_f64_e32 v[120:121], v[128:129], v[126:127]
	ds_read2_b64 v[124:127], v122 offset0:71 offset1:72
	s_waitcnt vmcnt(8) lgkmcnt(0)
	v_fmac_f64_e32 v[120:121], v[130:131], v[124:125]
	s_waitcnt vmcnt(6)
	v_fmac_f64_e32 v[120:121], v[132:133], v[126:127]
	ds_read2_b64 v[124:127], v122 offset0:73 offset1:74
	s_waitcnt vmcnt(4) lgkmcnt(0)
	v_fmac_f64_e32 v[120:121], v[134:135], v[124:125]
	;; [unrolled: 5-line block ×3, first 2 shown]
	buffer_load_dword v125, off, s[0:3], 0 offset:148
	buffer_load_dword v124, off, s[0:3], 0 offset:144
	buffer_load_dword v129, off, s[0:3], 0 offset:156
	buffer_load_dword v128, off, s[0:3], 0 offset:152
	s_waitcnt vmcnt(2)
	v_fmac_f64_e32 v[120:121], v[124:125], v[126:127]
	ds_read2_b64 v[124:127], v122 offset0:77 offset1:78
	s_waitcnt vmcnt(0) lgkmcnt(0)
	v_fmac_f64_e32 v[120:121], v[128:129], v[124:125]
	buffer_load_dword v125, off, s[0:3], 0 offset:164
	buffer_load_dword v124, off, s[0:3], 0 offset:160
	buffer_load_dword v129, off, s[0:3], 0 offset:172
	buffer_load_dword v128, off, s[0:3], 0 offset:168
	s_waitcnt vmcnt(2)
	v_fmac_f64_e32 v[120:121], v[124:125], v[126:127]
	ds_read2_b64 v[124:127], v122 offset0:79 offset1:80
	s_waitcnt vmcnt(0) lgkmcnt(0)
	v_fmac_f64_e32 v[120:121], v[128:129], v[124:125]
	;; [unrolled: 9-line block ×19, first 2 shown]
	buffer_load_dword v125, off, s[0:3], 0 offset:452
	buffer_load_dword v124, off, s[0:3], 0 offset:448
	s_waitcnt vmcnt(0)
	v_fmac_f64_e32 v[120:121], v[124:125], v[126:127]
	buffer_load_dword v125, off, s[0:3], 0 offset:460
	buffer_load_dword v124, off, s[0:3], 0 offset:456
	ds_read_b64 v[126:127], v122 offset:920
	s_waitcnt vmcnt(0) lgkmcnt(0)
	v_fmac_f64_e32 v[120:121], v[124:125], v[126:127]
	v_add_f64 v[118:119], v[118:119], -v[120:121]
	buffer_store_dword v119, off, s[0:3], 0 offset:84
	buffer_store_dword v118, off, s[0:3], 0 offset:80
	s_and_saveexec_b64 s[4:5], vcc
	s_cbranch_execz .LBB121_337
; %bb.336:
	buffer_load_dword v118, off, s[0:3], 0 offset:72
	buffer_load_dword v119, off, s[0:3], 0 offset:76
	s_waitcnt vmcnt(0)
	ds_write_b64 v1, v[118:119]
	buffer_store_dword v122, off, s[0:3], 0 offset:72
	buffer_store_dword v122, off, s[0:3], 0 offset:76
.LBB121_337:
	s_or_b64 exec, exec, s[4:5]
	s_waitcnt lgkmcnt(0)
	; wave barrier
	s_waitcnt lgkmcnt(0)
	buffer_load_dword v118, off, s[0:3], 0 offset:72
	buffer_load_dword v119, off, s[0:3], 0 offset:76
	;; [unrolled: 1-line block ×16, first 2 shown]
	ds_read_b128 v[124:127], v122 offset:544
	ds_read_b128 v[128:131], v122 offset:560
	;; [unrolled: 1-line block ×4, first 2 shown]
	v_cmp_lt_u32_e32 vcc, 8, v0
	s_waitcnt vmcnt(12) lgkmcnt(3)
	v_fma_f64 v[120:121], v[120:121], v[124:125], 0
	buffer_load_dword v125, off, s[0:3], 0 offset:140
	buffer_load_dword v124, off, s[0:3], 0 offset:136
	s_waitcnt vmcnt(12)
	v_fmac_f64_e32 v[120:121], v[140:141], v[126:127]
	s_waitcnt vmcnt(10) lgkmcnt(2)
	v_fmac_f64_e32 v[120:121], v[142:143], v[128:129]
	buffer_load_dword v129, off, s[0:3], 0 offset:148
	buffer_load_dword v128, off, s[0:3], 0 offset:144
	s_waitcnt vmcnt(10)
	v_fmac_f64_e32 v[120:121], v[144:145], v[130:131]
	s_waitcnt vmcnt(8) lgkmcnt(1)
	v_fmac_f64_e32 v[120:121], v[146:147], v[132:133]
	s_waitcnt vmcnt(6)
	v_fmac_f64_e32 v[120:121], v[148:149], v[134:135]
	s_waitcnt vmcnt(4) lgkmcnt(0)
	v_fmac_f64_e32 v[120:121], v[150:151], v[136:137]
	s_waitcnt vmcnt(2)
	v_fmac_f64_e32 v[120:121], v[124:125], v[138:139]
	ds_read_b128 v[124:127], v122 offset:608
	s_waitcnt vmcnt(0) lgkmcnt(0)
	v_fmac_f64_e32 v[120:121], v[128:129], v[124:125]
	buffer_load_dword v125, off, s[0:3], 0 offset:156
	buffer_load_dword v124, off, s[0:3], 0 offset:152
	buffer_load_dword v129, off, s[0:3], 0 offset:164
	buffer_load_dword v128, off, s[0:3], 0 offset:160
	s_waitcnt vmcnt(2)
	v_fmac_f64_e32 v[120:121], v[124:125], v[126:127]
	ds_read_b128 v[124:127], v122 offset:624
	s_waitcnt vmcnt(0) lgkmcnt(0)
	v_fmac_f64_e32 v[120:121], v[128:129], v[124:125]
	buffer_load_dword v125, off, s[0:3], 0 offset:172
	buffer_load_dword v124, off, s[0:3], 0 offset:168
	buffer_load_dword v129, off, s[0:3], 0 offset:180
	buffer_load_dword v128, off, s[0:3], 0 offset:176
	;; [unrolled: 9-line block ×18, first 2 shown]
	s_waitcnt vmcnt(2)
	v_fmac_f64_e32 v[120:121], v[124:125], v[126:127]
	ds_read_b128 v[124:127], v122 offset:896
	s_waitcnt vmcnt(0) lgkmcnt(0)
	v_fmac_f64_e32 v[120:121], v[128:129], v[124:125]
	buffer_load_dword v125, off, s[0:3], 0 offset:444
	buffer_load_dword v124, off, s[0:3], 0 offset:440
	s_waitcnt vmcnt(0)
	v_fmac_f64_e32 v[120:121], v[124:125], v[126:127]
	buffer_load_dword v127, off, s[0:3], 0 offset:452
	buffer_load_dword v126, off, s[0:3], 0 offset:448
	ds_read_b128 v[122:125], v122 offset:912
	s_waitcnt vmcnt(0) lgkmcnt(0)
	v_fmac_f64_e32 v[120:121], v[126:127], v[122:123]
	buffer_load_dword v123, off, s[0:3], 0 offset:460
	buffer_load_dword v122, off, s[0:3], 0 offset:456
	s_waitcnt vmcnt(0)
	v_fmac_f64_e32 v[120:121], v[122:123], v[124:125]
	v_add_f64 v[118:119], v[118:119], -v[120:121]
	buffer_store_dword v119, off, s[0:3], 0 offset:76
	buffer_store_dword v118, off, s[0:3], 0 offset:72
	s_and_saveexec_b64 s[4:5], vcc
	s_cbranch_execz .LBB121_339
; %bb.338:
	buffer_load_dword v118, off, s[0:3], 0 offset:64
	buffer_load_dword v119, off, s[0:3], 0 offset:68
	v_mov_b32_e32 v120, 0
	buffer_store_dword v120, off, s[0:3], 0 offset:64
	buffer_store_dword v120, off, s[0:3], 0 offset:68
	s_waitcnt vmcnt(2)
	ds_write_b64 v1, v[118:119]
.LBB121_339:
	s_or_b64 exec, exec, s[4:5]
	s_waitcnt lgkmcnt(0)
	; wave barrier
	s_waitcnt lgkmcnt(0)
	buffer_load_dword v118, off, s[0:3], 0 offset:64
	buffer_load_dword v119, off, s[0:3], 0 offset:68
	;; [unrolled: 1-line block ×16, first 2 shown]
	v_mov_b32_e32 v122, 0
	ds_read2_b64 v[124:127], v122 offset0:67 offset1:68
	v_cmp_lt_u32_e32 vcc, 7, v0
	s_waitcnt vmcnt(12) lgkmcnt(0)
	v_fma_f64 v[120:121], v[120:121], v[124:125], 0
	s_waitcnt vmcnt(10)
	v_fmac_f64_e32 v[120:121], v[128:129], v[126:127]
	ds_read2_b64 v[124:127], v122 offset0:69 offset1:70
	s_waitcnt vmcnt(8) lgkmcnt(0)
	v_fmac_f64_e32 v[120:121], v[130:131], v[124:125]
	s_waitcnt vmcnt(6)
	v_fmac_f64_e32 v[120:121], v[132:133], v[126:127]
	ds_read2_b64 v[124:127], v122 offset0:71 offset1:72
	s_waitcnt vmcnt(4) lgkmcnt(0)
	v_fmac_f64_e32 v[120:121], v[134:135], v[124:125]
	;; [unrolled: 5-line block ×3, first 2 shown]
	buffer_load_dword v125, off, s[0:3], 0 offset:132
	buffer_load_dword v124, off, s[0:3], 0 offset:128
	buffer_load_dword v129, off, s[0:3], 0 offset:140
	buffer_load_dword v128, off, s[0:3], 0 offset:136
	s_waitcnt vmcnt(2)
	v_fmac_f64_e32 v[120:121], v[124:125], v[126:127]
	ds_read2_b64 v[124:127], v122 offset0:75 offset1:76
	s_waitcnt vmcnt(0) lgkmcnt(0)
	v_fmac_f64_e32 v[120:121], v[128:129], v[124:125]
	buffer_load_dword v125, off, s[0:3], 0 offset:148
	buffer_load_dword v124, off, s[0:3], 0 offset:144
	buffer_load_dword v129, off, s[0:3], 0 offset:156
	buffer_load_dword v128, off, s[0:3], 0 offset:152
	s_waitcnt vmcnt(2)
	v_fmac_f64_e32 v[120:121], v[124:125], v[126:127]
	ds_read2_b64 v[124:127], v122 offset0:77 offset1:78
	s_waitcnt vmcnt(0) lgkmcnt(0)
	v_fmac_f64_e32 v[120:121], v[128:129], v[124:125]
	;; [unrolled: 9-line block ×20, first 2 shown]
	buffer_load_dword v125, off, s[0:3], 0 offset:452
	buffer_load_dword v124, off, s[0:3], 0 offset:448
	s_waitcnt vmcnt(0)
	v_fmac_f64_e32 v[120:121], v[124:125], v[126:127]
	buffer_load_dword v125, off, s[0:3], 0 offset:460
	buffer_load_dword v124, off, s[0:3], 0 offset:456
	ds_read_b64 v[126:127], v122 offset:920
	s_waitcnt vmcnt(0) lgkmcnt(0)
	v_fmac_f64_e32 v[120:121], v[124:125], v[126:127]
	v_add_f64 v[118:119], v[118:119], -v[120:121]
	buffer_store_dword v119, off, s[0:3], 0 offset:68
	buffer_store_dword v118, off, s[0:3], 0 offset:64
	s_and_saveexec_b64 s[4:5], vcc
	s_cbranch_execz .LBB121_341
; %bb.340:
	buffer_load_dword v118, off, s[0:3], 0 offset:56
	buffer_load_dword v119, off, s[0:3], 0 offset:60
	s_waitcnt vmcnt(0)
	ds_write_b64 v1, v[118:119]
	buffer_store_dword v122, off, s[0:3], 0 offset:56
	buffer_store_dword v122, off, s[0:3], 0 offset:60
.LBB121_341:
	s_or_b64 exec, exec, s[4:5]
	s_waitcnt lgkmcnt(0)
	; wave barrier
	s_waitcnt lgkmcnt(0)
	buffer_load_dword v118, off, s[0:3], 0 offset:56
	buffer_load_dword v119, off, s[0:3], 0 offset:60
	;; [unrolled: 1-line block ×16, first 2 shown]
	ds_read_b128 v[124:127], v122 offset:528
	v_cmp_lt_u32_e32 vcc, 6, v0
	s_waitcnt vmcnt(12) lgkmcnt(0)
	v_fma_f64 v[120:121], v[120:121], v[124:125], 0
	s_waitcnt vmcnt(10)
	v_fmac_f64_e32 v[120:121], v[128:129], v[126:127]
	ds_read_b128 v[124:127], v122 offset:544
	s_waitcnt vmcnt(8) lgkmcnt(0)
	v_fmac_f64_e32 v[120:121], v[130:131], v[124:125]
	s_waitcnt vmcnt(6)
	v_fmac_f64_e32 v[120:121], v[132:133], v[126:127]
	ds_read_b128 v[124:127], v122 offset:560
	s_waitcnt vmcnt(4) lgkmcnt(0)
	v_fmac_f64_e32 v[120:121], v[134:135], v[124:125]
	;; [unrolled: 5-line block ×3, first 2 shown]
	buffer_load_dword v125, off, s[0:3], 0 offset:124
	buffer_load_dword v124, off, s[0:3], 0 offset:120
	buffer_load_dword v129, off, s[0:3], 0 offset:132
	buffer_load_dword v128, off, s[0:3], 0 offset:128
	s_waitcnt vmcnt(2)
	v_fmac_f64_e32 v[120:121], v[124:125], v[126:127]
	ds_read_b128 v[124:127], v122 offset:592
	s_waitcnt vmcnt(0) lgkmcnt(0)
	v_fmac_f64_e32 v[120:121], v[128:129], v[124:125]
	buffer_load_dword v125, off, s[0:3], 0 offset:140
	buffer_load_dword v124, off, s[0:3], 0 offset:136
	buffer_load_dword v129, off, s[0:3], 0 offset:148
	buffer_load_dword v128, off, s[0:3], 0 offset:144
	s_waitcnt vmcnt(2)
	v_fmac_f64_e32 v[120:121], v[124:125], v[126:127]
	ds_read_b128 v[124:127], v122 offset:608
	s_waitcnt vmcnt(0) lgkmcnt(0)
	v_fmac_f64_e32 v[120:121], v[128:129], v[124:125]
	;; [unrolled: 9-line block ×20, first 2 shown]
	buffer_load_dword v125, off, s[0:3], 0 offset:444
	buffer_load_dword v124, off, s[0:3], 0 offset:440
	s_waitcnt vmcnt(0)
	v_fmac_f64_e32 v[120:121], v[124:125], v[126:127]
	buffer_load_dword v127, off, s[0:3], 0 offset:452
	buffer_load_dword v126, off, s[0:3], 0 offset:448
	ds_read_b128 v[122:125], v122 offset:912
	s_waitcnt vmcnt(0) lgkmcnt(0)
	v_fmac_f64_e32 v[120:121], v[126:127], v[122:123]
	buffer_load_dword v123, off, s[0:3], 0 offset:460
	buffer_load_dword v122, off, s[0:3], 0 offset:456
	s_waitcnt vmcnt(0)
	v_fmac_f64_e32 v[120:121], v[122:123], v[124:125]
	v_add_f64 v[118:119], v[118:119], -v[120:121]
	buffer_store_dword v119, off, s[0:3], 0 offset:60
	buffer_store_dword v118, off, s[0:3], 0 offset:56
	s_and_saveexec_b64 s[4:5], vcc
	s_cbranch_execz .LBB121_343
; %bb.342:
	buffer_load_dword v118, off, s[0:3], 0 offset:48
	buffer_load_dword v119, off, s[0:3], 0 offset:52
	v_mov_b32_e32 v120, 0
	buffer_store_dword v120, off, s[0:3], 0 offset:48
	buffer_store_dword v120, off, s[0:3], 0 offset:52
	s_waitcnt vmcnt(2)
	ds_write_b64 v1, v[118:119]
.LBB121_343:
	s_or_b64 exec, exec, s[4:5]
	s_waitcnt lgkmcnt(0)
	; wave barrier
	s_waitcnt lgkmcnt(0)
	buffer_load_dword v118, off, s[0:3], 0 offset:48
	buffer_load_dword v119, off, s[0:3], 0 offset:52
	;; [unrolled: 1-line block ×16, first 2 shown]
	v_mov_b32_e32 v122, 0
	ds_read2_b64 v[124:127], v122 offset0:65 offset1:66
	v_cmp_lt_u32_e32 vcc, 5, v0
	s_waitcnt vmcnt(12) lgkmcnt(0)
	v_fma_f64 v[120:121], v[120:121], v[124:125], 0
	s_waitcnt vmcnt(10)
	v_fmac_f64_e32 v[120:121], v[128:129], v[126:127]
	ds_read2_b64 v[124:127], v122 offset0:67 offset1:68
	s_waitcnt vmcnt(8) lgkmcnt(0)
	v_fmac_f64_e32 v[120:121], v[130:131], v[124:125]
	s_waitcnt vmcnt(6)
	v_fmac_f64_e32 v[120:121], v[132:133], v[126:127]
	ds_read2_b64 v[124:127], v122 offset0:69 offset1:70
	s_waitcnt vmcnt(4) lgkmcnt(0)
	v_fmac_f64_e32 v[120:121], v[134:135], v[124:125]
	;; [unrolled: 5-line block ×3, first 2 shown]
	buffer_load_dword v125, off, s[0:3], 0 offset:116
	buffer_load_dword v124, off, s[0:3], 0 offset:112
	buffer_load_dword v129, off, s[0:3], 0 offset:124
	buffer_load_dword v128, off, s[0:3], 0 offset:120
	s_waitcnt vmcnt(2)
	v_fmac_f64_e32 v[120:121], v[124:125], v[126:127]
	ds_read2_b64 v[124:127], v122 offset0:73 offset1:74
	s_waitcnt vmcnt(0) lgkmcnt(0)
	v_fmac_f64_e32 v[120:121], v[128:129], v[124:125]
	buffer_load_dword v125, off, s[0:3], 0 offset:132
	buffer_load_dword v124, off, s[0:3], 0 offset:128
	buffer_load_dword v129, off, s[0:3], 0 offset:140
	buffer_load_dword v128, off, s[0:3], 0 offset:136
	s_waitcnt vmcnt(2)
	v_fmac_f64_e32 v[120:121], v[124:125], v[126:127]
	ds_read2_b64 v[124:127], v122 offset0:75 offset1:76
	s_waitcnt vmcnt(0) lgkmcnt(0)
	v_fmac_f64_e32 v[120:121], v[128:129], v[124:125]
	;; [unrolled: 9-line block ×21, first 2 shown]
	buffer_load_dword v125, off, s[0:3], 0 offset:452
	buffer_load_dword v124, off, s[0:3], 0 offset:448
	s_waitcnt vmcnt(0)
	v_fmac_f64_e32 v[120:121], v[124:125], v[126:127]
	buffer_load_dword v125, off, s[0:3], 0 offset:460
	buffer_load_dword v124, off, s[0:3], 0 offset:456
	ds_read_b64 v[126:127], v122 offset:920
	s_waitcnt vmcnt(0) lgkmcnt(0)
	v_fmac_f64_e32 v[120:121], v[124:125], v[126:127]
	v_add_f64 v[118:119], v[118:119], -v[120:121]
	buffer_store_dword v119, off, s[0:3], 0 offset:52
	buffer_store_dword v118, off, s[0:3], 0 offset:48
	s_and_saveexec_b64 s[4:5], vcc
	s_cbranch_execz .LBB121_345
; %bb.344:
	buffer_load_dword v118, off, s[0:3], 0 offset:40
	buffer_load_dword v119, off, s[0:3], 0 offset:44
	s_waitcnt vmcnt(0)
	ds_write_b64 v1, v[118:119]
	buffer_store_dword v122, off, s[0:3], 0 offset:40
	buffer_store_dword v122, off, s[0:3], 0 offset:44
.LBB121_345:
	s_or_b64 exec, exec, s[4:5]
	s_waitcnt lgkmcnt(0)
	; wave barrier
	s_waitcnt lgkmcnt(0)
	buffer_load_dword v118, off, s[0:3], 0 offset:40
	buffer_load_dword v119, off, s[0:3], 0 offset:44
	buffer_load_dword v120, off, s[0:3], 0 offset:48
	buffer_load_dword v121, off, s[0:3], 0 offset:52
	buffer_load_dword v128, off, s[0:3], 0 offset:56
	buffer_load_dword v129, off, s[0:3], 0 offset:60
	buffer_load_dword v130, off, s[0:3], 0 offset:64
	buffer_load_dword v131, off, s[0:3], 0 offset:68
	buffer_load_dword v132, off, s[0:3], 0 offset:72
	buffer_load_dword v133, off, s[0:3], 0 offset:76
	buffer_load_dword v134, off, s[0:3], 0 offset:80
	buffer_load_dword v135, off, s[0:3], 0 offset:84
	buffer_load_dword v136, off, s[0:3], 0 offset:88
	buffer_load_dword v137, off, s[0:3], 0 offset:92
	buffer_load_dword v138, off, s[0:3], 0 offset:96
	buffer_load_dword v139, off, s[0:3], 0 offset:100
	ds_read_b128 v[124:127], v122 offset:512
	v_cmp_lt_u32_e32 vcc, 4, v0
	s_waitcnt vmcnt(12) lgkmcnt(0)
	v_fma_f64 v[120:121], v[120:121], v[124:125], 0
	s_waitcnt vmcnt(10)
	v_fmac_f64_e32 v[120:121], v[128:129], v[126:127]
	ds_read_b128 v[124:127], v122 offset:528
	s_waitcnt vmcnt(8) lgkmcnt(0)
	v_fmac_f64_e32 v[120:121], v[130:131], v[124:125]
	s_waitcnt vmcnt(6)
	v_fmac_f64_e32 v[120:121], v[132:133], v[126:127]
	ds_read_b128 v[124:127], v122 offset:544
	s_waitcnt vmcnt(4) lgkmcnt(0)
	v_fmac_f64_e32 v[120:121], v[134:135], v[124:125]
	;; [unrolled: 5-line block ×3, first 2 shown]
	buffer_load_dword v125, off, s[0:3], 0 offset:108
	buffer_load_dword v124, off, s[0:3], 0 offset:104
	buffer_load_dword v129, off, s[0:3], 0 offset:116
	buffer_load_dword v128, off, s[0:3], 0 offset:112
	s_waitcnt vmcnt(2)
	v_fmac_f64_e32 v[120:121], v[124:125], v[126:127]
	ds_read_b128 v[124:127], v122 offset:576
	s_waitcnt vmcnt(0) lgkmcnt(0)
	v_fmac_f64_e32 v[120:121], v[128:129], v[124:125]
	buffer_load_dword v125, off, s[0:3], 0 offset:124
	buffer_load_dword v124, off, s[0:3], 0 offset:120
	buffer_load_dword v129, off, s[0:3], 0 offset:132
	buffer_load_dword v128, off, s[0:3], 0 offset:128
	s_waitcnt vmcnt(2)
	v_fmac_f64_e32 v[120:121], v[124:125], v[126:127]
	ds_read_b128 v[124:127], v122 offset:592
	s_waitcnt vmcnt(0) lgkmcnt(0)
	v_fmac_f64_e32 v[120:121], v[128:129], v[124:125]
	;; [unrolled: 9-line block ×21, first 2 shown]
	buffer_load_dword v125, off, s[0:3], 0 offset:444
	buffer_load_dword v124, off, s[0:3], 0 offset:440
	s_waitcnt vmcnt(0)
	v_fmac_f64_e32 v[120:121], v[124:125], v[126:127]
	buffer_load_dword v127, off, s[0:3], 0 offset:452
	buffer_load_dword v126, off, s[0:3], 0 offset:448
	ds_read_b128 v[122:125], v122 offset:912
	s_waitcnt vmcnt(0) lgkmcnt(0)
	v_fmac_f64_e32 v[120:121], v[126:127], v[122:123]
	buffer_load_dword v123, off, s[0:3], 0 offset:460
	buffer_load_dword v122, off, s[0:3], 0 offset:456
	s_waitcnt vmcnt(0)
	v_fmac_f64_e32 v[120:121], v[122:123], v[124:125]
	v_add_f64 v[118:119], v[118:119], -v[120:121]
	buffer_store_dword v119, off, s[0:3], 0 offset:44
	buffer_store_dword v118, off, s[0:3], 0 offset:40
	s_and_saveexec_b64 s[4:5], vcc
	s_cbranch_execz .LBB121_347
; %bb.346:
	buffer_load_dword v118, off, s[0:3], 0 offset:32
	buffer_load_dword v119, off, s[0:3], 0 offset:36
	v_mov_b32_e32 v120, 0
	buffer_store_dword v120, off, s[0:3], 0 offset:32
	buffer_store_dword v120, off, s[0:3], 0 offset:36
	s_waitcnt vmcnt(2)
	ds_write_b64 v1, v[118:119]
.LBB121_347:
	s_or_b64 exec, exec, s[4:5]
	s_waitcnt lgkmcnt(0)
	; wave barrier
	s_waitcnt lgkmcnt(0)
	buffer_load_dword v118, off, s[0:3], 0 offset:32
	buffer_load_dword v119, off, s[0:3], 0 offset:36
	;; [unrolled: 1-line block ×16, first 2 shown]
	v_mov_b32_e32 v122, 0
	ds_read2_b64 v[124:127], v122 offset0:63 offset1:64
	v_cmp_lt_u32_e32 vcc, 3, v0
	s_waitcnt vmcnt(12) lgkmcnt(0)
	v_fma_f64 v[120:121], v[120:121], v[124:125], 0
	s_waitcnt vmcnt(10)
	v_fmac_f64_e32 v[120:121], v[128:129], v[126:127]
	ds_read2_b64 v[124:127], v122 offset0:65 offset1:66
	s_waitcnt vmcnt(8) lgkmcnt(0)
	v_fmac_f64_e32 v[120:121], v[130:131], v[124:125]
	s_waitcnt vmcnt(6)
	v_fmac_f64_e32 v[120:121], v[132:133], v[126:127]
	ds_read2_b64 v[124:127], v122 offset0:67 offset1:68
	s_waitcnt vmcnt(4) lgkmcnt(0)
	v_fmac_f64_e32 v[120:121], v[134:135], v[124:125]
	;; [unrolled: 5-line block ×3, first 2 shown]
	buffer_load_dword v125, off, s[0:3], 0 offset:100
	buffer_load_dword v124, off, s[0:3], 0 offset:96
	buffer_load_dword v129, off, s[0:3], 0 offset:108
	buffer_load_dword v128, off, s[0:3], 0 offset:104
	s_waitcnt vmcnt(2)
	v_fmac_f64_e32 v[120:121], v[124:125], v[126:127]
	ds_read2_b64 v[124:127], v122 offset0:71 offset1:72
	s_waitcnt vmcnt(0) lgkmcnt(0)
	v_fmac_f64_e32 v[120:121], v[128:129], v[124:125]
	buffer_load_dword v125, off, s[0:3], 0 offset:116
	buffer_load_dword v124, off, s[0:3], 0 offset:112
	buffer_load_dword v129, off, s[0:3], 0 offset:124
	buffer_load_dword v128, off, s[0:3], 0 offset:120
	s_waitcnt vmcnt(2)
	v_fmac_f64_e32 v[120:121], v[124:125], v[126:127]
	ds_read2_b64 v[124:127], v122 offset0:73 offset1:74
	s_waitcnt vmcnt(0) lgkmcnt(0)
	v_fmac_f64_e32 v[120:121], v[128:129], v[124:125]
	;; [unrolled: 9-line block ×22, first 2 shown]
	buffer_load_dword v125, off, s[0:3], 0 offset:452
	buffer_load_dword v124, off, s[0:3], 0 offset:448
	s_waitcnt vmcnt(0)
	v_fmac_f64_e32 v[120:121], v[124:125], v[126:127]
	buffer_load_dword v125, off, s[0:3], 0 offset:460
	buffer_load_dword v124, off, s[0:3], 0 offset:456
	ds_read_b64 v[126:127], v122 offset:920
	s_waitcnt vmcnt(0) lgkmcnt(0)
	v_fmac_f64_e32 v[120:121], v[124:125], v[126:127]
	v_add_f64 v[118:119], v[118:119], -v[120:121]
	buffer_store_dword v119, off, s[0:3], 0 offset:36
	buffer_store_dword v118, off, s[0:3], 0 offset:32
	s_and_saveexec_b64 s[4:5], vcc
	s_cbranch_execz .LBB121_349
; %bb.348:
	buffer_load_dword v118, off, s[0:3], 0 offset:24
	buffer_load_dword v119, off, s[0:3], 0 offset:28
	s_waitcnt vmcnt(0)
	ds_write_b64 v1, v[118:119]
	buffer_store_dword v122, off, s[0:3], 0 offset:24
	buffer_store_dword v122, off, s[0:3], 0 offset:28
.LBB121_349:
	s_or_b64 exec, exec, s[4:5]
	s_waitcnt lgkmcnt(0)
	; wave barrier
	s_waitcnt lgkmcnt(0)
	buffer_load_dword v118, off, s[0:3], 0 offset:24
	buffer_load_dword v119, off, s[0:3], 0 offset:28
	;; [unrolled: 1-line block ×16, first 2 shown]
	ds_read_b128 v[124:127], v122 offset:496
	v_cmp_lt_u32_e32 vcc, 2, v0
	s_waitcnt vmcnt(12) lgkmcnt(0)
	v_fma_f64 v[120:121], v[120:121], v[124:125], 0
	s_waitcnt vmcnt(10)
	v_fmac_f64_e32 v[120:121], v[128:129], v[126:127]
	ds_read_b128 v[124:127], v122 offset:512
	s_waitcnt vmcnt(8) lgkmcnt(0)
	v_fmac_f64_e32 v[120:121], v[130:131], v[124:125]
	s_waitcnt vmcnt(6)
	v_fmac_f64_e32 v[120:121], v[132:133], v[126:127]
	ds_read_b128 v[124:127], v122 offset:528
	s_waitcnt vmcnt(4) lgkmcnt(0)
	v_fmac_f64_e32 v[120:121], v[134:135], v[124:125]
	;; [unrolled: 5-line block ×3, first 2 shown]
	buffer_load_dword v125, off, s[0:3], 0 offset:92
	buffer_load_dword v124, off, s[0:3], 0 offset:88
	buffer_load_dword v129, off, s[0:3], 0 offset:100
	buffer_load_dword v128, off, s[0:3], 0 offset:96
	s_waitcnt vmcnt(2)
	v_fmac_f64_e32 v[120:121], v[124:125], v[126:127]
	ds_read_b128 v[124:127], v122 offset:560
	s_waitcnt vmcnt(0) lgkmcnt(0)
	v_fmac_f64_e32 v[120:121], v[128:129], v[124:125]
	buffer_load_dword v125, off, s[0:3], 0 offset:108
	buffer_load_dword v124, off, s[0:3], 0 offset:104
	buffer_load_dword v129, off, s[0:3], 0 offset:116
	buffer_load_dword v128, off, s[0:3], 0 offset:112
	s_waitcnt vmcnt(2)
	v_fmac_f64_e32 v[120:121], v[124:125], v[126:127]
	ds_read_b128 v[124:127], v122 offset:576
	s_waitcnt vmcnt(0) lgkmcnt(0)
	v_fmac_f64_e32 v[120:121], v[128:129], v[124:125]
	;; [unrolled: 9-line block ×22, first 2 shown]
	buffer_load_dword v125, off, s[0:3], 0 offset:444
	buffer_load_dword v124, off, s[0:3], 0 offset:440
	s_waitcnt vmcnt(0)
	v_fmac_f64_e32 v[120:121], v[124:125], v[126:127]
	buffer_load_dword v127, off, s[0:3], 0 offset:452
	buffer_load_dword v126, off, s[0:3], 0 offset:448
	ds_read_b128 v[122:125], v122 offset:912
	s_waitcnt vmcnt(0) lgkmcnt(0)
	v_fmac_f64_e32 v[120:121], v[126:127], v[122:123]
	buffer_load_dword v123, off, s[0:3], 0 offset:460
	buffer_load_dword v122, off, s[0:3], 0 offset:456
	s_waitcnt vmcnt(0)
	v_fmac_f64_e32 v[120:121], v[122:123], v[124:125]
	v_add_f64 v[118:119], v[118:119], -v[120:121]
	buffer_store_dword v119, off, s[0:3], 0 offset:28
	buffer_store_dword v118, off, s[0:3], 0 offset:24
	s_and_saveexec_b64 s[4:5], vcc
	s_cbranch_execz .LBB121_351
; %bb.350:
	buffer_load_dword v118, off, s[0:3], 0 offset:16
	buffer_load_dword v119, off, s[0:3], 0 offset:20
	v_mov_b32_e32 v120, 0
	buffer_store_dword v120, off, s[0:3], 0 offset:16
	buffer_store_dword v120, off, s[0:3], 0 offset:20
	s_waitcnt vmcnt(2)
	ds_write_b64 v1, v[118:119]
.LBB121_351:
	s_or_b64 exec, exec, s[4:5]
	s_waitcnt lgkmcnt(0)
	; wave barrier
	s_waitcnt lgkmcnt(0)
	buffer_load_dword v118, off, s[0:3], 0 offset:16
	buffer_load_dword v119, off, s[0:3], 0 offset:20
	;; [unrolled: 1-line block ×16, first 2 shown]
	v_mov_b32_e32 v122, 0
	ds_read2_b64 v[124:127], v122 offset0:61 offset1:62
	v_cmp_lt_u32_e32 vcc, 1, v0
	s_waitcnt vmcnt(12) lgkmcnt(0)
	v_fma_f64 v[120:121], v[120:121], v[124:125], 0
	s_waitcnt vmcnt(10)
	v_fmac_f64_e32 v[120:121], v[128:129], v[126:127]
	ds_read2_b64 v[124:127], v122 offset0:63 offset1:64
	s_waitcnt vmcnt(8) lgkmcnt(0)
	v_fmac_f64_e32 v[120:121], v[130:131], v[124:125]
	s_waitcnt vmcnt(6)
	v_fmac_f64_e32 v[120:121], v[132:133], v[126:127]
	ds_read2_b64 v[124:127], v122 offset0:65 offset1:66
	s_waitcnt vmcnt(4) lgkmcnt(0)
	v_fmac_f64_e32 v[120:121], v[134:135], v[124:125]
	;; [unrolled: 5-line block ×3, first 2 shown]
	buffer_load_dword v125, off, s[0:3], 0 offset:84
	buffer_load_dword v124, off, s[0:3], 0 offset:80
	buffer_load_dword v129, off, s[0:3], 0 offset:92
	buffer_load_dword v128, off, s[0:3], 0 offset:88
	s_waitcnt vmcnt(2)
	v_fmac_f64_e32 v[120:121], v[124:125], v[126:127]
	ds_read2_b64 v[124:127], v122 offset0:69 offset1:70
	s_waitcnt vmcnt(0) lgkmcnt(0)
	v_fmac_f64_e32 v[120:121], v[128:129], v[124:125]
	buffer_load_dword v125, off, s[0:3], 0 offset:100
	buffer_load_dword v124, off, s[0:3], 0 offset:96
	buffer_load_dword v129, off, s[0:3], 0 offset:108
	buffer_load_dword v128, off, s[0:3], 0 offset:104
	s_waitcnt vmcnt(2)
	v_fmac_f64_e32 v[120:121], v[124:125], v[126:127]
	ds_read2_b64 v[124:127], v122 offset0:71 offset1:72
	s_waitcnt vmcnt(0) lgkmcnt(0)
	v_fmac_f64_e32 v[120:121], v[128:129], v[124:125]
	;; [unrolled: 9-line block ×23, first 2 shown]
	buffer_load_dword v125, off, s[0:3], 0 offset:452
	buffer_load_dword v124, off, s[0:3], 0 offset:448
	s_waitcnt vmcnt(0)
	v_fmac_f64_e32 v[120:121], v[124:125], v[126:127]
	buffer_load_dword v125, off, s[0:3], 0 offset:460
	buffer_load_dword v124, off, s[0:3], 0 offset:456
	ds_read_b64 v[126:127], v122 offset:920
	s_waitcnt vmcnt(0) lgkmcnt(0)
	v_fmac_f64_e32 v[120:121], v[124:125], v[126:127]
	v_add_f64 v[118:119], v[118:119], -v[120:121]
	buffer_store_dword v119, off, s[0:3], 0 offset:20
	buffer_store_dword v118, off, s[0:3], 0 offset:16
	s_and_saveexec_b64 s[4:5], vcc
	s_cbranch_execz .LBB121_353
; %bb.352:
	buffer_load_dword v118, off, s[0:3], 0 offset:8
	buffer_load_dword v119, off, s[0:3], 0 offset:12
	s_waitcnt vmcnt(0)
	ds_write_b64 v1, v[118:119]
	buffer_store_dword v122, off, s[0:3], 0 offset:8
	buffer_store_dword v122, off, s[0:3], 0 offset:12
.LBB121_353:
	s_or_b64 exec, exec, s[4:5]
	s_waitcnt lgkmcnt(0)
	; wave barrier
	s_waitcnt lgkmcnt(0)
	buffer_load_dword v118, off, s[0:3], 0 offset:8
	buffer_load_dword v119, off, s[0:3], 0 offset:12
	;; [unrolled: 1-line block ×16, first 2 shown]
	ds_read_b128 v[124:127], v122 offset:480
	v_cmp_ne_u32_e32 vcc, 0, v0
	s_waitcnt vmcnt(12) lgkmcnt(0)
	v_fma_f64 v[120:121], v[120:121], v[124:125], 0
	s_waitcnt vmcnt(10)
	v_fmac_f64_e32 v[120:121], v[128:129], v[126:127]
	ds_read_b128 v[124:127], v122 offset:496
	s_waitcnt vmcnt(8) lgkmcnt(0)
	v_fmac_f64_e32 v[120:121], v[130:131], v[124:125]
	s_waitcnt vmcnt(6)
	v_fmac_f64_e32 v[120:121], v[132:133], v[126:127]
	ds_read_b128 v[124:127], v122 offset:512
	s_waitcnt vmcnt(4) lgkmcnt(0)
	v_fmac_f64_e32 v[120:121], v[134:135], v[124:125]
	s_waitcnt vmcnt(2)
	v_fmac_f64_e32 v[120:121], v[136:137], v[126:127]
	ds_read_b128 v[124:127], v122 offset:528
	s_waitcnt vmcnt(0) lgkmcnt(0)
	v_fmac_f64_e32 v[120:121], v[138:139], v[124:125]
	buffer_load_dword v125, off, s[0:3], 0 offset:76
	buffer_load_dword v124, off, s[0:3], 0 offset:72
	buffer_load_dword v129, off, s[0:3], 0 offset:84
	buffer_load_dword v128, off, s[0:3], 0 offset:80
	s_waitcnt vmcnt(2)
	v_fmac_f64_e32 v[120:121], v[124:125], v[126:127]
	ds_read_b128 v[124:127], v122 offset:544
	s_waitcnt vmcnt(0) lgkmcnt(0)
	v_fmac_f64_e32 v[120:121], v[128:129], v[124:125]
	buffer_load_dword v125, off, s[0:3], 0 offset:92
	buffer_load_dword v124, off, s[0:3], 0 offset:88
	buffer_load_dword v129, off, s[0:3], 0 offset:100
	buffer_load_dword v128, off, s[0:3], 0 offset:96
	s_waitcnt vmcnt(2)
	v_fmac_f64_e32 v[120:121], v[124:125], v[126:127]
	ds_read_b128 v[124:127], v122 offset:560
	s_waitcnt vmcnt(0) lgkmcnt(0)
	v_fmac_f64_e32 v[120:121], v[128:129], v[124:125]
	;; [unrolled: 9-line block ×23, first 2 shown]
	buffer_load_dword v125, off, s[0:3], 0 offset:444
	buffer_load_dword v124, off, s[0:3], 0 offset:440
	s_waitcnt vmcnt(0)
	v_fmac_f64_e32 v[120:121], v[124:125], v[126:127]
	buffer_load_dword v127, off, s[0:3], 0 offset:452
	buffer_load_dword v126, off, s[0:3], 0 offset:448
	ds_read_b128 v[122:125], v122 offset:912
	s_waitcnt vmcnt(0) lgkmcnt(0)
	v_fmac_f64_e32 v[120:121], v[126:127], v[122:123]
	buffer_load_dword v123, off, s[0:3], 0 offset:460
	buffer_load_dword v122, off, s[0:3], 0 offset:456
	s_waitcnt vmcnt(0)
	v_fmac_f64_e32 v[120:121], v[122:123], v[124:125]
	v_add_f64 v[118:119], v[118:119], -v[120:121]
	buffer_store_dword v119, off, s[0:3], 0 offset:12
	buffer_store_dword v118, off, s[0:3], 0 offset:8
	s_and_saveexec_b64 s[4:5], vcc
	s_cbranch_execz .LBB121_355
; %bb.354:
	buffer_load_dword v118, off, s[0:3], 0
	buffer_load_dword v119, off, s[0:3], 0 offset:4
	v_mov_b32_e32 v0, 0
	buffer_store_dword v0, off, s[0:3], 0
	buffer_store_dword v0, off, s[0:3], 0 offset:4
	s_waitcnt vmcnt(2)
	ds_write_b64 v1, v[118:119]
.LBB121_355:
	s_or_b64 exec, exec, s[4:5]
	s_waitcnt lgkmcnt(0)
	; wave barrier
	s_waitcnt lgkmcnt(0)
	buffer_load_dword v0, off, s[0:3], 0
	buffer_load_dword v1, off, s[0:3], 0 offset:4
	buffer_load_dword v124, off, s[0:3], 0 offset:8
	buffer_load_dword v125, off, s[0:3], 0 offset:12
	buffer_load_dword v126, off, s[0:3], 0 offset:16
	buffer_load_dword v127, off, s[0:3], 0 offset:20
	buffer_load_dword v128, off, s[0:3], 0 offset:24
	buffer_load_dword v129, off, s[0:3], 0 offset:28
	buffer_load_dword v130, off, s[0:3], 0 offset:32
	buffer_load_dword v131, off, s[0:3], 0 offset:36
	buffer_load_dword v132, off, s[0:3], 0 offset:40
	buffer_load_dword v133, off, s[0:3], 0 offset:44
	buffer_load_dword v134, off, s[0:3], 0 offset:48
	buffer_load_dword v135, off, s[0:3], 0 offset:52
	buffer_load_dword v136, off, s[0:3], 0 offset:56
	buffer_load_dword v137, off, s[0:3], 0 offset:60
	v_mov_b32_e32 v122, 0
	ds_read2_b64 v[118:121], v122 offset0:59 offset1:60
	s_and_b64 vcc, exec, s[16:17]
	s_waitcnt vmcnt(12) lgkmcnt(0)
	v_fma_f64 v[118:119], v[124:125], v[118:119], 0
	s_waitcnt vmcnt(10)
	v_fmac_f64_e32 v[118:119], v[126:127], v[120:121]
	ds_read2_b64 v[124:127], v122 offset0:61 offset1:62
	s_waitcnt vmcnt(8) lgkmcnt(0)
	v_fmac_f64_e32 v[118:119], v[128:129], v[124:125]
	s_waitcnt vmcnt(6)
	v_fmac_f64_e32 v[118:119], v[130:131], v[126:127]
	ds_read2_b64 v[124:127], v122 offset0:63 offset1:64
	s_waitcnt vmcnt(4) lgkmcnt(0)
	v_fmac_f64_e32 v[118:119], v[132:133], v[124:125]
	s_waitcnt vmcnt(2)
	v_fmac_f64_e32 v[118:119], v[134:135], v[126:127]
	ds_read2_b64 v[124:127], v122 offset0:65 offset1:66
	buffer_load_dword v121, off, s[0:3], 0 offset:68
	buffer_load_dword v120, off, s[0:3], 0 offset:64
	s_waitcnt vmcnt(2) lgkmcnt(0)
	v_fmac_f64_e32 v[118:119], v[136:137], v[124:125]
	s_waitcnt vmcnt(0)
	v_fmac_f64_e32 v[118:119], v[120:121], v[126:127]
	buffer_load_dword v121, off, s[0:3], 0 offset:76
	buffer_load_dword v120, off, s[0:3], 0 offset:72
	ds_read2_b64 v[124:127], v122 offset0:67 offset1:68
	s_waitcnt vmcnt(0) lgkmcnt(0)
	v_fmac_f64_e32 v[118:119], v[120:121], v[124:125]
	buffer_load_dword v121, off, s[0:3], 0 offset:84
	buffer_load_dword v120, off, s[0:3], 0 offset:80
	s_waitcnt vmcnt(0)
	v_fmac_f64_e32 v[118:119], v[120:121], v[126:127]
	buffer_load_dword v121, off, s[0:3], 0 offset:92
	buffer_load_dword v120, off, s[0:3], 0 offset:88
	ds_read2_b64 v[124:127], v122 offset0:69 offset1:70
	s_waitcnt vmcnt(0) lgkmcnt(0)
	v_fmac_f64_e32 v[118:119], v[120:121], v[124:125]
	buffer_load_dword v121, off, s[0:3], 0 offset:100
	buffer_load_dword v120, off, s[0:3], 0 offset:96
	;; [unrolled: 9-line block ×24, first 2 shown]
	buffer_load_dword v125, off, s[0:3], 0 offset:460
	buffer_load_dword v124, off, s[0:3], 0 offset:456
	ds_read_b64 v[122:123], v122 offset:920
	s_waitcnt vmcnt(2)
	v_fmac_f64_e32 v[118:119], v[120:121], v[126:127]
	s_waitcnt vmcnt(0) lgkmcnt(0)
	v_fmac_f64_e32 v[118:119], v[124:125], v[122:123]
	v_add_f64 v[0:1], v[0:1], -v[118:119]
	buffer_store_dword v1, off, s[0:3], 0 offset:4
	buffer_store_dword v0, off, s[0:3], 0
	s_cbranch_vccz .LBB121_471
; %bb.356:
	v_pk_mov_b32 v[0:1], s[10:11], s[10:11] op_sel:[0,1]
	flat_load_dword v0, v[0:1] offset:224
	s_waitcnt vmcnt(0) lgkmcnt(0)
	v_add_u32_e32 v0, -1, v0
	v_cmp_ne_u32_e32 vcc, 56, v0
	s_and_saveexec_b64 s[4:5], vcc
	s_cbranch_execz .LBB121_358
; %bb.357:
	v_mov_b32_e32 v1, 0
	v_lshl_add_u32 v0, v0, 3, v1
	buffer_load_dword v1, v0, s[0:3], 0 offen offset:4
	buffer_load_dword v118, v0, s[0:3], 0 offen
	s_waitcnt vmcnt(1)
	buffer_store_dword v1, off, s[0:3], 0 offset:452
	s_waitcnt vmcnt(1)
	buffer_store_dword v118, off, s[0:3], 0 offset:448
	buffer_store_dword v121, v0, s[0:3], 0 offen offset:4
	buffer_store_dword v120, v0, s[0:3], 0 offen
.LBB121_358:
	s_or_b64 exec, exec, s[4:5]
	v_pk_mov_b32 v[0:1], s[10:11], s[10:11] op_sel:[0,1]
	flat_load_dword v0, v[0:1] offset:220
	s_waitcnt vmcnt(0) lgkmcnt(0)
	v_add_u32_e32 v0, -1, v0
	v_cmp_ne_u32_e32 vcc, 55, v0
	s_and_saveexec_b64 s[4:5], vcc
	s_cbranch_execz .LBB121_360
; %bb.359:
	v_mov_b32_e32 v1, 0
	v_lshl_add_u32 v0, v0, 3, v1
	buffer_load_dword v1, v0, s[0:3], 0 offen
	buffer_load_dword v118, v0, s[0:3], 0 offen offset:4
	buffer_load_dword v119, off, s[0:3], 0 offset:440
	buffer_load_dword v120, off, s[0:3], 0 offset:444
	s_waitcnt vmcnt(3)
	buffer_store_dword v1, off, s[0:3], 0 offset:440
	s_waitcnt vmcnt(3)
	buffer_store_dword v118, off, s[0:3], 0 offset:444
	s_waitcnt vmcnt(3)
	buffer_store_dword v119, v0, s[0:3], 0 offen
	s_waitcnt vmcnt(3)
	buffer_store_dword v120, v0, s[0:3], 0 offen offset:4
.LBB121_360:
	s_or_b64 exec, exec, s[4:5]
	v_pk_mov_b32 v[0:1], s[10:11], s[10:11] op_sel:[0,1]
	flat_load_dword v0, v[0:1] offset:216
	s_waitcnt vmcnt(0) lgkmcnt(0)
	v_add_u32_e32 v0, -1, v0
	v_cmp_ne_u32_e32 vcc, 54, v0
	s_and_saveexec_b64 s[4:5], vcc
	s_cbranch_execz .LBB121_362
; %bb.361:
	v_mov_b32_e32 v1, 0
	v_lshl_add_u32 v0, v0, 3, v1
	buffer_load_dword v1, v0, s[0:3], 0 offen
	buffer_load_dword v118, v0, s[0:3], 0 offen offset:4
	buffer_load_dword v119, off, s[0:3], 0 offset:436
	buffer_load_dword v120, off, s[0:3], 0 offset:432
	s_waitcnt vmcnt(3)
	buffer_store_dword v1, off, s[0:3], 0 offset:432
	s_waitcnt vmcnt(3)
	buffer_store_dword v118, off, s[0:3], 0 offset:436
	s_waitcnt vmcnt(3)
	buffer_store_dword v119, v0, s[0:3], 0 offen offset:4
	s_waitcnt vmcnt(3)
	buffer_store_dword v120, v0, s[0:3], 0 offen
.LBB121_362:
	s_or_b64 exec, exec, s[4:5]
	v_pk_mov_b32 v[0:1], s[10:11], s[10:11] op_sel:[0,1]
	flat_load_dword v0, v[0:1] offset:212
	s_waitcnt vmcnt(0) lgkmcnt(0)
	v_add_u32_e32 v0, -1, v0
	v_cmp_ne_u32_e32 vcc, 53, v0
	s_and_saveexec_b64 s[4:5], vcc
	s_cbranch_execz .LBB121_364
; %bb.363:
	v_mov_b32_e32 v1, 0
	v_lshl_add_u32 v0, v0, 3, v1
	buffer_load_dword v1, v0, s[0:3], 0 offen
	buffer_load_dword v118, v0, s[0:3], 0 offen offset:4
	buffer_load_dword v119, off, s[0:3], 0 offset:424
	buffer_load_dword v120, off, s[0:3], 0 offset:428
	s_waitcnt vmcnt(3)
	buffer_store_dword v1, off, s[0:3], 0 offset:424
	s_waitcnt vmcnt(3)
	buffer_store_dword v118, off, s[0:3], 0 offset:428
	s_waitcnt vmcnt(3)
	buffer_store_dword v119, v0, s[0:3], 0 offen
	s_waitcnt vmcnt(3)
	buffer_store_dword v120, v0, s[0:3], 0 offen offset:4
.LBB121_364:
	s_or_b64 exec, exec, s[4:5]
	v_pk_mov_b32 v[0:1], s[10:11], s[10:11] op_sel:[0,1]
	flat_load_dword v0, v[0:1] offset:208
	s_waitcnt vmcnt(0) lgkmcnt(0)
	v_add_u32_e32 v0, -1, v0
	v_cmp_ne_u32_e32 vcc, 52, v0
	s_and_saveexec_b64 s[4:5], vcc
	s_cbranch_execz .LBB121_366
; %bb.365:
	v_mov_b32_e32 v1, 0
	v_lshl_add_u32 v0, v0, 3, v1
	buffer_load_dword v1, v0, s[0:3], 0 offen
	buffer_load_dword v118, v0, s[0:3], 0 offen offset:4
	buffer_load_dword v119, off, s[0:3], 0 offset:420
	buffer_load_dword v120, off, s[0:3], 0 offset:416
	s_waitcnt vmcnt(3)
	buffer_store_dword v1, off, s[0:3], 0 offset:416
	s_waitcnt vmcnt(3)
	buffer_store_dword v118, off, s[0:3], 0 offset:420
	s_waitcnt vmcnt(3)
	buffer_store_dword v119, v0, s[0:3], 0 offen offset:4
	s_waitcnt vmcnt(3)
	buffer_store_dword v120, v0, s[0:3], 0 offen
.LBB121_366:
	;; [unrolled: 48-line block ×27, first 2 shown]
	s_or_b64 exec, exec, s[4:5]
	v_pk_mov_b32 v[0:1], s[10:11], s[10:11] op_sel:[0,1]
	flat_load_dword v0, v[0:1] offset:4
	s_waitcnt vmcnt(0) lgkmcnt(0)
	v_add_u32_e32 v0, -1, v0
	v_cmp_ne_u32_e32 vcc, 1, v0
	s_and_saveexec_b64 s[4:5], vcc
	s_cbranch_execz .LBB121_468
; %bb.467:
	v_mov_b32_e32 v1, 0
	v_lshl_add_u32 v0, v0, 3, v1
	buffer_load_dword v1, v0, s[0:3], 0 offen
	buffer_load_dword v118, v0, s[0:3], 0 offen offset:4
	buffer_load_dword v119, off, s[0:3], 0 offset:8
	buffer_load_dword v120, off, s[0:3], 0 offset:12
	s_waitcnt vmcnt(3)
	buffer_store_dword v1, off, s[0:3], 0 offset:8
	s_waitcnt vmcnt(3)
	buffer_store_dword v118, off, s[0:3], 0 offset:12
	s_waitcnt vmcnt(3)
	buffer_store_dword v119, v0, s[0:3], 0 offen
	s_waitcnt vmcnt(3)
	buffer_store_dword v120, v0, s[0:3], 0 offen offset:4
.LBB121_468:
	s_or_b64 exec, exec, s[4:5]
	v_pk_mov_b32 v[0:1], s[10:11], s[10:11] op_sel:[0,1]
	flat_load_dword v118, v[0:1]
	s_nop 0
	buffer_load_dword v0, off, s[0:3], 0
	buffer_load_dword v1, off, s[0:3], 0 offset:4
	s_waitcnt vmcnt(0) lgkmcnt(0)
	v_add_u32_e32 v118, -1, v118
	v_cmp_ne_u32_e32 vcc, 0, v118
	s_and_saveexec_b64 s[4:5], vcc
	s_cbranch_execz .LBB121_470
; %bb.469:
	v_mov_b32_e32 v119, 0
	v_lshl_add_u32 v118, v118, 3, v119
	buffer_load_dword v119, v118, s[0:3], 0 offen offset:4
	buffer_load_dword v120, v118, s[0:3], 0 offen
	s_waitcnt vmcnt(1)
	buffer_store_dword v119, off, s[0:3], 0 offset:4
	s_waitcnt vmcnt(1)
	buffer_store_dword v120, off, s[0:3], 0
	buffer_store_dword v1, v118, s[0:3], 0 offen offset:4
	buffer_store_dword v0, v118, s[0:3], 0 offen
	buffer_load_dword v0, off, s[0:3], 0
	s_nop 0
	buffer_load_dword v1, off, s[0:3], 0 offset:4
.LBB121_470:
	s_or_b64 exec, exec, s[4:5]
.LBB121_471:
	s_waitcnt vmcnt(0)
	global_store_dwordx2 v[116:117], v[0:1], off
	buffer_load_dword v0, off, s[0:3], 0 offset:8
	s_nop 0
	buffer_load_dword v1, off, s[0:3], 0 offset:12
	buffer_load_dword v116, off, s[0:3], 0 offset:16
	;; [unrolled: 1-line block ×15, first 2 shown]
	s_waitcnt vmcnt(14)
	global_store_dwordx2 v[114:115], v[0:1], off
	s_waitcnt vmcnt(13)
	global_store_dwordx2 v[2:3], v[116:117], off
	;; [unrolled: 2-line block ×8, first 2 shown]
	buffer_load_dword v0, off, s[0:3], 0 offset:72
	buffer_load_dword v1, off, s[0:3], 0 offset:76
	s_waitcnt vmcnt(0)
	global_store_dwordx2 v[14:15], v[0:1], off
	buffer_load_dword v0, off, s[0:3], 0 offset:80
	s_nop 0
	buffer_load_dword v1, off, s[0:3], 0 offset:84
	s_waitcnt vmcnt(0)
	global_store_dwordx2 v[16:17], v[0:1], off
	buffer_load_dword v0, off, s[0:3], 0 offset:88
	s_nop 0
	buffer_load_dword v1, off, s[0:3], 0 offset:92
	s_waitcnt vmcnt(0)
	global_store_dwordx2 v[20:21], v[0:1], off
	buffer_load_dword v0, off, s[0:3], 0 offset:96
	s_nop 0
	buffer_load_dword v1, off, s[0:3], 0 offset:100
	s_waitcnt vmcnt(0)
	global_store_dwordx2 v[22:23], v[0:1], off
	buffer_load_dword v0, off, s[0:3], 0 offset:104
	s_nop 0
	buffer_load_dword v1, off, s[0:3], 0 offset:108
	s_waitcnt vmcnt(0)
	global_store_dwordx2 v[24:25], v[0:1], off
	buffer_load_dword v0, off, s[0:3], 0 offset:112
	s_nop 0
	buffer_load_dword v1, off, s[0:3], 0 offset:116
	s_waitcnt vmcnt(0)
	global_store_dwordx2 v[26:27], v[0:1], off
	buffer_load_dword v0, off, s[0:3], 0 offset:120
	s_nop 0
	buffer_load_dword v1, off, s[0:3], 0 offset:124
	s_waitcnt vmcnt(0)
	global_store_dwordx2 v[28:29], v[0:1], off
	buffer_load_dword v0, off, s[0:3], 0 offset:128
	s_nop 0
	buffer_load_dword v1, off, s[0:3], 0 offset:132
	s_waitcnt vmcnt(0)
	global_store_dwordx2 v[30:31], v[0:1], off
	buffer_load_dword v0, off, s[0:3], 0 offset:136
	s_nop 0
	buffer_load_dword v1, off, s[0:3], 0 offset:140
	s_waitcnt vmcnt(0)
	global_store_dwordx2 v[32:33], v[0:1], off
	buffer_load_dword v0, off, s[0:3], 0 offset:144
	s_nop 0
	buffer_load_dword v1, off, s[0:3], 0 offset:148
	s_waitcnt vmcnt(0)
	global_store_dwordx2 v[34:35], v[0:1], off
	buffer_load_dword v0, off, s[0:3], 0 offset:152
	s_nop 0
	buffer_load_dword v1, off, s[0:3], 0 offset:156
	s_waitcnt vmcnt(0)
	global_store_dwordx2 v[36:37], v[0:1], off
	buffer_load_dword v0, off, s[0:3], 0 offset:160
	s_nop 0
	buffer_load_dword v1, off, s[0:3], 0 offset:164
	s_waitcnt vmcnt(0)
	global_store_dwordx2 v[38:39], v[0:1], off
	buffer_load_dword v0, off, s[0:3], 0 offset:168
	s_nop 0
	buffer_load_dword v1, off, s[0:3], 0 offset:172
	s_waitcnt vmcnt(0)
	global_store_dwordx2 v[40:41], v[0:1], off
	buffer_load_dword v0, off, s[0:3], 0 offset:176
	s_nop 0
	buffer_load_dword v1, off, s[0:3], 0 offset:180
	s_waitcnt vmcnt(0)
	global_store_dwordx2 v[42:43], v[0:1], off
	buffer_load_dword v0, off, s[0:3], 0 offset:184
	s_nop 0
	buffer_load_dword v1, off, s[0:3], 0 offset:188
	s_waitcnt vmcnt(0)
	global_store_dwordx2 v[44:45], v[0:1], off
	buffer_load_dword v0, off, s[0:3], 0 offset:192
	s_nop 0
	buffer_load_dword v1, off, s[0:3], 0 offset:196
	s_waitcnt vmcnt(0)
	global_store_dwordx2 v[46:47], v[0:1], off
	buffer_load_dword v0, off, s[0:3], 0 offset:200
	s_nop 0
	buffer_load_dword v1, off, s[0:3], 0 offset:204
	s_waitcnt vmcnt(0)
	global_store_dwordx2 v[48:49], v[0:1], off
	buffer_load_dword v0, off, s[0:3], 0 offset:208
	s_nop 0
	buffer_load_dword v1, off, s[0:3], 0 offset:212
	s_waitcnt vmcnt(0)
	global_store_dwordx2 v[50:51], v[0:1], off
	buffer_load_dword v0, off, s[0:3], 0 offset:216
	s_nop 0
	buffer_load_dword v1, off, s[0:3], 0 offset:220
	s_waitcnt vmcnt(0)
	global_store_dwordx2 v[52:53], v[0:1], off
	buffer_load_dword v0, off, s[0:3], 0 offset:224
	s_nop 0
	buffer_load_dword v1, off, s[0:3], 0 offset:228
	s_waitcnt vmcnt(0)
	global_store_dwordx2 v[54:55], v[0:1], off
	buffer_load_dword v0, off, s[0:3], 0 offset:232
	s_nop 0
	buffer_load_dword v1, off, s[0:3], 0 offset:236
	s_waitcnt vmcnt(0)
	global_store_dwordx2 v[56:57], v[0:1], off
	buffer_load_dword v0, off, s[0:3], 0 offset:240
	s_nop 0
	buffer_load_dword v1, off, s[0:3], 0 offset:244
	s_waitcnt vmcnt(0)
	global_store_dwordx2 v[58:59], v[0:1], off
	buffer_load_dword v0, off, s[0:3], 0 offset:248
	s_nop 0
	buffer_load_dword v1, off, s[0:3], 0 offset:252
	s_waitcnt vmcnt(0)
	global_store_dwordx2 v[60:61], v[0:1], off
	buffer_load_dword v0, off, s[0:3], 0 offset:256
	s_nop 0
	buffer_load_dword v1, off, s[0:3], 0 offset:260
	s_waitcnt vmcnt(0)
	global_store_dwordx2 v[62:63], v[0:1], off
	buffer_load_dword v0, off, s[0:3], 0 offset:264
	s_nop 0
	buffer_load_dword v1, off, s[0:3], 0 offset:268
	s_waitcnt vmcnt(0)
	global_store_dwordx2 v[64:65], v[0:1], off
	buffer_load_dword v0, off, s[0:3], 0 offset:272
	s_nop 0
	buffer_load_dword v1, off, s[0:3], 0 offset:276
	s_waitcnt vmcnt(0)
	global_store_dwordx2 v[66:67], v[0:1], off
	buffer_load_dword v0, off, s[0:3], 0 offset:280
	s_nop 0
	buffer_load_dword v1, off, s[0:3], 0 offset:284
	s_waitcnt vmcnt(0)
	global_store_dwordx2 v[68:69], v[0:1], off
	buffer_load_dword v0, off, s[0:3], 0 offset:288
	s_nop 0
	buffer_load_dword v1, off, s[0:3], 0 offset:292
	s_waitcnt vmcnt(0)
	global_store_dwordx2 v[70:71], v[0:1], off
	buffer_load_dword v0, off, s[0:3], 0 offset:296
	s_nop 0
	buffer_load_dword v1, off, s[0:3], 0 offset:300
	s_waitcnt vmcnt(0)
	global_store_dwordx2 v[72:73], v[0:1], off
	buffer_load_dword v0, off, s[0:3], 0 offset:304
	s_nop 0
	buffer_load_dword v1, off, s[0:3], 0 offset:308
	s_waitcnt vmcnt(0)
	global_store_dwordx2 v[74:75], v[0:1], off
	buffer_load_dword v0, off, s[0:3], 0 offset:312
	s_nop 0
	buffer_load_dword v1, off, s[0:3], 0 offset:316
	s_waitcnt vmcnt(0)
	global_store_dwordx2 v[76:77], v[0:1], off
	buffer_load_dword v0, off, s[0:3], 0 offset:320
	s_nop 0
	buffer_load_dword v1, off, s[0:3], 0 offset:324
	s_waitcnt vmcnt(0)
	global_store_dwordx2 v[78:79], v[0:1], off
	buffer_load_dword v0, off, s[0:3], 0 offset:328
	s_nop 0
	buffer_load_dword v1, off, s[0:3], 0 offset:332
	s_waitcnt vmcnt(0)
	global_store_dwordx2 v[80:81], v[0:1], off
	buffer_load_dword v0, off, s[0:3], 0 offset:336
	s_nop 0
	buffer_load_dword v1, off, s[0:3], 0 offset:340
	s_waitcnt vmcnt(0)
	global_store_dwordx2 v[82:83], v[0:1], off
	buffer_load_dword v0, off, s[0:3], 0 offset:344
	s_nop 0
	buffer_load_dword v1, off, s[0:3], 0 offset:348
	s_waitcnt vmcnt(0)
	global_store_dwordx2 v[84:85], v[0:1], off
	buffer_load_dword v0, off, s[0:3], 0 offset:352
	s_nop 0
	buffer_load_dword v1, off, s[0:3], 0 offset:356
	s_waitcnt vmcnt(0)
	global_store_dwordx2 v[86:87], v[0:1], off
	buffer_load_dword v0, off, s[0:3], 0 offset:360
	s_nop 0
	buffer_load_dword v1, off, s[0:3], 0 offset:364
	s_waitcnt vmcnt(0)
	global_store_dwordx2 v[88:89], v[0:1], off
	buffer_load_dword v0, off, s[0:3], 0 offset:368
	s_nop 0
	buffer_load_dword v1, off, s[0:3], 0 offset:372
	s_waitcnt vmcnt(0)
	global_store_dwordx2 v[90:91], v[0:1], off
	buffer_load_dword v0, off, s[0:3], 0 offset:376
	s_nop 0
	buffer_load_dword v1, off, s[0:3], 0 offset:380
	s_waitcnt vmcnt(0)
	global_store_dwordx2 v[92:93], v[0:1], off
	buffer_load_dword v0, off, s[0:3], 0 offset:384
	s_nop 0
	buffer_load_dword v1, off, s[0:3], 0 offset:388
	s_waitcnt vmcnt(0)
	global_store_dwordx2 v[94:95], v[0:1], off
	buffer_load_dword v0, off, s[0:3], 0 offset:392
	s_nop 0
	buffer_load_dword v1, off, s[0:3], 0 offset:396
	s_waitcnt vmcnt(0)
	global_store_dwordx2 v[96:97], v[0:1], off
	buffer_load_dword v0, off, s[0:3], 0 offset:400
	s_nop 0
	buffer_load_dword v1, off, s[0:3], 0 offset:404
	s_waitcnt vmcnt(0)
	global_store_dwordx2 v[100:101], v[0:1], off
	buffer_load_dword v0, off, s[0:3], 0 offset:408
	s_nop 0
	buffer_load_dword v1, off, s[0:3], 0 offset:412
	s_waitcnt vmcnt(0)
	global_store_dwordx2 v[102:103], v[0:1], off
	buffer_load_dword v0, off, s[0:3], 0 offset:416
	s_nop 0
	buffer_load_dword v1, off, s[0:3], 0 offset:420
	s_waitcnt vmcnt(0)
	global_store_dwordx2 v[104:105], v[0:1], off
	buffer_load_dword v0, off, s[0:3], 0 offset:424
	s_nop 0
	buffer_load_dword v1, off, s[0:3], 0 offset:428
	s_waitcnt vmcnt(0)
	global_store_dwordx2 v[106:107], v[0:1], off
	buffer_load_dword v0, off, s[0:3], 0 offset:432
	s_nop 0
	buffer_load_dword v1, off, s[0:3], 0 offset:436
	s_waitcnt vmcnt(0)
	global_store_dwordx2 v[108:109], v[0:1], off
	buffer_load_dword v0, off, s[0:3], 0 offset:440
	s_nop 0
	buffer_load_dword v1, off, s[0:3], 0 offset:444
	s_waitcnt vmcnt(0)
	global_store_dwordx2 v[110:111], v[0:1], off
	buffer_load_dword v0, off, s[0:3], 0 offset:448
	s_nop 0
	buffer_load_dword v1, off, s[0:3], 0 offset:452
	s_waitcnt vmcnt(0)
	global_store_dwordx2 v[112:113], v[0:1], off
	buffer_load_dword v0, off, s[0:3], 0 offset:456
	s_nop 0
	buffer_load_dword v1, off, s[0:3], 0 offset:460
	s_waitcnt vmcnt(0)
	global_store_dwordx2 v[98:99], v[0:1], off
	s_endpgm
	.section	.rodata,"a",@progbits
	.p2align	6, 0x0
	.amdhsa_kernel _ZN9rocsolver6v33100L18getri_kernel_smallILi58EdPKPdEEvT1_iilPiilS6_bb
		.amdhsa_group_segment_fixed_size 936
		.amdhsa_private_segment_fixed_size 480
		.amdhsa_kernarg_size 60
		.amdhsa_user_sgpr_count 8
		.amdhsa_user_sgpr_private_segment_buffer 1
		.amdhsa_user_sgpr_dispatch_ptr 0
		.amdhsa_user_sgpr_queue_ptr 0
		.amdhsa_user_sgpr_kernarg_segment_ptr 1
		.amdhsa_user_sgpr_dispatch_id 0
		.amdhsa_user_sgpr_flat_scratch_init 1
		.amdhsa_user_sgpr_kernarg_preload_length 0
		.amdhsa_user_sgpr_kernarg_preload_offset 0
		.amdhsa_user_sgpr_private_segment_size 0
		.amdhsa_uses_dynamic_stack 0
		.amdhsa_system_sgpr_private_segment_wavefront_offset 1
		.amdhsa_system_sgpr_workgroup_id_x 1
		.amdhsa_system_sgpr_workgroup_id_y 0
		.amdhsa_system_sgpr_workgroup_id_z 0
		.amdhsa_system_sgpr_workgroup_info 0
		.amdhsa_system_vgpr_workitem_id 0
		.amdhsa_next_free_vgpr 166
		.amdhsa_next_free_sgpr 22
		.amdhsa_accum_offset 168
		.amdhsa_reserve_vcc 1
		.amdhsa_reserve_flat_scratch 1
		.amdhsa_float_round_mode_32 0
		.amdhsa_float_round_mode_16_64 0
		.amdhsa_float_denorm_mode_32 3
		.amdhsa_float_denorm_mode_16_64 3
		.amdhsa_dx10_clamp 1
		.amdhsa_ieee_mode 1
		.amdhsa_fp16_overflow 0
		.amdhsa_tg_split 0
		.amdhsa_exception_fp_ieee_invalid_op 0
		.amdhsa_exception_fp_denorm_src 0
		.amdhsa_exception_fp_ieee_div_zero 0
		.amdhsa_exception_fp_ieee_overflow 0
		.amdhsa_exception_fp_ieee_underflow 0
		.amdhsa_exception_fp_ieee_inexact 0
		.amdhsa_exception_int_div_zero 0
	.end_amdhsa_kernel
	.section	.text._ZN9rocsolver6v33100L18getri_kernel_smallILi58EdPKPdEEvT1_iilPiilS6_bb,"axG",@progbits,_ZN9rocsolver6v33100L18getri_kernel_smallILi58EdPKPdEEvT1_iilPiilS6_bb,comdat
.Lfunc_end121:
	.size	_ZN9rocsolver6v33100L18getri_kernel_smallILi58EdPKPdEEvT1_iilPiilS6_bb, .Lfunc_end121-_ZN9rocsolver6v33100L18getri_kernel_smallILi58EdPKPdEEvT1_iilPiilS6_bb
                                        ; -- End function
	.section	.AMDGPU.csdata,"",@progbits
; Kernel info:
; codeLenInByte = 76712
; NumSgprs: 28
; NumVgprs: 166
; NumAgprs: 0
; TotalNumVgprs: 166
; ScratchSize: 480
; MemoryBound: 1
; FloatMode: 240
; IeeeMode: 1
; LDSByteSize: 936 bytes/workgroup (compile time only)
; SGPRBlocks: 3
; VGPRBlocks: 20
; NumSGPRsForWavesPerEU: 28
; NumVGPRsForWavesPerEU: 166
; AccumOffset: 168
; Occupancy: 3
; WaveLimiterHint : 1
; COMPUTE_PGM_RSRC2:SCRATCH_EN: 1
; COMPUTE_PGM_RSRC2:USER_SGPR: 8
; COMPUTE_PGM_RSRC2:TRAP_HANDLER: 0
; COMPUTE_PGM_RSRC2:TGID_X_EN: 1
; COMPUTE_PGM_RSRC2:TGID_Y_EN: 0
; COMPUTE_PGM_RSRC2:TGID_Z_EN: 0
; COMPUTE_PGM_RSRC2:TIDIG_COMP_CNT: 0
; COMPUTE_PGM_RSRC3_GFX90A:ACCUM_OFFSET: 41
; COMPUTE_PGM_RSRC3_GFX90A:TG_SPLIT: 0
	.section	.text._ZN9rocsolver6v33100L18getri_kernel_smallILi59EdPKPdEEvT1_iilPiilS6_bb,"axG",@progbits,_ZN9rocsolver6v33100L18getri_kernel_smallILi59EdPKPdEEvT1_iilPiilS6_bb,comdat
	.globl	_ZN9rocsolver6v33100L18getri_kernel_smallILi59EdPKPdEEvT1_iilPiilS6_bb ; -- Begin function _ZN9rocsolver6v33100L18getri_kernel_smallILi59EdPKPdEEvT1_iilPiilS6_bb
	.p2align	8
	.type	_ZN9rocsolver6v33100L18getri_kernel_smallILi59EdPKPdEEvT1_iilPiilS6_bb,@function
_ZN9rocsolver6v33100L18getri_kernel_smallILi59EdPKPdEEvT1_iilPiilS6_bb: ; @_ZN9rocsolver6v33100L18getri_kernel_smallILi59EdPKPdEEvT1_iilPiilS6_bb
; %bb.0:
	s_add_u32 flat_scratch_lo, s6, s9
	s_addc_u32 flat_scratch_hi, s7, 0
	s_add_u32 s0, s0, s9
	s_addc_u32 s1, s1, 0
	v_cmp_gt_u32_e32 vcc, 59, v0
	s_and_saveexec_b64 s[6:7], vcc
	s_cbranch_execz .LBB122_244
; %bb.1:
	s_load_dword s20, s[4:5], 0x38
	s_load_dwordx2 s[6:7], s[4:5], 0x0
	s_load_dwordx4 s[12:15], s[4:5], 0x28
	s_waitcnt lgkmcnt(0)
	s_bitcmp1_b32 s20, 8
	s_cselect_b64 s[16:17], -1, 0
	s_ashr_i32 s9, s8, 31
	s_lshl_b64 s[10:11], s[8:9], 3
	s_add_u32 s6, s6, s10
	s_addc_u32 s7, s7, s11
	s_load_dwordx2 s[18:19], s[6:7], 0x0
	s_bfe_u32 s6, s20, 0x10008
	s_cmp_eq_u32 s6, 0
                                        ; implicit-def: $sgpr10_sgpr11
	s_cbranch_scc1 .LBB122_3
; %bb.2:
	s_load_dword s6, s[4:5], 0x20
	s_load_dwordx2 s[10:11], s[4:5], 0x18
	s_mul_i32 s7, s8, s13
	s_mul_hi_u32 s13, s8, s12
	s_add_i32 s13, s13, s7
	s_mul_i32 s21, s9, s12
	s_add_i32 s13, s13, s21
	s_mul_i32 s12, s8, s12
	s_waitcnt lgkmcnt(0)
	s_ashr_i32 s7, s6, 31
	s_lshl_b64 s[12:13], s[12:13], 2
	s_add_u32 s10, s10, s12
	s_addc_u32 s11, s11, s13
	s_lshl_b64 s[6:7], s[6:7], 2
	s_add_u32 s10, s10, s6
	s_addc_u32 s11, s11, s7
.LBB122_3:
	s_load_dwordx2 s[6:7], s[4:5], 0x8
	v_lshlrev_b32_e32 v1, 3, v0
	s_waitcnt lgkmcnt(0)
	s_ashr_i32 s5, s6, 31
	s_mov_b32 s4, s6
	s_lshl_b64 s[4:5], s[4:5], 3
	s_add_u32 s4, s18, s4
	s_addc_u32 s5, s19, s5
	v_mov_b32_e32 v2, s5
	v_add_co_u32_e32 v4, vcc, s4, v1
	s_ashr_i32 s13, s7, 31
	s_mov_b32 s12, s7
	s_add_i32 s6, s7, s7
	v_addc_co_u32_e32 v5, vcc, 0, v2, vcc
	s_lshl_b64 s[12:13], s[12:13], 3
	v_add_u32_e32 v8, s6, v0
	v_mov_b32_e32 v3, s13
	v_add_co_u32_e32 v2, vcc, s12, v4
	v_ashrrev_i32_e32 v9, 31, v8
	v_addc_co_u32_e32 v3, vcc, v5, v3, vcc
	v_lshlrev_b64 v[6:7], 3, v[8:9]
	v_add_u32_e32 v10, s7, v8
	v_mov_b32_e32 v9, s5
	v_add_co_u32_e32 v6, vcc, s4, v6
	v_ashrrev_i32_e32 v11, 31, v10
	v_addc_co_u32_e32 v7, vcc, v9, v7, vcc
	v_lshlrev_b64 v[8:9], 3, v[10:11]
	;; [unrolled: 6-line block ×6, first 2 shown]
	v_mov_b32_e32 v19, s5
	v_add_co_u32_e32 v16, vcc, s4, v16
	v_add_u32_e32 v18, s7, v18
	v_addc_co_u32_e32 v17, vcc, v19, v17, vcc
	v_ashrrev_i32_e32 v19, 31, v18
	v_lshlrev_b64 v[20:21], 3, v[18:19]
	v_add_u32_e32 v22, s7, v18
	v_mov_b32_e32 v19, s5
	v_add_co_u32_e32 v20, vcc, s4, v20
	v_ashrrev_i32_e32 v23, 31, v22
	v_addc_co_u32_e32 v21, vcc, v19, v21, vcc
	v_lshlrev_b64 v[18:19], 3, v[22:23]
	v_add_u32_e32 v24, s7, v22
	v_mov_b32_e32 v23, s5
	v_add_co_u32_e32 v18, vcc, s4, v18
	v_ashrrev_i32_e32 v25, 31, v24
	v_addc_co_u32_e32 v19, vcc, v23, v19, vcc
	;; [unrolled: 6-line block ×4, first 2 shown]
	v_lshlrev_b64 v[26:27], 3, v[28:29]
	v_mov_b32_e32 v29, s5
	v_add_co_u32_e32 v26, vcc, s4, v26
	global_load_dwordx2 v[32:33], v1, s[4:5]
	global_load_dwordx2 v[40:41], v[2:3], off
	global_load_dwordx2 v[38:39], v[6:7], off
	;; [unrolled: 1-line block ×8, first 2 shown]
	v_addc_co_u32_e32 v27, vcc, v29, v27, vcc
	global_load_dwordx2 v[58:59], v[18:19], off
	global_load_dwordx2 v[56:57], v[22:23], off
	;; [unrolled: 1-line block ×4, first 2 shown]
	v_add_u32_e32 v30, s7, v28
	v_ashrrev_i32_e32 v31, 31, v30
	v_lshlrev_b64 v[28:29], 3, v[30:31]
	v_mov_b32_e32 v31, s5
	v_add_co_u32_e32 v28, vcc, s4, v28
	v_addc_co_u32_e32 v29, vcc, v31, v29, vcc
	global_load_dwordx2 v[50:51], v[28:29], off
	v_add_u32_e32 v60, s7, v30
	v_add_u32_e32 v62, s7, v60
	;; [unrolled: 1-line block ×45, first 2 shown]
	v_ashrrev_i32_e32 v31, 31, v30
	v_lshlrev_b64 v[30:31], 3, v[30:31]
	v_mov_b32_e32 v61, s5
	v_add_co_u32_e32 v30, vcc, s4, v30
	v_addc_co_u32_e32 v31, vcc, v61, v31, vcc
	global_load_dwordx2 v[120:121], v[30:31], off
	v_ashrrev_i32_e32 v61, 31, v60
	s_waitcnt vmcnt(14)
	buffer_store_dword v33, off, s[0:3], 0 offset:4
	buffer_store_dword v32, off, s[0:3], 0
	s_waitcnt vmcnt(15)
	buffer_store_dword v41, off, s[0:3], 0 offset:12
	buffer_store_dword v40, off, s[0:3], 0 offset:8
	s_waitcnt vmcnt(16)
	buffer_store_dword v39, off, s[0:3], 0 offset:20
	buffer_store_dword v38, off, s[0:3], 0 offset:16
	;; [unrolled: 3-line block ×12, first 2 shown]
	v_lshlrev_b64 v[32:33], 3, v[60:61]
	v_mov_b32_e32 v34, s5
	v_add_co_u32_e32 v44, vcc, s4, v32
	v_ashrrev_i32_e32 v63, 31, v62
	v_addc_co_u32_e32 v45, vcc, v34, v33, vcc
	v_lshlrev_b64 v[32:33], 3, v[62:63]
	v_mov_b32_e32 v35, s5
	v_add_co_u32_e32 v34, vcc, s4, v32
	v_ashrrev_i32_e32 v65, 31, v64
	v_addc_co_u32_e32 v35, vcc, v35, v33, vcc
	;; [unrolled: 5-line block ×4, first 2 shown]
	v_lshlrev_b64 v[36:37], 3, v[68:69]
	v_add_co_u32_e32 v56, vcc, s4, v36
	v_ashrrev_i32_e32 v71, 31, v70
	v_addc_co_u32_e32 v57, vcc, v38, v37, vcc
	v_lshlrev_b64 v[36:37], 3, v[70:71]
	v_add_co_u32_e32 v46, vcc, s4, v36
	v_ashrrev_i32_e32 v73, 31, v72
	v_addc_co_u32_e32 v47, vcc, v38, v37, vcc
	;; [unrolled: 4-line block ×3, first 2 shown]
	v_lshlrev_b64 v[38:39], 3, v[74:75]
	v_mov_b32_e32 v40, s5
	v_add_co_u32_e32 v68, vcc, s4, v38
	v_ashrrev_i32_e32 v77, 31, v76
	v_addc_co_u32_e32 v69, vcc, v40, v39, vcc
	v_lshlrev_b64 v[38:39], 3, v[76:77]
	v_add_co_u32_e32 v58, vcc, s4, v38
	v_ashrrev_i32_e32 v79, 31, v78
	v_addc_co_u32_e32 v59, vcc, v40, v39, vcc
	v_lshlrev_b64 v[38:39], 3, v[78:79]
	;; [unrolled: 4-line block ×4, first 2 shown]
	v_mov_b32_e32 v42, s5
	v_add_co_u32_e32 v70, vcc, s4, v40
	v_ashrrev_i32_e32 v85, 31, v84
	v_addc_co_u32_e32 v71, vcc, v42, v41, vcc
	v_lshlrev_b64 v[40:41], 3, v[84:85]
	v_add_co_u32_e32 v60, vcc, s4, v40
	v_ashrrev_i32_e32 v87, 31, v86
	v_addc_co_u32_e32 v61, vcc, v42, v41, vcc
	v_lshlrev_b64 v[40:41], 3, v[86:87]
	global_load_dwordx2 v[150:151], v[44:45], off
	global_load_dwordx2 v[152:153], v[34:35], off
	;; [unrolled: 1-line block ×3, first 2 shown]
	s_waitcnt vmcnt(30)
	buffer_store_dword v50, off, s[0:3], 0 offset:104
	buffer_store_dword v51, off, s[0:3], 0 offset:108
	v_add_co_u32_e32 v50, vcc, s4, v40
	v_ashrrev_i32_e32 v89, 31, v88
	v_addc_co_u32_e32 v51, vcc, v42, v41, vcc
	v_lshlrev_b64 v[40:41], 3, v[88:89]
	v_add_co_u32_e32 v40, vcc, s4, v40
	v_ashrrev_i32_e32 v91, 31, v90
	v_addc_co_u32_e32 v41, vcc, v42, v41, vcc
	v_lshlrev_b64 v[42:43], 3, v[90:91]
	v_mov_b32_e32 v52, s5
	v_add_co_u32_e32 v72, vcc, s4, v42
	v_ashrrev_i32_e32 v93, 31, v92
	v_addc_co_u32_e32 v73, vcc, v52, v43, vcc
	v_lshlrev_b64 v[42:43], 3, v[92:93]
	v_add_co_u32_e32 v62, vcc, s4, v42
	v_ashrrev_i32_e32 v95, 31, v94
	v_addc_co_u32_e32 v63, vcc, v52, v43, vcc
	v_lshlrev_b64 v[42:43], 3, v[94:95]
	v_mov_b32_e32 v53, s5
	v_add_co_u32_e32 v52, vcc, s4, v42
	v_ashrrev_i32_e32 v97, 31, v96
	v_addc_co_u32_e32 v53, vcc, v53, v43, vcc
	v_lshlrev_b64 v[42:43], 3, v[96:97]
	v_mov_b32_e32 v54, s5
	;; [unrolled: 5-line block ×3, first 2 shown]
	v_add_co_u32_e32 v74, vcc, s4, v54
	v_ashrrev_i32_e32 v105, 31, v104
	v_addc_co_u32_e32 v75, vcc, v64, v55, vcc
	v_lshlrev_b64 v[54:55], 3, v[104:105]
	global_load_dwordx2 v[156:157], v[66:67], off
	global_load_dwordx2 v[158:159], v[56:57], off
	global_load_dwordx2 v[160:161], v[46:47], off
	global_load_dwordx2 v[162:163], v[36:37], off
	global_load_dwordx2 v[76:77], v[68:69], off
	global_load_dwordx2 v[78:79], v[58:59], off
	global_load_dwordx2 v[80:81], v[48:49], off
	global_load_dwordx2 v[164:165], v[38:39], off
	global_load_dwordx2 v[82:83], v[70:71], off
	global_load_dwordx2 v[84:85], v[60:61], off
	global_load_dwordx2 v[86:87], v[50:51], off
	global_load_dwordx2 v[88:89], v[40:41], off
	global_load_dwordx2 v[90:91], v[72:73], off
	global_load_dwordx2 v[92:93], v[62:63], off
	global_load_dwordx2 v[94:95], v[52:53], off
	global_load_dwordx2 v[96:97], v[42:43], off
	v_mov_b32_e32 v65, s5
	v_add_co_u32_e32 v64, vcc, s4, v54
	v_ashrrev_i32_e32 v109, 31, v108
	v_addc_co_u32_e32 v65, vcc, v65, v55, vcc
	v_lshlrev_b64 v[54:55], 3, v[108:109]
	v_mov_b32_e32 v98, s5
	v_add_co_u32_e32 v54, vcc, s4, v54
	v_addc_co_u32_e32 v55, vcc, v98, v55, vcc
	global_load_dwordx2 v[98:99], v[74:75], off
	global_load_dwordx2 v[104:105], v[64:65], off
	;; [unrolled: 1-line block ×3, first 2 shown]
	v_ashrrev_i32_e32 v101, 31, v100
	v_ashrrev_i32_e32 v103, 31, v102
	;; [unrolled: 1-line block ×11, first 2 shown]
	s_waitcnt vmcnt(23)
	buffer_store_dword v151, off, s[0:3], 0 offset:116
	buffer_store_dword v150, off, s[0:3], 0 offset:112
	s_waitcnt vmcnt(24)
	buffer_store_dword v152, off, s[0:3], 0 offset:120
	buffer_store_dword v153, off, s[0:3], 0 offset:124
	;; [unrolled: 3-line block ×19, first 2 shown]
	v_lshlrev_b64 v[76:77], 3, v[100:101]
	v_mov_b32_e32 v78, s5
	v_add_co_u32_e32 v76, vcc, s4, v76
	v_addc_co_u32_e32 v77, vcc, v78, v77, vcc
	v_lshlrev_b64 v[78:79], 3, v[102:103]
	global_load_dwordx2 v[150:151], v[76:77], off
	s_waitcnt vmcnt(41)
	buffer_store_dword v98, off, s[0:3], 0 offset:264
	buffer_store_dword v99, off, s[0:3], 0 offset:268
	s_waitcnt vmcnt(42)
	buffer_store_dword v104, off, s[0:3], 0 offset:272
	buffer_store_dword v105, off, s[0:3], 0 offset:276
	;; [unrolled: 3-line block ×3, first 2 shown]
	v_mov_b32_e32 v80, s5
	v_add_co_u32_e32 v108, vcc, s4, v78
	v_addc_co_u32_e32 v109, vcc, v80, v79, vcc
	v_lshlrev_b64 v[78:79], 3, v[106:107]
	v_add_co_u32_e32 v96, vcc, s4, v78
	v_addc_co_u32_e32 v97, vcc, v80, v79, vcc
	v_lshlrev_b64 v[78:79], 3, v[110:111]
	;; [unrolled: 3-line block ×4, first 2 shown]
	v_mov_b32_e32 v82, s5
	v_add_co_u32_e32 v110, vcc, s4, v80
	v_addc_co_u32_e32 v111, vcc, v82, v81, vcc
	v_lshlrev_b64 v[80:81], 3, v[116:117]
	v_add_co_u32_e32 v98, vcc, s4, v80
	v_addc_co_u32_e32 v99, vcc, v82, v81, vcc
	v_lshlrev_b64 v[80:81], 3, v[118:119]
	;; [unrolled: 3-line block ×4, first 2 shown]
	v_mov_b32_e32 v84, s5
	v_add_co_u32_e32 v112, vcc, s4, v82
	v_addc_co_u32_e32 v113, vcc, v84, v83, vcc
	v_lshlrev_b64 v[82:83], 3, v[126:127]
	v_add_co_u32_e32 v100, vcc, s4, v82
	v_ashrrev_i32_e32 v129, 31, v128
	v_addc_co_u32_e32 v101, vcc, v84, v83, vcc
	v_lshlrev_b64 v[82:83], 3, v[128:129]
	v_add_co_u32_e32 v90, vcc, s4, v82
	v_ashrrev_i32_e32 v131, 31, v130
	;; [unrolled: 4-line block ×3, first 2 shown]
	v_addc_co_u32_e32 v83, vcc, v84, v83, vcc
	v_lshlrev_b64 v[84:85], 3, v[132:133]
	v_mov_b32_e32 v92, s5
	v_add_co_u32_e32 v114, vcc, s4, v84
	v_ashrrev_i32_e32 v135, 31, v134
	v_addc_co_u32_e32 v115, vcc, v92, v85, vcc
	v_lshlrev_b64 v[84:85], 3, v[134:135]
	v_add_co_u32_e32 v102, vcc, s4, v84
	v_ashrrev_i32_e32 v137, 31, v136
	v_addc_co_u32_e32 v103, vcc, v92, v85, vcc
	v_lshlrev_b64 v[84:85], 3, v[136:137]
	v_mov_b32_e32 v93, s5
	v_add_co_u32_e32 v92, vcc, s4, v84
	v_ashrrev_i32_e32 v139, 31, v138
	v_addc_co_u32_e32 v93, vcc, v93, v85, vcc
	v_lshlrev_b64 v[84:85], 3, v[138:139]
	v_mov_b32_e32 v94, s5
	;; [unrolled: 5-line block ×4, first 2 shown]
	v_add_co_u32_e32 v104, vcc, s4, v94
	global_load_dwordx2 v[152:153], v[108:109], off
	global_load_dwordx2 v[154:155], v[96:97], off
	;; [unrolled: 1-line block ×16, first 2 shown]
	v_addc_co_u32_e32 v105, vcc, v105, v95, vcc
	global_load_dwordx2 v[140:141], v[116:117], off
	global_load_dwordx2 v[142:143], v[104:105], off
	v_ashrrev_i32_e32 v145, 31, v144
	v_lshlrev_b64 v[94:95], 3, v[144:145]
	v_mov_b32_e32 v106, s5
	v_add_co_u32_e32 v118, vcc, s4, v94
	v_ashrrev_i32_e32 v147, 31, v146
	v_addc_co_u32_e32 v119, vcc, v106, v95, vcc
	v_lshlrev_b64 v[94:95], 3, v[146:147]
	v_mov_b32_e32 v107, s5
	v_add_co_u32_e32 v106, vcc, s4, v94
	v_ashrrev_i32_e32 v149, 31, v148
	v_addc_co_u32_e32 v107, vcc, v107, v95, vcc
	v_lshlrev_b64 v[94:95], 3, v[148:149]
	v_mov_b32_e32 v144, s5
	v_add_co_u32_e32 v94, vcc, s4, v94
	v_addc_co_u32_e32 v95, vcc, v144, v95, vcc
	global_load_dwordx2 v[144:145], v[118:119], off
	global_load_dwordx2 v[146:147], v[106:107], off
	;; [unrolled: 1-line block ×3, first 2 shown]
	s_bitcmp0_b32 s20, 0
	s_mov_b64 s[6:7], -1
	s_waitcnt vmcnt(27)
	buffer_store_dword v150, off, s[0:3], 0 offset:288
	buffer_store_dword v151, off, s[0:3], 0 offset:292
	s_waitcnt vmcnt(22)
	buffer_store_dword v153, off, s[0:3], 0 offset:300
	buffer_store_dword v152, off, s[0:3], 0 offset:296
	;; [unrolled: 3-line block ×22, first 2 shown]
	buffer_store_dword v120, off, s[0:3], 0 offset:464
	buffer_store_dword v121, off, s[0:3], 0 offset:468
	s_cbranch_scc1 .LBB122_242
; %bb.4:
	v_cmp_eq_u32_e64 s[4:5], 0, v0
	s_and_saveexec_b64 s[6:7], s[4:5]
	s_cbranch_execz .LBB122_6
; %bb.5:
	v_mov_b32_e32 v120, 0
	ds_write_b32 v120, v120 offset:472
.LBB122_6:
	s_or_b64 exec, exec, s[6:7]
	v_mov_b32_e32 v120, 0
	v_lshl_add_u32 v120, v0, 3, v120
	s_waitcnt lgkmcnt(0)
	; wave barrier
	s_waitcnt lgkmcnt(0)
	buffer_load_dword v122, v120, s[0:3], 0 offen
	buffer_load_dword v123, v120, s[0:3], 0 offen offset:4
	s_waitcnt vmcnt(0)
	v_cmp_eq_f64_e32 vcc, 0, v[122:123]
	s_and_saveexec_b64 s[12:13], vcc
	s_cbranch_execz .LBB122_10
; %bb.7:
	v_mov_b32_e32 v121, 0
	ds_read_b32 v123, v121 offset:472
	v_add_u32_e32 v122, 1, v0
	s_waitcnt lgkmcnt(0)
	v_readfirstlane_b32 s6, v123
	s_cmp_eq_u32 s6, 0
	s_cselect_b64 s[18:19], -1, 0
	v_cmp_gt_i32_e32 vcc, s6, v122
	s_or_b64 s[18:19], s[18:19], vcc
	s_and_b64 exec, exec, s[18:19]
	s_cbranch_execz .LBB122_10
; %bb.8:
	s_mov_b64 s[18:19], 0
	v_mov_b32_e32 v123, s6
.LBB122_9:                              ; =>This Inner Loop Header: Depth=1
	ds_cmpst_rtn_b32 v123, v121, v123, v122 offset:472
	s_waitcnt lgkmcnt(0)
	v_cmp_ne_u32_e32 vcc, 0, v123
	v_cmp_le_i32_e64 s[6:7], v123, v122
	s_and_b64 s[6:7], vcc, s[6:7]
	s_and_b64 s[6:7], exec, s[6:7]
	s_or_b64 s[18:19], s[6:7], s[18:19]
	s_andn2_b64 exec, exec, s[18:19]
	s_cbranch_execnz .LBB122_9
.LBB122_10:
	s_or_b64 exec, exec, s[12:13]
	v_mov_b32_e32 v122, 0
	s_waitcnt lgkmcnt(0)
	; wave barrier
	ds_read_b32 v121, v122 offset:472
	s_and_saveexec_b64 s[6:7], s[4:5]
	s_cbranch_execz .LBB122_12
; %bb.11:
	s_lshl_b64 s[12:13], s[8:9], 2
	s_add_u32 s12, s14, s12
	s_addc_u32 s13, s15, s13
	s_waitcnt lgkmcnt(0)
	global_store_dword v122, v121, s[12:13]
.LBB122_12:
	s_or_b64 exec, exec, s[6:7]
	s_waitcnt lgkmcnt(0)
	v_cmp_ne_u32_e32 vcc, 0, v121
	s_mov_b64 s[6:7], 0
	s_cbranch_vccnz .LBB122_242
; %bb.13:
	buffer_load_dword v122, v120, s[0:3], 0 offen
	buffer_load_dword v123, v120, s[0:3], 0 offen offset:4
	s_waitcnt vmcnt(0)
	v_div_scale_f64 v[124:125], s[6:7], v[122:123], v[122:123], 1.0
	v_rcp_f64_e32 v[126:127], v[124:125]
	v_div_scale_f64 v[128:129], vcc, 1.0, v[122:123], 1.0
	v_fma_f64 v[130:131], -v[124:125], v[126:127], 1.0
	v_fmac_f64_e32 v[126:127], v[126:127], v[130:131]
	v_fma_f64 v[130:131], -v[124:125], v[126:127], 1.0
	v_fmac_f64_e32 v[126:127], v[126:127], v[130:131]
	v_mul_f64 v[130:131], v[128:129], v[126:127]
	v_fma_f64 v[124:125], -v[124:125], v[130:131], v[128:129]
	v_div_fmas_f64 v[124:125], v[124:125], v[126:127], v[130:131]
	v_div_fixup_f64 v[124:125], v[124:125], v[122:123], 1.0
	buffer_store_dword v125, v120, s[0:3], 0 offen offset:4
	buffer_store_dword v124, v120, s[0:3], 0 offen
	buffer_load_dword v127, off, s[0:3], 0 offset:12
	buffer_load_dword v126, off, s[0:3], 0 offset:8
	v_add_u32_e32 v122, 0x1e0, v1
	v_xor_b32_e32 v125, 0x80000000, v125
	s_waitcnt vmcnt(0)
	ds_write2_b64 v1, v[124:125], v[126:127] offset1:60
	s_waitcnt lgkmcnt(0)
	; wave barrier
	s_waitcnt lgkmcnt(0)
	s_and_saveexec_b64 s[6:7], s[4:5]
	s_cbranch_execz .LBB122_15
; %bb.14:
	buffer_load_dword v124, v120, s[0:3], 0 offen
	buffer_load_dword v125, v120, s[0:3], 0 offen offset:4
	v_mov_b32_e32 v121, 0
	ds_read_b64 v[126:127], v122
	ds_read_b64 v[128:129], v121 offset:8
	s_waitcnt vmcnt(0) lgkmcnt(1)
	v_fma_f64 v[124:125], v[124:125], v[126:127], 0
	s_waitcnt lgkmcnt(0)
	v_mul_f64 v[124:125], v[124:125], v[128:129]
	buffer_store_dword v124, off, s[0:3], 0 offset:8
	buffer_store_dword v125, off, s[0:3], 0 offset:12
.LBB122_15:
	s_or_b64 exec, exec, s[6:7]
	s_waitcnt lgkmcnt(0)
	; wave barrier
	buffer_load_dword v124, off, s[0:3], 0 offset:16
	buffer_load_dword v125, off, s[0:3], 0 offset:20
	v_cmp_gt_u32_e32 vcc, 2, v0
	s_waitcnt vmcnt(0)
	ds_write_b64 v122, v[124:125]
	s_waitcnt lgkmcnt(0)
	; wave barrier
	s_waitcnt lgkmcnt(0)
	s_and_saveexec_b64 s[6:7], vcc
	s_cbranch_execz .LBB122_17
; %bb.16:
	buffer_load_dword v121, v120, s[0:3], 0 offen offset:4
	buffer_load_dword v128, off, s[0:3], 0 offset:8
	s_nop 0
	buffer_load_dword v120, v120, s[0:3], 0 offen
	s_nop 0
	buffer_load_dword v129, off, s[0:3], 0 offset:12
	ds_read_b64 v[130:131], v122
	v_mov_b32_e32 v123, 0
	ds_read2_b64 v[124:127], v123 offset0:2 offset1:61
	s_waitcnt vmcnt(1) lgkmcnt(1)
	v_fma_f64 v[120:121], v[120:121], v[130:131], 0
	s_waitcnt vmcnt(0) lgkmcnt(0)
	v_fma_f64 v[126:127], v[128:129], v[126:127], v[120:121]
	v_cndmask_b32_e64 v121, v121, v127, s[4:5]
	v_cndmask_b32_e64 v120, v120, v126, s[4:5]
	v_mul_f64 v[120:121], v[120:121], v[124:125]
	buffer_store_dword v121, off, s[0:3], 0 offset:20
	buffer_store_dword v120, off, s[0:3], 0 offset:16
.LBB122_17:
	s_or_b64 exec, exec, s[6:7]
	s_waitcnt lgkmcnt(0)
	; wave barrier
	buffer_load_dword v120, off, s[0:3], 0 offset:24
	buffer_load_dword v121, off, s[0:3], 0 offset:28
	v_cmp_gt_u32_e32 vcc, 3, v0
	v_add_u32_e32 v123, -1, v0
	s_waitcnt vmcnt(0)
	ds_write_b64 v122, v[120:121]
	s_waitcnt lgkmcnt(0)
	; wave barrier
	s_waitcnt lgkmcnt(0)
	s_and_saveexec_b64 s[4:5], vcc
	s_cbranch_execz .LBB122_21
; %bb.18:
	v_add_u32_e32 v124, -1, v0
	v_add_u32_e32 v125, 0x1e0, v1
	v_add_u32_e32 v126, 0, v1
	s_mov_b64 s[6:7], 0
	v_pk_mov_b32 v[120:121], 0, 0
.LBB122_19:                             ; =>This Inner Loop Header: Depth=1
	buffer_load_dword v128, v126, s[0:3], 0 offen
	buffer_load_dword v129, v126, s[0:3], 0 offen offset:4
	ds_read_b64 v[130:131], v125
	v_add_u32_e32 v124, 1, v124
	v_cmp_lt_u32_e32 vcc, 1, v124
	v_add_u32_e32 v125, 8, v125
	v_add_u32_e32 v126, 8, v126
	s_or_b64 s[6:7], vcc, s[6:7]
	s_waitcnt vmcnt(0) lgkmcnt(0)
	v_fmac_f64_e32 v[120:121], v[128:129], v[130:131]
	s_andn2_b64 exec, exec, s[6:7]
	s_cbranch_execnz .LBB122_19
; %bb.20:
	s_or_b64 exec, exec, s[6:7]
	v_mov_b32_e32 v124, 0
	ds_read_b64 v[124:125], v124 offset:24
	s_waitcnt lgkmcnt(0)
	v_mul_f64 v[120:121], v[120:121], v[124:125]
	buffer_store_dword v121, off, s[0:3], 0 offset:28
	buffer_store_dword v120, off, s[0:3], 0 offset:24
.LBB122_21:
	s_or_b64 exec, exec, s[4:5]
	s_waitcnt lgkmcnt(0)
	; wave barrier
	buffer_load_dword v120, off, s[0:3], 0 offset:32
	buffer_load_dword v121, off, s[0:3], 0 offset:36
	v_cmp_gt_u32_e32 vcc, 4, v0
	s_waitcnt vmcnt(0)
	ds_write_b64 v122, v[120:121]
	s_waitcnt lgkmcnt(0)
	; wave barrier
	s_waitcnt lgkmcnt(0)
	s_and_saveexec_b64 s[4:5], vcc
	s_cbranch_execz .LBB122_25
; %bb.22:
	v_add_u32_e32 v124, -1, v0
	v_add_u32_e32 v125, 0x1e0, v1
	v_add_u32_e32 v126, 0, v1
	s_mov_b64 s[6:7], 0
	v_pk_mov_b32 v[120:121], 0, 0
.LBB122_23:                             ; =>This Inner Loop Header: Depth=1
	buffer_load_dword v128, v126, s[0:3], 0 offen
	buffer_load_dword v129, v126, s[0:3], 0 offen offset:4
	ds_read_b64 v[130:131], v125
	v_add_u32_e32 v124, 1, v124
	v_cmp_lt_u32_e32 vcc, 2, v124
	v_add_u32_e32 v125, 8, v125
	v_add_u32_e32 v126, 8, v126
	s_or_b64 s[6:7], vcc, s[6:7]
	s_waitcnt vmcnt(0) lgkmcnt(0)
	v_fmac_f64_e32 v[120:121], v[128:129], v[130:131]
	s_andn2_b64 exec, exec, s[6:7]
	s_cbranch_execnz .LBB122_23
; %bb.24:
	s_or_b64 exec, exec, s[6:7]
	v_mov_b32_e32 v124, 0
	ds_read_b64 v[124:125], v124 offset:32
	s_waitcnt lgkmcnt(0)
	v_mul_f64 v[120:121], v[120:121], v[124:125]
	buffer_store_dword v121, off, s[0:3], 0 offset:36
	buffer_store_dword v120, off, s[0:3], 0 offset:32
.LBB122_25:
	s_or_b64 exec, exec, s[4:5]
	s_waitcnt lgkmcnt(0)
	; wave barrier
	buffer_load_dword v120, off, s[0:3], 0 offset:40
	buffer_load_dword v121, off, s[0:3], 0 offset:44
	v_cmp_gt_u32_e32 vcc, 5, v0
	;; [unrolled: 41-line block ×21, first 2 shown]
	s_waitcnt vmcnt(0)
	ds_write_b64 v122, v[120:121]
	s_waitcnt lgkmcnt(0)
	; wave barrier
	s_waitcnt lgkmcnt(0)
	s_and_saveexec_b64 s[4:5], vcc
	s_cbranch_execz .LBB122_105
; %bb.102:
	v_add_u32_e32 v124, -1, v0
	v_add_u32_e32 v125, 0x1e0, v1
	v_add_u32_e32 v126, 0, v1
	s_mov_b64 s[6:7], 0
	v_pk_mov_b32 v[120:121], 0, 0
.LBB122_103:                            ; =>This Inner Loop Header: Depth=1
	buffer_load_dword v128, v126, s[0:3], 0 offen
	buffer_load_dword v129, v126, s[0:3], 0 offen offset:4
	ds_read_b64 v[130:131], v125
	v_add_u32_e32 v124, 1, v124
	v_cmp_lt_u32_e32 vcc, 22, v124
	v_add_u32_e32 v125, 8, v125
	v_add_u32_e32 v126, 8, v126
	s_or_b64 s[6:7], vcc, s[6:7]
	s_waitcnt vmcnt(0) lgkmcnt(0)
	v_fmac_f64_e32 v[120:121], v[128:129], v[130:131]
	s_andn2_b64 exec, exec, s[6:7]
	s_cbranch_execnz .LBB122_103
; %bb.104:
	s_or_b64 exec, exec, s[6:7]
	v_mov_b32_e32 v124, 0
	ds_read_b64 v[124:125], v124 offset:192
	s_waitcnt lgkmcnt(0)
	v_mul_f64 v[120:121], v[120:121], v[124:125]
	buffer_store_dword v121, off, s[0:3], 0 offset:196
	buffer_store_dword v120, off, s[0:3], 0 offset:192
.LBB122_105:
	s_or_b64 exec, exec, s[4:5]
	s_waitcnt lgkmcnt(0)
	; wave barrier
	buffer_load_dword v120, off, s[0:3], 0 offset:200
	buffer_load_dword v121, off, s[0:3], 0 offset:204
	v_cmp_gt_u32_e32 vcc, 25, v0
	s_waitcnt vmcnt(0)
	ds_write_b64 v122, v[120:121]
	s_waitcnt lgkmcnt(0)
	; wave barrier
	s_waitcnt lgkmcnt(0)
	s_and_saveexec_b64 s[4:5], vcc
	s_cbranch_execz .LBB122_109
; %bb.106:
	v_add_u32_e32 v124, -1, v0
	v_add_u32_e32 v125, 0x1e0, v1
	v_add_u32_e32 v126, 0, v1
	s_mov_b64 s[6:7], 0
	v_pk_mov_b32 v[120:121], 0, 0
.LBB122_107:                            ; =>This Inner Loop Header: Depth=1
	buffer_load_dword v128, v126, s[0:3], 0 offen
	buffer_load_dword v129, v126, s[0:3], 0 offen offset:4
	ds_read_b64 v[130:131], v125
	v_add_u32_e32 v124, 1, v124
	v_cmp_lt_u32_e32 vcc, 23, v124
	v_add_u32_e32 v125, 8, v125
	v_add_u32_e32 v126, 8, v126
	s_or_b64 s[6:7], vcc, s[6:7]
	s_waitcnt vmcnt(0) lgkmcnt(0)
	v_fmac_f64_e32 v[120:121], v[128:129], v[130:131]
	s_andn2_b64 exec, exec, s[6:7]
	s_cbranch_execnz .LBB122_107
; %bb.108:
	s_or_b64 exec, exec, s[6:7]
	v_mov_b32_e32 v124, 0
	ds_read_b64 v[124:125], v124 offset:200
	s_waitcnt lgkmcnt(0)
	v_mul_f64 v[120:121], v[120:121], v[124:125]
	buffer_store_dword v121, off, s[0:3], 0 offset:204
	buffer_store_dword v120, off, s[0:3], 0 offset:200
.LBB122_109:
	s_or_b64 exec, exec, s[4:5]
	s_waitcnt lgkmcnt(0)
	; wave barrier
	buffer_load_dword v120, off, s[0:3], 0 offset:208
	buffer_load_dword v121, off, s[0:3], 0 offset:212
	v_cmp_gt_u32_e32 vcc, 26, v0
	;; [unrolled: 41-line block ×33, first 2 shown]
	s_waitcnt vmcnt(0)
	ds_write_b64 v122, v[120:121]
	s_waitcnt lgkmcnt(0)
	; wave barrier
	s_waitcnt lgkmcnt(0)
	s_and_saveexec_b64 s[4:5], vcc
	s_cbranch_execz .LBB122_237
; %bb.234:
	v_add_u32_e32 v124, -1, v0
	v_add_u32_e32 v125, 0x1e0, v1
	v_add_u32_e32 v126, 0, v1
	s_mov_b64 s[6:7], 0
	v_pk_mov_b32 v[120:121], 0, 0
.LBB122_235:                            ; =>This Inner Loop Header: Depth=1
	buffer_load_dword v128, v126, s[0:3], 0 offen
	buffer_load_dword v129, v126, s[0:3], 0 offen offset:4
	ds_read_b64 v[130:131], v125
	v_add_u32_e32 v124, 1, v124
	v_cmp_lt_u32_e32 vcc, 55, v124
	v_add_u32_e32 v125, 8, v125
	v_add_u32_e32 v126, 8, v126
	s_or_b64 s[6:7], vcc, s[6:7]
	s_waitcnt vmcnt(0) lgkmcnt(0)
	v_fmac_f64_e32 v[120:121], v[128:129], v[130:131]
	s_andn2_b64 exec, exec, s[6:7]
	s_cbranch_execnz .LBB122_235
; %bb.236:
	s_or_b64 exec, exec, s[6:7]
	v_mov_b32_e32 v124, 0
	ds_read_b64 v[124:125], v124 offset:456
	s_waitcnt lgkmcnt(0)
	v_mul_f64 v[120:121], v[120:121], v[124:125]
	buffer_store_dword v121, off, s[0:3], 0 offset:460
	buffer_store_dword v120, off, s[0:3], 0 offset:456
.LBB122_237:
	s_or_b64 exec, exec, s[4:5]
	s_waitcnt lgkmcnt(0)
	; wave barrier
	buffer_load_dword v120, off, s[0:3], 0 offset:464
	buffer_load_dword v121, off, s[0:3], 0 offset:468
	v_cmp_ne_u32_e32 vcc, 58, v0
	s_waitcnt vmcnt(0)
	ds_write_b64 v122, v[120:121]
	s_waitcnt lgkmcnt(0)
	; wave barrier
	s_waitcnt lgkmcnt(0)
	s_and_saveexec_b64 s[4:5], vcc
	s_cbranch_execz .LBB122_241
; %bb.238:
	v_add_u32_e32 v122, 0x1e0, v1
	v_add_u32_e32 v1, 0, v1
	s_mov_b64 s[6:7], 0
	v_pk_mov_b32 v[120:121], 0, 0
.LBB122_239:                            ; =>This Inner Loop Header: Depth=1
	buffer_load_dword v124, v1, s[0:3], 0 offen
	buffer_load_dword v125, v1, s[0:3], 0 offen offset:4
	ds_read_b64 v[126:127], v122
	v_add_u32_e32 v123, 1, v123
	v_cmp_lt_u32_e32 vcc, 56, v123
	v_add_u32_e32 v122, 8, v122
	v_add_u32_e32 v1, 8, v1
	s_or_b64 s[6:7], vcc, s[6:7]
	s_waitcnt vmcnt(0) lgkmcnt(0)
	v_fmac_f64_e32 v[120:121], v[124:125], v[126:127]
	s_andn2_b64 exec, exec, s[6:7]
	s_cbranch_execnz .LBB122_239
; %bb.240:
	s_or_b64 exec, exec, s[6:7]
	v_mov_b32_e32 v1, 0
	ds_read_b64 v[122:123], v1 offset:464
	s_waitcnt lgkmcnt(0)
	v_mul_f64 v[120:121], v[120:121], v[122:123]
	buffer_store_dword v121, off, s[0:3], 0 offset:468
	buffer_store_dword v120, off, s[0:3], 0 offset:464
.LBB122_241:
	s_or_b64 exec, exec, s[4:5]
	s_mov_b64 s[6:7], -1
	s_waitcnt lgkmcnt(0)
	; wave barrier
.LBB122_242:
	s_and_b64 vcc, exec, s[6:7]
	s_cbranch_vccz .LBB122_244
; %bb.243:
	s_lshl_b64 s[4:5], s[8:9], 2
	s_add_u32 s4, s14, s4
	s_addc_u32 s5, s15, s5
	v_mov_b32_e32 v1, 0
	global_load_dword v1, v1, s[4:5]
	s_waitcnt vmcnt(0)
	v_cmp_ne_u32_e32 vcc, 0, v1
	s_cbranch_vccz .LBB122_245
.LBB122_244:
	s_endpgm
.LBB122_245:
	v_mov_b32_e32 v1, 0x1e0
	v_lshl_add_u32 v1, v0, 3, v1
	v_cmp_eq_u32_e32 vcc, 58, v0
	s_and_saveexec_b64 s[4:5], vcc
	s_cbranch_execz .LBB122_247
; %bb.246:
	buffer_load_dword v120, off, s[0:3], 0 offset:456
	buffer_load_dword v121, off, s[0:3], 0 offset:460
	v_mov_b32_e32 v122, 0
	buffer_store_dword v122, off, s[0:3], 0 offset:456
	buffer_store_dword v122, off, s[0:3], 0 offset:460
	s_waitcnt vmcnt(2)
	ds_write_b64 v1, v[120:121]
.LBB122_247:
	s_or_b64 exec, exec, s[4:5]
	s_waitcnt lgkmcnt(0)
	; wave barrier
	s_waitcnt lgkmcnt(0)
	buffer_load_dword v122, off, s[0:3], 0 offset:464
	buffer_load_dword v123, off, s[0:3], 0 offset:468
	;; [unrolled: 1-line block ×4, first 2 shown]
	v_mov_b32_e32 v120, 0
	ds_read_b64 v[126:127], v120 offset:944
	v_cmp_lt_u32_e32 vcc, 56, v0
	s_waitcnt vmcnt(2) lgkmcnt(0)
	v_fma_f64 v[122:123], v[122:123], v[126:127], 0
	s_waitcnt vmcnt(0)
	v_add_f64 v[122:123], v[124:125], -v[122:123]
	buffer_store_dword v122, off, s[0:3], 0 offset:456
	buffer_store_dword v123, off, s[0:3], 0 offset:460
	s_and_saveexec_b64 s[4:5], vcc
	s_cbranch_execz .LBB122_249
; %bb.248:
	buffer_load_dword v122, off, s[0:3], 0 offset:448
	buffer_load_dword v123, off, s[0:3], 0 offset:452
	s_waitcnt vmcnt(0)
	ds_write_b64 v1, v[122:123]
	buffer_store_dword v120, off, s[0:3], 0 offset:448
	buffer_store_dword v120, off, s[0:3], 0 offset:452
.LBB122_249:
	s_or_b64 exec, exec, s[4:5]
	s_waitcnt lgkmcnt(0)
	; wave barrier
	s_waitcnt lgkmcnt(0)
	buffer_load_dword v124, off, s[0:3], 0 offset:456
	buffer_load_dword v125, off, s[0:3], 0 offset:460
	;; [unrolled: 1-line block ×6, first 2 shown]
	ds_read2_b64 v[120:123], v120 offset0:117 offset1:118
	v_cmp_lt_u32_e32 vcc, 55, v0
	s_waitcnt vmcnt(4) lgkmcnt(0)
	v_fma_f64 v[120:121], v[124:125], v[120:121], 0
	s_waitcnt vmcnt(2)
	v_fmac_f64_e32 v[120:121], v[126:127], v[122:123]
	s_waitcnt vmcnt(0)
	v_add_f64 v[120:121], v[128:129], -v[120:121]
	buffer_store_dword v120, off, s[0:3], 0 offset:448
	buffer_store_dword v121, off, s[0:3], 0 offset:452
	s_and_saveexec_b64 s[4:5], vcc
	s_cbranch_execz .LBB122_251
; %bb.250:
	buffer_load_dword v120, off, s[0:3], 0 offset:440
	buffer_load_dword v121, off, s[0:3], 0 offset:444
	v_mov_b32_e32 v122, 0
	buffer_store_dword v122, off, s[0:3], 0 offset:440
	buffer_store_dword v122, off, s[0:3], 0 offset:444
	s_waitcnt vmcnt(2)
	ds_write_b64 v1, v[120:121]
.LBB122_251:
	s_or_b64 exec, exec, s[4:5]
	s_waitcnt lgkmcnt(0)
	; wave barrier
	s_waitcnt lgkmcnt(0)
	buffer_load_dword v126, off, s[0:3], 0 offset:448
	buffer_load_dword v127, off, s[0:3], 0 offset:452
	;; [unrolled: 1-line block ×8, first 2 shown]
	v_mov_b32_e32 v120, 0
	ds_read_b128 v[122:125], v120 offset:928
	ds_read_b64 v[134:135], v120 offset:944
	v_cmp_lt_u32_e32 vcc, 54, v0
	s_waitcnt vmcnt(6) lgkmcnt(1)
	v_fma_f64 v[122:123], v[126:127], v[122:123], 0
	s_waitcnt vmcnt(4)
	v_fmac_f64_e32 v[122:123], v[128:129], v[124:125]
	s_waitcnt vmcnt(2) lgkmcnt(0)
	v_fmac_f64_e32 v[122:123], v[130:131], v[134:135]
	s_waitcnt vmcnt(0)
	v_add_f64 v[122:123], v[132:133], -v[122:123]
	buffer_store_dword v122, off, s[0:3], 0 offset:440
	buffer_store_dword v123, off, s[0:3], 0 offset:444
	s_and_saveexec_b64 s[4:5], vcc
	s_cbranch_execz .LBB122_253
; %bb.252:
	buffer_load_dword v122, off, s[0:3], 0 offset:432
	buffer_load_dword v123, off, s[0:3], 0 offset:436
	s_waitcnt vmcnt(0)
	ds_write_b64 v1, v[122:123]
	buffer_store_dword v120, off, s[0:3], 0 offset:432
	buffer_store_dword v120, off, s[0:3], 0 offset:436
.LBB122_253:
	s_or_b64 exec, exec, s[4:5]
	s_waitcnt lgkmcnt(0)
	; wave barrier
	s_waitcnt lgkmcnt(0)
	buffer_load_dword v130, off, s[0:3], 0 offset:440
	buffer_load_dword v131, off, s[0:3], 0 offset:444
	;; [unrolled: 1-line block ×10, first 2 shown]
	ds_read2_b64 v[122:125], v120 offset0:115 offset1:116
	ds_read2_b64 v[126:129], v120 offset0:117 offset1:118
	v_cmp_lt_u32_e32 vcc, 53, v0
	s_waitcnt vmcnt(8) lgkmcnt(1)
	v_fma_f64 v[120:121], v[130:131], v[122:123], 0
	s_waitcnt vmcnt(6)
	v_fmac_f64_e32 v[120:121], v[132:133], v[124:125]
	s_waitcnt vmcnt(4) lgkmcnt(0)
	v_fmac_f64_e32 v[120:121], v[134:135], v[126:127]
	s_waitcnt vmcnt(2)
	v_fmac_f64_e32 v[120:121], v[136:137], v[128:129]
	s_waitcnt vmcnt(0)
	v_add_f64 v[120:121], v[138:139], -v[120:121]
	buffer_store_dword v120, off, s[0:3], 0 offset:432
	buffer_store_dword v121, off, s[0:3], 0 offset:436
	s_and_saveexec_b64 s[4:5], vcc
	s_cbranch_execz .LBB122_255
; %bb.254:
	buffer_load_dword v120, off, s[0:3], 0 offset:424
	buffer_load_dword v121, off, s[0:3], 0 offset:428
	v_mov_b32_e32 v122, 0
	buffer_store_dword v122, off, s[0:3], 0 offset:424
	buffer_store_dword v122, off, s[0:3], 0 offset:428
	s_waitcnt vmcnt(2)
	ds_write_b64 v1, v[120:121]
.LBB122_255:
	s_or_b64 exec, exec, s[4:5]
	s_waitcnt lgkmcnt(0)
	; wave barrier
	s_waitcnt lgkmcnt(0)
	buffer_load_dword v130, off, s[0:3], 0 offset:432
	buffer_load_dword v131, off, s[0:3], 0 offset:436
	;; [unrolled: 1-line block ×12, first 2 shown]
	v_mov_b32_e32 v120, 0
	ds_read_b128 v[122:125], v120 offset:912
	ds_read_b128 v[126:129], v120 offset:928
	ds_read_b64 v[142:143], v120 offset:944
	v_cmp_lt_u32_e32 vcc, 52, v0
	s_waitcnt vmcnt(10) lgkmcnt(2)
	v_fma_f64 v[122:123], v[130:131], v[122:123], 0
	s_waitcnt vmcnt(8)
	v_fmac_f64_e32 v[122:123], v[132:133], v[124:125]
	s_waitcnt vmcnt(6) lgkmcnt(1)
	v_fmac_f64_e32 v[122:123], v[134:135], v[126:127]
	s_waitcnt vmcnt(4)
	v_fmac_f64_e32 v[122:123], v[136:137], v[128:129]
	s_waitcnt vmcnt(2) lgkmcnt(0)
	v_fmac_f64_e32 v[122:123], v[138:139], v[142:143]
	s_waitcnt vmcnt(0)
	v_add_f64 v[122:123], v[140:141], -v[122:123]
	buffer_store_dword v122, off, s[0:3], 0 offset:424
	buffer_store_dword v123, off, s[0:3], 0 offset:428
	s_and_saveexec_b64 s[4:5], vcc
	s_cbranch_execz .LBB122_257
; %bb.256:
	buffer_load_dword v122, off, s[0:3], 0 offset:416
	buffer_load_dword v123, off, s[0:3], 0 offset:420
	s_waitcnt vmcnt(0)
	ds_write_b64 v1, v[122:123]
	buffer_store_dword v120, off, s[0:3], 0 offset:416
	buffer_store_dword v120, off, s[0:3], 0 offset:420
.LBB122_257:
	s_or_b64 exec, exec, s[4:5]
	s_waitcnt lgkmcnt(0)
	; wave barrier
	s_waitcnt lgkmcnt(0)
	buffer_load_dword v134, off, s[0:3], 0 offset:424
	buffer_load_dword v135, off, s[0:3], 0 offset:428
	;; [unrolled: 1-line block ×14, first 2 shown]
	ds_read2_b64 v[122:125], v120 offset0:113 offset1:114
	ds_read2_b64 v[126:129], v120 offset0:115 offset1:116
	;; [unrolled: 1-line block ×3, first 2 shown]
	v_cmp_lt_u32_e32 vcc, 51, v0
	s_waitcnt vmcnt(12) lgkmcnt(2)
	v_fma_f64 v[120:121], v[134:135], v[122:123], 0
	s_waitcnt vmcnt(10)
	v_fmac_f64_e32 v[120:121], v[136:137], v[124:125]
	s_waitcnt vmcnt(8) lgkmcnt(1)
	v_fmac_f64_e32 v[120:121], v[138:139], v[126:127]
	s_waitcnt vmcnt(6)
	v_fmac_f64_e32 v[120:121], v[140:141], v[128:129]
	s_waitcnt vmcnt(4) lgkmcnt(0)
	v_fmac_f64_e32 v[120:121], v[142:143], v[130:131]
	s_waitcnt vmcnt(2)
	v_fmac_f64_e32 v[120:121], v[144:145], v[132:133]
	s_waitcnt vmcnt(0)
	v_add_f64 v[120:121], v[146:147], -v[120:121]
	buffer_store_dword v120, off, s[0:3], 0 offset:416
	buffer_store_dword v121, off, s[0:3], 0 offset:420
	s_and_saveexec_b64 s[4:5], vcc
	s_cbranch_execz .LBB122_259
; %bb.258:
	buffer_load_dword v120, off, s[0:3], 0 offset:408
	buffer_load_dword v121, off, s[0:3], 0 offset:412
	v_mov_b32_e32 v122, 0
	buffer_store_dword v122, off, s[0:3], 0 offset:408
	buffer_store_dword v122, off, s[0:3], 0 offset:412
	s_waitcnt vmcnt(2)
	ds_write_b64 v1, v[120:121]
.LBB122_259:
	s_or_b64 exec, exec, s[4:5]
	s_waitcnt lgkmcnt(0)
	; wave barrier
	s_waitcnt lgkmcnt(0)
	buffer_load_dword v134, off, s[0:3], 0 offset:416
	buffer_load_dword v135, off, s[0:3], 0 offset:420
	;; [unrolled: 1-line block ×16, first 2 shown]
	v_mov_b32_e32 v120, 0
	ds_read_b128 v[122:125], v120 offset:896
	ds_read_b128 v[126:129], v120 offset:912
	ds_read_b128 v[130:133], v120 offset:928
	ds_read_b64 v[150:151], v120 offset:944
	v_cmp_lt_u32_e32 vcc, 50, v0
	s_waitcnt vmcnt(14) lgkmcnt(3)
	v_fma_f64 v[122:123], v[134:135], v[122:123], 0
	s_waitcnt vmcnt(12)
	v_fmac_f64_e32 v[122:123], v[136:137], v[124:125]
	s_waitcnt vmcnt(10) lgkmcnt(2)
	v_fmac_f64_e32 v[122:123], v[138:139], v[126:127]
	s_waitcnt vmcnt(8)
	v_fmac_f64_e32 v[122:123], v[140:141], v[128:129]
	s_waitcnt vmcnt(6) lgkmcnt(1)
	v_fmac_f64_e32 v[122:123], v[142:143], v[130:131]
	;; [unrolled: 4-line block ×3, first 2 shown]
	s_waitcnt vmcnt(0)
	v_add_f64 v[122:123], v[148:149], -v[122:123]
	buffer_store_dword v122, off, s[0:3], 0 offset:408
	buffer_store_dword v123, off, s[0:3], 0 offset:412
	s_and_saveexec_b64 s[4:5], vcc
	s_cbranch_execz .LBB122_261
; %bb.260:
	buffer_load_dword v122, off, s[0:3], 0 offset:400
	buffer_load_dword v123, off, s[0:3], 0 offset:404
	s_waitcnt vmcnt(0)
	ds_write_b64 v1, v[122:123]
	buffer_store_dword v120, off, s[0:3], 0 offset:400
	buffer_store_dword v120, off, s[0:3], 0 offset:404
.LBB122_261:
	s_or_b64 exec, exec, s[4:5]
	s_waitcnt lgkmcnt(0)
	; wave barrier
	s_waitcnt lgkmcnt(0)
	buffer_load_dword v138, off, s[0:3], 0 offset:408
	buffer_load_dword v139, off, s[0:3], 0 offset:412
	;; [unrolled: 1-line block ×18, first 2 shown]
	ds_read2_b64 v[122:125], v120 offset0:111 offset1:112
	ds_read2_b64 v[126:129], v120 offset0:113 offset1:114
	;; [unrolled: 1-line block ×4, first 2 shown]
	v_cmp_lt_u32_e32 vcc, 49, v0
	s_waitcnt vmcnt(16) lgkmcnt(3)
	v_fma_f64 v[120:121], v[138:139], v[122:123], 0
	s_waitcnt vmcnt(14)
	v_fmac_f64_e32 v[120:121], v[140:141], v[124:125]
	s_waitcnt vmcnt(12) lgkmcnt(2)
	v_fmac_f64_e32 v[120:121], v[142:143], v[126:127]
	s_waitcnt vmcnt(10)
	v_fmac_f64_e32 v[120:121], v[144:145], v[128:129]
	s_waitcnt vmcnt(8) lgkmcnt(1)
	v_fmac_f64_e32 v[120:121], v[146:147], v[130:131]
	;; [unrolled: 4-line block ×3, first 2 shown]
	s_waitcnt vmcnt(2)
	v_fmac_f64_e32 v[120:121], v[152:153], v[136:137]
	s_waitcnt vmcnt(0)
	v_add_f64 v[120:121], v[154:155], -v[120:121]
	buffer_store_dword v120, off, s[0:3], 0 offset:400
	buffer_store_dword v121, off, s[0:3], 0 offset:404
	s_and_saveexec_b64 s[4:5], vcc
	s_cbranch_execz .LBB122_263
; %bb.262:
	buffer_load_dword v120, off, s[0:3], 0 offset:392
	buffer_load_dword v121, off, s[0:3], 0 offset:396
	v_mov_b32_e32 v122, 0
	buffer_store_dword v122, off, s[0:3], 0 offset:392
	buffer_store_dword v122, off, s[0:3], 0 offset:396
	s_waitcnt vmcnt(2)
	ds_write_b64 v1, v[120:121]
.LBB122_263:
	s_or_b64 exec, exec, s[4:5]
	s_waitcnt lgkmcnt(0)
	; wave barrier
	s_waitcnt lgkmcnt(0)
	buffer_load_dword v138, off, s[0:3], 0 offset:400
	buffer_load_dword v139, off, s[0:3], 0 offset:404
	;; [unrolled: 1-line block ×20, first 2 shown]
	v_mov_b32_e32 v120, 0
	ds_read_b128 v[122:125], v120 offset:880
	ds_read_b128 v[126:129], v120 offset:896
	;; [unrolled: 1-line block ×4, first 2 shown]
	ds_read_b64 v[158:159], v120 offset:944
	v_cmp_lt_u32_e32 vcc, 48, v0
	s_waitcnt vmcnt(18) lgkmcnt(4)
	v_fma_f64 v[122:123], v[138:139], v[122:123], 0
	s_waitcnt vmcnt(16)
	v_fmac_f64_e32 v[122:123], v[140:141], v[124:125]
	s_waitcnt vmcnt(14) lgkmcnt(3)
	v_fmac_f64_e32 v[122:123], v[142:143], v[126:127]
	s_waitcnt vmcnt(12)
	v_fmac_f64_e32 v[122:123], v[144:145], v[128:129]
	s_waitcnt vmcnt(10) lgkmcnt(2)
	v_fmac_f64_e32 v[122:123], v[146:147], v[130:131]
	;; [unrolled: 4-line block ×3, first 2 shown]
	s_waitcnt vmcnt(2)
	v_fmac_f64_e32 v[122:123], v[154:155], v[136:137]
	s_waitcnt lgkmcnt(0)
	v_fmac_f64_e32 v[122:123], v[152:153], v[158:159]
	s_waitcnt vmcnt(0)
	v_add_f64 v[122:123], v[156:157], -v[122:123]
	buffer_store_dword v122, off, s[0:3], 0 offset:392
	buffer_store_dword v123, off, s[0:3], 0 offset:396
	s_and_saveexec_b64 s[4:5], vcc
	s_cbranch_execz .LBB122_265
; %bb.264:
	buffer_load_dword v122, off, s[0:3], 0 offset:384
	buffer_load_dword v123, off, s[0:3], 0 offset:388
	s_waitcnt vmcnt(0)
	ds_write_b64 v1, v[122:123]
	buffer_store_dword v120, off, s[0:3], 0 offset:384
	buffer_store_dword v120, off, s[0:3], 0 offset:388
.LBB122_265:
	s_or_b64 exec, exec, s[4:5]
	s_waitcnt lgkmcnt(0)
	; wave barrier
	s_waitcnt lgkmcnt(0)
	buffer_load_dword v142, off, s[0:3], 0 offset:392
	buffer_load_dword v143, off, s[0:3], 0 offset:396
	;; [unrolled: 1-line block ×22, first 2 shown]
	ds_read2_b64 v[122:125], v120 offset0:109 offset1:110
	ds_read2_b64 v[126:129], v120 offset0:111 offset1:112
	;; [unrolled: 1-line block ×5, first 2 shown]
	v_cmp_lt_u32_e32 vcc, 47, v0
	s_waitcnt vmcnt(20) lgkmcnt(4)
	v_fma_f64 v[120:121], v[142:143], v[122:123], 0
	s_waitcnt vmcnt(18)
	v_fmac_f64_e32 v[120:121], v[144:145], v[124:125]
	s_waitcnt vmcnt(16) lgkmcnt(3)
	v_fmac_f64_e32 v[120:121], v[146:147], v[126:127]
	s_waitcnt vmcnt(14)
	v_fmac_f64_e32 v[120:121], v[148:149], v[128:129]
	s_waitcnt vmcnt(12) lgkmcnt(2)
	v_fmac_f64_e32 v[120:121], v[150:151], v[130:131]
	;; [unrolled: 4-line block ×3, first 2 shown]
	s_waitcnt vmcnt(3)
	v_fmac_f64_e32 v[120:121], v[160:161], v[136:137]
	s_waitcnt lgkmcnt(0)
	v_fmac_f64_e32 v[120:121], v[158:159], v[138:139]
	s_waitcnt vmcnt(2)
	v_fmac_f64_e32 v[120:121], v[156:157], v[140:141]
	s_waitcnt vmcnt(0)
	v_add_f64 v[120:121], v[162:163], -v[120:121]
	buffer_store_dword v120, off, s[0:3], 0 offset:384
	buffer_store_dword v121, off, s[0:3], 0 offset:388
	s_and_saveexec_b64 s[4:5], vcc
	s_cbranch_execz .LBB122_267
; %bb.266:
	buffer_load_dword v120, off, s[0:3], 0 offset:376
	buffer_load_dword v121, off, s[0:3], 0 offset:380
	v_mov_b32_e32 v122, 0
	buffer_store_dword v122, off, s[0:3], 0 offset:376
	buffer_store_dword v122, off, s[0:3], 0 offset:380
	s_waitcnt vmcnt(2)
	ds_write_b64 v1, v[120:121]
.LBB122_267:
	s_or_b64 exec, exec, s[4:5]
	s_waitcnt lgkmcnt(0)
	; wave barrier
	s_waitcnt lgkmcnt(0)
	buffer_load_dword v138, off, s[0:3], 0 offset:376
	buffer_load_dword v139, off, s[0:3], 0 offset:380
	buffer_load_dword v140, off, s[0:3], 0 offset:384
	buffer_load_dword v141, off, s[0:3], 0 offset:388
	buffer_load_dword v142, off, s[0:3], 0 offset:392
	buffer_load_dword v143, off, s[0:3], 0 offset:396
	buffer_load_dword v144, off, s[0:3], 0 offset:400
	buffer_load_dword v145, off, s[0:3], 0 offset:404
	buffer_load_dword v146, off, s[0:3], 0 offset:408
	buffer_load_dword v147, off, s[0:3], 0 offset:412
	buffer_load_dword v148, off, s[0:3], 0 offset:416
	buffer_load_dword v149, off, s[0:3], 0 offset:420
	buffer_load_dword v150, off, s[0:3], 0 offset:424
	buffer_load_dword v151, off, s[0:3], 0 offset:428
	buffer_load_dword v152, off, s[0:3], 0 offset:432
	buffer_load_dword v153, off, s[0:3], 0 offset:436
	v_mov_b32_e32 v120, 0
	ds_read_b128 v[122:125], v120 offset:864
	ds_read_b128 v[126:129], v120 offset:880
	;; [unrolled: 1-line block ×4, first 2 shown]
	v_cmp_lt_u32_e32 vcc, 46, v0
	s_waitcnt vmcnt(12) lgkmcnt(3)
	v_fma_f64 v[140:141], v[140:141], v[122:123], 0
	buffer_load_dword v123, off, s[0:3], 0 offset:444
	buffer_load_dword v122, off, s[0:3], 0 offset:440
	s_waitcnt vmcnt(12)
	v_fmac_f64_e32 v[140:141], v[142:143], v[124:125]
	s_waitcnt vmcnt(10) lgkmcnt(2)
	v_fmac_f64_e32 v[140:141], v[144:145], v[126:127]
	buffer_load_dword v127, off, s[0:3], 0 offset:452
	buffer_load_dword v126, off, s[0:3], 0 offset:448
	s_waitcnt vmcnt(10)
	v_fmac_f64_e32 v[140:141], v[146:147], v[128:129]
	s_waitcnt vmcnt(8) lgkmcnt(1)
	v_fmac_f64_e32 v[140:141], v[148:149], v[130:131]
	s_waitcnt vmcnt(6)
	v_fmac_f64_e32 v[140:141], v[150:151], v[132:133]
	s_waitcnt vmcnt(4) lgkmcnt(0)
	v_fmac_f64_e32 v[140:141], v[152:153], v[134:135]
	s_waitcnt vmcnt(2)
	v_fmac_f64_e32 v[140:141], v[122:123], v[136:137]
	ds_read_b128 v[122:125], v120 offset:928
	s_waitcnt vmcnt(0) lgkmcnt(0)
	v_fmac_f64_e32 v[140:141], v[126:127], v[122:123]
	buffer_load_dword v123, off, s[0:3], 0 offset:460
	buffer_load_dword v122, off, s[0:3], 0 offset:456
	s_waitcnt vmcnt(0)
	v_fmac_f64_e32 v[140:141], v[122:123], v[124:125]
	buffer_load_dword v123, off, s[0:3], 0 offset:468
	buffer_load_dword v122, off, s[0:3], 0 offset:464
	ds_read_b64 v[124:125], v120 offset:944
	s_waitcnt vmcnt(0) lgkmcnt(0)
	v_fmac_f64_e32 v[140:141], v[122:123], v[124:125]
	v_add_f64 v[122:123], v[138:139], -v[140:141]
	buffer_store_dword v123, off, s[0:3], 0 offset:380
	buffer_store_dword v122, off, s[0:3], 0 offset:376
	s_and_saveexec_b64 s[4:5], vcc
	s_cbranch_execz .LBB122_269
; %bb.268:
	buffer_load_dword v122, off, s[0:3], 0 offset:368
	buffer_load_dword v123, off, s[0:3], 0 offset:372
	s_waitcnt vmcnt(0)
	ds_write_b64 v1, v[122:123]
	buffer_store_dword v120, off, s[0:3], 0 offset:368
	buffer_store_dword v120, off, s[0:3], 0 offset:372
.LBB122_269:
	s_or_b64 exec, exec, s[4:5]
	s_waitcnt lgkmcnt(0)
	; wave barrier
	s_waitcnt lgkmcnt(0)
	buffer_load_dword v126, off, s[0:3], 0 offset:368
	buffer_load_dword v127, off, s[0:3], 0 offset:372
	;; [unrolled: 1-line block ×16, first 2 shown]
	ds_read2_b64 v[122:125], v120 offset0:107 offset1:108
	v_cmp_lt_u32_e32 vcc, 45, v0
	s_waitcnt vmcnt(12) lgkmcnt(0)
	v_fma_f64 v[128:129], v[128:129], v[122:123], 0
	s_waitcnt vmcnt(10)
	v_fmac_f64_e32 v[128:129], v[130:131], v[124:125]
	ds_read2_b64 v[122:125], v120 offset0:109 offset1:110
	s_waitcnt vmcnt(8) lgkmcnt(0)
	v_fmac_f64_e32 v[128:129], v[132:133], v[122:123]
	s_waitcnt vmcnt(6)
	v_fmac_f64_e32 v[128:129], v[134:135], v[124:125]
	ds_read2_b64 v[122:125], v120 offset0:111 offset1:112
	s_waitcnt vmcnt(4) lgkmcnt(0)
	v_fmac_f64_e32 v[128:129], v[136:137], v[122:123]
	;; [unrolled: 5-line block ×3, first 2 shown]
	buffer_load_dword v123, off, s[0:3], 0 offset:436
	buffer_load_dword v122, off, s[0:3], 0 offset:432
	;; [unrolled: 1-line block ×4, first 2 shown]
	s_waitcnt vmcnt(2)
	v_fmac_f64_e32 v[128:129], v[122:123], v[124:125]
	ds_read2_b64 v[122:125], v120 offset0:115 offset1:116
	s_waitcnt vmcnt(0) lgkmcnt(0)
	v_fmac_f64_e32 v[128:129], v[130:131], v[122:123]
	buffer_load_dword v123, off, s[0:3], 0 offset:452
	buffer_load_dword v122, off, s[0:3], 0 offset:448
	s_waitcnt vmcnt(0)
	v_fmac_f64_e32 v[128:129], v[122:123], v[124:125]
	buffer_load_dword v125, off, s[0:3], 0 offset:460
	buffer_load_dword v124, off, s[0:3], 0 offset:456
	ds_read2_b64 v[120:123], v120 offset0:117 offset1:118
	s_waitcnt vmcnt(0) lgkmcnt(0)
	v_fmac_f64_e32 v[128:129], v[124:125], v[120:121]
	buffer_load_dword v121, off, s[0:3], 0 offset:468
	buffer_load_dword v120, off, s[0:3], 0 offset:464
	s_waitcnt vmcnt(0)
	v_fmac_f64_e32 v[128:129], v[120:121], v[122:123]
	v_add_f64 v[120:121], v[126:127], -v[128:129]
	buffer_store_dword v121, off, s[0:3], 0 offset:372
	buffer_store_dword v120, off, s[0:3], 0 offset:368
	s_and_saveexec_b64 s[4:5], vcc
	s_cbranch_execz .LBB122_271
; %bb.270:
	buffer_load_dword v120, off, s[0:3], 0 offset:360
	buffer_load_dword v121, off, s[0:3], 0 offset:364
	v_mov_b32_e32 v122, 0
	buffer_store_dword v122, off, s[0:3], 0 offset:360
	buffer_store_dword v122, off, s[0:3], 0 offset:364
	s_waitcnt vmcnt(2)
	ds_write_b64 v1, v[120:121]
.LBB122_271:
	s_or_b64 exec, exec, s[4:5]
	s_waitcnt lgkmcnt(0)
	; wave barrier
	s_waitcnt lgkmcnt(0)
	buffer_load_dword v138, off, s[0:3], 0 offset:360
	buffer_load_dword v139, off, s[0:3], 0 offset:364
	buffer_load_dword v140, off, s[0:3], 0 offset:368
	buffer_load_dword v141, off, s[0:3], 0 offset:372
	buffer_load_dword v142, off, s[0:3], 0 offset:376
	buffer_load_dword v143, off, s[0:3], 0 offset:380
	buffer_load_dword v144, off, s[0:3], 0 offset:384
	buffer_load_dword v145, off, s[0:3], 0 offset:388
	buffer_load_dword v146, off, s[0:3], 0 offset:392
	buffer_load_dword v147, off, s[0:3], 0 offset:396
	buffer_load_dword v148, off, s[0:3], 0 offset:400
	buffer_load_dword v149, off, s[0:3], 0 offset:404
	buffer_load_dword v150, off, s[0:3], 0 offset:408
	buffer_load_dword v151, off, s[0:3], 0 offset:412
	buffer_load_dword v152, off, s[0:3], 0 offset:416
	buffer_load_dword v153, off, s[0:3], 0 offset:420
	v_mov_b32_e32 v120, 0
	ds_read_b128 v[122:125], v120 offset:848
	ds_read_b128 v[126:129], v120 offset:864
	;; [unrolled: 1-line block ×4, first 2 shown]
	v_cmp_lt_u32_e32 vcc, 44, v0
	s_waitcnt vmcnt(12) lgkmcnt(3)
	v_fma_f64 v[140:141], v[140:141], v[122:123], 0
	buffer_load_dword v123, off, s[0:3], 0 offset:428
	buffer_load_dword v122, off, s[0:3], 0 offset:424
	s_waitcnt vmcnt(12)
	v_fmac_f64_e32 v[140:141], v[142:143], v[124:125]
	s_waitcnt vmcnt(10) lgkmcnt(2)
	v_fmac_f64_e32 v[140:141], v[144:145], v[126:127]
	buffer_load_dword v127, off, s[0:3], 0 offset:436
	buffer_load_dword v126, off, s[0:3], 0 offset:432
	s_waitcnt vmcnt(10)
	v_fmac_f64_e32 v[140:141], v[146:147], v[128:129]
	s_waitcnt vmcnt(8) lgkmcnt(1)
	v_fmac_f64_e32 v[140:141], v[148:149], v[130:131]
	s_waitcnt vmcnt(6)
	v_fmac_f64_e32 v[140:141], v[150:151], v[132:133]
	s_waitcnt vmcnt(4) lgkmcnt(0)
	v_fmac_f64_e32 v[140:141], v[152:153], v[134:135]
	s_waitcnt vmcnt(2)
	v_fmac_f64_e32 v[140:141], v[122:123], v[136:137]
	ds_read_b128 v[122:125], v120 offset:912
	s_waitcnt vmcnt(0) lgkmcnt(0)
	v_fmac_f64_e32 v[140:141], v[126:127], v[122:123]
	buffer_load_dword v123, off, s[0:3], 0 offset:444
	buffer_load_dword v122, off, s[0:3], 0 offset:440
	;; [unrolled: 1-line block ×4, first 2 shown]
	s_waitcnt vmcnt(2)
	v_fmac_f64_e32 v[140:141], v[122:123], v[124:125]
	ds_read_b128 v[122:125], v120 offset:928
	s_waitcnt vmcnt(0) lgkmcnt(0)
	v_fmac_f64_e32 v[140:141], v[126:127], v[122:123]
	buffer_load_dword v123, off, s[0:3], 0 offset:460
	buffer_load_dword v122, off, s[0:3], 0 offset:456
	s_waitcnt vmcnt(0)
	v_fmac_f64_e32 v[140:141], v[122:123], v[124:125]
	buffer_load_dword v123, off, s[0:3], 0 offset:468
	buffer_load_dword v122, off, s[0:3], 0 offset:464
	ds_read_b64 v[124:125], v120 offset:944
	s_waitcnt vmcnt(0) lgkmcnt(0)
	v_fmac_f64_e32 v[140:141], v[122:123], v[124:125]
	v_add_f64 v[122:123], v[138:139], -v[140:141]
	buffer_store_dword v123, off, s[0:3], 0 offset:364
	buffer_store_dword v122, off, s[0:3], 0 offset:360
	s_and_saveexec_b64 s[4:5], vcc
	s_cbranch_execz .LBB122_273
; %bb.272:
	buffer_load_dword v122, off, s[0:3], 0 offset:352
	buffer_load_dword v123, off, s[0:3], 0 offset:356
	s_waitcnt vmcnt(0)
	ds_write_b64 v1, v[122:123]
	buffer_store_dword v120, off, s[0:3], 0 offset:352
	buffer_store_dword v120, off, s[0:3], 0 offset:356
.LBB122_273:
	s_or_b64 exec, exec, s[4:5]
	s_waitcnt lgkmcnt(0)
	; wave barrier
	s_waitcnt lgkmcnt(0)
	buffer_load_dword v126, off, s[0:3], 0 offset:352
	buffer_load_dword v127, off, s[0:3], 0 offset:356
	;; [unrolled: 1-line block ×16, first 2 shown]
	ds_read2_b64 v[122:125], v120 offset0:105 offset1:106
	v_cmp_lt_u32_e32 vcc, 43, v0
	s_waitcnt vmcnt(12) lgkmcnt(0)
	v_fma_f64 v[128:129], v[128:129], v[122:123], 0
	s_waitcnt vmcnt(10)
	v_fmac_f64_e32 v[128:129], v[130:131], v[124:125]
	ds_read2_b64 v[122:125], v120 offset0:107 offset1:108
	s_waitcnt vmcnt(8) lgkmcnt(0)
	v_fmac_f64_e32 v[128:129], v[132:133], v[122:123]
	s_waitcnt vmcnt(6)
	v_fmac_f64_e32 v[128:129], v[134:135], v[124:125]
	ds_read2_b64 v[122:125], v120 offset0:109 offset1:110
	s_waitcnt vmcnt(4) lgkmcnt(0)
	v_fmac_f64_e32 v[128:129], v[136:137], v[122:123]
	;; [unrolled: 5-line block ×3, first 2 shown]
	buffer_load_dword v123, off, s[0:3], 0 offset:420
	buffer_load_dword v122, off, s[0:3], 0 offset:416
	;; [unrolled: 1-line block ×4, first 2 shown]
	s_waitcnt vmcnt(2)
	v_fmac_f64_e32 v[128:129], v[122:123], v[124:125]
	ds_read2_b64 v[122:125], v120 offset0:113 offset1:114
	s_waitcnt vmcnt(0) lgkmcnt(0)
	v_fmac_f64_e32 v[128:129], v[130:131], v[122:123]
	buffer_load_dword v123, off, s[0:3], 0 offset:436
	buffer_load_dword v122, off, s[0:3], 0 offset:432
	;; [unrolled: 1-line block ×4, first 2 shown]
	s_waitcnt vmcnt(2)
	v_fmac_f64_e32 v[128:129], v[122:123], v[124:125]
	ds_read2_b64 v[122:125], v120 offset0:115 offset1:116
	s_waitcnt vmcnt(0) lgkmcnt(0)
	v_fmac_f64_e32 v[128:129], v[130:131], v[122:123]
	buffer_load_dword v123, off, s[0:3], 0 offset:452
	buffer_load_dword v122, off, s[0:3], 0 offset:448
	s_waitcnt vmcnt(0)
	v_fmac_f64_e32 v[128:129], v[122:123], v[124:125]
	buffer_load_dword v125, off, s[0:3], 0 offset:460
	buffer_load_dword v124, off, s[0:3], 0 offset:456
	ds_read2_b64 v[120:123], v120 offset0:117 offset1:118
	s_waitcnt vmcnt(0) lgkmcnt(0)
	v_fmac_f64_e32 v[128:129], v[124:125], v[120:121]
	buffer_load_dword v121, off, s[0:3], 0 offset:468
	buffer_load_dword v120, off, s[0:3], 0 offset:464
	s_waitcnt vmcnt(0)
	v_fmac_f64_e32 v[128:129], v[120:121], v[122:123]
	v_add_f64 v[120:121], v[126:127], -v[128:129]
	buffer_store_dword v121, off, s[0:3], 0 offset:356
	buffer_store_dword v120, off, s[0:3], 0 offset:352
	s_and_saveexec_b64 s[4:5], vcc
	s_cbranch_execz .LBB122_275
; %bb.274:
	buffer_load_dword v120, off, s[0:3], 0 offset:344
	buffer_load_dword v121, off, s[0:3], 0 offset:348
	v_mov_b32_e32 v122, 0
	buffer_store_dword v122, off, s[0:3], 0 offset:344
	buffer_store_dword v122, off, s[0:3], 0 offset:348
	s_waitcnt vmcnt(2)
	ds_write_b64 v1, v[120:121]
.LBB122_275:
	s_or_b64 exec, exec, s[4:5]
	s_waitcnt lgkmcnt(0)
	; wave barrier
	s_waitcnt lgkmcnt(0)
	buffer_load_dword v138, off, s[0:3], 0 offset:344
	buffer_load_dword v139, off, s[0:3], 0 offset:348
	;; [unrolled: 1-line block ×16, first 2 shown]
	v_mov_b32_e32 v120, 0
	ds_read_b128 v[122:125], v120 offset:832
	ds_read_b128 v[126:129], v120 offset:848
	;; [unrolled: 1-line block ×4, first 2 shown]
	v_cmp_lt_u32_e32 vcc, 42, v0
	s_waitcnt vmcnt(12) lgkmcnt(3)
	v_fma_f64 v[140:141], v[140:141], v[122:123], 0
	buffer_load_dword v123, off, s[0:3], 0 offset:412
	buffer_load_dword v122, off, s[0:3], 0 offset:408
	s_waitcnt vmcnt(12)
	v_fmac_f64_e32 v[140:141], v[142:143], v[124:125]
	s_waitcnt vmcnt(10) lgkmcnt(2)
	v_fmac_f64_e32 v[140:141], v[144:145], v[126:127]
	buffer_load_dword v127, off, s[0:3], 0 offset:420
	buffer_load_dword v126, off, s[0:3], 0 offset:416
	s_waitcnt vmcnt(10)
	v_fmac_f64_e32 v[140:141], v[146:147], v[128:129]
	s_waitcnt vmcnt(8) lgkmcnt(1)
	v_fmac_f64_e32 v[140:141], v[148:149], v[130:131]
	s_waitcnt vmcnt(6)
	v_fmac_f64_e32 v[140:141], v[150:151], v[132:133]
	s_waitcnt vmcnt(4) lgkmcnt(0)
	v_fmac_f64_e32 v[140:141], v[152:153], v[134:135]
	s_waitcnt vmcnt(2)
	v_fmac_f64_e32 v[140:141], v[122:123], v[136:137]
	ds_read_b128 v[122:125], v120 offset:896
	s_waitcnt vmcnt(0) lgkmcnt(0)
	v_fmac_f64_e32 v[140:141], v[126:127], v[122:123]
	buffer_load_dword v123, off, s[0:3], 0 offset:428
	buffer_load_dword v122, off, s[0:3], 0 offset:424
	;; [unrolled: 1-line block ×4, first 2 shown]
	s_waitcnt vmcnt(2)
	v_fmac_f64_e32 v[140:141], v[122:123], v[124:125]
	ds_read_b128 v[122:125], v120 offset:912
	s_waitcnt vmcnt(0) lgkmcnt(0)
	v_fmac_f64_e32 v[140:141], v[126:127], v[122:123]
	buffer_load_dword v123, off, s[0:3], 0 offset:444
	buffer_load_dword v122, off, s[0:3], 0 offset:440
	;; [unrolled: 1-line block ×4, first 2 shown]
	s_waitcnt vmcnt(2)
	v_fmac_f64_e32 v[140:141], v[122:123], v[124:125]
	ds_read_b128 v[122:125], v120 offset:928
	s_waitcnt vmcnt(0) lgkmcnt(0)
	v_fmac_f64_e32 v[140:141], v[126:127], v[122:123]
	buffer_load_dword v123, off, s[0:3], 0 offset:460
	buffer_load_dword v122, off, s[0:3], 0 offset:456
	s_waitcnt vmcnt(0)
	v_fmac_f64_e32 v[140:141], v[122:123], v[124:125]
	buffer_load_dword v123, off, s[0:3], 0 offset:468
	buffer_load_dword v122, off, s[0:3], 0 offset:464
	ds_read_b64 v[124:125], v120 offset:944
	s_waitcnt vmcnt(0) lgkmcnt(0)
	v_fmac_f64_e32 v[140:141], v[122:123], v[124:125]
	v_add_f64 v[122:123], v[138:139], -v[140:141]
	buffer_store_dword v123, off, s[0:3], 0 offset:348
	buffer_store_dword v122, off, s[0:3], 0 offset:344
	s_and_saveexec_b64 s[4:5], vcc
	s_cbranch_execz .LBB122_277
; %bb.276:
	buffer_load_dword v122, off, s[0:3], 0 offset:336
	buffer_load_dword v123, off, s[0:3], 0 offset:340
	s_waitcnt vmcnt(0)
	ds_write_b64 v1, v[122:123]
	buffer_store_dword v120, off, s[0:3], 0 offset:336
	buffer_store_dword v120, off, s[0:3], 0 offset:340
.LBB122_277:
	s_or_b64 exec, exec, s[4:5]
	s_waitcnt lgkmcnt(0)
	; wave barrier
	s_waitcnt lgkmcnt(0)
	buffer_load_dword v126, off, s[0:3], 0 offset:336
	buffer_load_dword v127, off, s[0:3], 0 offset:340
	;; [unrolled: 1-line block ×16, first 2 shown]
	ds_read2_b64 v[122:125], v120 offset0:103 offset1:104
	v_cmp_lt_u32_e32 vcc, 41, v0
	s_waitcnt vmcnt(12) lgkmcnt(0)
	v_fma_f64 v[128:129], v[128:129], v[122:123], 0
	s_waitcnt vmcnt(10)
	v_fmac_f64_e32 v[128:129], v[130:131], v[124:125]
	ds_read2_b64 v[122:125], v120 offset0:105 offset1:106
	s_waitcnt vmcnt(8) lgkmcnt(0)
	v_fmac_f64_e32 v[128:129], v[132:133], v[122:123]
	s_waitcnt vmcnt(6)
	v_fmac_f64_e32 v[128:129], v[134:135], v[124:125]
	ds_read2_b64 v[122:125], v120 offset0:107 offset1:108
	s_waitcnt vmcnt(4) lgkmcnt(0)
	v_fmac_f64_e32 v[128:129], v[136:137], v[122:123]
	;; [unrolled: 5-line block ×3, first 2 shown]
	buffer_load_dword v123, off, s[0:3], 0 offset:404
	buffer_load_dword v122, off, s[0:3], 0 offset:400
	buffer_load_dword v131, off, s[0:3], 0 offset:412
	buffer_load_dword v130, off, s[0:3], 0 offset:408
	s_waitcnt vmcnt(2)
	v_fmac_f64_e32 v[128:129], v[122:123], v[124:125]
	ds_read2_b64 v[122:125], v120 offset0:111 offset1:112
	s_waitcnt vmcnt(0) lgkmcnt(0)
	v_fmac_f64_e32 v[128:129], v[130:131], v[122:123]
	buffer_load_dword v123, off, s[0:3], 0 offset:420
	buffer_load_dword v122, off, s[0:3], 0 offset:416
	buffer_load_dword v131, off, s[0:3], 0 offset:428
	buffer_load_dword v130, off, s[0:3], 0 offset:424
	s_waitcnt vmcnt(2)
	v_fmac_f64_e32 v[128:129], v[122:123], v[124:125]
	ds_read2_b64 v[122:125], v120 offset0:113 offset1:114
	s_waitcnt vmcnt(0) lgkmcnt(0)
	v_fmac_f64_e32 v[128:129], v[130:131], v[122:123]
	;; [unrolled: 9-line block ×3, first 2 shown]
	buffer_load_dword v123, off, s[0:3], 0 offset:452
	buffer_load_dword v122, off, s[0:3], 0 offset:448
	s_waitcnt vmcnt(0)
	v_fmac_f64_e32 v[128:129], v[122:123], v[124:125]
	buffer_load_dword v125, off, s[0:3], 0 offset:460
	buffer_load_dword v124, off, s[0:3], 0 offset:456
	ds_read2_b64 v[120:123], v120 offset0:117 offset1:118
	s_waitcnt vmcnt(0) lgkmcnt(0)
	v_fmac_f64_e32 v[128:129], v[124:125], v[120:121]
	buffer_load_dword v121, off, s[0:3], 0 offset:468
	buffer_load_dword v120, off, s[0:3], 0 offset:464
	s_waitcnt vmcnt(0)
	v_fmac_f64_e32 v[128:129], v[120:121], v[122:123]
	v_add_f64 v[120:121], v[126:127], -v[128:129]
	buffer_store_dword v121, off, s[0:3], 0 offset:340
	buffer_store_dword v120, off, s[0:3], 0 offset:336
	s_and_saveexec_b64 s[4:5], vcc
	s_cbranch_execz .LBB122_279
; %bb.278:
	buffer_load_dword v120, off, s[0:3], 0 offset:328
	buffer_load_dword v121, off, s[0:3], 0 offset:332
	v_mov_b32_e32 v122, 0
	buffer_store_dword v122, off, s[0:3], 0 offset:328
	buffer_store_dword v122, off, s[0:3], 0 offset:332
	s_waitcnt vmcnt(2)
	ds_write_b64 v1, v[120:121]
.LBB122_279:
	s_or_b64 exec, exec, s[4:5]
	s_waitcnt lgkmcnt(0)
	; wave barrier
	s_waitcnt lgkmcnt(0)
	buffer_load_dword v120, off, s[0:3], 0 offset:328
	buffer_load_dword v121, off, s[0:3], 0 offset:332
	;; [unrolled: 1-line block ×16, first 2 shown]
	v_mov_b32_e32 v124, 0
	ds_read_b128 v[126:129], v124 offset:816
	ds_read_b128 v[130:133], v124 offset:832
	;; [unrolled: 1-line block ×4, first 2 shown]
	v_cmp_lt_u32_e32 vcc, 40, v0
	s_waitcnt vmcnt(12) lgkmcnt(3)
	v_fma_f64 v[122:123], v[122:123], v[126:127], 0
	buffer_load_dword v127, off, s[0:3], 0 offset:396
	buffer_load_dword v126, off, s[0:3], 0 offset:392
	s_waitcnt vmcnt(12)
	v_fmac_f64_e32 v[122:123], v[142:143], v[128:129]
	s_waitcnt vmcnt(10) lgkmcnt(2)
	v_fmac_f64_e32 v[122:123], v[144:145], v[130:131]
	buffer_load_dword v131, off, s[0:3], 0 offset:404
	buffer_load_dword v130, off, s[0:3], 0 offset:400
	s_waitcnt vmcnt(10)
	v_fmac_f64_e32 v[122:123], v[146:147], v[132:133]
	s_waitcnt vmcnt(8) lgkmcnt(1)
	v_fmac_f64_e32 v[122:123], v[148:149], v[134:135]
	s_waitcnt vmcnt(6)
	v_fmac_f64_e32 v[122:123], v[150:151], v[136:137]
	s_waitcnt vmcnt(4) lgkmcnt(0)
	v_fmac_f64_e32 v[122:123], v[152:153], v[138:139]
	s_waitcnt vmcnt(2)
	v_fmac_f64_e32 v[122:123], v[126:127], v[140:141]
	ds_read_b128 v[126:129], v124 offset:880
	s_waitcnt vmcnt(0) lgkmcnt(0)
	v_fmac_f64_e32 v[122:123], v[130:131], v[126:127]
	buffer_load_dword v127, off, s[0:3], 0 offset:412
	buffer_load_dword v126, off, s[0:3], 0 offset:408
	buffer_load_dword v131, off, s[0:3], 0 offset:420
	buffer_load_dword v130, off, s[0:3], 0 offset:416
	s_waitcnt vmcnt(2)
	v_fmac_f64_e32 v[122:123], v[126:127], v[128:129]
	ds_read_b128 v[126:129], v124 offset:896
	s_waitcnt vmcnt(0) lgkmcnt(0)
	v_fmac_f64_e32 v[122:123], v[130:131], v[126:127]
	buffer_load_dword v127, off, s[0:3], 0 offset:428
	buffer_load_dword v126, off, s[0:3], 0 offset:424
	buffer_load_dword v131, off, s[0:3], 0 offset:436
	buffer_load_dword v130, off, s[0:3], 0 offset:432
	;; [unrolled: 9-line block ×3, first 2 shown]
	s_waitcnt vmcnt(2)
	v_fmac_f64_e32 v[122:123], v[126:127], v[128:129]
	ds_read_b128 v[126:129], v124 offset:928
	s_waitcnt vmcnt(0) lgkmcnt(0)
	v_fmac_f64_e32 v[122:123], v[130:131], v[126:127]
	buffer_load_dword v127, off, s[0:3], 0 offset:460
	buffer_load_dword v126, off, s[0:3], 0 offset:456
	s_waitcnt vmcnt(0)
	v_fmac_f64_e32 v[122:123], v[126:127], v[128:129]
	buffer_load_dword v127, off, s[0:3], 0 offset:468
	buffer_load_dword v126, off, s[0:3], 0 offset:464
	ds_read_b64 v[128:129], v124 offset:944
	s_waitcnt vmcnt(0) lgkmcnt(0)
	v_fmac_f64_e32 v[122:123], v[126:127], v[128:129]
	v_add_f64 v[120:121], v[120:121], -v[122:123]
	buffer_store_dword v121, off, s[0:3], 0 offset:332
	buffer_store_dword v120, off, s[0:3], 0 offset:328
	s_and_saveexec_b64 s[4:5], vcc
	s_cbranch_execz .LBB122_281
; %bb.280:
	buffer_load_dword v120, off, s[0:3], 0 offset:320
	buffer_load_dword v121, off, s[0:3], 0 offset:324
	s_waitcnt vmcnt(0)
	ds_write_b64 v1, v[120:121]
	buffer_store_dword v124, off, s[0:3], 0 offset:320
	buffer_store_dword v124, off, s[0:3], 0 offset:324
.LBB122_281:
	s_or_b64 exec, exec, s[4:5]
	s_waitcnt lgkmcnt(0)
	; wave barrier
	s_waitcnt lgkmcnt(0)
	buffer_load_dword v120, off, s[0:3], 0 offset:320
	buffer_load_dword v121, off, s[0:3], 0 offset:324
	buffer_load_dword v122, off, s[0:3], 0 offset:328
	buffer_load_dword v123, off, s[0:3], 0 offset:332
	buffer_load_dword v130, off, s[0:3], 0 offset:336
	buffer_load_dword v131, off, s[0:3], 0 offset:340
	buffer_load_dword v132, off, s[0:3], 0 offset:344
	buffer_load_dword v133, off, s[0:3], 0 offset:348
	buffer_load_dword v134, off, s[0:3], 0 offset:352
	buffer_load_dword v135, off, s[0:3], 0 offset:356
	buffer_load_dword v136, off, s[0:3], 0 offset:360
	buffer_load_dword v137, off, s[0:3], 0 offset:364
	buffer_load_dword v138, off, s[0:3], 0 offset:368
	buffer_load_dword v139, off, s[0:3], 0 offset:372
	buffer_load_dword v140, off, s[0:3], 0 offset:376
	buffer_load_dword v141, off, s[0:3], 0 offset:380
	ds_read2_b64 v[126:129], v124 offset0:101 offset1:102
	v_cmp_lt_u32_e32 vcc, 39, v0
	s_waitcnt vmcnt(12) lgkmcnt(0)
	v_fma_f64 v[122:123], v[122:123], v[126:127], 0
	s_waitcnt vmcnt(10)
	v_fmac_f64_e32 v[122:123], v[130:131], v[128:129]
	ds_read2_b64 v[126:129], v124 offset0:103 offset1:104
	s_waitcnt vmcnt(8) lgkmcnt(0)
	v_fmac_f64_e32 v[122:123], v[132:133], v[126:127]
	s_waitcnt vmcnt(6)
	v_fmac_f64_e32 v[122:123], v[134:135], v[128:129]
	ds_read2_b64 v[126:129], v124 offset0:105 offset1:106
	s_waitcnt vmcnt(4) lgkmcnt(0)
	v_fmac_f64_e32 v[122:123], v[136:137], v[126:127]
	;; [unrolled: 5-line block ×3, first 2 shown]
	buffer_load_dword v127, off, s[0:3], 0 offset:388
	buffer_load_dword v126, off, s[0:3], 0 offset:384
	buffer_load_dword v131, off, s[0:3], 0 offset:396
	buffer_load_dword v130, off, s[0:3], 0 offset:392
	s_waitcnt vmcnt(2)
	v_fmac_f64_e32 v[122:123], v[126:127], v[128:129]
	ds_read2_b64 v[126:129], v124 offset0:109 offset1:110
	s_waitcnt vmcnt(0) lgkmcnt(0)
	v_fmac_f64_e32 v[122:123], v[130:131], v[126:127]
	buffer_load_dword v127, off, s[0:3], 0 offset:404
	buffer_load_dword v126, off, s[0:3], 0 offset:400
	buffer_load_dword v131, off, s[0:3], 0 offset:412
	buffer_load_dword v130, off, s[0:3], 0 offset:408
	s_waitcnt vmcnt(2)
	v_fmac_f64_e32 v[122:123], v[126:127], v[128:129]
	ds_read2_b64 v[126:129], v124 offset0:111 offset1:112
	s_waitcnt vmcnt(0) lgkmcnt(0)
	v_fmac_f64_e32 v[122:123], v[130:131], v[126:127]
	;; [unrolled: 9-line block ×4, first 2 shown]
	buffer_load_dword v127, off, s[0:3], 0 offset:452
	buffer_load_dword v126, off, s[0:3], 0 offset:448
	s_waitcnt vmcnt(0)
	v_fmac_f64_e32 v[122:123], v[126:127], v[128:129]
	buffer_load_dword v129, off, s[0:3], 0 offset:460
	buffer_load_dword v128, off, s[0:3], 0 offset:456
	ds_read2_b64 v[124:127], v124 offset0:117 offset1:118
	s_waitcnt vmcnt(0) lgkmcnt(0)
	v_fmac_f64_e32 v[122:123], v[128:129], v[124:125]
	buffer_load_dword v125, off, s[0:3], 0 offset:468
	buffer_load_dword v124, off, s[0:3], 0 offset:464
	s_waitcnt vmcnt(0)
	v_fmac_f64_e32 v[122:123], v[124:125], v[126:127]
	v_add_f64 v[120:121], v[120:121], -v[122:123]
	buffer_store_dword v121, off, s[0:3], 0 offset:324
	buffer_store_dword v120, off, s[0:3], 0 offset:320
	s_and_saveexec_b64 s[4:5], vcc
	s_cbranch_execz .LBB122_283
; %bb.282:
	buffer_load_dword v120, off, s[0:3], 0 offset:312
	buffer_load_dword v121, off, s[0:3], 0 offset:316
	v_mov_b32_e32 v122, 0
	buffer_store_dword v122, off, s[0:3], 0 offset:312
	buffer_store_dword v122, off, s[0:3], 0 offset:316
	s_waitcnt vmcnt(2)
	ds_write_b64 v1, v[120:121]
.LBB122_283:
	s_or_b64 exec, exec, s[4:5]
	s_waitcnt lgkmcnt(0)
	; wave barrier
	s_waitcnt lgkmcnt(0)
	buffer_load_dword v120, off, s[0:3], 0 offset:312
	buffer_load_dword v121, off, s[0:3], 0 offset:316
	;; [unrolled: 1-line block ×16, first 2 shown]
	v_mov_b32_e32 v124, 0
	ds_read_b128 v[126:129], v124 offset:800
	ds_read_b128 v[130:133], v124 offset:816
	;; [unrolled: 1-line block ×4, first 2 shown]
	v_cmp_lt_u32_e32 vcc, 38, v0
	s_waitcnt vmcnt(12) lgkmcnt(3)
	v_fma_f64 v[122:123], v[122:123], v[126:127], 0
	buffer_load_dword v127, off, s[0:3], 0 offset:380
	buffer_load_dword v126, off, s[0:3], 0 offset:376
	s_waitcnt vmcnt(12)
	v_fmac_f64_e32 v[122:123], v[142:143], v[128:129]
	s_waitcnt vmcnt(10) lgkmcnt(2)
	v_fmac_f64_e32 v[122:123], v[144:145], v[130:131]
	buffer_load_dword v131, off, s[0:3], 0 offset:388
	buffer_load_dword v130, off, s[0:3], 0 offset:384
	s_waitcnt vmcnt(10)
	v_fmac_f64_e32 v[122:123], v[146:147], v[132:133]
	s_waitcnt vmcnt(8) lgkmcnt(1)
	v_fmac_f64_e32 v[122:123], v[148:149], v[134:135]
	s_waitcnt vmcnt(6)
	v_fmac_f64_e32 v[122:123], v[150:151], v[136:137]
	s_waitcnt vmcnt(4) lgkmcnt(0)
	v_fmac_f64_e32 v[122:123], v[152:153], v[138:139]
	s_waitcnt vmcnt(2)
	v_fmac_f64_e32 v[122:123], v[126:127], v[140:141]
	ds_read_b128 v[126:129], v124 offset:864
	s_waitcnt vmcnt(0) lgkmcnt(0)
	v_fmac_f64_e32 v[122:123], v[130:131], v[126:127]
	buffer_load_dword v127, off, s[0:3], 0 offset:396
	buffer_load_dword v126, off, s[0:3], 0 offset:392
	buffer_load_dword v131, off, s[0:3], 0 offset:404
	buffer_load_dword v130, off, s[0:3], 0 offset:400
	s_waitcnt vmcnt(2)
	v_fmac_f64_e32 v[122:123], v[126:127], v[128:129]
	ds_read_b128 v[126:129], v124 offset:880
	s_waitcnt vmcnt(0) lgkmcnt(0)
	v_fmac_f64_e32 v[122:123], v[130:131], v[126:127]
	buffer_load_dword v127, off, s[0:3], 0 offset:412
	buffer_load_dword v126, off, s[0:3], 0 offset:408
	buffer_load_dword v131, off, s[0:3], 0 offset:420
	buffer_load_dword v130, off, s[0:3], 0 offset:416
	;; [unrolled: 9-line block ×4, first 2 shown]
	s_waitcnt vmcnt(2)
	v_fmac_f64_e32 v[122:123], v[126:127], v[128:129]
	ds_read_b128 v[126:129], v124 offset:928
	s_waitcnt vmcnt(0) lgkmcnt(0)
	v_fmac_f64_e32 v[122:123], v[130:131], v[126:127]
	buffer_load_dword v127, off, s[0:3], 0 offset:460
	buffer_load_dword v126, off, s[0:3], 0 offset:456
	s_waitcnt vmcnt(0)
	v_fmac_f64_e32 v[122:123], v[126:127], v[128:129]
	buffer_load_dword v127, off, s[0:3], 0 offset:468
	buffer_load_dword v126, off, s[0:3], 0 offset:464
	ds_read_b64 v[128:129], v124 offset:944
	s_waitcnt vmcnt(0) lgkmcnt(0)
	v_fmac_f64_e32 v[122:123], v[126:127], v[128:129]
	v_add_f64 v[120:121], v[120:121], -v[122:123]
	buffer_store_dword v121, off, s[0:3], 0 offset:316
	buffer_store_dword v120, off, s[0:3], 0 offset:312
	s_and_saveexec_b64 s[4:5], vcc
	s_cbranch_execz .LBB122_285
; %bb.284:
	buffer_load_dword v120, off, s[0:3], 0 offset:304
	buffer_load_dword v121, off, s[0:3], 0 offset:308
	s_waitcnt vmcnt(0)
	ds_write_b64 v1, v[120:121]
	buffer_store_dword v124, off, s[0:3], 0 offset:304
	buffer_store_dword v124, off, s[0:3], 0 offset:308
.LBB122_285:
	s_or_b64 exec, exec, s[4:5]
	s_waitcnt lgkmcnt(0)
	; wave barrier
	s_waitcnt lgkmcnt(0)
	buffer_load_dword v120, off, s[0:3], 0 offset:304
	buffer_load_dword v121, off, s[0:3], 0 offset:308
	;; [unrolled: 1-line block ×16, first 2 shown]
	ds_read2_b64 v[126:129], v124 offset0:99 offset1:100
	v_cmp_lt_u32_e32 vcc, 37, v0
	s_waitcnt vmcnt(12) lgkmcnt(0)
	v_fma_f64 v[122:123], v[122:123], v[126:127], 0
	s_waitcnt vmcnt(10)
	v_fmac_f64_e32 v[122:123], v[130:131], v[128:129]
	ds_read2_b64 v[126:129], v124 offset0:101 offset1:102
	s_waitcnt vmcnt(8) lgkmcnt(0)
	v_fmac_f64_e32 v[122:123], v[132:133], v[126:127]
	s_waitcnt vmcnt(6)
	v_fmac_f64_e32 v[122:123], v[134:135], v[128:129]
	ds_read2_b64 v[126:129], v124 offset0:103 offset1:104
	s_waitcnt vmcnt(4) lgkmcnt(0)
	v_fmac_f64_e32 v[122:123], v[136:137], v[126:127]
	;; [unrolled: 5-line block ×3, first 2 shown]
	buffer_load_dword v127, off, s[0:3], 0 offset:372
	buffer_load_dword v126, off, s[0:3], 0 offset:368
	buffer_load_dword v131, off, s[0:3], 0 offset:380
	buffer_load_dword v130, off, s[0:3], 0 offset:376
	s_waitcnt vmcnt(2)
	v_fmac_f64_e32 v[122:123], v[126:127], v[128:129]
	ds_read2_b64 v[126:129], v124 offset0:107 offset1:108
	s_waitcnt vmcnt(0) lgkmcnt(0)
	v_fmac_f64_e32 v[122:123], v[130:131], v[126:127]
	buffer_load_dword v127, off, s[0:3], 0 offset:388
	buffer_load_dword v126, off, s[0:3], 0 offset:384
	buffer_load_dword v131, off, s[0:3], 0 offset:396
	buffer_load_dword v130, off, s[0:3], 0 offset:392
	s_waitcnt vmcnt(2)
	v_fmac_f64_e32 v[122:123], v[126:127], v[128:129]
	ds_read2_b64 v[126:129], v124 offset0:109 offset1:110
	s_waitcnt vmcnt(0) lgkmcnt(0)
	v_fmac_f64_e32 v[122:123], v[130:131], v[126:127]
	buffer_load_dword v127, off, s[0:3], 0 offset:404
	buffer_load_dword v126, off, s[0:3], 0 offset:400
	buffer_load_dword v131, off, s[0:3], 0 offset:412
	buffer_load_dword v130, off, s[0:3], 0 offset:408
	s_waitcnt vmcnt(2)
	v_fmac_f64_e32 v[122:123], v[126:127], v[128:129]
	ds_read2_b64 v[126:129], v124 offset0:111 offset1:112
	s_waitcnt vmcnt(0) lgkmcnt(0)
	v_fmac_f64_e32 v[122:123], v[130:131], v[126:127]
	buffer_load_dword v127, off, s[0:3], 0 offset:420
	buffer_load_dword v126, off, s[0:3], 0 offset:416
	buffer_load_dword v131, off, s[0:3], 0 offset:428
	buffer_load_dword v130, off, s[0:3], 0 offset:424
	s_waitcnt vmcnt(2)
	v_fmac_f64_e32 v[122:123], v[126:127], v[128:129]
	ds_read2_b64 v[126:129], v124 offset0:113 offset1:114
	s_waitcnt vmcnt(0) lgkmcnt(0)
	v_fmac_f64_e32 v[122:123], v[130:131], v[126:127]
	buffer_load_dword v127, off, s[0:3], 0 offset:436
	buffer_load_dword v126, off, s[0:3], 0 offset:432
	buffer_load_dword v131, off, s[0:3], 0 offset:444
	buffer_load_dword v130, off, s[0:3], 0 offset:440
	s_waitcnt vmcnt(2)
	v_fmac_f64_e32 v[122:123], v[126:127], v[128:129]
	ds_read2_b64 v[126:129], v124 offset0:115 offset1:116
	s_waitcnt vmcnt(0) lgkmcnt(0)
	v_fmac_f64_e32 v[122:123], v[130:131], v[126:127]
	buffer_load_dword v127, off, s[0:3], 0 offset:452
	buffer_load_dword v126, off, s[0:3], 0 offset:448
	s_waitcnt vmcnt(0)
	v_fmac_f64_e32 v[122:123], v[126:127], v[128:129]
	buffer_load_dword v129, off, s[0:3], 0 offset:460
	buffer_load_dword v128, off, s[0:3], 0 offset:456
	ds_read2_b64 v[124:127], v124 offset0:117 offset1:118
	s_waitcnt vmcnt(0) lgkmcnt(0)
	v_fmac_f64_e32 v[122:123], v[128:129], v[124:125]
	buffer_load_dword v125, off, s[0:3], 0 offset:468
	buffer_load_dword v124, off, s[0:3], 0 offset:464
	s_waitcnt vmcnt(0)
	v_fmac_f64_e32 v[122:123], v[124:125], v[126:127]
	v_add_f64 v[120:121], v[120:121], -v[122:123]
	buffer_store_dword v121, off, s[0:3], 0 offset:308
	buffer_store_dword v120, off, s[0:3], 0 offset:304
	s_and_saveexec_b64 s[4:5], vcc
	s_cbranch_execz .LBB122_287
; %bb.286:
	buffer_load_dword v120, off, s[0:3], 0 offset:296
	buffer_load_dword v121, off, s[0:3], 0 offset:300
	v_mov_b32_e32 v122, 0
	buffer_store_dword v122, off, s[0:3], 0 offset:296
	buffer_store_dword v122, off, s[0:3], 0 offset:300
	s_waitcnt vmcnt(2)
	ds_write_b64 v1, v[120:121]
.LBB122_287:
	s_or_b64 exec, exec, s[4:5]
	s_waitcnt lgkmcnt(0)
	; wave barrier
	s_waitcnt lgkmcnt(0)
	buffer_load_dword v120, off, s[0:3], 0 offset:296
	buffer_load_dword v121, off, s[0:3], 0 offset:300
	;; [unrolled: 1-line block ×16, first 2 shown]
	v_mov_b32_e32 v124, 0
	ds_read_b128 v[126:129], v124 offset:784
	ds_read_b128 v[130:133], v124 offset:800
	;; [unrolled: 1-line block ×4, first 2 shown]
	v_cmp_lt_u32_e32 vcc, 36, v0
	s_waitcnt vmcnt(12) lgkmcnt(3)
	v_fma_f64 v[122:123], v[122:123], v[126:127], 0
	buffer_load_dword v127, off, s[0:3], 0 offset:364
	buffer_load_dword v126, off, s[0:3], 0 offset:360
	s_waitcnt vmcnt(12)
	v_fmac_f64_e32 v[122:123], v[142:143], v[128:129]
	s_waitcnt vmcnt(10) lgkmcnt(2)
	v_fmac_f64_e32 v[122:123], v[144:145], v[130:131]
	buffer_load_dword v131, off, s[0:3], 0 offset:372
	buffer_load_dword v130, off, s[0:3], 0 offset:368
	s_waitcnt vmcnt(10)
	v_fmac_f64_e32 v[122:123], v[146:147], v[132:133]
	s_waitcnt vmcnt(8) lgkmcnt(1)
	v_fmac_f64_e32 v[122:123], v[148:149], v[134:135]
	s_waitcnt vmcnt(6)
	v_fmac_f64_e32 v[122:123], v[150:151], v[136:137]
	s_waitcnt vmcnt(4) lgkmcnt(0)
	v_fmac_f64_e32 v[122:123], v[152:153], v[138:139]
	s_waitcnt vmcnt(2)
	v_fmac_f64_e32 v[122:123], v[126:127], v[140:141]
	ds_read_b128 v[126:129], v124 offset:848
	s_waitcnt vmcnt(0) lgkmcnt(0)
	v_fmac_f64_e32 v[122:123], v[130:131], v[126:127]
	buffer_load_dword v127, off, s[0:3], 0 offset:380
	buffer_load_dword v126, off, s[0:3], 0 offset:376
	buffer_load_dword v131, off, s[0:3], 0 offset:388
	buffer_load_dword v130, off, s[0:3], 0 offset:384
	s_waitcnt vmcnt(2)
	v_fmac_f64_e32 v[122:123], v[126:127], v[128:129]
	ds_read_b128 v[126:129], v124 offset:864
	s_waitcnt vmcnt(0) lgkmcnt(0)
	v_fmac_f64_e32 v[122:123], v[130:131], v[126:127]
	buffer_load_dword v127, off, s[0:3], 0 offset:396
	buffer_load_dword v126, off, s[0:3], 0 offset:392
	buffer_load_dword v131, off, s[0:3], 0 offset:404
	buffer_load_dword v130, off, s[0:3], 0 offset:400
	;; [unrolled: 9-line block ×5, first 2 shown]
	s_waitcnt vmcnt(2)
	v_fmac_f64_e32 v[122:123], v[126:127], v[128:129]
	ds_read_b128 v[126:129], v124 offset:928
	s_waitcnt vmcnt(0) lgkmcnt(0)
	v_fmac_f64_e32 v[122:123], v[130:131], v[126:127]
	buffer_load_dword v127, off, s[0:3], 0 offset:460
	buffer_load_dword v126, off, s[0:3], 0 offset:456
	s_waitcnt vmcnt(0)
	v_fmac_f64_e32 v[122:123], v[126:127], v[128:129]
	buffer_load_dword v127, off, s[0:3], 0 offset:468
	buffer_load_dword v126, off, s[0:3], 0 offset:464
	ds_read_b64 v[128:129], v124 offset:944
	s_waitcnt vmcnt(0) lgkmcnt(0)
	v_fmac_f64_e32 v[122:123], v[126:127], v[128:129]
	v_add_f64 v[120:121], v[120:121], -v[122:123]
	buffer_store_dword v121, off, s[0:3], 0 offset:300
	buffer_store_dword v120, off, s[0:3], 0 offset:296
	s_and_saveexec_b64 s[4:5], vcc
	s_cbranch_execz .LBB122_289
; %bb.288:
	buffer_load_dword v120, off, s[0:3], 0 offset:288
	buffer_load_dword v121, off, s[0:3], 0 offset:292
	s_waitcnt vmcnt(0)
	ds_write_b64 v1, v[120:121]
	buffer_store_dword v124, off, s[0:3], 0 offset:288
	buffer_store_dword v124, off, s[0:3], 0 offset:292
.LBB122_289:
	s_or_b64 exec, exec, s[4:5]
	s_waitcnt lgkmcnt(0)
	; wave barrier
	s_waitcnt lgkmcnt(0)
	buffer_load_dword v120, off, s[0:3], 0 offset:288
	buffer_load_dword v121, off, s[0:3], 0 offset:292
	;; [unrolled: 1-line block ×16, first 2 shown]
	ds_read2_b64 v[126:129], v124 offset0:97 offset1:98
	v_cmp_lt_u32_e32 vcc, 35, v0
	s_waitcnt vmcnt(12) lgkmcnt(0)
	v_fma_f64 v[122:123], v[122:123], v[126:127], 0
	s_waitcnt vmcnt(10)
	v_fmac_f64_e32 v[122:123], v[130:131], v[128:129]
	ds_read2_b64 v[126:129], v124 offset0:99 offset1:100
	s_waitcnt vmcnt(8) lgkmcnt(0)
	v_fmac_f64_e32 v[122:123], v[132:133], v[126:127]
	s_waitcnt vmcnt(6)
	v_fmac_f64_e32 v[122:123], v[134:135], v[128:129]
	ds_read2_b64 v[126:129], v124 offset0:101 offset1:102
	s_waitcnt vmcnt(4) lgkmcnt(0)
	v_fmac_f64_e32 v[122:123], v[136:137], v[126:127]
	;; [unrolled: 5-line block ×3, first 2 shown]
	buffer_load_dword v127, off, s[0:3], 0 offset:356
	buffer_load_dword v126, off, s[0:3], 0 offset:352
	buffer_load_dword v131, off, s[0:3], 0 offset:364
	buffer_load_dword v130, off, s[0:3], 0 offset:360
	s_waitcnt vmcnt(2)
	v_fmac_f64_e32 v[122:123], v[126:127], v[128:129]
	ds_read2_b64 v[126:129], v124 offset0:105 offset1:106
	s_waitcnt vmcnt(0) lgkmcnt(0)
	v_fmac_f64_e32 v[122:123], v[130:131], v[126:127]
	buffer_load_dword v127, off, s[0:3], 0 offset:372
	buffer_load_dword v126, off, s[0:3], 0 offset:368
	buffer_load_dword v131, off, s[0:3], 0 offset:380
	buffer_load_dword v130, off, s[0:3], 0 offset:376
	s_waitcnt vmcnt(2)
	v_fmac_f64_e32 v[122:123], v[126:127], v[128:129]
	ds_read2_b64 v[126:129], v124 offset0:107 offset1:108
	s_waitcnt vmcnt(0) lgkmcnt(0)
	v_fmac_f64_e32 v[122:123], v[130:131], v[126:127]
	buffer_load_dword v127, off, s[0:3], 0 offset:388
	buffer_load_dword v126, off, s[0:3], 0 offset:384
	buffer_load_dword v131, off, s[0:3], 0 offset:396
	buffer_load_dword v130, off, s[0:3], 0 offset:392
	s_waitcnt vmcnt(2)
	v_fmac_f64_e32 v[122:123], v[126:127], v[128:129]
	ds_read2_b64 v[126:129], v124 offset0:109 offset1:110
	s_waitcnt vmcnt(0) lgkmcnt(0)
	v_fmac_f64_e32 v[122:123], v[130:131], v[126:127]
	buffer_load_dword v127, off, s[0:3], 0 offset:404
	buffer_load_dword v126, off, s[0:3], 0 offset:400
	buffer_load_dword v131, off, s[0:3], 0 offset:412
	buffer_load_dword v130, off, s[0:3], 0 offset:408
	s_waitcnt vmcnt(2)
	v_fmac_f64_e32 v[122:123], v[126:127], v[128:129]
	ds_read2_b64 v[126:129], v124 offset0:111 offset1:112
	s_waitcnt vmcnt(0) lgkmcnt(0)
	v_fmac_f64_e32 v[122:123], v[130:131], v[126:127]
	buffer_load_dword v127, off, s[0:3], 0 offset:420
	buffer_load_dword v126, off, s[0:3], 0 offset:416
	buffer_load_dword v131, off, s[0:3], 0 offset:428
	buffer_load_dword v130, off, s[0:3], 0 offset:424
	s_waitcnt vmcnt(2)
	v_fmac_f64_e32 v[122:123], v[126:127], v[128:129]
	ds_read2_b64 v[126:129], v124 offset0:113 offset1:114
	s_waitcnt vmcnt(0) lgkmcnt(0)
	v_fmac_f64_e32 v[122:123], v[130:131], v[126:127]
	buffer_load_dword v127, off, s[0:3], 0 offset:436
	buffer_load_dword v126, off, s[0:3], 0 offset:432
	buffer_load_dword v131, off, s[0:3], 0 offset:444
	buffer_load_dword v130, off, s[0:3], 0 offset:440
	s_waitcnt vmcnt(2)
	v_fmac_f64_e32 v[122:123], v[126:127], v[128:129]
	ds_read2_b64 v[126:129], v124 offset0:115 offset1:116
	s_waitcnt vmcnt(0) lgkmcnt(0)
	v_fmac_f64_e32 v[122:123], v[130:131], v[126:127]
	buffer_load_dword v127, off, s[0:3], 0 offset:452
	buffer_load_dword v126, off, s[0:3], 0 offset:448
	s_waitcnt vmcnt(0)
	v_fmac_f64_e32 v[122:123], v[126:127], v[128:129]
	buffer_load_dword v129, off, s[0:3], 0 offset:460
	buffer_load_dword v128, off, s[0:3], 0 offset:456
	ds_read2_b64 v[124:127], v124 offset0:117 offset1:118
	s_waitcnt vmcnt(0) lgkmcnt(0)
	v_fmac_f64_e32 v[122:123], v[128:129], v[124:125]
	buffer_load_dword v125, off, s[0:3], 0 offset:468
	buffer_load_dword v124, off, s[0:3], 0 offset:464
	s_waitcnt vmcnt(0)
	v_fmac_f64_e32 v[122:123], v[124:125], v[126:127]
	v_add_f64 v[120:121], v[120:121], -v[122:123]
	buffer_store_dword v121, off, s[0:3], 0 offset:292
	buffer_store_dword v120, off, s[0:3], 0 offset:288
	s_and_saveexec_b64 s[4:5], vcc
	s_cbranch_execz .LBB122_291
; %bb.290:
	buffer_load_dword v120, off, s[0:3], 0 offset:280
	buffer_load_dword v121, off, s[0:3], 0 offset:284
	v_mov_b32_e32 v122, 0
	buffer_store_dword v122, off, s[0:3], 0 offset:280
	buffer_store_dword v122, off, s[0:3], 0 offset:284
	s_waitcnt vmcnt(2)
	ds_write_b64 v1, v[120:121]
.LBB122_291:
	s_or_b64 exec, exec, s[4:5]
	s_waitcnt lgkmcnt(0)
	; wave barrier
	s_waitcnt lgkmcnt(0)
	buffer_load_dword v120, off, s[0:3], 0 offset:280
	buffer_load_dword v121, off, s[0:3], 0 offset:284
	;; [unrolled: 1-line block ×16, first 2 shown]
	v_mov_b32_e32 v124, 0
	ds_read_b128 v[126:129], v124 offset:768
	ds_read_b128 v[130:133], v124 offset:784
	;; [unrolled: 1-line block ×4, first 2 shown]
	v_cmp_lt_u32_e32 vcc, 34, v0
	s_waitcnt vmcnt(12) lgkmcnt(3)
	v_fma_f64 v[122:123], v[122:123], v[126:127], 0
	buffer_load_dword v127, off, s[0:3], 0 offset:348
	buffer_load_dword v126, off, s[0:3], 0 offset:344
	s_waitcnt vmcnt(12)
	v_fmac_f64_e32 v[122:123], v[142:143], v[128:129]
	s_waitcnt vmcnt(10) lgkmcnt(2)
	v_fmac_f64_e32 v[122:123], v[144:145], v[130:131]
	buffer_load_dword v131, off, s[0:3], 0 offset:356
	buffer_load_dword v130, off, s[0:3], 0 offset:352
	s_waitcnt vmcnt(10)
	v_fmac_f64_e32 v[122:123], v[146:147], v[132:133]
	s_waitcnt vmcnt(8) lgkmcnt(1)
	v_fmac_f64_e32 v[122:123], v[148:149], v[134:135]
	s_waitcnt vmcnt(6)
	v_fmac_f64_e32 v[122:123], v[150:151], v[136:137]
	s_waitcnt vmcnt(4) lgkmcnt(0)
	v_fmac_f64_e32 v[122:123], v[152:153], v[138:139]
	s_waitcnt vmcnt(2)
	v_fmac_f64_e32 v[122:123], v[126:127], v[140:141]
	ds_read_b128 v[126:129], v124 offset:832
	s_waitcnt vmcnt(0) lgkmcnt(0)
	v_fmac_f64_e32 v[122:123], v[130:131], v[126:127]
	buffer_load_dword v127, off, s[0:3], 0 offset:364
	buffer_load_dword v126, off, s[0:3], 0 offset:360
	buffer_load_dword v131, off, s[0:3], 0 offset:372
	buffer_load_dword v130, off, s[0:3], 0 offset:368
	s_waitcnt vmcnt(2)
	v_fmac_f64_e32 v[122:123], v[126:127], v[128:129]
	ds_read_b128 v[126:129], v124 offset:848
	s_waitcnt vmcnt(0) lgkmcnt(0)
	v_fmac_f64_e32 v[122:123], v[130:131], v[126:127]
	buffer_load_dword v127, off, s[0:3], 0 offset:380
	buffer_load_dword v126, off, s[0:3], 0 offset:376
	buffer_load_dword v131, off, s[0:3], 0 offset:388
	buffer_load_dword v130, off, s[0:3], 0 offset:384
	;; [unrolled: 9-line block ×6, first 2 shown]
	s_waitcnt vmcnt(2)
	v_fmac_f64_e32 v[122:123], v[126:127], v[128:129]
	ds_read_b128 v[126:129], v124 offset:928
	s_waitcnt vmcnt(0) lgkmcnt(0)
	v_fmac_f64_e32 v[122:123], v[130:131], v[126:127]
	buffer_load_dword v127, off, s[0:3], 0 offset:460
	buffer_load_dword v126, off, s[0:3], 0 offset:456
	s_waitcnt vmcnt(0)
	v_fmac_f64_e32 v[122:123], v[126:127], v[128:129]
	buffer_load_dword v127, off, s[0:3], 0 offset:468
	buffer_load_dword v126, off, s[0:3], 0 offset:464
	ds_read_b64 v[128:129], v124 offset:944
	s_waitcnt vmcnt(0) lgkmcnt(0)
	v_fmac_f64_e32 v[122:123], v[126:127], v[128:129]
	v_add_f64 v[120:121], v[120:121], -v[122:123]
	buffer_store_dword v121, off, s[0:3], 0 offset:284
	buffer_store_dword v120, off, s[0:3], 0 offset:280
	s_and_saveexec_b64 s[4:5], vcc
	s_cbranch_execz .LBB122_293
; %bb.292:
	buffer_load_dword v120, off, s[0:3], 0 offset:272
	buffer_load_dword v121, off, s[0:3], 0 offset:276
	s_waitcnt vmcnt(0)
	ds_write_b64 v1, v[120:121]
	buffer_store_dword v124, off, s[0:3], 0 offset:272
	buffer_store_dword v124, off, s[0:3], 0 offset:276
.LBB122_293:
	s_or_b64 exec, exec, s[4:5]
	s_waitcnt lgkmcnt(0)
	; wave barrier
	s_waitcnt lgkmcnt(0)
	buffer_load_dword v120, off, s[0:3], 0 offset:272
	buffer_load_dword v121, off, s[0:3], 0 offset:276
	;; [unrolled: 1-line block ×16, first 2 shown]
	ds_read2_b64 v[126:129], v124 offset0:95 offset1:96
	v_cmp_lt_u32_e32 vcc, 33, v0
	s_waitcnt vmcnt(12) lgkmcnt(0)
	v_fma_f64 v[122:123], v[122:123], v[126:127], 0
	s_waitcnt vmcnt(10)
	v_fmac_f64_e32 v[122:123], v[130:131], v[128:129]
	ds_read2_b64 v[126:129], v124 offset0:97 offset1:98
	s_waitcnt vmcnt(8) lgkmcnt(0)
	v_fmac_f64_e32 v[122:123], v[132:133], v[126:127]
	s_waitcnt vmcnt(6)
	v_fmac_f64_e32 v[122:123], v[134:135], v[128:129]
	ds_read2_b64 v[126:129], v124 offset0:99 offset1:100
	s_waitcnt vmcnt(4) lgkmcnt(0)
	v_fmac_f64_e32 v[122:123], v[136:137], v[126:127]
	;; [unrolled: 5-line block ×3, first 2 shown]
	buffer_load_dword v127, off, s[0:3], 0 offset:340
	buffer_load_dword v126, off, s[0:3], 0 offset:336
	buffer_load_dword v131, off, s[0:3], 0 offset:348
	buffer_load_dword v130, off, s[0:3], 0 offset:344
	s_waitcnt vmcnt(2)
	v_fmac_f64_e32 v[122:123], v[126:127], v[128:129]
	ds_read2_b64 v[126:129], v124 offset0:103 offset1:104
	s_waitcnt vmcnt(0) lgkmcnt(0)
	v_fmac_f64_e32 v[122:123], v[130:131], v[126:127]
	buffer_load_dword v127, off, s[0:3], 0 offset:356
	buffer_load_dword v126, off, s[0:3], 0 offset:352
	buffer_load_dword v131, off, s[0:3], 0 offset:364
	buffer_load_dword v130, off, s[0:3], 0 offset:360
	s_waitcnt vmcnt(2)
	v_fmac_f64_e32 v[122:123], v[126:127], v[128:129]
	ds_read2_b64 v[126:129], v124 offset0:105 offset1:106
	s_waitcnt vmcnt(0) lgkmcnt(0)
	v_fmac_f64_e32 v[122:123], v[130:131], v[126:127]
	;; [unrolled: 9-line block ×7, first 2 shown]
	buffer_load_dword v127, off, s[0:3], 0 offset:452
	buffer_load_dword v126, off, s[0:3], 0 offset:448
	s_waitcnt vmcnt(0)
	v_fmac_f64_e32 v[122:123], v[126:127], v[128:129]
	buffer_load_dword v129, off, s[0:3], 0 offset:460
	buffer_load_dword v128, off, s[0:3], 0 offset:456
	ds_read2_b64 v[124:127], v124 offset0:117 offset1:118
	s_waitcnt vmcnt(0) lgkmcnt(0)
	v_fmac_f64_e32 v[122:123], v[128:129], v[124:125]
	buffer_load_dword v125, off, s[0:3], 0 offset:468
	buffer_load_dword v124, off, s[0:3], 0 offset:464
	s_waitcnt vmcnt(0)
	v_fmac_f64_e32 v[122:123], v[124:125], v[126:127]
	v_add_f64 v[120:121], v[120:121], -v[122:123]
	buffer_store_dword v121, off, s[0:3], 0 offset:276
	buffer_store_dword v120, off, s[0:3], 0 offset:272
	s_and_saveexec_b64 s[4:5], vcc
	s_cbranch_execz .LBB122_295
; %bb.294:
	buffer_load_dword v120, off, s[0:3], 0 offset:264
	buffer_load_dword v121, off, s[0:3], 0 offset:268
	v_mov_b32_e32 v122, 0
	buffer_store_dword v122, off, s[0:3], 0 offset:264
	buffer_store_dword v122, off, s[0:3], 0 offset:268
	s_waitcnt vmcnt(2)
	ds_write_b64 v1, v[120:121]
.LBB122_295:
	s_or_b64 exec, exec, s[4:5]
	s_waitcnt lgkmcnt(0)
	; wave barrier
	s_waitcnt lgkmcnt(0)
	buffer_load_dword v120, off, s[0:3], 0 offset:264
	buffer_load_dword v121, off, s[0:3], 0 offset:268
	;; [unrolled: 1-line block ×16, first 2 shown]
	v_mov_b32_e32 v124, 0
	ds_read_b128 v[126:129], v124 offset:752
	ds_read_b128 v[130:133], v124 offset:768
	;; [unrolled: 1-line block ×4, first 2 shown]
	v_cmp_lt_u32_e32 vcc, 32, v0
	s_waitcnt vmcnt(12) lgkmcnt(3)
	v_fma_f64 v[122:123], v[122:123], v[126:127], 0
	buffer_load_dword v127, off, s[0:3], 0 offset:332
	buffer_load_dword v126, off, s[0:3], 0 offset:328
	s_waitcnt vmcnt(12)
	v_fmac_f64_e32 v[122:123], v[142:143], v[128:129]
	s_waitcnt vmcnt(10) lgkmcnt(2)
	v_fmac_f64_e32 v[122:123], v[144:145], v[130:131]
	buffer_load_dword v131, off, s[0:3], 0 offset:340
	buffer_load_dword v130, off, s[0:3], 0 offset:336
	s_waitcnt vmcnt(10)
	v_fmac_f64_e32 v[122:123], v[146:147], v[132:133]
	s_waitcnt vmcnt(8) lgkmcnt(1)
	v_fmac_f64_e32 v[122:123], v[148:149], v[134:135]
	s_waitcnt vmcnt(6)
	v_fmac_f64_e32 v[122:123], v[150:151], v[136:137]
	s_waitcnt vmcnt(4) lgkmcnt(0)
	v_fmac_f64_e32 v[122:123], v[152:153], v[138:139]
	s_waitcnt vmcnt(2)
	v_fmac_f64_e32 v[122:123], v[126:127], v[140:141]
	ds_read_b128 v[126:129], v124 offset:816
	s_waitcnt vmcnt(0) lgkmcnt(0)
	v_fmac_f64_e32 v[122:123], v[130:131], v[126:127]
	buffer_load_dword v127, off, s[0:3], 0 offset:348
	buffer_load_dword v126, off, s[0:3], 0 offset:344
	buffer_load_dword v131, off, s[0:3], 0 offset:356
	buffer_load_dword v130, off, s[0:3], 0 offset:352
	s_waitcnt vmcnt(2)
	v_fmac_f64_e32 v[122:123], v[126:127], v[128:129]
	ds_read_b128 v[126:129], v124 offset:832
	s_waitcnt vmcnt(0) lgkmcnt(0)
	v_fmac_f64_e32 v[122:123], v[130:131], v[126:127]
	buffer_load_dword v127, off, s[0:3], 0 offset:364
	buffer_load_dword v126, off, s[0:3], 0 offset:360
	buffer_load_dword v131, off, s[0:3], 0 offset:372
	buffer_load_dword v130, off, s[0:3], 0 offset:368
	;; [unrolled: 9-line block ×7, first 2 shown]
	s_waitcnt vmcnt(2)
	v_fmac_f64_e32 v[122:123], v[126:127], v[128:129]
	ds_read_b128 v[126:129], v124 offset:928
	s_waitcnt vmcnt(0) lgkmcnt(0)
	v_fmac_f64_e32 v[122:123], v[130:131], v[126:127]
	buffer_load_dword v127, off, s[0:3], 0 offset:460
	buffer_load_dword v126, off, s[0:3], 0 offset:456
	s_waitcnt vmcnt(0)
	v_fmac_f64_e32 v[122:123], v[126:127], v[128:129]
	buffer_load_dword v127, off, s[0:3], 0 offset:468
	buffer_load_dword v126, off, s[0:3], 0 offset:464
	ds_read_b64 v[128:129], v124 offset:944
	s_waitcnt vmcnt(0) lgkmcnt(0)
	v_fmac_f64_e32 v[122:123], v[126:127], v[128:129]
	v_add_f64 v[120:121], v[120:121], -v[122:123]
	buffer_store_dword v121, off, s[0:3], 0 offset:268
	buffer_store_dword v120, off, s[0:3], 0 offset:264
	s_and_saveexec_b64 s[4:5], vcc
	s_cbranch_execz .LBB122_297
; %bb.296:
	buffer_load_dword v120, off, s[0:3], 0 offset:256
	buffer_load_dword v121, off, s[0:3], 0 offset:260
	s_waitcnt vmcnt(0)
	ds_write_b64 v1, v[120:121]
	buffer_store_dword v124, off, s[0:3], 0 offset:256
	buffer_store_dword v124, off, s[0:3], 0 offset:260
.LBB122_297:
	s_or_b64 exec, exec, s[4:5]
	s_waitcnt lgkmcnt(0)
	; wave barrier
	s_waitcnt lgkmcnt(0)
	buffer_load_dword v120, off, s[0:3], 0 offset:256
	buffer_load_dword v121, off, s[0:3], 0 offset:260
	;; [unrolled: 1-line block ×16, first 2 shown]
	ds_read2_b64 v[126:129], v124 offset0:93 offset1:94
	v_cmp_lt_u32_e32 vcc, 31, v0
	s_waitcnt vmcnt(12) lgkmcnt(0)
	v_fma_f64 v[122:123], v[122:123], v[126:127], 0
	s_waitcnt vmcnt(10)
	v_fmac_f64_e32 v[122:123], v[130:131], v[128:129]
	ds_read2_b64 v[126:129], v124 offset0:95 offset1:96
	s_waitcnt vmcnt(8) lgkmcnt(0)
	v_fmac_f64_e32 v[122:123], v[132:133], v[126:127]
	s_waitcnt vmcnt(6)
	v_fmac_f64_e32 v[122:123], v[134:135], v[128:129]
	ds_read2_b64 v[126:129], v124 offset0:97 offset1:98
	s_waitcnt vmcnt(4) lgkmcnt(0)
	v_fmac_f64_e32 v[122:123], v[136:137], v[126:127]
	;; [unrolled: 5-line block ×3, first 2 shown]
	buffer_load_dword v127, off, s[0:3], 0 offset:324
	buffer_load_dword v126, off, s[0:3], 0 offset:320
	buffer_load_dword v131, off, s[0:3], 0 offset:332
	buffer_load_dword v130, off, s[0:3], 0 offset:328
	s_waitcnt vmcnt(2)
	v_fmac_f64_e32 v[122:123], v[126:127], v[128:129]
	ds_read2_b64 v[126:129], v124 offset0:101 offset1:102
	s_waitcnt vmcnt(0) lgkmcnt(0)
	v_fmac_f64_e32 v[122:123], v[130:131], v[126:127]
	buffer_load_dword v127, off, s[0:3], 0 offset:340
	buffer_load_dword v126, off, s[0:3], 0 offset:336
	buffer_load_dword v131, off, s[0:3], 0 offset:348
	buffer_load_dword v130, off, s[0:3], 0 offset:344
	s_waitcnt vmcnt(2)
	v_fmac_f64_e32 v[122:123], v[126:127], v[128:129]
	ds_read2_b64 v[126:129], v124 offset0:103 offset1:104
	s_waitcnt vmcnt(0) lgkmcnt(0)
	v_fmac_f64_e32 v[122:123], v[130:131], v[126:127]
	buffer_load_dword v127, off, s[0:3], 0 offset:356
	buffer_load_dword v126, off, s[0:3], 0 offset:352
	buffer_load_dword v131, off, s[0:3], 0 offset:364
	buffer_load_dword v130, off, s[0:3], 0 offset:360
	s_waitcnt vmcnt(2)
	v_fmac_f64_e32 v[122:123], v[126:127], v[128:129]
	ds_read2_b64 v[126:129], v124 offset0:105 offset1:106
	s_waitcnt vmcnt(0) lgkmcnt(0)
	v_fmac_f64_e32 v[122:123], v[130:131], v[126:127]
	buffer_load_dword v127, off, s[0:3], 0 offset:372
	buffer_load_dword v126, off, s[0:3], 0 offset:368
	buffer_load_dword v131, off, s[0:3], 0 offset:380
	buffer_load_dword v130, off, s[0:3], 0 offset:376
	s_waitcnt vmcnt(2)
	v_fmac_f64_e32 v[122:123], v[126:127], v[128:129]
	ds_read2_b64 v[126:129], v124 offset0:107 offset1:108
	s_waitcnt vmcnt(0) lgkmcnt(0)
	v_fmac_f64_e32 v[122:123], v[130:131], v[126:127]
	buffer_load_dword v127, off, s[0:3], 0 offset:388
	buffer_load_dword v126, off, s[0:3], 0 offset:384
	buffer_load_dword v131, off, s[0:3], 0 offset:396
	buffer_load_dword v130, off, s[0:3], 0 offset:392
	s_waitcnt vmcnt(2)
	v_fmac_f64_e32 v[122:123], v[126:127], v[128:129]
	ds_read2_b64 v[126:129], v124 offset0:109 offset1:110
	s_waitcnt vmcnt(0) lgkmcnt(0)
	v_fmac_f64_e32 v[122:123], v[130:131], v[126:127]
	buffer_load_dword v127, off, s[0:3], 0 offset:404
	buffer_load_dword v126, off, s[0:3], 0 offset:400
	buffer_load_dword v131, off, s[0:3], 0 offset:412
	buffer_load_dword v130, off, s[0:3], 0 offset:408
	s_waitcnt vmcnt(2)
	v_fmac_f64_e32 v[122:123], v[126:127], v[128:129]
	ds_read2_b64 v[126:129], v124 offset0:111 offset1:112
	s_waitcnt vmcnt(0) lgkmcnt(0)
	v_fmac_f64_e32 v[122:123], v[130:131], v[126:127]
	buffer_load_dword v127, off, s[0:3], 0 offset:420
	buffer_load_dword v126, off, s[0:3], 0 offset:416
	buffer_load_dword v131, off, s[0:3], 0 offset:428
	buffer_load_dword v130, off, s[0:3], 0 offset:424
	s_waitcnt vmcnt(2)
	v_fmac_f64_e32 v[122:123], v[126:127], v[128:129]
	ds_read2_b64 v[126:129], v124 offset0:113 offset1:114
	s_waitcnt vmcnt(0) lgkmcnt(0)
	v_fmac_f64_e32 v[122:123], v[130:131], v[126:127]
	buffer_load_dword v127, off, s[0:3], 0 offset:436
	buffer_load_dword v126, off, s[0:3], 0 offset:432
	buffer_load_dword v131, off, s[0:3], 0 offset:444
	buffer_load_dword v130, off, s[0:3], 0 offset:440
	s_waitcnt vmcnt(2)
	v_fmac_f64_e32 v[122:123], v[126:127], v[128:129]
	ds_read2_b64 v[126:129], v124 offset0:115 offset1:116
	s_waitcnt vmcnt(0) lgkmcnt(0)
	v_fmac_f64_e32 v[122:123], v[130:131], v[126:127]
	buffer_load_dword v127, off, s[0:3], 0 offset:452
	buffer_load_dword v126, off, s[0:3], 0 offset:448
	s_waitcnt vmcnt(0)
	v_fmac_f64_e32 v[122:123], v[126:127], v[128:129]
	buffer_load_dword v129, off, s[0:3], 0 offset:460
	buffer_load_dword v128, off, s[0:3], 0 offset:456
	ds_read2_b64 v[124:127], v124 offset0:117 offset1:118
	s_waitcnt vmcnt(0) lgkmcnt(0)
	v_fmac_f64_e32 v[122:123], v[128:129], v[124:125]
	buffer_load_dword v125, off, s[0:3], 0 offset:468
	buffer_load_dword v124, off, s[0:3], 0 offset:464
	s_waitcnt vmcnt(0)
	v_fmac_f64_e32 v[122:123], v[124:125], v[126:127]
	v_add_f64 v[120:121], v[120:121], -v[122:123]
	buffer_store_dword v121, off, s[0:3], 0 offset:260
	buffer_store_dword v120, off, s[0:3], 0 offset:256
	s_and_saveexec_b64 s[4:5], vcc
	s_cbranch_execz .LBB122_299
; %bb.298:
	buffer_load_dword v120, off, s[0:3], 0 offset:248
	buffer_load_dword v121, off, s[0:3], 0 offset:252
	v_mov_b32_e32 v122, 0
	buffer_store_dword v122, off, s[0:3], 0 offset:248
	buffer_store_dword v122, off, s[0:3], 0 offset:252
	s_waitcnt vmcnt(2)
	ds_write_b64 v1, v[120:121]
.LBB122_299:
	s_or_b64 exec, exec, s[4:5]
	s_waitcnt lgkmcnt(0)
	; wave barrier
	s_waitcnt lgkmcnt(0)
	buffer_load_dword v120, off, s[0:3], 0 offset:248
	buffer_load_dword v121, off, s[0:3], 0 offset:252
	;; [unrolled: 1-line block ×16, first 2 shown]
	v_mov_b32_e32 v124, 0
	ds_read_b128 v[126:129], v124 offset:736
	ds_read_b128 v[130:133], v124 offset:752
	;; [unrolled: 1-line block ×4, first 2 shown]
	v_cmp_lt_u32_e32 vcc, 30, v0
	s_waitcnt vmcnt(12) lgkmcnt(3)
	v_fma_f64 v[122:123], v[122:123], v[126:127], 0
	buffer_load_dword v127, off, s[0:3], 0 offset:316
	buffer_load_dword v126, off, s[0:3], 0 offset:312
	s_waitcnt vmcnt(12)
	v_fmac_f64_e32 v[122:123], v[142:143], v[128:129]
	s_waitcnt vmcnt(10) lgkmcnt(2)
	v_fmac_f64_e32 v[122:123], v[144:145], v[130:131]
	buffer_load_dword v131, off, s[0:3], 0 offset:324
	buffer_load_dword v130, off, s[0:3], 0 offset:320
	s_waitcnt vmcnt(10)
	v_fmac_f64_e32 v[122:123], v[146:147], v[132:133]
	s_waitcnt vmcnt(8) lgkmcnt(1)
	v_fmac_f64_e32 v[122:123], v[148:149], v[134:135]
	s_waitcnt vmcnt(6)
	v_fmac_f64_e32 v[122:123], v[150:151], v[136:137]
	s_waitcnt vmcnt(4) lgkmcnt(0)
	v_fmac_f64_e32 v[122:123], v[152:153], v[138:139]
	s_waitcnt vmcnt(2)
	v_fmac_f64_e32 v[122:123], v[126:127], v[140:141]
	ds_read_b128 v[126:129], v124 offset:800
	s_waitcnt vmcnt(0) lgkmcnt(0)
	v_fmac_f64_e32 v[122:123], v[130:131], v[126:127]
	buffer_load_dword v127, off, s[0:3], 0 offset:332
	buffer_load_dword v126, off, s[0:3], 0 offset:328
	buffer_load_dword v131, off, s[0:3], 0 offset:340
	buffer_load_dword v130, off, s[0:3], 0 offset:336
	s_waitcnt vmcnt(2)
	v_fmac_f64_e32 v[122:123], v[126:127], v[128:129]
	ds_read_b128 v[126:129], v124 offset:816
	s_waitcnt vmcnt(0) lgkmcnt(0)
	v_fmac_f64_e32 v[122:123], v[130:131], v[126:127]
	buffer_load_dword v127, off, s[0:3], 0 offset:348
	buffer_load_dword v126, off, s[0:3], 0 offset:344
	buffer_load_dword v131, off, s[0:3], 0 offset:356
	buffer_load_dword v130, off, s[0:3], 0 offset:352
	;; [unrolled: 9-line block ×8, first 2 shown]
	s_waitcnt vmcnt(2)
	v_fmac_f64_e32 v[122:123], v[126:127], v[128:129]
	ds_read_b128 v[126:129], v124 offset:928
	s_waitcnt vmcnt(0) lgkmcnt(0)
	v_fmac_f64_e32 v[122:123], v[130:131], v[126:127]
	buffer_load_dword v127, off, s[0:3], 0 offset:460
	buffer_load_dword v126, off, s[0:3], 0 offset:456
	s_waitcnt vmcnt(0)
	v_fmac_f64_e32 v[122:123], v[126:127], v[128:129]
	buffer_load_dword v127, off, s[0:3], 0 offset:468
	buffer_load_dword v126, off, s[0:3], 0 offset:464
	ds_read_b64 v[128:129], v124 offset:944
	s_waitcnt vmcnt(0) lgkmcnt(0)
	v_fmac_f64_e32 v[122:123], v[126:127], v[128:129]
	v_add_f64 v[120:121], v[120:121], -v[122:123]
	buffer_store_dword v121, off, s[0:3], 0 offset:252
	buffer_store_dword v120, off, s[0:3], 0 offset:248
	s_and_saveexec_b64 s[4:5], vcc
	s_cbranch_execz .LBB122_301
; %bb.300:
	buffer_load_dword v120, off, s[0:3], 0 offset:240
	buffer_load_dword v121, off, s[0:3], 0 offset:244
	s_waitcnt vmcnt(0)
	ds_write_b64 v1, v[120:121]
	buffer_store_dword v124, off, s[0:3], 0 offset:240
	buffer_store_dword v124, off, s[0:3], 0 offset:244
.LBB122_301:
	s_or_b64 exec, exec, s[4:5]
	s_waitcnt lgkmcnt(0)
	; wave barrier
	s_waitcnt lgkmcnt(0)
	buffer_load_dword v120, off, s[0:3], 0 offset:240
	buffer_load_dword v121, off, s[0:3], 0 offset:244
	;; [unrolled: 1-line block ×16, first 2 shown]
	ds_read2_b64 v[126:129], v124 offset0:91 offset1:92
	v_cmp_lt_u32_e32 vcc, 29, v0
	s_waitcnt vmcnt(12) lgkmcnt(0)
	v_fma_f64 v[122:123], v[122:123], v[126:127], 0
	s_waitcnt vmcnt(10)
	v_fmac_f64_e32 v[122:123], v[130:131], v[128:129]
	ds_read2_b64 v[126:129], v124 offset0:93 offset1:94
	s_waitcnt vmcnt(8) lgkmcnt(0)
	v_fmac_f64_e32 v[122:123], v[132:133], v[126:127]
	s_waitcnt vmcnt(6)
	v_fmac_f64_e32 v[122:123], v[134:135], v[128:129]
	ds_read2_b64 v[126:129], v124 offset0:95 offset1:96
	s_waitcnt vmcnt(4) lgkmcnt(0)
	v_fmac_f64_e32 v[122:123], v[136:137], v[126:127]
	;; [unrolled: 5-line block ×3, first 2 shown]
	buffer_load_dword v127, off, s[0:3], 0 offset:308
	buffer_load_dword v126, off, s[0:3], 0 offset:304
	buffer_load_dword v131, off, s[0:3], 0 offset:316
	buffer_load_dword v130, off, s[0:3], 0 offset:312
	s_waitcnt vmcnt(2)
	v_fmac_f64_e32 v[122:123], v[126:127], v[128:129]
	ds_read2_b64 v[126:129], v124 offset0:99 offset1:100
	s_waitcnt vmcnt(0) lgkmcnt(0)
	v_fmac_f64_e32 v[122:123], v[130:131], v[126:127]
	buffer_load_dword v127, off, s[0:3], 0 offset:324
	buffer_load_dword v126, off, s[0:3], 0 offset:320
	buffer_load_dword v131, off, s[0:3], 0 offset:332
	buffer_load_dword v130, off, s[0:3], 0 offset:328
	s_waitcnt vmcnt(2)
	v_fmac_f64_e32 v[122:123], v[126:127], v[128:129]
	ds_read2_b64 v[126:129], v124 offset0:101 offset1:102
	s_waitcnt vmcnt(0) lgkmcnt(0)
	v_fmac_f64_e32 v[122:123], v[130:131], v[126:127]
	buffer_load_dword v127, off, s[0:3], 0 offset:340
	buffer_load_dword v126, off, s[0:3], 0 offset:336
	buffer_load_dword v131, off, s[0:3], 0 offset:348
	buffer_load_dword v130, off, s[0:3], 0 offset:344
	s_waitcnt vmcnt(2)
	v_fmac_f64_e32 v[122:123], v[126:127], v[128:129]
	ds_read2_b64 v[126:129], v124 offset0:103 offset1:104
	s_waitcnt vmcnt(0) lgkmcnt(0)
	v_fmac_f64_e32 v[122:123], v[130:131], v[126:127]
	buffer_load_dword v127, off, s[0:3], 0 offset:356
	buffer_load_dword v126, off, s[0:3], 0 offset:352
	buffer_load_dword v131, off, s[0:3], 0 offset:364
	buffer_load_dword v130, off, s[0:3], 0 offset:360
	s_waitcnt vmcnt(2)
	v_fmac_f64_e32 v[122:123], v[126:127], v[128:129]
	ds_read2_b64 v[126:129], v124 offset0:105 offset1:106
	s_waitcnt vmcnt(0) lgkmcnt(0)
	v_fmac_f64_e32 v[122:123], v[130:131], v[126:127]
	buffer_load_dword v127, off, s[0:3], 0 offset:372
	buffer_load_dword v126, off, s[0:3], 0 offset:368
	buffer_load_dword v131, off, s[0:3], 0 offset:380
	buffer_load_dword v130, off, s[0:3], 0 offset:376
	s_waitcnt vmcnt(2)
	v_fmac_f64_e32 v[122:123], v[126:127], v[128:129]
	ds_read2_b64 v[126:129], v124 offset0:107 offset1:108
	s_waitcnt vmcnt(0) lgkmcnt(0)
	v_fmac_f64_e32 v[122:123], v[130:131], v[126:127]
	buffer_load_dword v127, off, s[0:3], 0 offset:388
	buffer_load_dword v126, off, s[0:3], 0 offset:384
	buffer_load_dword v131, off, s[0:3], 0 offset:396
	buffer_load_dword v130, off, s[0:3], 0 offset:392
	s_waitcnt vmcnt(2)
	v_fmac_f64_e32 v[122:123], v[126:127], v[128:129]
	ds_read2_b64 v[126:129], v124 offset0:109 offset1:110
	s_waitcnt vmcnt(0) lgkmcnt(0)
	v_fmac_f64_e32 v[122:123], v[130:131], v[126:127]
	buffer_load_dword v127, off, s[0:3], 0 offset:404
	buffer_load_dword v126, off, s[0:3], 0 offset:400
	buffer_load_dword v131, off, s[0:3], 0 offset:412
	buffer_load_dword v130, off, s[0:3], 0 offset:408
	s_waitcnt vmcnt(2)
	v_fmac_f64_e32 v[122:123], v[126:127], v[128:129]
	ds_read2_b64 v[126:129], v124 offset0:111 offset1:112
	s_waitcnt vmcnt(0) lgkmcnt(0)
	v_fmac_f64_e32 v[122:123], v[130:131], v[126:127]
	buffer_load_dword v127, off, s[0:3], 0 offset:420
	buffer_load_dword v126, off, s[0:3], 0 offset:416
	buffer_load_dword v131, off, s[0:3], 0 offset:428
	buffer_load_dword v130, off, s[0:3], 0 offset:424
	s_waitcnt vmcnt(2)
	v_fmac_f64_e32 v[122:123], v[126:127], v[128:129]
	ds_read2_b64 v[126:129], v124 offset0:113 offset1:114
	s_waitcnt vmcnt(0) lgkmcnt(0)
	v_fmac_f64_e32 v[122:123], v[130:131], v[126:127]
	buffer_load_dword v127, off, s[0:3], 0 offset:436
	buffer_load_dword v126, off, s[0:3], 0 offset:432
	buffer_load_dword v131, off, s[0:3], 0 offset:444
	buffer_load_dword v130, off, s[0:3], 0 offset:440
	s_waitcnt vmcnt(2)
	v_fmac_f64_e32 v[122:123], v[126:127], v[128:129]
	ds_read2_b64 v[126:129], v124 offset0:115 offset1:116
	s_waitcnt vmcnt(0) lgkmcnt(0)
	v_fmac_f64_e32 v[122:123], v[130:131], v[126:127]
	buffer_load_dword v127, off, s[0:3], 0 offset:452
	buffer_load_dword v126, off, s[0:3], 0 offset:448
	s_waitcnt vmcnt(0)
	v_fmac_f64_e32 v[122:123], v[126:127], v[128:129]
	buffer_load_dword v129, off, s[0:3], 0 offset:460
	buffer_load_dword v128, off, s[0:3], 0 offset:456
	ds_read2_b64 v[124:127], v124 offset0:117 offset1:118
	s_waitcnt vmcnt(0) lgkmcnt(0)
	v_fmac_f64_e32 v[122:123], v[128:129], v[124:125]
	buffer_load_dword v125, off, s[0:3], 0 offset:468
	buffer_load_dword v124, off, s[0:3], 0 offset:464
	s_waitcnt vmcnt(0)
	v_fmac_f64_e32 v[122:123], v[124:125], v[126:127]
	v_add_f64 v[120:121], v[120:121], -v[122:123]
	buffer_store_dword v121, off, s[0:3], 0 offset:244
	buffer_store_dword v120, off, s[0:3], 0 offset:240
	s_and_saveexec_b64 s[4:5], vcc
	s_cbranch_execz .LBB122_303
; %bb.302:
	buffer_load_dword v120, off, s[0:3], 0 offset:232
	buffer_load_dword v121, off, s[0:3], 0 offset:236
	v_mov_b32_e32 v122, 0
	buffer_store_dword v122, off, s[0:3], 0 offset:232
	buffer_store_dword v122, off, s[0:3], 0 offset:236
	s_waitcnt vmcnt(2)
	ds_write_b64 v1, v[120:121]
.LBB122_303:
	s_or_b64 exec, exec, s[4:5]
	s_waitcnt lgkmcnt(0)
	; wave barrier
	s_waitcnt lgkmcnt(0)
	buffer_load_dword v120, off, s[0:3], 0 offset:232
	buffer_load_dword v121, off, s[0:3], 0 offset:236
	;; [unrolled: 1-line block ×16, first 2 shown]
	v_mov_b32_e32 v124, 0
	ds_read_b128 v[126:129], v124 offset:720
	ds_read_b128 v[130:133], v124 offset:736
	;; [unrolled: 1-line block ×4, first 2 shown]
	v_cmp_lt_u32_e32 vcc, 28, v0
	s_waitcnt vmcnt(12) lgkmcnt(3)
	v_fma_f64 v[122:123], v[122:123], v[126:127], 0
	buffer_load_dword v127, off, s[0:3], 0 offset:300
	buffer_load_dword v126, off, s[0:3], 0 offset:296
	s_waitcnt vmcnt(12)
	v_fmac_f64_e32 v[122:123], v[142:143], v[128:129]
	s_waitcnt vmcnt(10) lgkmcnt(2)
	v_fmac_f64_e32 v[122:123], v[144:145], v[130:131]
	buffer_load_dword v131, off, s[0:3], 0 offset:308
	buffer_load_dword v130, off, s[0:3], 0 offset:304
	s_waitcnt vmcnt(10)
	v_fmac_f64_e32 v[122:123], v[146:147], v[132:133]
	s_waitcnt vmcnt(8) lgkmcnt(1)
	v_fmac_f64_e32 v[122:123], v[148:149], v[134:135]
	s_waitcnt vmcnt(6)
	v_fmac_f64_e32 v[122:123], v[150:151], v[136:137]
	s_waitcnt vmcnt(4) lgkmcnt(0)
	v_fmac_f64_e32 v[122:123], v[152:153], v[138:139]
	s_waitcnt vmcnt(2)
	v_fmac_f64_e32 v[122:123], v[126:127], v[140:141]
	ds_read_b128 v[126:129], v124 offset:784
	s_waitcnt vmcnt(0) lgkmcnt(0)
	v_fmac_f64_e32 v[122:123], v[130:131], v[126:127]
	buffer_load_dword v127, off, s[0:3], 0 offset:316
	buffer_load_dword v126, off, s[0:3], 0 offset:312
	buffer_load_dword v131, off, s[0:3], 0 offset:324
	buffer_load_dword v130, off, s[0:3], 0 offset:320
	s_waitcnt vmcnt(2)
	v_fmac_f64_e32 v[122:123], v[126:127], v[128:129]
	ds_read_b128 v[126:129], v124 offset:800
	s_waitcnt vmcnt(0) lgkmcnt(0)
	v_fmac_f64_e32 v[122:123], v[130:131], v[126:127]
	buffer_load_dword v127, off, s[0:3], 0 offset:332
	buffer_load_dword v126, off, s[0:3], 0 offset:328
	buffer_load_dword v131, off, s[0:3], 0 offset:340
	buffer_load_dword v130, off, s[0:3], 0 offset:336
	;; [unrolled: 9-line block ×9, first 2 shown]
	s_waitcnt vmcnt(2)
	v_fmac_f64_e32 v[122:123], v[126:127], v[128:129]
	ds_read_b128 v[126:129], v124 offset:928
	s_waitcnt vmcnt(0) lgkmcnt(0)
	v_fmac_f64_e32 v[122:123], v[130:131], v[126:127]
	buffer_load_dword v127, off, s[0:3], 0 offset:460
	buffer_load_dword v126, off, s[0:3], 0 offset:456
	s_waitcnt vmcnt(0)
	v_fmac_f64_e32 v[122:123], v[126:127], v[128:129]
	buffer_load_dword v127, off, s[0:3], 0 offset:468
	buffer_load_dword v126, off, s[0:3], 0 offset:464
	ds_read_b64 v[128:129], v124 offset:944
	s_waitcnt vmcnt(0) lgkmcnt(0)
	v_fmac_f64_e32 v[122:123], v[126:127], v[128:129]
	v_add_f64 v[120:121], v[120:121], -v[122:123]
	buffer_store_dword v121, off, s[0:3], 0 offset:236
	buffer_store_dword v120, off, s[0:3], 0 offset:232
	s_and_saveexec_b64 s[4:5], vcc
	s_cbranch_execz .LBB122_305
; %bb.304:
	buffer_load_dword v120, off, s[0:3], 0 offset:224
	buffer_load_dword v121, off, s[0:3], 0 offset:228
	s_waitcnt vmcnt(0)
	ds_write_b64 v1, v[120:121]
	buffer_store_dword v124, off, s[0:3], 0 offset:224
	buffer_store_dword v124, off, s[0:3], 0 offset:228
.LBB122_305:
	s_or_b64 exec, exec, s[4:5]
	s_waitcnt lgkmcnt(0)
	; wave barrier
	s_waitcnt lgkmcnt(0)
	buffer_load_dword v120, off, s[0:3], 0 offset:224
	buffer_load_dword v121, off, s[0:3], 0 offset:228
	;; [unrolled: 1-line block ×16, first 2 shown]
	ds_read2_b64 v[126:129], v124 offset0:89 offset1:90
	v_cmp_lt_u32_e32 vcc, 27, v0
	s_waitcnt vmcnt(12) lgkmcnt(0)
	v_fma_f64 v[122:123], v[122:123], v[126:127], 0
	s_waitcnt vmcnt(10)
	v_fmac_f64_e32 v[122:123], v[130:131], v[128:129]
	ds_read2_b64 v[126:129], v124 offset0:91 offset1:92
	s_waitcnt vmcnt(8) lgkmcnt(0)
	v_fmac_f64_e32 v[122:123], v[132:133], v[126:127]
	s_waitcnt vmcnt(6)
	v_fmac_f64_e32 v[122:123], v[134:135], v[128:129]
	ds_read2_b64 v[126:129], v124 offset0:93 offset1:94
	s_waitcnt vmcnt(4) lgkmcnt(0)
	v_fmac_f64_e32 v[122:123], v[136:137], v[126:127]
	;; [unrolled: 5-line block ×3, first 2 shown]
	buffer_load_dword v127, off, s[0:3], 0 offset:292
	buffer_load_dword v126, off, s[0:3], 0 offset:288
	buffer_load_dword v131, off, s[0:3], 0 offset:300
	buffer_load_dword v130, off, s[0:3], 0 offset:296
	s_waitcnt vmcnt(2)
	v_fmac_f64_e32 v[122:123], v[126:127], v[128:129]
	ds_read2_b64 v[126:129], v124 offset0:97 offset1:98
	s_waitcnt vmcnt(0) lgkmcnt(0)
	v_fmac_f64_e32 v[122:123], v[130:131], v[126:127]
	buffer_load_dword v127, off, s[0:3], 0 offset:308
	buffer_load_dword v126, off, s[0:3], 0 offset:304
	buffer_load_dword v131, off, s[0:3], 0 offset:316
	buffer_load_dword v130, off, s[0:3], 0 offset:312
	s_waitcnt vmcnt(2)
	v_fmac_f64_e32 v[122:123], v[126:127], v[128:129]
	ds_read2_b64 v[126:129], v124 offset0:99 offset1:100
	s_waitcnt vmcnt(0) lgkmcnt(0)
	v_fmac_f64_e32 v[122:123], v[130:131], v[126:127]
	;; [unrolled: 9-line block ×10, first 2 shown]
	buffer_load_dword v127, off, s[0:3], 0 offset:452
	buffer_load_dword v126, off, s[0:3], 0 offset:448
	s_waitcnt vmcnt(0)
	v_fmac_f64_e32 v[122:123], v[126:127], v[128:129]
	buffer_load_dword v129, off, s[0:3], 0 offset:460
	buffer_load_dword v128, off, s[0:3], 0 offset:456
	ds_read2_b64 v[124:127], v124 offset0:117 offset1:118
	s_waitcnt vmcnt(0) lgkmcnt(0)
	v_fmac_f64_e32 v[122:123], v[128:129], v[124:125]
	buffer_load_dword v125, off, s[0:3], 0 offset:468
	buffer_load_dword v124, off, s[0:3], 0 offset:464
	s_waitcnt vmcnt(0)
	v_fmac_f64_e32 v[122:123], v[124:125], v[126:127]
	v_add_f64 v[120:121], v[120:121], -v[122:123]
	buffer_store_dword v121, off, s[0:3], 0 offset:228
	buffer_store_dword v120, off, s[0:3], 0 offset:224
	s_and_saveexec_b64 s[4:5], vcc
	s_cbranch_execz .LBB122_307
; %bb.306:
	buffer_load_dword v120, off, s[0:3], 0 offset:216
	buffer_load_dword v121, off, s[0:3], 0 offset:220
	v_mov_b32_e32 v122, 0
	buffer_store_dword v122, off, s[0:3], 0 offset:216
	buffer_store_dword v122, off, s[0:3], 0 offset:220
	s_waitcnt vmcnt(2)
	ds_write_b64 v1, v[120:121]
.LBB122_307:
	s_or_b64 exec, exec, s[4:5]
	s_waitcnt lgkmcnt(0)
	; wave barrier
	s_waitcnt lgkmcnt(0)
	buffer_load_dword v120, off, s[0:3], 0 offset:216
	buffer_load_dword v121, off, s[0:3], 0 offset:220
	;; [unrolled: 1-line block ×16, first 2 shown]
	v_mov_b32_e32 v124, 0
	ds_read_b128 v[126:129], v124 offset:704
	ds_read_b128 v[130:133], v124 offset:720
	;; [unrolled: 1-line block ×4, first 2 shown]
	v_cmp_lt_u32_e32 vcc, 26, v0
	s_waitcnt vmcnt(12) lgkmcnt(3)
	v_fma_f64 v[122:123], v[122:123], v[126:127], 0
	buffer_load_dword v127, off, s[0:3], 0 offset:284
	buffer_load_dword v126, off, s[0:3], 0 offset:280
	s_waitcnt vmcnt(12)
	v_fmac_f64_e32 v[122:123], v[142:143], v[128:129]
	s_waitcnt vmcnt(10) lgkmcnt(2)
	v_fmac_f64_e32 v[122:123], v[144:145], v[130:131]
	buffer_load_dword v131, off, s[0:3], 0 offset:292
	buffer_load_dword v130, off, s[0:3], 0 offset:288
	s_waitcnt vmcnt(10)
	v_fmac_f64_e32 v[122:123], v[146:147], v[132:133]
	s_waitcnt vmcnt(8) lgkmcnt(1)
	v_fmac_f64_e32 v[122:123], v[148:149], v[134:135]
	s_waitcnt vmcnt(6)
	v_fmac_f64_e32 v[122:123], v[150:151], v[136:137]
	s_waitcnt vmcnt(4) lgkmcnt(0)
	v_fmac_f64_e32 v[122:123], v[152:153], v[138:139]
	s_waitcnt vmcnt(2)
	v_fmac_f64_e32 v[122:123], v[126:127], v[140:141]
	ds_read_b128 v[126:129], v124 offset:768
	s_waitcnt vmcnt(0) lgkmcnt(0)
	v_fmac_f64_e32 v[122:123], v[130:131], v[126:127]
	buffer_load_dword v127, off, s[0:3], 0 offset:300
	buffer_load_dword v126, off, s[0:3], 0 offset:296
	buffer_load_dword v131, off, s[0:3], 0 offset:308
	buffer_load_dword v130, off, s[0:3], 0 offset:304
	s_waitcnt vmcnt(2)
	v_fmac_f64_e32 v[122:123], v[126:127], v[128:129]
	ds_read_b128 v[126:129], v124 offset:784
	s_waitcnt vmcnt(0) lgkmcnt(0)
	v_fmac_f64_e32 v[122:123], v[130:131], v[126:127]
	buffer_load_dword v127, off, s[0:3], 0 offset:316
	buffer_load_dword v126, off, s[0:3], 0 offset:312
	buffer_load_dword v131, off, s[0:3], 0 offset:324
	buffer_load_dword v130, off, s[0:3], 0 offset:320
	s_waitcnt vmcnt(2)
	v_fmac_f64_e32 v[122:123], v[126:127], v[128:129]
	ds_read_b128 v[126:129], v124 offset:800
	s_waitcnt vmcnt(0) lgkmcnt(0)
	v_fmac_f64_e32 v[122:123], v[130:131], v[126:127]
	buffer_load_dword v127, off, s[0:3], 0 offset:332
	buffer_load_dword v126, off, s[0:3], 0 offset:328
	buffer_load_dword v131, off, s[0:3], 0 offset:340
	buffer_load_dword v130, off, s[0:3], 0 offset:336
	s_waitcnt vmcnt(2)
	v_fmac_f64_e32 v[122:123], v[126:127], v[128:129]
	ds_read_b128 v[126:129], v124 offset:816
	s_waitcnt vmcnt(0) lgkmcnt(0)
	v_fmac_f64_e32 v[122:123], v[130:131], v[126:127]
	buffer_load_dword v127, off, s[0:3], 0 offset:348
	buffer_load_dword v126, off, s[0:3], 0 offset:344
	buffer_load_dword v131, off, s[0:3], 0 offset:356
	buffer_load_dword v130, off, s[0:3], 0 offset:352
	s_waitcnt vmcnt(2)
	v_fmac_f64_e32 v[122:123], v[126:127], v[128:129]
	ds_read_b128 v[126:129], v124 offset:832
	s_waitcnt vmcnt(0) lgkmcnt(0)
	v_fmac_f64_e32 v[122:123], v[130:131], v[126:127]
	buffer_load_dword v127, off, s[0:3], 0 offset:364
	buffer_load_dword v126, off, s[0:3], 0 offset:360
	buffer_load_dword v131, off, s[0:3], 0 offset:372
	buffer_load_dword v130, off, s[0:3], 0 offset:368
	s_waitcnt vmcnt(2)
	v_fmac_f64_e32 v[122:123], v[126:127], v[128:129]
	ds_read_b128 v[126:129], v124 offset:848
	s_waitcnt vmcnt(0) lgkmcnt(0)
	v_fmac_f64_e32 v[122:123], v[130:131], v[126:127]
	buffer_load_dword v127, off, s[0:3], 0 offset:380
	buffer_load_dword v126, off, s[0:3], 0 offset:376
	buffer_load_dword v131, off, s[0:3], 0 offset:388
	buffer_load_dword v130, off, s[0:3], 0 offset:384
	s_waitcnt vmcnt(2)
	v_fmac_f64_e32 v[122:123], v[126:127], v[128:129]
	ds_read_b128 v[126:129], v124 offset:864
	s_waitcnt vmcnt(0) lgkmcnt(0)
	v_fmac_f64_e32 v[122:123], v[130:131], v[126:127]
	buffer_load_dword v127, off, s[0:3], 0 offset:396
	buffer_load_dword v126, off, s[0:3], 0 offset:392
	buffer_load_dword v131, off, s[0:3], 0 offset:404
	buffer_load_dword v130, off, s[0:3], 0 offset:400
	s_waitcnt vmcnt(2)
	v_fmac_f64_e32 v[122:123], v[126:127], v[128:129]
	ds_read_b128 v[126:129], v124 offset:880
	s_waitcnt vmcnt(0) lgkmcnt(0)
	v_fmac_f64_e32 v[122:123], v[130:131], v[126:127]
	buffer_load_dword v127, off, s[0:3], 0 offset:412
	buffer_load_dword v126, off, s[0:3], 0 offset:408
	buffer_load_dword v131, off, s[0:3], 0 offset:420
	buffer_load_dword v130, off, s[0:3], 0 offset:416
	s_waitcnt vmcnt(2)
	v_fmac_f64_e32 v[122:123], v[126:127], v[128:129]
	ds_read_b128 v[126:129], v124 offset:896
	s_waitcnt vmcnt(0) lgkmcnt(0)
	v_fmac_f64_e32 v[122:123], v[130:131], v[126:127]
	buffer_load_dword v127, off, s[0:3], 0 offset:428
	buffer_load_dword v126, off, s[0:3], 0 offset:424
	buffer_load_dword v131, off, s[0:3], 0 offset:436
	buffer_load_dword v130, off, s[0:3], 0 offset:432
	s_waitcnt vmcnt(2)
	v_fmac_f64_e32 v[122:123], v[126:127], v[128:129]
	ds_read_b128 v[126:129], v124 offset:912
	s_waitcnt vmcnt(0) lgkmcnt(0)
	v_fmac_f64_e32 v[122:123], v[130:131], v[126:127]
	buffer_load_dword v127, off, s[0:3], 0 offset:444
	buffer_load_dword v126, off, s[0:3], 0 offset:440
	buffer_load_dword v131, off, s[0:3], 0 offset:452
	buffer_load_dword v130, off, s[0:3], 0 offset:448
	s_waitcnt vmcnt(2)
	v_fmac_f64_e32 v[122:123], v[126:127], v[128:129]
	ds_read_b128 v[126:129], v124 offset:928
	s_waitcnt vmcnt(0) lgkmcnt(0)
	v_fmac_f64_e32 v[122:123], v[130:131], v[126:127]
	buffer_load_dword v127, off, s[0:3], 0 offset:460
	buffer_load_dword v126, off, s[0:3], 0 offset:456
	s_waitcnt vmcnt(0)
	v_fmac_f64_e32 v[122:123], v[126:127], v[128:129]
	buffer_load_dword v127, off, s[0:3], 0 offset:468
	buffer_load_dword v126, off, s[0:3], 0 offset:464
	ds_read_b64 v[128:129], v124 offset:944
	s_waitcnt vmcnt(0) lgkmcnt(0)
	v_fmac_f64_e32 v[122:123], v[126:127], v[128:129]
	v_add_f64 v[120:121], v[120:121], -v[122:123]
	buffer_store_dword v121, off, s[0:3], 0 offset:220
	buffer_store_dword v120, off, s[0:3], 0 offset:216
	s_and_saveexec_b64 s[4:5], vcc
	s_cbranch_execz .LBB122_309
; %bb.308:
	buffer_load_dword v120, off, s[0:3], 0 offset:208
	buffer_load_dword v121, off, s[0:3], 0 offset:212
	s_waitcnt vmcnt(0)
	ds_write_b64 v1, v[120:121]
	buffer_store_dword v124, off, s[0:3], 0 offset:208
	buffer_store_dword v124, off, s[0:3], 0 offset:212
.LBB122_309:
	s_or_b64 exec, exec, s[4:5]
	s_waitcnt lgkmcnt(0)
	; wave barrier
	s_waitcnt lgkmcnt(0)
	buffer_load_dword v120, off, s[0:3], 0 offset:208
	buffer_load_dword v121, off, s[0:3], 0 offset:212
	;; [unrolled: 1-line block ×16, first 2 shown]
	ds_read2_b64 v[126:129], v124 offset0:87 offset1:88
	v_cmp_lt_u32_e32 vcc, 25, v0
	s_waitcnt vmcnt(12) lgkmcnt(0)
	v_fma_f64 v[122:123], v[122:123], v[126:127], 0
	s_waitcnt vmcnt(10)
	v_fmac_f64_e32 v[122:123], v[130:131], v[128:129]
	ds_read2_b64 v[126:129], v124 offset0:89 offset1:90
	s_waitcnt vmcnt(8) lgkmcnt(0)
	v_fmac_f64_e32 v[122:123], v[132:133], v[126:127]
	s_waitcnt vmcnt(6)
	v_fmac_f64_e32 v[122:123], v[134:135], v[128:129]
	ds_read2_b64 v[126:129], v124 offset0:91 offset1:92
	s_waitcnt vmcnt(4) lgkmcnt(0)
	v_fmac_f64_e32 v[122:123], v[136:137], v[126:127]
	;; [unrolled: 5-line block ×3, first 2 shown]
	buffer_load_dword v127, off, s[0:3], 0 offset:276
	buffer_load_dword v126, off, s[0:3], 0 offset:272
	buffer_load_dword v131, off, s[0:3], 0 offset:284
	buffer_load_dword v130, off, s[0:3], 0 offset:280
	s_waitcnt vmcnt(2)
	v_fmac_f64_e32 v[122:123], v[126:127], v[128:129]
	ds_read2_b64 v[126:129], v124 offset0:95 offset1:96
	s_waitcnt vmcnt(0) lgkmcnt(0)
	v_fmac_f64_e32 v[122:123], v[130:131], v[126:127]
	buffer_load_dword v127, off, s[0:3], 0 offset:292
	buffer_load_dword v126, off, s[0:3], 0 offset:288
	buffer_load_dword v131, off, s[0:3], 0 offset:300
	buffer_load_dword v130, off, s[0:3], 0 offset:296
	s_waitcnt vmcnt(2)
	v_fmac_f64_e32 v[122:123], v[126:127], v[128:129]
	ds_read2_b64 v[126:129], v124 offset0:97 offset1:98
	s_waitcnt vmcnt(0) lgkmcnt(0)
	v_fmac_f64_e32 v[122:123], v[130:131], v[126:127]
	;; [unrolled: 9-line block ×11, first 2 shown]
	buffer_load_dword v127, off, s[0:3], 0 offset:452
	buffer_load_dword v126, off, s[0:3], 0 offset:448
	s_waitcnt vmcnt(0)
	v_fmac_f64_e32 v[122:123], v[126:127], v[128:129]
	buffer_load_dword v129, off, s[0:3], 0 offset:460
	buffer_load_dword v128, off, s[0:3], 0 offset:456
	ds_read2_b64 v[124:127], v124 offset0:117 offset1:118
	s_waitcnt vmcnt(0) lgkmcnt(0)
	v_fmac_f64_e32 v[122:123], v[128:129], v[124:125]
	buffer_load_dword v125, off, s[0:3], 0 offset:468
	buffer_load_dword v124, off, s[0:3], 0 offset:464
	s_waitcnt vmcnt(0)
	v_fmac_f64_e32 v[122:123], v[124:125], v[126:127]
	v_add_f64 v[120:121], v[120:121], -v[122:123]
	buffer_store_dword v121, off, s[0:3], 0 offset:212
	buffer_store_dword v120, off, s[0:3], 0 offset:208
	s_and_saveexec_b64 s[4:5], vcc
	s_cbranch_execz .LBB122_311
; %bb.310:
	buffer_load_dword v120, off, s[0:3], 0 offset:200
	buffer_load_dword v121, off, s[0:3], 0 offset:204
	v_mov_b32_e32 v122, 0
	buffer_store_dword v122, off, s[0:3], 0 offset:200
	buffer_store_dword v122, off, s[0:3], 0 offset:204
	s_waitcnt vmcnt(2)
	ds_write_b64 v1, v[120:121]
.LBB122_311:
	s_or_b64 exec, exec, s[4:5]
	s_waitcnt lgkmcnt(0)
	; wave barrier
	s_waitcnt lgkmcnt(0)
	buffer_load_dword v120, off, s[0:3], 0 offset:200
	buffer_load_dword v121, off, s[0:3], 0 offset:204
	;; [unrolled: 1-line block ×16, first 2 shown]
	v_mov_b32_e32 v124, 0
	ds_read_b128 v[126:129], v124 offset:688
	ds_read_b128 v[130:133], v124 offset:704
	;; [unrolled: 1-line block ×4, first 2 shown]
	v_cmp_lt_u32_e32 vcc, 24, v0
	s_waitcnt vmcnt(12) lgkmcnt(3)
	v_fma_f64 v[122:123], v[122:123], v[126:127], 0
	buffer_load_dword v127, off, s[0:3], 0 offset:268
	buffer_load_dword v126, off, s[0:3], 0 offset:264
	s_waitcnt vmcnt(12)
	v_fmac_f64_e32 v[122:123], v[142:143], v[128:129]
	s_waitcnt vmcnt(10) lgkmcnt(2)
	v_fmac_f64_e32 v[122:123], v[144:145], v[130:131]
	buffer_load_dword v131, off, s[0:3], 0 offset:276
	buffer_load_dword v130, off, s[0:3], 0 offset:272
	s_waitcnt vmcnt(10)
	v_fmac_f64_e32 v[122:123], v[146:147], v[132:133]
	s_waitcnt vmcnt(8) lgkmcnt(1)
	v_fmac_f64_e32 v[122:123], v[148:149], v[134:135]
	s_waitcnt vmcnt(6)
	v_fmac_f64_e32 v[122:123], v[150:151], v[136:137]
	s_waitcnt vmcnt(4) lgkmcnt(0)
	v_fmac_f64_e32 v[122:123], v[152:153], v[138:139]
	s_waitcnt vmcnt(2)
	v_fmac_f64_e32 v[122:123], v[126:127], v[140:141]
	ds_read_b128 v[126:129], v124 offset:752
	s_waitcnt vmcnt(0) lgkmcnt(0)
	v_fmac_f64_e32 v[122:123], v[130:131], v[126:127]
	buffer_load_dword v127, off, s[0:3], 0 offset:284
	buffer_load_dword v126, off, s[0:3], 0 offset:280
	buffer_load_dword v131, off, s[0:3], 0 offset:292
	buffer_load_dword v130, off, s[0:3], 0 offset:288
	s_waitcnt vmcnt(2)
	v_fmac_f64_e32 v[122:123], v[126:127], v[128:129]
	ds_read_b128 v[126:129], v124 offset:768
	s_waitcnt vmcnt(0) lgkmcnt(0)
	v_fmac_f64_e32 v[122:123], v[130:131], v[126:127]
	buffer_load_dword v127, off, s[0:3], 0 offset:300
	buffer_load_dword v126, off, s[0:3], 0 offset:296
	buffer_load_dword v131, off, s[0:3], 0 offset:308
	buffer_load_dword v130, off, s[0:3], 0 offset:304
	;; [unrolled: 9-line block ×11, first 2 shown]
	s_waitcnt vmcnt(2)
	v_fmac_f64_e32 v[122:123], v[126:127], v[128:129]
	ds_read_b128 v[126:129], v124 offset:928
	s_waitcnt vmcnt(0) lgkmcnt(0)
	v_fmac_f64_e32 v[122:123], v[130:131], v[126:127]
	buffer_load_dword v127, off, s[0:3], 0 offset:460
	buffer_load_dword v126, off, s[0:3], 0 offset:456
	s_waitcnt vmcnt(0)
	v_fmac_f64_e32 v[122:123], v[126:127], v[128:129]
	buffer_load_dword v127, off, s[0:3], 0 offset:468
	buffer_load_dword v126, off, s[0:3], 0 offset:464
	ds_read_b64 v[128:129], v124 offset:944
	s_waitcnt vmcnt(0) lgkmcnt(0)
	v_fmac_f64_e32 v[122:123], v[126:127], v[128:129]
	v_add_f64 v[120:121], v[120:121], -v[122:123]
	buffer_store_dword v121, off, s[0:3], 0 offset:204
	buffer_store_dword v120, off, s[0:3], 0 offset:200
	s_and_saveexec_b64 s[4:5], vcc
	s_cbranch_execz .LBB122_313
; %bb.312:
	buffer_load_dword v120, off, s[0:3], 0 offset:192
	buffer_load_dword v121, off, s[0:3], 0 offset:196
	s_waitcnt vmcnt(0)
	ds_write_b64 v1, v[120:121]
	buffer_store_dword v124, off, s[0:3], 0 offset:192
	buffer_store_dword v124, off, s[0:3], 0 offset:196
.LBB122_313:
	s_or_b64 exec, exec, s[4:5]
	s_waitcnt lgkmcnt(0)
	; wave barrier
	s_waitcnt lgkmcnt(0)
	buffer_load_dword v120, off, s[0:3], 0 offset:192
	buffer_load_dword v121, off, s[0:3], 0 offset:196
	;; [unrolled: 1-line block ×16, first 2 shown]
	ds_read2_b64 v[126:129], v124 offset0:85 offset1:86
	v_cmp_lt_u32_e32 vcc, 23, v0
	s_waitcnt vmcnt(12) lgkmcnt(0)
	v_fma_f64 v[122:123], v[122:123], v[126:127], 0
	s_waitcnt vmcnt(10)
	v_fmac_f64_e32 v[122:123], v[130:131], v[128:129]
	ds_read2_b64 v[126:129], v124 offset0:87 offset1:88
	s_waitcnt vmcnt(8) lgkmcnt(0)
	v_fmac_f64_e32 v[122:123], v[132:133], v[126:127]
	s_waitcnt vmcnt(6)
	v_fmac_f64_e32 v[122:123], v[134:135], v[128:129]
	ds_read2_b64 v[126:129], v124 offset0:89 offset1:90
	s_waitcnt vmcnt(4) lgkmcnt(0)
	v_fmac_f64_e32 v[122:123], v[136:137], v[126:127]
	;; [unrolled: 5-line block ×3, first 2 shown]
	buffer_load_dword v127, off, s[0:3], 0 offset:260
	buffer_load_dword v126, off, s[0:3], 0 offset:256
	buffer_load_dword v131, off, s[0:3], 0 offset:268
	buffer_load_dword v130, off, s[0:3], 0 offset:264
	s_waitcnt vmcnt(2)
	v_fmac_f64_e32 v[122:123], v[126:127], v[128:129]
	ds_read2_b64 v[126:129], v124 offset0:93 offset1:94
	s_waitcnt vmcnt(0) lgkmcnt(0)
	v_fmac_f64_e32 v[122:123], v[130:131], v[126:127]
	buffer_load_dword v127, off, s[0:3], 0 offset:276
	buffer_load_dword v126, off, s[0:3], 0 offset:272
	buffer_load_dword v131, off, s[0:3], 0 offset:284
	buffer_load_dword v130, off, s[0:3], 0 offset:280
	s_waitcnt vmcnt(2)
	v_fmac_f64_e32 v[122:123], v[126:127], v[128:129]
	ds_read2_b64 v[126:129], v124 offset0:95 offset1:96
	s_waitcnt vmcnt(0) lgkmcnt(0)
	v_fmac_f64_e32 v[122:123], v[130:131], v[126:127]
	;; [unrolled: 9-line block ×12, first 2 shown]
	buffer_load_dword v127, off, s[0:3], 0 offset:452
	buffer_load_dword v126, off, s[0:3], 0 offset:448
	s_waitcnt vmcnt(0)
	v_fmac_f64_e32 v[122:123], v[126:127], v[128:129]
	buffer_load_dword v129, off, s[0:3], 0 offset:460
	buffer_load_dword v128, off, s[0:3], 0 offset:456
	ds_read2_b64 v[124:127], v124 offset0:117 offset1:118
	s_waitcnt vmcnt(0) lgkmcnt(0)
	v_fmac_f64_e32 v[122:123], v[128:129], v[124:125]
	buffer_load_dword v125, off, s[0:3], 0 offset:468
	buffer_load_dword v124, off, s[0:3], 0 offset:464
	s_waitcnt vmcnt(0)
	v_fmac_f64_e32 v[122:123], v[124:125], v[126:127]
	v_add_f64 v[120:121], v[120:121], -v[122:123]
	buffer_store_dword v121, off, s[0:3], 0 offset:196
	buffer_store_dword v120, off, s[0:3], 0 offset:192
	s_and_saveexec_b64 s[4:5], vcc
	s_cbranch_execz .LBB122_315
; %bb.314:
	buffer_load_dword v120, off, s[0:3], 0 offset:184
	buffer_load_dword v121, off, s[0:3], 0 offset:188
	v_mov_b32_e32 v122, 0
	buffer_store_dword v122, off, s[0:3], 0 offset:184
	buffer_store_dword v122, off, s[0:3], 0 offset:188
	s_waitcnt vmcnt(2)
	ds_write_b64 v1, v[120:121]
.LBB122_315:
	s_or_b64 exec, exec, s[4:5]
	s_waitcnt lgkmcnt(0)
	; wave barrier
	s_waitcnt lgkmcnt(0)
	buffer_load_dword v120, off, s[0:3], 0 offset:184
	buffer_load_dword v121, off, s[0:3], 0 offset:188
	;; [unrolled: 1-line block ×16, first 2 shown]
	v_mov_b32_e32 v124, 0
	ds_read_b128 v[126:129], v124 offset:672
	ds_read_b128 v[130:133], v124 offset:688
	;; [unrolled: 1-line block ×4, first 2 shown]
	v_cmp_lt_u32_e32 vcc, 22, v0
	s_waitcnt vmcnt(12) lgkmcnt(3)
	v_fma_f64 v[122:123], v[122:123], v[126:127], 0
	buffer_load_dword v127, off, s[0:3], 0 offset:252
	buffer_load_dword v126, off, s[0:3], 0 offset:248
	s_waitcnt vmcnt(12)
	v_fmac_f64_e32 v[122:123], v[142:143], v[128:129]
	s_waitcnt vmcnt(10) lgkmcnt(2)
	v_fmac_f64_e32 v[122:123], v[144:145], v[130:131]
	buffer_load_dword v131, off, s[0:3], 0 offset:260
	buffer_load_dword v130, off, s[0:3], 0 offset:256
	s_waitcnt vmcnt(10)
	v_fmac_f64_e32 v[122:123], v[146:147], v[132:133]
	s_waitcnt vmcnt(8) lgkmcnt(1)
	v_fmac_f64_e32 v[122:123], v[148:149], v[134:135]
	s_waitcnt vmcnt(6)
	v_fmac_f64_e32 v[122:123], v[150:151], v[136:137]
	s_waitcnt vmcnt(4) lgkmcnt(0)
	v_fmac_f64_e32 v[122:123], v[152:153], v[138:139]
	s_waitcnt vmcnt(2)
	v_fmac_f64_e32 v[122:123], v[126:127], v[140:141]
	ds_read_b128 v[126:129], v124 offset:736
	s_waitcnt vmcnt(0) lgkmcnt(0)
	v_fmac_f64_e32 v[122:123], v[130:131], v[126:127]
	buffer_load_dword v127, off, s[0:3], 0 offset:268
	buffer_load_dword v126, off, s[0:3], 0 offset:264
	buffer_load_dword v131, off, s[0:3], 0 offset:276
	buffer_load_dword v130, off, s[0:3], 0 offset:272
	s_waitcnt vmcnt(2)
	v_fmac_f64_e32 v[122:123], v[126:127], v[128:129]
	ds_read_b128 v[126:129], v124 offset:752
	s_waitcnt vmcnt(0) lgkmcnt(0)
	v_fmac_f64_e32 v[122:123], v[130:131], v[126:127]
	buffer_load_dword v127, off, s[0:3], 0 offset:284
	buffer_load_dword v126, off, s[0:3], 0 offset:280
	buffer_load_dword v131, off, s[0:3], 0 offset:292
	buffer_load_dword v130, off, s[0:3], 0 offset:288
	;; [unrolled: 9-line block ×12, first 2 shown]
	s_waitcnt vmcnt(2)
	v_fmac_f64_e32 v[122:123], v[126:127], v[128:129]
	ds_read_b128 v[126:129], v124 offset:928
	s_waitcnt vmcnt(0) lgkmcnt(0)
	v_fmac_f64_e32 v[122:123], v[130:131], v[126:127]
	buffer_load_dword v127, off, s[0:3], 0 offset:460
	buffer_load_dword v126, off, s[0:3], 0 offset:456
	s_waitcnt vmcnt(0)
	v_fmac_f64_e32 v[122:123], v[126:127], v[128:129]
	buffer_load_dword v127, off, s[0:3], 0 offset:468
	buffer_load_dword v126, off, s[0:3], 0 offset:464
	ds_read_b64 v[128:129], v124 offset:944
	s_waitcnt vmcnt(0) lgkmcnt(0)
	v_fmac_f64_e32 v[122:123], v[126:127], v[128:129]
	v_add_f64 v[120:121], v[120:121], -v[122:123]
	buffer_store_dword v121, off, s[0:3], 0 offset:188
	buffer_store_dword v120, off, s[0:3], 0 offset:184
	s_and_saveexec_b64 s[4:5], vcc
	s_cbranch_execz .LBB122_317
; %bb.316:
	buffer_load_dword v120, off, s[0:3], 0 offset:176
	buffer_load_dword v121, off, s[0:3], 0 offset:180
	s_waitcnt vmcnt(0)
	ds_write_b64 v1, v[120:121]
	buffer_store_dword v124, off, s[0:3], 0 offset:176
	buffer_store_dword v124, off, s[0:3], 0 offset:180
.LBB122_317:
	s_or_b64 exec, exec, s[4:5]
	s_waitcnt lgkmcnt(0)
	; wave barrier
	s_waitcnt lgkmcnt(0)
	buffer_load_dword v120, off, s[0:3], 0 offset:176
	buffer_load_dword v121, off, s[0:3], 0 offset:180
	;; [unrolled: 1-line block ×16, first 2 shown]
	ds_read2_b64 v[126:129], v124 offset0:83 offset1:84
	v_cmp_lt_u32_e32 vcc, 21, v0
	s_waitcnt vmcnt(12) lgkmcnt(0)
	v_fma_f64 v[122:123], v[122:123], v[126:127], 0
	s_waitcnt vmcnt(10)
	v_fmac_f64_e32 v[122:123], v[130:131], v[128:129]
	ds_read2_b64 v[126:129], v124 offset0:85 offset1:86
	s_waitcnt vmcnt(8) lgkmcnt(0)
	v_fmac_f64_e32 v[122:123], v[132:133], v[126:127]
	s_waitcnt vmcnt(6)
	v_fmac_f64_e32 v[122:123], v[134:135], v[128:129]
	ds_read2_b64 v[126:129], v124 offset0:87 offset1:88
	s_waitcnt vmcnt(4) lgkmcnt(0)
	v_fmac_f64_e32 v[122:123], v[136:137], v[126:127]
	;; [unrolled: 5-line block ×3, first 2 shown]
	buffer_load_dword v127, off, s[0:3], 0 offset:244
	buffer_load_dword v126, off, s[0:3], 0 offset:240
	buffer_load_dword v131, off, s[0:3], 0 offset:252
	buffer_load_dword v130, off, s[0:3], 0 offset:248
	s_waitcnt vmcnt(2)
	v_fmac_f64_e32 v[122:123], v[126:127], v[128:129]
	ds_read2_b64 v[126:129], v124 offset0:91 offset1:92
	s_waitcnt vmcnt(0) lgkmcnt(0)
	v_fmac_f64_e32 v[122:123], v[130:131], v[126:127]
	buffer_load_dword v127, off, s[0:3], 0 offset:260
	buffer_load_dword v126, off, s[0:3], 0 offset:256
	buffer_load_dword v131, off, s[0:3], 0 offset:268
	buffer_load_dword v130, off, s[0:3], 0 offset:264
	s_waitcnt vmcnt(2)
	v_fmac_f64_e32 v[122:123], v[126:127], v[128:129]
	ds_read2_b64 v[126:129], v124 offset0:93 offset1:94
	s_waitcnt vmcnt(0) lgkmcnt(0)
	v_fmac_f64_e32 v[122:123], v[130:131], v[126:127]
	;; [unrolled: 9-line block ×13, first 2 shown]
	buffer_load_dword v127, off, s[0:3], 0 offset:452
	buffer_load_dword v126, off, s[0:3], 0 offset:448
	s_waitcnt vmcnt(0)
	v_fmac_f64_e32 v[122:123], v[126:127], v[128:129]
	buffer_load_dword v129, off, s[0:3], 0 offset:460
	buffer_load_dword v128, off, s[0:3], 0 offset:456
	ds_read2_b64 v[124:127], v124 offset0:117 offset1:118
	s_waitcnt vmcnt(0) lgkmcnt(0)
	v_fmac_f64_e32 v[122:123], v[128:129], v[124:125]
	buffer_load_dword v125, off, s[0:3], 0 offset:468
	buffer_load_dword v124, off, s[0:3], 0 offset:464
	s_waitcnt vmcnt(0)
	v_fmac_f64_e32 v[122:123], v[124:125], v[126:127]
	v_add_f64 v[120:121], v[120:121], -v[122:123]
	buffer_store_dword v121, off, s[0:3], 0 offset:180
	buffer_store_dword v120, off, s[0:3], 0 offset:176
	s_and_saveexec_b64 s[4:5], vcc
	s_cbranch_execz .LBB122_319
; %bb.318:
	buffer_load_dword v120, off, s[0:3], 0 offset:168
	buffer_load_dword v121, off, s[0:3], 0 offset:172
	v_mov_b32_e32 v122, 0
	buffer_store_dword v122, off, s[0:3], 0 offset:168
	buffer_store_dword v122, off, s[0:3], 0 offset:172
	s_waitcnt vmcnt(2)
	ds_write_b64 v1, v[120:121]
.LBB122_319:
	s_or_b64 exec, exec, s[4:5]
	s_waitcnt lgkmcnt(0)
	; wave barrier
	s_waitcnt lgkmcnt(0)
	buffer_load_dword v120, off, s[0:3], 0 offset:168
	buffer_load_dword v121, off, s[0:3], 0 offset:172
	;; [unrolled: 1-line block ×16, first 2 shown]
	v_mov_b32_e32 v124, 0
	ds_read_b128 v[126:129], v124 offset:656
	ds_read_b128 v[130:133], v124 offset:672
	;; [unrolled: 1-line block ×4, first 2 shown]
	v_cmp_lt_u32_e32 vcc, 20, v0
	s_waitcnt vmcnt(12) lgkmcnt(3)
	v_fma_f64 v[122:123], v[122:123], v[126:127], 0
	buffer_load_dword v127, off, s[0:3], 0 offset:236
	buffer_load_dword v126, off, s[0:3], 0 offset:232
	s_waitcnt vmcnt(12)
	v_fmac_f64_e32 v[122:123], v[142:143], v[128:129]
	s_waitcnt vmcnt(10) lgkmcnt(2)
	v_fmac_f64_e32 v[122:123], v[144:145], v[130:131]
	buffer_load_dword v131, off, s[0:3], 0 offset:244
	buffer_load_dword v130, off, s[0:3], 0 offset:240
	s_waitcnt vmcnt(10)
	v_fmac_f64_e32 v[122:123], v[146:147], v[132:133]
	s_waitcnt vmcnt(8) lgkmcnt(1)
	v_fmac_f64_e32 v[122:123], v[148:149], v[134:135]
	s_waitcnt vmcnt(6)
	v_fmac_f64_e32 v[122:123], v[150:151], v[136:137]
	s_waitcnt vmcnt(4) lgkmcnt(0)
	v_fmac_f64_e32 v[122:123], v[152:153], v[138:139]
	s_waitcnt vmcnt(2)
	v_fmac_f64_e32 v[122:123], v[126:127], v[140:141]
	ds_read_b128 v[126:129], v124 offset:720
	s_waitcnt vmcnt(0) lgkmcnt(0)
	v_fmac_f64_e32 v[122:123], v[130:131], v[126:127]
	buffer_load_dword v127, off, s[0:3], 0 offset:252
	buffer_load_dword v126, off, s[0:3], 0 offset:248
	buffer_load_dword v131, off, s[0:3], 0 offset:260
	buffer_load_dword v130, off, s[0:3], 0 offset:256
	s_waitcnt vmcnt(2)
	v_fmac_f64_e32 v[122:123], v[126:127], v[128:129]
	ds_read_b128 v[126:129], v124 offset:736
	s_waitcnt vmcnt(0) lgkmcnt(0)
	v_fmac_f64_e32 v[122:123], v[130:131], v[126:127]
	buffer_load_dword v127, off, s[0:3], 0 offset:268
	buffer_load_dword v126, off, s[0:3], 0 offset:264
	buffer_load_dword v131, off, s[0:3], 0 offset:276
	buffer_load_dword v130, off, s[0:3], 0 offset:272
	;; [unrolled: 9-line block ×13, first 2 shown]
	s_waitcnt vmcnt(2)
	v_fmac_f64_e32 v[122:123], v[126:127], v[128:129]
	ds_read_b128 v[126:129], v124 offset:928
	s_waitcnt vmcnt(0) lgkmcnt(0)
	v_fmac_f64_e32 v[122:123], v[130:131], v[126:127]
	buffer_load_dword v127, off, s[0:3], 0 offset:460
	buffer_load_dword v126, off, s[0:3], 0 offset:456
	s_waitcnt vmcnt(0)
	v_fmac_f64_e32 v[122:123], v[126:127], v[128:129]
	buffer_load_dword v127, off, s[0:3], 0 offset:468
	buffer_load_dword v126, off, s[0:3], 0 offset:464
	ds_read_b64 v[128:129], v124 offset:944
	s_waitcnt vmcnt(0) lgkmcnt(0)
	v_fmac_f64_e32 v[122:123], v[126:127], v[128:129]
	v_add_f64 v[120:121], v[120:121], -v[122:123]
	buffer_store_dword v121, off, s[0:3], 0 offset:172
	buffer_store_dword v120, off, s[0:3], 0 offset:168
	s_and_saveexec_b64 s[4:5], vcc
	s_cbranch_execz .LBB122_321
; %bb.320:
	buffer_load_dword v120, off, s[0:3], 0 offset:160
	buffer_load_dword v121, off, s[0:3], 0 offset:164
	s_waitcnt vmcnt(0)
	ds_write_b64 v1, v[120:121]
	buffer_store_dword v124, off, s[0:3], 0 offset:160
	buffer_store_dword v124, off, s[0:3], 0 offset:164
.LBB122_321:
	s_or_b64 exec, exec, s[4:5]
	s_waitcnt lgkmcnt(0)
	; wave barrier
	s_waitcnt lgkmcnt(0)
	buffer_load_dword v120, off, s[0:3], 0 offset:160
	buffer_load_dword v121, off, s[0:3], 0 offset:164
	;; [unrolled: 1-line block ×16, first 2 shown]
	ds_read2_b64 v[126:129], v124 offset0:81 offset1:82
	v_cmp_lt_u32_e32 vcc, 19, v0
	s_waitcnt vmcnt(12) lgkmcnt(0)
	v_fma_f64 v[122:123], v[122:123], v[126:127], 0
	s_waitcnt vmcnt(10)
	v_fmac_f64_e32 v[122:123], v[130:131], v[128:129]
	ds_read2_b64 v[126:129], v124 offset0:83 offset1:84
	s_waitcnt vmcnt(8) lgkmcnt(0)
	v_fmac_f64_e32 v[122:123], v[132:133], v[126:127]
	s_waitcnt vmcnt(6)
	v_fmac_f64_e32 v[122:123], v[134:135], v[128:129]
	ds_read2_b64 v[126:129], v124 offset0:85 offset1:86
	s_waitcnt vmcnt(4) lgkmcnt(0)
	v_fmac_f64_e32 v[122:123], v[136:137], v[126:127]
	;; [unrolled: 5-line block ×3, first 2 shown]
	buffer_load_dword v127, off, s[0:3], 0 offset:228
	buffer_load_dword v126, off, s[0:3], 0 offset:224
	buffer_load_dword v131, off, s[0:3], 0 offset:236
	buffer_load_dword v130, off, s[0:3], 0 offset:232
	s_waitcnt vmcnt(2)
	v_fmac_f64_e32 v[122:123], v[126:127], v[128:129]
	ds_read2_b64 v[126:129], v124 offset0:89 offset1:90
	s_waitcnt vmcnt(0) lgkmcnt(0)
	v_fmac_f64_e32 v[122:123], v[130:131], v[126:127]
	buffer_load_dword v127, off, s[0:3], 0 offset:244
	buffer_load_dword v126, off, s[0:3], 0 offset:240
	buffer_load_dword v131, off, s[0:3], 0 offset:252
	buffer_load_dword v130, off, s[0:3], 0 offset:248
	s_waitcnt vmcnt(2)
	v_fmac_f64_e32 v[122:123], v[126:127], v[128:129]
	ds_read2_b64 v[126:129], v124 offset0:91 offset1:92
	s_waitcnt vmcnt(0) lgkmcnt(0)
	v_fmac_f64_e32 v[122:123], v[130:131], v[126:127]
	;; [unrolled: 9-line block ×14, first 2 shown]
	buffer_load_dword v127, off, s[0:3], 0 offset:452
	buffer_load_dword v126, off, s[0:3], 0 offset:448
	s_waitcnt vmcnt(0)
	v_fmac_f64_e32 v[122:123], v[126:127], v[128:129]
	buffer_load_dword v129, off, s[0:3], 0 offset:460
	buffer_load_dword v128, off, s[0:3], 0 offset:456
	ds_read2_b64 v[124:127], v124 offset0:117 offset1:118
	s_waitcnt vmcnt(0) lgkmcnt(0)
	v_fmac_f64_e32 v[122:123], v[128:129], v[124:125]
	buffer_load_dword v125, off, s[0:3], 0 offset:468
	buffer_load_dword v124, off, s[0:3], 0 offset:464
	s_waitcnt vmcnt(0)
	v_fmac_f64_e32 v[122:123], v[124:125], v[126:127]
	v_add_f64 v[120:121], v[120:121], -v[122:123]
	buffer_store_dword v121, off, s[0:3], 0 offset:164
	buffer_store_dword v120, off, s[0:3], 0 offset:160
	s_and_saveexec_b64 s[4:5], vcc
	s_cbranch_execz .LBB122_323
; %bb.322:
	buffer_load_dword v120, off, s[0:3], 0 offset:152
	buffer_load_dword v121, off, s[0:3], 0 offset:156
	v_mov_b32_e32 v122, 0
	buffer_store_dword v122, off, s[0:3], 0 offset:152
	buffer_store_dword v122, off, s[0:3], 0 offset:156
	s_waitcnt vmcnt(2)
	ds_write_b64 v1, v[120:121]
.LBB122_323:
	s_or_b64 exec, exec, s[4:5]
	s_waitcnt lgkmcnt(0)
	; wave barrier
	s_waitcnt lgkmcnt(0)
	buffer_load_dword v120, off, s[0:3], 0 offset:152
	buffer_load_dword v121, off, s[0:3], 0 offset:156
	;; [unrolled: 1-line block ×16, first 2 shown]
	v_mov_b32_e32 v124, 0
	ds_read_b128 v[126:129], v124 offset:640
	ds_read_b128 v[130:133], v124 offset:656
	;; [unrolled: 1-line block ×4, first 2 shown]
	v_cmp_lt_u32_e32 vcc, 18, v0
	s_waitcnt vmcnt(12) lgkmcnt(3)
	v_fma_f64 v[122:123], v[122:123], v[126:127], 0
	buffer_load_dword v127, off, s[0:3], 0 offset:220
	buffer_load_dword v126, off, s[0:3], 0 offset:216
	s_waitcnt vmcnt(12)
	v_fmac_f64_e32 v[122:123], v[142:143], v[128:129]
	s_waitcnt vmcnt(10) lgkmcnt(2)
	v_fmac_f64_e32 v[122:123], v[144:145], v[130:131]
	buffer_load_dword v131, off, s[0:3], 0 offset:228
	buffer_load_dword v130, off, s[0:3], 0 offset:224
	s_waitcnt vmcnt(10)
	v_fmac_f64_e32 v[122:123], v[146:147], v[132:133]
	s_waitcnt vmcnt(8) lgkmcnt(1)
	v_fmac_f64_e32 v[122:123], v[148:149], v[134:135]
	s_waitcnt vmcnt(6)
	v_fmac_f64_e32 v[122:123], v[150:151], v[136:137]
	s_waitcnt vmcnt(4) lgkmcnt(0)
	v_fmac_f64_e32 v[122:123], v[152:153], v[138:139]
	s_waitcnt vmcnt(2)
	v_fmac_f64_e32 v[122:123], v[126:127], v[140:141]
	ds_read_b128 v[126:129], v124 offset:704
	s_waitcnt vmcnt(0) lgkmcnt(0)
	v_fmac_f64_e32 v[122:123], v[130:131], v[126:127]
	buffer_load_dword v127, off, s[0:3], 0 offset:236
	buffer_load_dword v126, off, s[0:3], 0 offset:232
	buffer_load_dword v131, off, s[0:3], 0 offset:244
	buffer_load_dword v130, off, s[0:3], 0 offset:240
	s_waitcnt vmcnt(2)
	v_fmac_f64_e32 v[122:123], v[126:127], v[128:129]
	ds_read_b128 v[126:129], v124 offset:720
	s_waitcnt vmcnt(0) lgkmcnt(0)
	v_fmac_f64_e32 v[122:123], v[130:131], v[126:127]
	buffer_load_dword v127, off, s[0:3], 0 offset:252
	buffer_load_dword v126, off, s[0:3], 0 offset:248
	buffer_load_dword v131, off, s[0:3], 0 offset:260
	buffer_load_dword v130, off, s[0:3], 0 offset:256
	;; [unrolled: 9-line block ×14, first 2 shown]
	s_waitcnt vmcnt(2)
	v_fmac_f64_e32 v[122:123], v[126:127], v[128:129]
	ds_read_b128 v[126:129], v124 offset:928
	s_waitcnt vmcnt(0) lgkmcnt(0)
	v_fmac_f64_e32 v[122:123], v[130:131], v[126:127]
	buffer_load_dword v127, off, s[0:3], 0 offset:460
	buffer_load_dword v126, off, s[0:3], 0 offset:456
	s_waitcnt vmcnt(0)
	v_fmac_f64_e32 v[122:123], v[126:127], v[128:129]
	buffer_load_dword v127, off, s[0:3], 0 offset:468
	buffer_load_dword v126, off, s[0:3], 0 offset:464
	ds_read_b64 v[128:129], v124 offset:944
	s_waitcnt vmcnt(0) lgkmcnt(0)
	v_fmac_f64_e32 v[122:123], v[126:127], v[128:129]
	v_add_f64 v[120:121], v[120:121], -v[122:123]
	buffer_store_dword v121, off, s[0:3], 0 offset:156
	buffer_store_dword v120, off, s[0:3], 0 offset:152
	s_and_saveexec_b64 s[4:5], vcc
	s_cbranch_execz .LBB122_325
; %bb.324:
	buffer_load_dword v120, off, s[0:3], 0 offset:144
	buffer_load_dword v121, off, s[0:3], 0 offset:148
	s_waitcnt vmcnt(0)
	ds_write_b64 v1, v[120:121]
	buffer_store_dword v124, off, s[0:3], 0 offset:144
	buffer_store_dword v124, off, s[0:3], 0 offset:148
.LBB122_325:
	s_or_b64 exec, exec, s[4:5]
	s_waitcnt lgkmcnt(0)
	; wave barrier
	s_waitcnt lgkmcnt(0)
	buffer_load_dword v120, off, s[0:3], 0 offset:144
	buffer_load_dword v121, off, s[0:3], 0 offset:148
	;; [unrolled: 1-line block ×16, first 2 shown]
	ds_read2_b64 v[126:129], v124 offset0:79 offset1:80
	v_cmp_lt_u32_e32 vcc, 17, v0
	s_waitcnt vmcnt(12) lgkmcnt(0)
	v_fma_f64 v[122:123], v[122:123], v[126:127], 0
	s_waitcnt vmcnt(10)
	v_fmac_f64_e32 v[122:123], v[130:131], v[128:129]
	ds_read2_b64 v[126:129], v124 offset0:81 offset1:82
	s_waitcnt vmcnt(8) lgkmcnt(0)
	v_fmac_f64_e32 v[122:123], v[132:133], v[126:127]
	s_waitcnt vmcnt(6)
	v_fmac_f64_e32 v[122:123], v[134:135], v[128:129]
	ds_read2_b64 v[126:129], v124 offset0:83 offset1:84
	s_waitcnt vmcnt(4) lgkmcnt(0)
	v_fmac_f64_e32 v[122:123], v[136:137], v[126:127]
	;; [unrolled: 5-line block ×3, first 2 shown]
	buffer_load_dword v127, off, s[0:3], 0 offset:212
	buffer_load_dword v126, off, s[0:3], 0 offset:208
	buffer_load_dword v131, off, s[0:3], 0 offset:220
	buffer_load_dword v130, off, s[0:3], 0 offset:216
	s_waitcnt vmcnt(2)
	v_fmac_f64_e32 v[122:123], v[126:127], v[128:129]
	ds_read2_b64 v[126:129], v124 offset0:87 offset1:88
	s_waitcnt vmcnt(0) lgkmcnt(0)
	v_fmac_f64_e32 v[122:123], v[130:131], v[126:127]
	buffer_load_dword v127, off, s[0:3], 0 offset:228
	buffer_load_dword v126, off, s[0:3], 0 offset:224
	buffer_load_dword v131, off, s[0:3], 0 offset:236
	buffer_load_dword v130, off, s[0:3], 0 offset:232
	s_waitcnt vmcnt(2)
	v_fmac_f64_e32 v[122:123], v[126:127], v[128:129]
	ds_read2_b64 v[126:129], v124 offset0:89 offset1:90
	s_waitcnt vmcnt(0) lgkmcnt(0)
	v_fmac_f64_e32 v[122:123], v[130:131], v[126:127]
	;; [unrolled: 9-line block ×15, first 2 shown]
	buffer_load_dword v127, off, s[0:3], 0 offset:452
	buffer_load_dword v126, off, s[0:3], 0 offset:448
	s_waitcnt vmcnt(0)
	v_fmac_f64_e32 v[122:123], v[126:127], v[128:129]
	buffer_load_dword v129, off, s[0:3], 0 offset:460
	buffer_load_dword v128, off, s[0:3], 0 offset:456
	ds_read2_b64 v[124:127], v124 offset0:117 offset1:118
	s_waitcnt vmcnt(0) lgkmcnt(0)
	v_fmac_f64_e32 v[122:123], v[128:129], v[124:125]
	buffer_load_dword v125, off, s[0:3], 0 offset:468
	buffer_load_dword v124, off, s[0:3], 0 offset:464
	s_waitcnt vmcnt(0)
	v_fmac_f64_e32 v[122:123], v[124:125], v[126:127]
	v_add_f64 v[120:121], v[120:121], -v[122:123]
	buffer_store_dword v121, off, s[0:3], 0 offset:148
	buffer_store_dword v120, off, s[0:3], 0 offset:144
	s_and_saveexec_b64 s[4:5], vcc
	s_cbranch_execz .LBB122_327
; %bb.326:
	buffer_load_dword v120, off, s[0:3], 0 offset:136
	buffer_load_dword v121, off, s[0:3], 0 offset:140
	v_mov_b32_e32 v122, 0
	buffer_store_dword v122, off, s[0:3], 0 offset:136
	buffer_store_dword v122, off, s[0:3], 0 offset:140
	s_waitcnt vmcnt(2)
	ds_write_b64 v1, v[120:121]
.LBB122_327:
	s_or_b64 exec, exec, s[4:5]
	s_waitcnt lgkmcnt(0)
	; wave barrier
	s_waitcnt lgkmcnt(0)
	buffer_load_dword v120, off, s[0:3], 0 offset:136
	buffer_load_dword v121, off, s[0:3], 0 offset:140
	;; [unrolled: 1-line block ×16, first 2 shown]
	v_mov_b32_e32 v124, 0
	ds_read_b128 v[126:129], v124 offset:624
	ds_read_b128 v[130:133], v124 offset:640
	;; [unrolled: 1-line block ×4, first 2 shown]
	v_cmp_lt_u32_e32 vcc, 16, v0
	s_waitcnt vmcnt(12) lgkmcnt(3)
	v_fma_f64 v[122:123], v[122:123], v[126:127], 0
	buffer_load_dword v127, off, s[0:3], 0 offset:204
	buffer_load_dword v126, off, s[0:3], 0 offset:200
	s_waitcnt vmcnt(12)
	v_fmac_f64_e32 v[122:123], v[142:143], v[128:129]
	s_waitcnt vmcnt(10) lgkmcnt(2)
	v_fmac_f64_e32 v[122:123], v[144:145], v[130:131]
	buffer_load_dword v131, off, s[0:3], 0 offset:212
	buffer_load_dword v130, off, s[0:3], 0 offset:208
	s_waitcnt vmcnt(10)
	v_fmac_f64_e32 v[122:123], v[146:147], v[132:133]
	s_waitcnt vmcnt(8) lgkmcnt(1)
	v_fmac_f64_e32 v[122:123], v[148:149], v[134:135]
	s_waitcnt vmcnt(6)
	v_fmac_f64_e32 v[122:123], v[150:151], v[136:137]
	s_waitcnt vmcnt(4) lgkmcnt(0)
	v_fmac_f64_e32 v[122:123], v[152:153], v[138:139]
	s_waitcnt vmcnt(2)
	v_fmac_f64_e32 v[122:123], v[126:127], v[140:141]
	ds_read_b128 v[126:129], v124 offset:688
	s_waitcnt vmcnt(0) lgkmcnt(0)
	v_fmac_f64_e32 v[122:123], v[130:131], v[126:127]
	buffer_load_dword v127, off, s[0:3], 0 offset:220
	buffer_load_dword v126, off, s[0:3], 0 offset:216
	buffer_load_dword v131, off, s[0:3], 0 offset:228
	buffer_load_dword v130, off, s[0:3], 0 offset:224
	s_waitcnt vmcnt(2)
	v_fmac_f64_e32 v[122:123], v[126:127], v[128:129]
	ds_read_b128 v[126:129], v124 offset:704
	s_waitcnt vmcnt(0) lgkmcnt(0)
	v_fmac_f64_e32 v[122:123], v[130:131], v[126:127]
	buffer_load_dword v127, off, s[0:3], 0 offset:236
	buffer_load_dword v126, off, s[0:3], 0 offset:232
	buffer_load_dword v131, off, s[0:3], 0 offset:244
	buffer_load_dword v130, off, s[0:3], 0 offset:240
	;; [unrolled: 9-line block ×15, first 2 shown]
	s_waitcnt vmcnt(2)
	v_fmac_f64_e32 v[122:123], v[126:127], v[128:129]
	ds_read_b128 v[126:129], v124 offset:928
	s_waitcnt vmcnt(0) lgkmcnt(0)
	v_fmac_f64_e32 v[122:123], v[130:131], v[126:127]
	buffer_load_dword v127, off, s[0:3], 0 offset:460
	buffer_load_dword v126, off, s[0:3], 0 offset:456
	s_waitcnt vmcnt(0)
	v_fmac_f64_e32 v[122:123], v[126:127], v[128:129]
	buffer_load_dword v127, off, s[0:3], 0 offset:468
	buffer_load_dword v126, off, s[0:3], 0 offset:464
	ds_read_b64 v[128:129], v124 offset:944
	s_waitcnt vmcnt(0) lgkmcnt(0)
	v_fmac_f64_e32 v[122:123], v[126:127], v[128:129]
	v_add_f64 v[120:121], v[120:121], -v[122:123]
	buffer_store_dword v121, off, s[0:3], 0 offset:140
	buffer_store_dword v120, off, s[0:3], 0 offset:136
	s_and_saveexec_b64 s[4:5], vcc
	s_cbranch_execz .LBB122_329
; %bb.328:
	buffer_load_dword v120, off, s[0:3], 0 offset:128
	buffer_load_dword v121, off, s[0:3], 0 offset:132
	s_waitcnt vmcnt(0)
	ds_write_b64 v1, v[120:121]
	buffer_store_dword v124, off, s[0:3], 0 offset:128
	buffer_store_dword v124, off, s[0:3], 0 offset:132
.LBB122_329:
	s_or_b64 exec, exec, s[4:5]
	s_waitcnt lgkmcnt(0)
	; wave barrier
	s_waitcnt lgkmcnt(0)
	buffer_load_dword v120, off, s[0:3], 0 offset:128
	buffer_load_dword v121, off, s[0:3], 0 offset:132
	;; [unrolled: 1-line block ×16, first 2 shown]
	ds_read2_b64 v[126:129], v124 offset0:77 offset1:78
	v_cmp_lt_u32_e32 vcc, 15, v0
	s_waitcnt vmcnt(12) lgkmcnt(0)
	v_fma_f64 v[122:123], v[122:123], v[126:127], 0
	s_waitcnt vmcnt(10)
	v_fmac_f64_e32 v[122:123], v[130:131], v[128:129]
	ds_read2_b64 v[126:129], v124 offset0:79 offset1:80
	s_waitcnt vmcnt(8) lgkmcnt(0)
	v_fmac_f64_e32 v[122:123], v[132:133], v[126:127]
	s_waitcnt vmcnt(6)
	v_fmac_f64_e32 v[122:123], v[134:135], v[128:129]
	ds_read2_b64 v[126:129], v124 offset0:81 offset1:82
	s_waitcnt vmcnt(4) lgkmcnt(0)
	v_fmac_f64_e32 v[122:123], v[136:137], v[126:127]
	;; [unrolled: 5-line block ×3, first 2 shown]
	buffer_load_dword v127, off, s[0:3], 0 offset:196
	buffer_load_dword v126, off, s[0:3], 0 offset:192
	buffer_load_dword v131, off, s[0:3], 0 offset:204
	buffer_load_dword v130, off, s[0:3], 0 offset:200
	s_waitcnt vmcnt(2)
	v_fmac_f64_e32 v[122:123], v[126:127], v[128:129]
	ds_read2_b64 v[126:129], v124 offset0:85 offset1:86
	s_waitcnt vmcnt(0) lgkmcnt(0)
	v_fmac_f64_e32 v[122:123], v[130:131], v[126:127]
	buffer_load_dword v127, off, s[0:3], 0 offset:212
	buffer_load_dword v126, off, s[0:3], 0 offset:208
	buffer_load_dword v131, off, s[0:3], 0 offset:220
	buffer_load_dword v130, off, s[0:3], 0 offset:216
	s_waitcnt vmcnt(2)
	v_fmac_f64_e32 v[122:123], v[126:127], v[128:129]
	ds_read2_b64 v[126:129], v124 offset0:87 offset1:88
	s_waitcnt vmcnt(0) lgkmcnt(0)
	v_fmac_f64_e32 v[122:123], v[130:131], v[126:127]
	;; [unrolled: 9-line block ×16, first 2 shown]
	buffer_load_dword v127, off, s[0:3], 0 offset:452
	buffer_load_dword v126, off, s[0:3], 0 offset:448
	s_waitcnt vmcnt(0)
	v_fmac_f64_e32 v[122:123], v[126:127], v[128:129]
	buffer_load_dword v129, off, s[0:3], 0 offset:460
	buffer_load_dword v128, off, s[0:3], 0 offset:456
	ds_read2_b64 v[124:127], v124 offset0:117 offset1:118
	s_waitcnt vmcnt(0) lgkmcnt(0)
	v_fmac_f64_e32 v[122:123], v[128:129], v[124:125]
	buffer_load_dword v125, off, s[0:3], 0 offset:468
	buffer_load_dword v124, off, s[0:3], 0 offset:464
	s_waitcnt vmcnt(0)
	v_fmac_f64_e32 v[122:123], v[124:125], v[126:127]
	v_add_f64 v[120:121], v[120:121], -v[122:123]
	buffer_store_dword v121, off, s[0:3], 0 offset:132
	buffer_store_dword v120, off, s[0:3], 0 offset:128
	s_and_saveexec_b64 s[4:5], vcc
	s_cbranch_execz .LBB122_331
; %bb.330:
	buffer_load_dword v120, off, s[0:3], 0 offset:120
	buffer_load_dword v121, off, s[0:3], 0 offset:124
	v_mov_b32_e32 v122, 0
	buffer_store_dword v122, off, s[0:3], 0 offset:120
	buffer_store_dword v122, off, s[0:3], 0 offset:124
	s_waitcnt vmcnt(2)
	ds_write_b64 v1, v[120:121]
.LBB122_331:
	s_or_b64 exec, exec, s[4:5]
	s_waitcnt lgkmcnt(0)
	; wave barrier
	s_waitcnt lgkmcnt(0)
	buffer_load_dword v120, off, s[0:3], 0 offset:120
	buffer_load_dword v121, off, s[0:3], 0 offset:124
	;; [unrolled: 1-line block ×16, first 2 shown]
	v_mov_b32_e32 v124, 0
	ds_read_b128 v[126:129], v124 offset:608
	ds_read_b128 v[130:133], v124 offset:624
	ds_read_b128 v[134:137], v124 offset:640
	ds_read_b128 v[138:141], v124 offset:656
	v_cmp_lt_u32_e32 vcc, 14, v0
	s_waitcnt vmcnt(12) lgkmcnt(3)
	v_fma_f64 v[122:123], v[122:123], v[126:127], 0
	buffer_load_dword v127, off, s[0:3], 0 offset:188
	buffer_load_dword v126, off, s[0:3], 0 offset:184
	s_waitcnt vmcnt(12)
	v_fmac_f64_e32 v[122:123], v[142:143], v[128:129]
	s_waitcnt vmcnt(10) lgkmcnt(2)
	v_fmac_f64_e32 v[122:123], v[144:145], v[130:131]
	buffer_load_dword v131, off, s[0:3], 0 offset:196
	buffer_load_dword v130, off, s[0:3], 0 offset:192
	s_waitcnt vmcnt(10)
	v_fmac_f64_e32 v[122:123], v[146:147], v[132:133]
	s_waitcnt vmcnt(8) lgkmcnt(1)
	v_fmac_f64_e32 v[122:123], v[148:149], v[134:135]
	s_waitcnt vmcnt(6)
	v_fmac_f64_e32 v[122:123], v[150:151], v[136:137]
	s_waitcnt vmcnt(4) lgkmcnt(0)
	v_fmac_f64_e32 v[122:123], v[152:153], v[138:139]
	s_waitcnt vmcnt(2)
	v_fmac_f64_e32 v[122:123], v[126:127], v[140:141]
	ds_read_b128 v[126:129], v124 offset:672
	s_waitcnt vmcnt(0) lgkmcnt(0)
	v_fmac_f64_e32 v[122:123], v[130:131], v[126:127]
	buffer_load_dword v127, off, s[0:3], 0 offset:204
	buffer_load_dword v126, off, s[0:3], 0 offset:200
	buffer_load_dword v131, off, s[0:3], 0 offset:212
	buffer_load_dword v130, off, s[0:3], 0 offset:208
	s_waitcnt vmcnt(2)
	v_fmac_f64_e32 v[122:123], v[126:127], v[128:129]
	ds_read_b128 v[126:129], v124 offset:688
	s_waitcnt vmcnt(0) lgkmcnt(0)
	v_fmac_f64_e32 v[122:123], v[130:131], v[126:127]
	buffer_load_dword v127, off, s[0:3], 0 offset:220
	buffer_load_dword v126, off, s[0:3], 0 offset:216
	buffer_load_dword v131, off, s[0:3], 0 offset:228
	buffer_load_dword v130, off, s[0:3], 0 offset:224
	;; [unrolled: 9-line block ×16, first 2 shown]
	s_waitcnt vmcnt(2)
	v_fmac_f64_e32 v[122:123], v[126:127], v[128:129]
	ds_read_b128 v[126:129], v124 offset:928
	s_waitcnt vmcnt(0) lgkmcnt(0)
	v_fmac_f64_e32 v[122:123], v[130:131], v[126:127]
	buffer_load_dword v127, off, s[0:3], 0 offset:460
	buffer_load_dword v126, off, s[0:3], 0 offset:456
	s_waitcnt vmcnt(0)
	v_fmac_f64_e32 v[122:123], v[126:127], v[128:129]
	buffer_load_dword v127, off, s[0:3], 0 offset:468
	buffer_load_dword v126, off, s[0:3], 0 offset:464
	ds_read_b64 v[128:129], v124 offset:944
	s_waitcnt vmcnt(0) lgkmcnt(0)
	v_fmac_f64_e32 v[122:123], v[126:127], v[128:129]
	v_add_f64 v[120:121], v[120:121], -v[122:123]
	buffer_store_dword v121, off, s[0:3], 0 offset:124
	buffer_store_dword v120, off, s[0:3], 0 offset:120
	s_and_saveexec_b64 s[4:5], vcc
	s_cbranch_execz .LBB122_333
; %bb.332:
	buffer_load_dword v120, off, s[0:3], 0 offset:112
	buffer_load_dword v121, off, s[0:3], 0 offset:116
	s_waitcnt vmcnt(0)
	ds_write_b64 v1, v[120:121]
	buffer_store_dword v124, off, s[0:3], 0 offset:112
	buffer_store_dword v124, off, s[0:3], 0 offset:116
.LBB122_333:
	s_or_b64 exec, exec, s[4:5]
	s_waitcnt lgkmcnt(0)
	; wave barrier
	s_waitcnt lgkmcnt(0)
	buffer_load_dword v120, off, s[0:3], 0 offset:112
	buffer_load_dword v121, off, s[0:3], 0 offset:116
	;; [unrolled: 1-line block ×16, first 2 shown]
	ds_read2_b64 v[126:129], v124 offset0:75 offset1:76
	v_cmp_lt_u32_e32 vcc, 13, v0
	s_waitcnt vmcnt(12) lgkmcnt(0)
	v_fma_f64 v[122:123], v[122:123], v[126:127], 0
	s_waitcnt vmcnt(10)
	v_fmac_f64_e32 v[122:123], v[130:131], v[128:129]
	ds_read2_b64 v[126:129], v124 offset0:77 offset1:78
	s_waitcnt vmcnt(8) lgkmcnt(0)
	v_fmac_f64_e32 v[122:123], v[132:133], v[126:127]
	s_waitcnt vmcnt(6)
	v_fmac_f64_e32 v[122:123], v[134:135], v[128:129]
	ds_read2_b64 v[126:129], v124 offset0:79 offset1:80
	s_waitcnt vmcnt(4) lgkmcnt(0)
	v_fmac_f64_e32 v[122:123], v[136:137], v[126:127]
	;; [unrolled: 5-line block ×3, first 2 shown]
	buffer_load_dword v127, off, s[0:3], 0 offset:180
	buffer_load_dword v126, off, s[0:3], 0 offset:176
	buffer_load_dword v131, off, s[0:3], 0 offset:188
	buffer_load_dword v130, off, s[0:3], 0 offset:184
	s_waitcnt vmcnt(2)
	v_fmac_f64_e32 v[122:123], v[126:127], v[128:129]
	ds_read2_b64 v[126:129], v124 offset0:83 offset1:84
	s_waitcnt vmcnt(0) lgkmcnt(0)
	v_fmac_f64_e32 v[122:123], v[130:131], v[126:127]
	buffer_load_dword v127, off, s[0:3], 0 offset:196
	buffer_load_dword v126, off, s[0:3], 0 offset:192
	buffer_load_dword v131, off, s[0:3], 0 offset:204
	buffer_load_dword v130, off, s[0:3], 0 offset:200
	s_waitcnt vmcnt(2)
	v_fmac_f64_e32 v[122:123], v[126:127], v[128:129]
	ds_read2_b64 v[126:129], v124 offset0:85 offset1:86
	s_waitcnt vmcnt(0) lgkmcnt(0)
	v_fmac_f64_e32 v[122:123], v[130:131], v[126:127]
	;; [unrolled: 9-line block ×17, first 2 shown]
	buffer_load_dword v127, off, s[0:3], 0 offset:452
	buffer_load_dword v126, off, s[0:3], 0 offset:448
	s_waitcnt vmcnt(0)
	v_fmac_f64_e32 v[122:123], v[126:127], v[128:129]
	buffer_load_dword v129, off, s[0:3], 0 offset:460
	buffer_load_dword v128, off, s[0:3], 0 offset:456
	ds_read2_b64 v[124:127], v124 offset0:117 offset1:118
	s_waitcnt vmcnt(0) lgkmcnt(0)
	v_fmac_f64_e32 v[122:123], v[128:129], v[124:125]
	buffer_load_dword v125, off, s[0:3], 0 offset:468
	buffer_load_dword v124, off, s[0:3], 0 offset:464
	s_waitcnt vmcnt(0)
	v_fmac_f64_e32 v[122:123], v[124:125], v[126:127]
	v_add_f64 v[120:121], v[120:121], -v[122:123]
	buffer_store_dword v121, off, s[0:3], 0 offset:116
	buffer_store_dword v120, off, s[0:3], 0 offset:112
	s_and_saveexec_b64 s[4:5], vcc
	s_cbranch_execz .LBB122_335
; %bb.334:
	buffer_load_dword v120, off, s[0:3], 0 offset:104
	buffer_load_dword v121, off, s[0:3], 0 offset:108
	v_mov_b32_e32 v122, 0
	buffer_store_dword v122, off, s[0:3], 0 offset:104
	buffer_store_dword v122, off, s[0:3], 0 offset:108
	s_waitcnt vmcnt(2)
	ds_write_b64 v1, v[120:121]
.LBB122_335:
	s_or_b64 exec, exec, s[4:5]
	s_waitcnt lgkmcnt(0)
	; wave barrier
	s_waitcnt lgkmcnt(0)
	buffer_load_dword v120, off, s[0:3], 0 offset:104
	buffer_load_dword v121, off, s[0:3], 0 offset:108
	;; [unrolled: 1-line block ×16, first 2 shown]
	v_mov_b32_e32 v124, 0
	ds_read_b128 v[126:129], v124 offset:592
	ds_read_b128 v[130:133], v124 offset:608
	;; [unrolled: 1-line block ×4, first 2 shown]
	v_cmp_lt_u32_e32 vcc, 12, v0
	s_waitcnt vmcnt(12) lgkmcnt(3)
	v_fma_f64 v[122:123], v[122:123], v[126:127], 0
	buffer_load_dword v127, off, s[0:3], 0 offset:172
	buffer_load_dword v126, off, s[0:3], 0 offset:168
	s_waitcnt vmcnt(12)
	v_fmac_f64_e32 v[122:123], v[142:143], v[128:129]
	s_waitcnt vmcnt(10) lgkmcnt(2)
	v_fmac_f64_e32 v[122:123], v[144:145], v[130:131]
	buffer_load_dword v131, off, s[0:3], 0 offset:180
	buffer_load_dword v130, off, s[0:3], 0 offset:176
	s_waitcnt vmcnt(10)
	v_fmac_f64_e32 v[122:123], v[146:147], v[132:133]
	s_waitcnt vmcnt(8) lgkmcnt(1)
	v_fmac_f64_e32 v[122:123], v[148:149], v[134:135]
	s_waitcnt vmcnt(6)
	v_fmac_f64_e32 v[122:123], v[150:151], v[136:137]
	s_waitcnt vmcnt(4) lgkmcnt(0)
	v_fmac_f64_e32 v[122:123], v[152:153], v[138:139]
	s_waitcnt vmcnt(2)
	v_fmac_f64_e32 v[122:123], v[126:127], v[140:141]
	ds_read_b128 v[126:129], v124 offset:656
	s_waitcnt vmcnt(0) lgkmcnt(0)
	v_fmac_f64_e32 v[122:123], v[130:131], v[126:127]
	buffer_load_dword v127, off, s[0:3], 0 offset:188
	buffer_load_dword v126, off, s[0:3], 0 offset:184
	buffer_load_dword v131, off, s[0:3], 0 offset:196
	buffer_load_dword v130, off, s[0:3], 0 offset:192
	s_waitcnt vmcnt(2)
	v_fmac_f64_e32 v[122:123], v[126:127], v[128:129]
	ds_read_b128 v[126:129], v124 offset:672
	s_waitcnt vmcnt(0) lgkmcnt(0)
	v_fmac_f64_e32 v[122:123], v[130:131], v[126:127]
	buffer_load_dword v127, off, s[0:3], 0 offset:204
	buffer_load_dword v126, off, s[0:3], 0 offset:200
	buffer_load_dword v131, off, s[0:3], 0 offset:212
	buffer_load_dword v130, off, s[0:3], 0 offset:208
	;; [unrolled: 9-line block ×17, first 2 shown]
	s_waitcnt vmcnt(2)
	v_fmac_f64_e32 v[122:123], v[126:127], v[128:129]
	ds_read_b128 v[126:129], v124 offset:928
	s_waitcnt vmcnt(0) lgkmcnt(0)
	v_fmac_f64_e32 v[122:123], v[130:131], v[126:127]
	buffer_load_dword v127, off, s[0:3], 0 offset:460
	buffer_load_dword v126, off, s[0:3], 0 offset:456
	s_waitcnt vmcnt(0)
	v_fmac_f64_e32 v[122:123], v[126:127], v[128:129]
	buffer_load_dword v127, off, s[0:3], 0 offset:468
	buffer_load_dword v126, off, s[0:3], 0 offset:464
	ds_read_b64 v[128:129], v124 offset:944
	s_waitcnt vmcnt(0) lgkmcnt(0)
	v_fmac_f64_e32 v[122:123], v[126:127], v[128:129]
	v_add_f64 v[120:121], v[120:121], -v[122:123]
	buffer_store_dword v121, off, s[0:3], 0 offset:108
	buffer_store_dword v120, off, s[0:3], 0 offset:104
	s_and_saveexec_b64 s[4:5], vcc
	s_cbranch_execz .LBB122_337
; %bb.336:
	buffer_load_dword v120, off, s[0:3], 0 offset:96
	buffer_load_dword v121, off, s[0:3], 0 offset:100
	s_waitcnt vmcnt(0)
	ds_write_b64 v1, v[120:121]
	buffer_store_dword v124, off, s[0:3], 0 offset:96
	buffer_store_dword v124, off, s[0:3], 0 offset:100
.LBB122_337:
	s_or_b64 exec, exec, s[4:5]
	s_waitcnt lgkmcnt(0)
	; wave barrier
	s_waitcnt lgkmcnt(0)
	buffer_load_dword v120, off, s[0:3], 0 offset:96
	buffer_load_dword v121, off, s[0:3], 0 offset:100
	;; [unrolled: 1-line block ×16, first 2 shown]
	ds_read2_b64 v[126:129], v124 offset0:73 offset1:74
	v_cmp_lt_u32_e32 vcc, 11, v0
	s_waitcnt vmcnt(12) lgkmcnt(0)
	v_fma_f64 v[122:123], v[122:123], v[126:127], 0
	s_waitcnt vmcnt(10)
	v_fmac_f64_e32 v[122:123], v[130:131], v[128:129]
	ds_read2_b64 v[126:129], v124 offset0:75 offset1:76
	s_waitcnt vmcnt(8) lgkmcnt(0)
	v_fmac_f64_e32 v[122:123], v[132:133], v[126:127]
	s_waitcnt vmcnt(6)
	v_fmac_f64_e32 v[122:123], v[134:135], v[128:129]
	ds_read2_b64 v[126:129], v124 offset0:77 offset1:78
	s_waitcnt vmcnt(4) lgkmcnt(0)
	v_fmac_f64_e32 v[122:123], v[136:137], v[126:127]
	;; [unrolled: 5-line block ×3, first 2 shown]
	buffer_load_dword v127, off, s[0:3], 0 offset:164
	buffer_load_dword v126, off, s[0:3], 0 offset:160
	buffer_load_dword v131, off, s[0:3], 0 offset:172
	buffer_load_dword v130, off, s[0:3], 0 offset:168
	s_waitcnt vmcnt(2)
	v_fmac_f64_e32 v[122:123], v[126:127], v[128:129]
	ds_read2_b64 v[126:129], v124 offset0:81 offset1:82
	s_waitcnt vmcnt(0) lgkmcnt(0)
	v_fmac_f64_e32 v[122:123], v[130:131], v[126:127]
	buffer_load_dword v127, off, s[0:3], 0 offset:180
	buffer_load_dword v126, off, s[0:3], 0 offset:176
	buffer_load_dword v131, off, s[0:3], 0 offset:188
	buffer_load_dword v130, off, s[0:3], 0 offset:184
	s_waitcnt vmcnt(2)
	v_fmac_f64_e32 v[122:123], v[126:127], v[128:129]
	ds_read2_b64 v[126:129], v124 offset0:83 offset1:84
	s_waitcnt vmcnt(0) lgkmcnt(0)
	v_fmac_f64_e32 v[122:123], v[130:131], v[126:127]
	;; [unrolled: 9-line block ×18, first 2 shown]
	buffer_load_dword v127, off, s[0:3], 0 offset:452
	buffer_load_dword v126, off, s[0:3], 0 offset:448
	s_waitcnt vmcnt(0)
	v_fmac_f64_e32 v[122:123], v[126:127], v[128:129]
	buffer_load_dword v129, off, s[0:3], 0 offset:460
	buffer_load_dword v128, off, s[0:3], 0 offset:456
	ds_read2_b64 v[124:127], v124 offset0:117 offset1:118
	s_waitcnt vmcnt(0) lgkmcnt(0)
	v_fmac_f64_e32 v[122:123], v[128:129], v[124:125]
	buffer_load_dword v125, off, s[0:3], 0 offset:468
	buffer_load_dword v124, off, s[0:3], 0 offset:464
	s_waitcnt vmcnt(0)
	v_fmac_f64_e32 v[122:123], v[124:125], v[126:127]
	v_add_f64 v[120:121], v[120:121], -v[122:123]
	buffer_store_dword v121, off, s[0:3], 0 offset:100
	buffer_store_dword v120, off, s[0:3], 0 offset:96
	s_and_saveexec_b64 s[4:5], vcc
	s_cbranch_execz .LBB122_339
; %bb.338:
	buffer_load_dword v120, off, s[0:3], 0 offset:88
	buffer_load_dword v121, off, s[0:3], 0 offset:92
	v_mov_b32_e32 v122, 0
	buffer_store_dword v122, off, s[0:3], 0 offset:88
	buffer_store_dword v122, off, s[0:3], 0 offset:92
	s_waitcnt vmcnt(2)
	ds_write_b64 v1, v[120:121]
.LBB122_339:
	s_or_b64 exec, exec, s[4:5]
	s_waitcnt lgkmcnt(0)
	; wave barrier
	s_waitcnt lgkmcnt(0)
	buffer_load_dword v120, off, s[0:3], 0 offset:88
	buffer_load_dword v121, off, s[0:3], 0 offset:92
	;; [unrolled: 1-line block ×16, first 2 shown]
	v_mov_b32_e32 v124, 0
	ds_read_b128 v[126:129], v124 offset:576
	ds_read_b128 v[130:133], v124 offset:592
	;; [unrolled: 1-line block ×4, first 2 shown]
	v_cmp_lt_u32_e32 vcc, 10, v0
	s_waitcnt vmcnt(12) lgkmcnt(3)
	v_fma_f64 v[122:123], v[122:123], v[126:127], 0
	buffer_load_dword v127, off, s[0:3], 0 offset:156
	buffer_load_dword v126, off, s[0:3], 0 offset:152
	s_waitcnt vmcnt(12)
	v_fmac_f64_e32 v[122:123], v[142:143], v[128:129]
	s_waitcnt vmcnt(10) lgkmcnt(2)
	v_fmac_f64_e32 v[122:123], v[144:145], v[130:131]
	buffer_load_dword v131, off, s[0:3], 0 offset:164
	buffer_load_dword v130, off, s[0:3], 0 offset:160
	s_waitcnt vmcnt(10)
	v_fmac_f64_e32 v[122:123], v[146:147], v[132:133]
	s_waitcnt vmcnt(8) lgkmcnt(1)
	v_fmac_f64_e32 v[122:123], v[148:149], v[134:135]
	s_waitcnt vmcnt(6)
	v_fmac_f64_e32 v[122:123], v[150:151], v[136:137]
	s_waitcnt vmcnt(4) lgkmcnt(0)
	v_fmac_f64_e32 v[122:123], v[152:153], v[138:139]
	s_waitcnt vmcnt(2)
	v_fmac_f64_e32 v[122:123], v[126:127], v[140:141]
	ds_read_b128 v[126:129], v124 offset:640
	s_waitcnt vmcnt(0) lgkmcnt(0)
	v_fmac_f64_e32 v[122:123], v[130:131], v[126:127]
	buffer_load_dword v127, off, s[0:3], 0 offset:172
	buffer_load_dword v126, off, s[0:3], 0 offset:168
	buffer_load_dword v131, off, s[0:3], 0 offset:180
	buffer_load_dword v130, off, s[0:3], 0 offset:176
	s_waitcnt vmcnt(2)
	v_fmac_f64_e32 v[122:123], v[126:127], v[128:129]
	ds_read_b128 v[126:129], v124 offset:656
	s_waitcnt vmcnt(0) lgkmcnt(0)
	v_fmac_f64_e32 v[122:123], v[130:131], v[126:127]
	buffer_load_dword v127, off, s[0:3], 0 offset:188
	buffer_load_dword v126, off, s[0:3], 0 offset:184
	buffer_load_dword v131, off, s[0:3], 0 offset:196
	buffer_load_dword v130, off, s[0:3], 0 offset:192
	;; [unrolled: 9-line block ×18, first 2 shown]
	s_waitcnt vmcnt(2)
	v_fmac_f64_e32 v[122:123], v[126:127], v[128:129]
	ds_read_b128 v[126:129], v124 offset:928
	s_waitcnt vmcnt(0) lgkmcnt(0)
	v_fmac_f64_e32 v[122:123], v[130:131], v[126:127]
	buffer_load_dword v127, off, s[0:3], 0 offset:460
	buffer_load_dword v126, off, s[0:3], 0 offset:456
	s_waitcnt vmcnt(0)
	v_fmac_f64_e32 v[122:123], v[126:127], v[128:129]
	buffer_load_dword v127, off, s[0:3], 0 offset:468
	buffer_load_dword v126, off, s[0:3], 0 offset:464
	ds_read_b64 v[128:129], v124 offset:944
	s_waitcnt vmcnt(0) lgkmcnt(0)
	v_fmac_f64_e32 v[122:123], v[126:127], v[128:129]
	v_add_f64 v[120:121], v[120:121], -v[122:123]
	buffer_store_dword v121, off, s[0:3], 0 offset:92
	buffer_store_dword v120, off, s[0:3], 0 offset:88
	s_and_saveexec_b64 s[4:5], vcc
	s_cbranch_execz .LBB122_341
; %bb.340:
	buffer_load_dword v120, off, s[0:3], 0 offset:80
	buffer_load_dword v121, off, s[0:3], 0 offset:84
	s_waitcnt vmcnt(0)
	ds_write_b64 v1, v[120:121]
	buffer_store_dword v124, off, s[0:3], 0 offset:80
	buffer_store_dword v124, off, s[0:3], 0 offset:84
.LBB122_341:
	s_or_b64 exec, exec, s[4:5]
	s_waitcnt lgkmcnt(0)
	; wave barrier
	s_waitcnt lgkmcnt(0)
	buffer_load_dword v120, off, s[0:3], 0 offset:80
	buffer_load_dword v121, off, s[0:3], 0 offset:84
	;; [unrolled: 1-line block ×16, first 2 shown]
	ds_read2_b64 v[126:129], v124 offset0:71 offset1:72
	v_cmp_lt_u32_e32 vcc, 9, v0
	s_waitcnt vmcnt(12) lgkmcnt(0)
	v_fma_f64 v[122:123], v[122:123], v[126:127], 0
	s_waitcnt vmcnt(10)
	v_fmac_f64_e32 v[122:123], v[130:131], v[128:129]
	ds_read2_b64 v[126:129], v124 offset0:73 offset1:74
	s_waitcnt vmcnt(8) lgkmcnt(0)
	v_fmac_f64_e32 v[122:123], v[132:133], v[126:127]
	s_waitcnt vmcnt(6)
	v_fmac_f64_e32 v[122:123], v[134:135], v[128:129]
	ds_read2_b64 v[126:129], v124 offset0:75 offset1:76
	s_waitcnt vmcnt(4) lgkmcnt(0)
	v_fmac_f64_e32 v[122:123], v[136:137], v[126:127]
	;; [unrolled: 5-line block ×3, first 2 shown]
	buffer_load_dword v127, off, s[0:3], 0 offset:148
	buffer_load_dword v126, off, s[0:3], 0 offset:144
	buffer_load_dword v131, off, s[0:3], 0 offset:156
	buffer_load_dword v130, off, s[0:3], 0 offset:152
	s_waitcnt vmcnt(2)
	v_fmac_f64_e32 v[122:123], v[126:127], v[128:129]
	ds_read2_b64 v[126:129], v124 offset0:79 offset1:80
	s_waitcnt vmcnt(0) lgkmcnt(0)
	v_fmac_f64_e32 v[122:123], v[130:131], v[126:127]
	buffer_load_dword v127, off, s[0:3], 0 offset:164
	buffer_load_dword v126, off, s[0:3], 0 offset:160
	buffer_load_dword v131, off, s[0:3], 0 offset:172
	buffer_load_dword v130, off, s[0:3], 0 offset:168
	s_waitcnt vmcnt(2)
	v_fmac_f64_e32 v[122:123], v[126:127], v[128:129]
	ds_read2_b64 v[126:129], v124 offset0:81 offset1:82
	s_waitcnt vmcnt(0) lgkmcnt(0)
	v_fmac_f64_e32 v[122:123], v[130:131], v[126:127]
	;; [unrolled: 9-line block ×19, first 2 shown]
	buffer_load_dword v127, off, s[0:3], 0 offset:452
	buffer_load_dword v126, off, s[0:3], 0 offset:448
	s_waitcnt vmcnt(0)
	v_fmac_f64_e32 v[122:123], v[126:127], v[128:129]
	buffer_load_dword v129, off, s[0:3], 0 offset:460
	buffer_load_dword v128, off, s[0:3], 0 offset:456
	ds_read2_b64 v[124:127], v124 offset0:117 offset1:118
	s_waitcnt vmcnt(0) lgkmcnt(0)
	v_fmac_f64_e32 v[122:123], v[128:129], v[124:125]
	buffer_load_dword v125, off, s[0:3], 0 offset:468
	buffer_load_dword v124, off, s[0:3], 0 offset:464
	s_waitcnt vmcnt(0)
	v_fmac_f64_e32 v[122:123], v[124:125], v[126:127]
	v_add_f64 v[120:121], v[120:121], -v[122:123]
	buffer_store_dword v121, off, s[0:3], 0 offset:84
	buffer_store_dword v120, off, s[0:3], 0 offset:80
	s_and_saveexec_b64 s[4:5], vcc
	s_cbranch_execz .LBB122_343
; %bb.342:
	buffer_load_dword v120, off, s[0:3], 0 offset:72
	buffer_load_dword v121, off, s[0:3], 0 offset:76
	v_mov_b32_e32 v122, 0
	buffer_store_dword v122, off, s[0:3], 0 offset:72
	buffer_store_dword v122, off, s[0:3], 0 offset:76
	s_waitcnt vmcnt(2)
	ds_write_b64 v1, v[120:121]
.LBB122_343:
	s_or_b64 exec, exec, s[4:5]
	s_waitcnt lgkmcnt(0)
	; wave barrier
	s_waitcnt lgkmcnt(0)
	buffer_load_dword v120, off, s[0:3], 0 offset:72
	buffer_load_dword v121, off, s[0:3], 0 offset:76
	;; [unrolled: 1-line block ×16, first 2 shown]
	v_mov_b32_e32 v124, 0
	ds_read_b128 v[126:129], v124 offset:560
	v_cmp_lt_u32_e32 vcc, 8, v0
	s_waitcnt vmcnt(12) lgkmcnt(0)
	v_fma_f64 v[122:123], v[122:123], v[126:127], 0
	s_waitcnt vmcnt(10)
	v_fmac_f64_e32 v[122:123], v[130:131], v[128:129]
	ds_read_b128 v[126:129], v124 offset:576
	s_waitcnt vmcnt(8) lgkmcnt(0)
	v_fmac_f64_e32 v[122:123], v[132:133], v[126:127]
	s_waitcnt vmcnt(6)
	v_fmac_f64_e32 v[122:123], v[134:135], v[128:129]
	ds_read_b128 v[126:129], v124 offset:592
	s_waitcnt vmcnt(4) lgkmcnt(0)
	v_fmac_f64_e32 v[122:123], v[136:137], v[126:127]
	;; [unrolled: 5-line block ×3, first 2 shown]
	buffer_load_dword v127, off, s[0:3], 0 offset:140
	buffer_load_dword v126, off, s[0:3], 0 offset:136
	buffer_load_dword v131, off, s[0:3], 0 offset:148
	buffer_load_dword v130, off, s[0:3], 0 offset:144
	s_waitcnt vmcnt(2)
	v_fmac_f64_e32 v[122:123], v[126:127], v[128:129]
	ds_read_b128 v[126:129], v124 offset:624
	s_waitcnt vmcnt(0) lgkmcnt(0)
	v_fmac_f64_e32 v[122:123], v[130:131], v[126:127]
	buffer_load_dword v127, off, s[0:3], 0 offset:156
	buffer_load_dword v126, off, s[0:3], 0 offset:152
	buffer_load_dword v131, off, s[0:3], 0 offset:164
	buffer_load_dword v130, off, s[0:3], 0 offset:160
	s_waitcnt vmcnt(2)
	v_fmac_f64_e32 v[122:123], v[126:127], v[128:129]
	ds_read_b128 v[126:129], v124 offset:640
	s_waitcnt vmcnt(0) lgkmcnt(0)
	v_fmac_f64_e32 v[122:123], v[130:131], v[126:127]
	;; [unrolled: 9-line block ×20, first 2 shown]
	buffer_load_dword v127, off, s[0:3], 0 offset:460
	buffer_load_dword v126, off, s[0:3], 0 offset:456
	s_waitcnt vmcnt(0)
	v_fmac_f64_e32 v[122:123], v[126:127], v[128:129]
	buffer_load_dword v127, off, s[0:3], 0 offset:468
	buffer_load_dword v126, off, s[0:3], 0 offset:464
	ds_read_b64 v[128:129], v124 offset:944
	s_waitcnt vmcnt(0) lgkmcnt(0)
	v_fmac_f64_e32 v[122:123], v[126:127], v[128:129]
	v_add_f64 v[120:121], v[120:121], -v[122:123]
	buffer_store_dword v121, off, s[0:3], 0 offset:76
	buffer_store_dword v120, off, s[0:3], 0 offset:72
	s_and_saveexec_b64 s[4:5], vcc
	s_cbranch_execz .LBB122_345
; %bb.344:
	buffer_load_dword v120, off, s[0:3], 0 offset:64
	buffer_load_dword v121, off, s[0:3], 0 offset:68
	s_waitcnt vmcnt(0)
	ds_write_b64 v1, v[120:121]
	buffer_store_dword v124, off, s[0:3], 0 offset:64
	buffer_store_dword v124, off, s[0:3], 0 offset:68
.LBB122_345:
	s_or_b64 exec, exec, s[4:5]
	s_waitcnt lgkmcnt(0)
	; wave barrier
	s_waitcnt lgkmcnt(0)
	buffer_load_dword v120, off, s[0:3], 0 offset:64
	buffer_load_dword v121, off, s[0:3], 0 offset:68
	;; [unrolled: 1-line block ×16, first 2 shown]
	ds_read2_b64 v[126:129], v124 offset0:69 offset1:70
	v_cmp_lt_u32_e32 vcc, 7, v0
	s_waitcnt vmcnt(12) lgkmcnt(0)
	v_fma_f64 v[122:123], v[122:123], v[126:127], 0
	s_waitcnt vmcnt(10)
	v_fmac_f64_e32 v[122:123], v[130:131], v[128:129]
	ds_read2_b64 v[126:129], v124 offset0:71 offset1:72
	s_waitcnt vmcnt(8) lgkmcnt(0)
	v_fmac_f64_e32 v[122:123], v[132:133], v[126:127]
	s_waitcnt vmcnt(6)
	v_fmac_f64_e32 v[122:123], v[134:135], v[128:129]
	ds_read2_b64 v[126:129], v124 offset0:73 offset1:74
	s_waitcnt vmcnt(4) lgkmcnt(0)
	v_fmac_f64_e32 v[122:123], v[136:137], v[126:127]
	;; [unrolled: 5-line block ×3, first 2 shown]
	buffer_load_dword v127, off, s[0:3], 0 offset:132
	buffer_load_dword v126, off, s[0:3], 0 offset:128
	buffer_load_dword v131, off, s[0:3], 0 offset:140
	buffer_load_dword v130, off, s[0:3], 0 offset:136
	s_waitcnt vmcnt(2)
	v_fmac_f64_e32 v[122:123], v[126:127], v[128:129]
	ds_read2_b64 v[126:129], v124 offset0:77 offset1:78
	s_waitcnt vmcnt(0) lgkmcnt(0)
	v_fmac_f64_e32 v[122:123], v[130:131], v[126:127]
	buffer_load_dword v127, off, s[0:3], 0 offset:148
	buffer_load_dword v126, off, s[0:3], 0 offset:144
	buffer_load_dword v131, off, s[0:3], 0 offset:156
	buffer_load_dword v130, off, s[0:3], 0 offset:152
	s_waitcnt vmcnt(2)
	v_fmac_f64_e32 v[122:123], v[126:127], v[128:129]
	ds_read2_b64 v[126:129], v124 offset0:79 offset1:80
	s_waitcnt vmcnt(0) lgkmcnt(0)
	v_fmac_f64_e32 v[122:123], v[130:131], v[126:127]
	;; [unrolled: 9-line block ×20, first 2 shown]
	buffer_load_dword v127, off, s[0:3], 0 offset:452
	buffer_load_dword v126, off, s[0:3], 0 offset:448
	s_waitcnt vmcnt(0)
	v_fmac_f64_e32 v[122:123], v[126:127], v[128:129]
	buffer_load_dword v129, off, s[0:3], 0 offset:460
	buffer_load_dword v128, off, s[0:3], 0 offset:456
	ds_read2_b64 v[124:127], v124 offset0:117 offset1:118
	s_waitcnt vmcnt(0) lgkmcnt(0)
	v_fmac_f64_e32 v[122:123], v[128:129], v[124:125]
	buffer_load_dword v125, off, s[0:3], 0 offset:468
	buffer_load_dword v124, off, s[0:3], 0 offset:464
	s_waitcnt vmcnt(0)
	v_fmac_f64_e32 v[122:123], v[124:125], v[126:127]
	v_add_f64 v[120:121], v[120:121], -v[122:123]
	buffer_store_dword v121, off, s[0:3], 0 offset:68
	buffer_store_dword v120, off, s[0:3], 0 offset:64
	s_and_saveexec_b64 s[4:5], vcc
	s_cbranch_execz .LBB122_347
; %bb.346:
	buffer_load_dword v120, off, s[0:3], 0 offset:56
	buffer_load_dword v121, off, s[0:3], 0 offset:60
	v_mov_b32_e32 v122, 0
	buffer_store_dword v122, off, s[0:3], 0 offset:56
	buffer_store_dword v122, off, s[0:3], 0 offset:60
	s_waitcnt vmcnt(2)
	ds_write_b64 v1, v[120:121]
.LBB122_347:
	s_or_b64 exec, exec, s[4:5]
	s_waitcnt lgkmcnt(0)
	; wave barrier
	s_waitcnt lgkmcnt(0)
	buffer_load_dword v120, off, s[0:3], 0 offset:56
	buffer_load_dword v121, off, s[0:3], 0 offset:60
	;; [unrolled: 1-line block ×16, first 2 shown]
	v_mov_b32_e32 v124, 0
	ds_read_b128 v[126:129], v124 offset:544
	v_cmp_lt_u32_e32 vcc, 6, v0
	s_waitcnt vmcnt(12) lgkmcnt(0)
	v_fma_f64 v[122:123], v[122:123], v[126:127], 0
	s_waitcnt vmcnt(10)
	v_fmac_f64_e32 v[122:123], v[130:131], v[128:129]
	ds_read_b128 v[126:129], v124 offset:560
	s_waitcnt vmcnt(8) lgkmcnt(0)
	v_fmac_f64_e32 v[122:123], v[132:133], v[126:127]
	s_waitcnt vmcnt(6)
	v_fmac_f64_e32 v[122:123], v[134:135], v[128:129]
	ds_read_b128 v[126:129], v124 offset:576
	s_waitcnt vmcnt(4) lgkmcnt(0)
	v_fmac_f64_e32 v[122:123], v[136:137], v[126:127]
	;; [unrolled: 5-line block ×3, first 2 shown]
	buffer_load_dword v127, off, s[0:3], 0 offset:124
	buffer_load_dword v126, off, s[0:3], 0 offset:120
	buffer_load_dword v131, off, s[0:3], 0 offset:132
	buffer_load_dword v130, off, s[0:3], 0 offset:128
	s_waitcnt vmcnt(2)
	v_fmac_f64_e32 v[122:123], v[126:127], v[128:129]
	ds_read_b128 v[126:129], v124 offset:608
	s_waitcnt vmcnt(0) lgkmcnt(0)
	v_fmac_f64_e32 v[122:123], v[130:131], v[126:127]
	buffer_load_dword v127, off, s[0:3], 0 offset:140
	buffer_load_dword v126, off, s[0:3], 0 offset:136
	buffer_load_dword v131, off, s[0:3], 0 offset:148
	buffer_load_dword v130, off, s[0:3], 0 offset:144
	s_waitcnt vmcnt(2)
	v_fmac_f64_e32 v[122:123], v[126:127], v[128:129]
	ds_read_b128 v[126:129], v124 offset:624
	s_waitcnt vmcnt(0) lgkmcnt(0)
	v_fmac_f64_e32 v[122:123], v[130:131], v[126:127]
	;; [unrolled: 9-line block ×21, first 2 shown]
	buffer_load_dword v127, off, s[0:3], 0 offset:460
	buffer_load_dword v126, off, s[0:3], 0 offset:456
	s_waitcnt vmcnt(0)
	v_fmac_f64_e32 v[122:123], v[126:127], v[128:129]
	buffer_load_dword v127, off, s[0:3], 0 offset:468
	buffer_load_dword v126, off, s[0:3], 0 offset:464
	ds_read_b64 v[128:129], v124 offset:944
	s_waitcnt vmcnt(0) lgkmcnt(0)
	v_fmac_f64_e32 v[122:123], v[126:127], v[128:129]
	v_add_f64 v[120:121], v[120:121], -v[122:123]
	buffer_store_dword v121, off, s[0:3], 0 offset:60
	buffer_store_dword v120, off, s[0:3], 0 offset:56
	s_and_saveexec_b64 s[4:5], vcc
	s_cbranch_execz .LBB122_349
; %bb.348:
	buffer_load_dword v120, off, s[0:3], 0 offset:48
	buffer_load_dword v121, off, s[0:3], 0 offset:52
	s_waitcnt vmcnt(0)
	ds_write_b64 v1, v[120:121]
	buffer_store_dword v124, off, s[0:3], 0 offset:48
	buffer_store_dword v124, off, s[0:3], 0 offset:52
.LBB122_349:
	s_or_b64 exec, exec, s[4:5]
	s_waitcnt lgkmcnt(0)
	; wave barrier
	s_waitcnt lgkmcnt(0)
	buffer_load_dword v120, off, s[0:3], 0 offset:48
	buffer_load_dword v121, off, s[0:3], 0 offset:52
	;; [unrolled: 1-line block ×16, first 2 shown]
	ds_read2_b64 v[126:129], v124 offset0:67 offset1:68
	v_cmp_lt_u32_e32 vcc, 5, v0
	s_waitcnt vmcnt(12) lgkmcnt(0)
	v_fma_f64 v[122:123], v[122:123], v[126:127], 0
	s_waitcnt vmcnt(10)
	v_fmac_f64_e32 v[122:123], v[130:131], v[128:129]
	ds_read2_b64 v[126:129], v124 offset0:69 offset1:70
	s_waitcnt vmcnt(8) lgkmcnt(0)
	v_fmac_f64_e32 v[122:123], v[132:133], v[126:127]
	s_waitcnt vmcnt(6)
	v_fmac_f64_e32 v[122:123], v[134:135], v[128:129]
	ds_read2_b64 v[126:129], v124 offset0:71 offset1:72
	s_waitcnt vmcnt(4) lgkmcnt(0)
	v_fmac_f64_e32 v[122:123], v[136:137], v[126:127]
	;; [unrolled: 5-line block ×3, first 2 shown]
	buffer_load_dword v127, off, s[0:3], 0 offset:116
	buffer_load_dword v126, off, s[0:3], 0 offset:112
	buffer_load_dword v131, off, s[0:3], 0 offset:124
	buffer_load_dword v130, off, s[0:3], 0 offset:120
	s_waitcnt vmcnt(2)
	v_fmac_f64_e32 v[122:123], v[126:127], v[128:129]
	ds_read2_b64 v[126:129], v124 offset0:75 offset1:76
	s_waitcnt vmcnt(0) lgkmcnt(0)
	v_fmac_f64_e32 v[122:123], v[130:131], v[126:127]
	buffer_load_dword v127, off, s[0:3], 0 offset:132
	buffer_load_dword v126, off, s[0:3], 0 offset:128
	buffer_load_dword v131, off, s[0:3], 0 offset:140
	buffer_load_dword v130, off, s[0:3], 0 offset:136
	s_waitcnt vmcnt(2)
	v_fmac_f64_e32 v[122:123], v[126:127], v[128:129]
	ds_read2_b64 v[126:129], v124 offset0:77 offset1:78
	s_waitcnt vmcnt(0) lgkmcnt(0)
	v_fmac_f64_e32 v[122:123], v[130:131], v[126:127]
	;; [unrolled: 9-line block ×21, first 2 shown]
	buffer_load_dword v127, off, s[0:3], 0 offset:452
	buffer_load_dword v126, off, s[0:3], 0 offset:448
	s_waitcnt vmcnt(0)
	v_fmac_f64_e32 v[122:123], v[126:127], v[128:129]
	buffer_load_dword v129, off, s[0:3], 0 offset:460
	buffer_load_dword v128, off, s[0:3], 0 offset:456
	ds_read2_b64 v[124:127], v124 offset0:117 offset1:118
	s_waitcnt vmcnt(0) lgkmcnt(0)
	v_fmac_f64_e32 v[122:123], v[128:129], v[124:125]
	buffer_load_dword v125, off, s[0:3], 0 offset:468
	buffer_load_dword v124, off, s[0:3], 0 offset:464
	s_waitcnt vmcnt(0)
	v_fmac_f64_e32 v[122:123], v[124:125], v[126:127]
	v_add_f64 v[120:121], v[120:121], -v[122:123]
	buffer_store_dword v121, off, s[0:3], 0 offset:52
	buffer_store_dword v120, off, s[0:3], 0 offset:48
	s_and_saveexec_b64 s[4:5], vcc
	s_cbranch_execz .LBB122_351
; %bb.350:
	buffer_load_dword v120, off, s[0:3], 0 offset:40
	buffer_load_dword v121, off, s[0:3], 0 offset:44
	v_mov_b32_e32 v122, 0
	buffer_store_dword v122, off, s[0:3], 0 offset:40
	buffer_store_dword v122, off, s[0:3], 0 offset:44
	s_waitcnt vmcnt(2)
	ds_write_b64 v1, v[120:121]
.LBB122_351:
	s_or_b64 exec, exec, s[4:5]
	s_waitcnt lgkmcnt(0)
	; wave barrier
	s_waitcnt lgkmcnt(0)
	buffer_load_dword v120, off, s[0:3], 0 offset:40
	buffer_load_dword v121, off, s[0:3], 0 offset:44
	;; [unrolled: 1-line block ×16, first 2 shown]
	v_mov_b32_e32 v124, 0
	ds_read_b128 v[126:129], v124 offset:528
	v_cmp_lt_u32_e32 vcc, 4, v0
	s_waitcnt vmcnt(12) lgkmcnt(0)
	v_fma_f64 v[122:123], v[122:123], v[126:127], 0
	s_waitcnt vmcnt(10)
	v_fmac_f64_e32 v[122:123], v[130:131], v[128:129]
	ds_read_b128 v[126:129], v124 offset:544
	s_waitcnt vmcnt(8) lgkmcnt(0)
	v_fmac_f64_e32 v[122:123], v[132:133], v[126:127]
	s_waitcnt vmcnt(6)
	v_fmac_f64_e32 v[122:123], v[134:135], v[128:129]
	ds_read_b128 v[126:129], v124 offset:560
	s_waitcnt vmcnt(4) lgkmcnt(0)
	v_fmac_f64_e32 v[122:123], v[136:137], v[126:127]
	;; [unrolled: 5-line block ×3, first 2 shown]
	buffer_load_dword v127, off, s[0:3], 0 offset:108
	buffer_load_dword v126, off, s[0:3], 0 offset:104
	buffer_load_dword v131, off, s[0:3], 0 offset:116
	buffer_load_dword v130, off, s[0:3], 0 offset:112
	s_waitcnt vmcnt(2)
	v_fmac_f64_e32 v[122:123], v[126:127], v[128:129]
	ds_read_b128 v[126:129], v124 offset:592
	s_waitcnt vmcnt(0) lgkmcnt(0)
	v_fmac_f64_e32 v[122:123], v[130:131], v[126:127]
	buffer_load_dword v127, off, s[0:3], 0 offset:124
	buffer_load_dword v126, off, s[0:3], 0 offset:120
	buffer_load_dword v131, off, s[0:3], 0 offset:132
	buffer_load_dword v130, off, s[0:3], 0 offset:128
	s_waitcnt vmcnt(2)
	v_fmac_f64_e32 v[122:123], v[126:127], v[128:129]
	ds_read_b128 v[126:129], v124 offset:608
	s_waitcnt vmcnt(0) lgkmcnt(0)
	v_fmac_f64_e32 v[122:123], v[130:131], v[126:127]
	;; [unrolled: 9-line block ×22, first 2 shown]
	buffer_load_dword v127, off, s[0:3], 0 offset:460
	buffer_load_dword v126, off, s[0:3], 0 offset:456
	s_waitcnt vmcnt(0)
	v_fmac_f64_e32 v[122:123], v[126:127], v[128:129]
	buffer_load_dword v127, off, s[0:3], 0 offset:468
	buffer_load_dword v126, off, s[0:3], 0 offset:464
	ds_read_b64 v[128:129], v124 offset:944
	s_waitcnt vmcnt(0) lgkmcnt(0)
	v_fmac_f64_e32 v[122:123], v[126:127], v[128:129]
	v_add_f64 v[120:121], v[120:121], -v[122:123]
	buffer_store_dword v121, off, s[0:3], 0 offset:44
	buffer_store_dword v120, off, s[0:3], 0 offset:40
	s_and_saveexec_b64 s[4:5], vcc
	s_cbranch_execz .LBB122_353
; %bb.352:
	buffer_load_dword v120, off, s[0:3], 0 offset:32
	buffer_load_dword v121, off, s[0:3], 0 offset:36
	s_waitcnt vmcnt(0)
	ds_write_b64 v1, v[120:121]
	buffer_store_dword v124, off, s[0:3], 0 offset:32
	buffer_store_dword v124, off, s[0:3], 0 offset:36
.LBB122_353:
	s_or_b64 exec, exec, s[4:5]
	s_waitcnt lgkmcnt(0)
	; wave barrier
	s_waitcnt lgkmcnt(0)
	buffer_load_dword v120, off, s[0:3], 0 offset:32
	buffer_load_dword v121, off, s[0:3], 0 offset:36
	;; [unrolled: 1-line block ×16, first 2 shown]
	ds_read2_b64 v[126:129], v124 offset0:65 offset1:66
	v_cmp_lt_u32_e32 vcc, 3, v0
	s_waitcnt vmcnt(12) lgkmcnt(0)
	v_fma_f64 v[122:123], v[122:123], v[126:127], 0
	s_waitcnt vmcnt(10)
	v_fmac_f64_e32 v[122:123], v[130:131], v[128:129]
	ds_read2_b64 v[126:129], v124 offset0:67 offset1:68
	s_waitcnt vmcnt(8) lgkmcnt(0)
	v_fmac_f64_e32 v[122:123], v[132:133], v[126:127]
	s_waitcnt vmcnt(6)
	v_fmac_f64_e32 v[122:123], v[134:135], v[128:129]
	ds_read2_b64 v[126:129], v124 offset0:69 offset1:70
	s_waitcnt vmcnt(4) lgkmcnt(0)
	v_fmac_f64_e32 v[122:123], v[136:137], v[126:127]
	;; [unrolled: 5-line block ×3, first 2 shown]
	buffer_load_dword v127, off, s[0:3], 0 offset:100
	buffer_load_dword v126, off, s[0:3], 0 offset:96
	buffer_load_dword v131, off, s[0:3], 0 offset:108
	buffer_load_dword v130, off, s[0:3], 0 offset:104
	s_waitcnt vmcnt(2)
	v_fmac_f64_e32 v[122:123], v[126:127], v[128:129]
	ds_read2_b64 v[126:129], v124 offset0:73 offset1:74
	s_waitcnt vmcnt(0) lgkmcnt(0)
	v_fmac_f64_e32 v[122:123], v[130:131], v[126:127]
	buffer_load_dword v127, off, s[0:3], 0 offset:116
	buffer_load_dword v126, off, s[0:3], 0 offset:112
	buffer_load_dword v131, off, s[0:3], 0 offset:124
	buffer_load_dword v130, off, s[0:3], 0 offset:120
	s_waitcnt vmcnt(2)
	v_fmac_f64_e32 v[122:123], v[126:127], v[128:129]
	ds_read2_b64 v[126:129], v124 offset0:75 offset1:76
	s_waitcnt vmcnt(0) lgkmcnt(0)
	v_fmac_f64_e32 v[122:123], v[130:131], v[126:127]
	buffer_load_dword v127, off, s[0:3], 0 offset:132
	buffer_load_dword v126, off, s[0:3], 0 offset:128
	buffer_load_dword v131, off, s[0:3], 0 offset:140
	buffer_load_dword v130, off, s[0:3], 0 offset:136
	s_waitcnt vmcnt(2)
	v_fmac_f64_e32 v[122:123], v[126:127], v[128:129]
	ds_read2_b64 v[126:129], v124 offset0:77 offset1:78
	s_waitcnt vmcnt(0) lgkmcnt(0)
	v_fmac_f64_e32 v[122:123], v[130:131], v[126:127]
	buffer_load_dword v127, off, s[0:3], 0 offset:148
	buffer_load_dword v126, off, s[0:3], 0 offset:144
	buffer_load_dword v131, off, s[0:3], 0 offset:156
	buffer_load_dword v130, off, s[0:3], 0 offset:152
	s_waitcnt vmcnt(2)
	v_fmac_f64_e32 v[122:123], v[126:127], v[128:129]
	ds_read2_b64 v[126:129], v124 offset0:79 offset1:80
	s_waitcnt vmcnt(0) lgkmcnt(0)
	v_fmac_f64_e32 v[122:123], v[130:131], v[126:127]
	buffer_load_dword v127, off, s[0:3], 0 offset:164
	buffer_load_dword v126, off, s[0:3], 0 offset:160
	buffer_load_dword v131, off, s[0:3], 0 offset:172
	buffer_load_dword v130, off, s[0:3], 0 offset:168
	s_waitcnt vmcnt(2)
	v_fmac_f64_e32 v[122:123], v[126:127], v[128:129]
	ds_read2_b64 v[126:129], v124 offset0:81 offset1:82
	s_waitcnt vmcnt(0) lgkmcnt(0)
	v_fmac_f64_e32 v[122:123], v[130:131], v[126:127]
	buffer_load_dword v127, off, s[0:3], 0 offset:180
	buffer_load_dword v126, off, s[0:3], 0 offset:176
	buffer_load_dword v131, off, s[0:3], 0 offset:188
	buffer_load_dword v130, off, s[0:3], 0 offset:184
	s_waitcnt vmcnt(2)
	v_fmac_f64_e32 v[122:123], v[126:127], v[128:129]
	ds_read2_b64 v[126:129], v124 offset0:83 offset1:84
	s_waitcnt vmcnt(0) lgkmcnt(0)
	v_fmac_f64_e32 v[122:123], v[130:131], v[126:127]
	buffer_load_dword v127, off, s[0:3], 0 offset:196
	buffer_load_dword v126, off, s[0:3], 0 offset:192
	buffer_load_dword v131, off, s[0:3], 0 offset:204
	buffer_load_dword v130, off, s[0:3], 0 offset:200
	s_waitcnt vmcnt(2)
	v_fmac_f64_e32 v[122:123], v[126:127], v[128:129]
	ds_read2_b64 v[126:129], v124 offset0:85 offset1:86
	s_waitcnt vmcnt(0) lgkmcnt(0)
	v_fmac_f64_e32 v[122:123], v[130:131], v[126:127]
	buffer_load_dword v127, off, s[0:3], 0 offset:212
	buffer_load_dword v126, off, s[0:3], 0 offset:208
	buffer_load_dword v131, off, s[0:3], 0 offset:220
	buffer_load_dword v130, off, s[0:3], 0 offset:216
	s_waitcnt vmcnt(2)
	v_fmac_f64_e32 v[122:123], v[126:127], v[128:129]
	ds_read2_b64 v[126:129], v124 offset0:87 offset1:88
	s_waitcnt vmcnt(0) lgkmcnt(0)
	v_fmac_f64_e32 v[122:123], v[130:131], v[126:127]
	buffer_load_dword v127, off, s[0:3], 0 offset:228
	buffer_load_dword v126, off, s[0:3], 0 offset:224
	buffer_load_dword v131, off, s[0:3], 0 offset:236
	buffer_load_dword v130, off, s[0:3], 0 offset:232
	s_waitcnt vmcnt(2)
	v_fmac_f64_e32 v[122:123], v[126:127], v[128:129]
	ds_read2_b64 v[126:129], v124 offset0:89 offset1:90
	s_waitcnt vmcnt(0) lgkmcnt(0)
	v_fmac_f64_e32 v[122:123], v[130:131], v[126:127]
	buffer_load_dword v127, off, s[0:3], 0 offset:244
	buffer_load_dword v126, off, s[0:3], 0 offset:240
	buffer_load_dword v131, off, s[0:3], 0 offset:252
	buffer_load_dword v130, off, s[0:3], 0 offset:248
	s_waitcnt vmcnt(2)
	v_fmac_f64_e32 v[122:123], v[126:127], v[128:129]
	ds_read2_b64 v[126:129], v124 offset0:91 offset1:92
	s_waitcnt vmcnt(0) lgkmcnt(0)
	v_fmac_f64_e32 v[122:123], v[130:131], v[126:127]
	buffer_load_dword v127, off, s[0:3], 0 offset:260
	buffer_load_dword v126, off, s[0:3], 0 offset:256
	buffer_load_dword v131, off, s[0:3], 0 offset:268
	buffer_load_dword v130, off, s[0:3], 0 offset:264
	s_waitcnt vmcnt(2)
	v_fmac_f64_e32 v[122:123], v[126:127], v[128:129]
	ds_read2_b64 v[126:129], v124 offset0:93 offset1:94
	s_waitcnt vmcnt(0) lgkmcnt(0)
	v_fmac_f64_e32 v[122:123], v[130:131], v[126:127]
	buffer_load_dword v127, off, s[0:3], 0 offset:276
	buffer_load_dword v126, off, s[0:3], 0 offset:272
	buffer_load_dword v131, off, s[0:3], 0 offset:284
	buffer_load_dword v130, off, s[0:3], 0 offset:280
	s_waitcnt vmcnt(2)
	v_fmac_f64_e32 v[122:123], v[126:127], v[128:129]
	ds_read2_b64 v[126:129], v124 offset0:95 offset1:96
	s_waitcnt vmcnt(0) lgkmcnt(0)
	v_fmac_f64_e32 v[122:123], v[130:131], v[126:127]
	buffer_load_dword v127, off, s[0:3], 0 offset:292
	buffer_load_dword v126, off, s[0:3], 0 offset:288
	buffer_load_dword v131, off, s[0:3], 0 offset:300
	buffer_load_dword v130, off, s[0:3], 0 offset:296
	s_waitcnt vmcnt(2)
	v_fmac_f64_e32 v[122:123], v[126:127], v[128:129]
	ds_read2_b64 v[126:129], v124 offset0:97 offset1:98
	s_waitcnt vmcnt(0) lgkmcnt(0)
	v_fmac_f64_e32 v[122:123], v[130:131], v[126:127]
	buffer_load_dword v127, off, s[0:3], 0 offset:308
	buffer_load_dword v126, off, s[0:3], 0 offset:304
	buffer_load_dword v131, off, s[0:3], 0 offset:316
	buffer_load_dword v130, off, s[0:3], 0 offset:312
	s_waitcnt vmcnt(2)
	v_fmac_f64_e32 v[122:123], v[126:127], v[128:129]
	ds_read2_b64 v[126:129], v124 offset0:99 offset1:100
	s_waitcnt vmcnt(0) lgkmcnt(0)
	v_fmac_f64_e32 v[122:123], v[130:131], v[126:127]
	buffer_load_dword v127, off, s[0:3], 0 offset:324
	buffer_load_dword v126, off, s[0:3], 0 offset:320
	buffer_load_dword v131, off, s[0:3], 0 offset:332
	buffer_load_dword v130, off, s[0:3], 0 offset:328
	s_waitcnt vmcnt(2)
	v_fmac_f64_e32 v[122:123], v[126:127], v[128:129]
	ds_read2_b64 v[126:129], v124 offset0:101 offset1:102
	s_waitcnt vmcnt(0) lgkmcnt(0)
	v_fmac_f64_e32 v[122:123], v[130:131], v[126:127]
	buffer_load_dword v127, off, s[0:3], 0 offset:340
	buffer_load_dword v126, off, s[0:3], 0 offset:336
	buffer_load_dword v131, off, s[0:3], 0 offset:348
	buffer_load_dword v130, off, s[0:3], 0 offset:344
	s_waitcnt vmcnt(2)
	v_fmac_f64_e32 v[122:123], v[126:127], v[128:129]
	ds_read2_b64 v[126:129], v124 offset0:103 offset1:104
	s_waitcnt vmcnt(0) lgkmcnt(0)
	v_fmac_f64_e32 v[122:123], v[130:131], v[126:127]
	buffer_load_dword v127, off, s[0:3], 0 offset:356
	buffer_load_dword v126, off, s[0:3], 0 offset:352
	buffer_load_dword v131, off, s[0:3], 0 offset:364
	buffer_load_dword v130, off, s[0:3], 0 offset:360
	s_waitcnt vmcnt(2)
	v_fmac_f64_e32 v[122:123], v[126:127], v[128:129]
	ds_read2_b64 v[126:129], v124 offset0:105 offset1:106
	s_waitcnt vmcnt(0) lgkmcnt(0)
	v_fmac_f64_e32 v[122:123], v[130:131], v[126:127]
	buffer_load_dword v127, off, s[0:3], 0 offset:372
	buffer_load_dword v126, off, s[0:3], 0 offset:368
	buffer_load_dword v131, off, s[0:3], 0 offset:380
	buffer_load_dword v130, off, s[0:3], 0 offset:376
	s_waitcnt vmcnt(2)
	v_fmac_f64_e32 v[122:123], v[126:127], v[128:129]
	ds_read2_b64 v[126:129], v124 offset0:107 offset1:108
	s_waitcnt vmcnt(0) lgkmcnt(0)
	v_fmac_f64_e32 v[122:123], v[130:131], v[126:127]
	buffer_load_dword v127, off, s[0:3], 0 offset:388
	buffer_load_dword v126, off, s[0:3], 0 offset:384
	buffer_load_dword v131, off, s[0:3], 0 offset:396
	buffer_load_dword v130, off, s[0:3], 0 offset:392
	s_waitcnt vmcnt(2)
	v_fmac_f64_e32 v[122:123], v[126:127], v[128:129]
	ds_read2_b64 v[126:129], v124 offset0:109 offset1:110
	s_waitcnt vmcnt(0) lgkmcnt(0)
	v_fmac_f64_e32 v[122:123], v[130:131], v[126:127]
	buffer_load_dword v127, off, s[0:3], 0 offset:404
	buffer_load_dword v126, off, s[0:3], 0 offset:400
	buffer_load_dword v131, off, s[0:3], 0 offset:412
	buffer_load_dword v130, off, s[0:3], 0 offset:408
	s_waitcnt vmcnt(2)
	v_fmac_f64_e32 v[122:123], v[126:127], v[128:129]
	ds_read2_b64 v[126:129], v124 offset0:111 offset1:112
	s_waitcnt vmcnt(0) lgkmcnt(0)
	v_fmac_f64_e32 v[122:123], v[130:131], v[126:127]
	buffer_load_dword v127, off, s[0:3], 0 offset:420
	buffer_load_dword v126, off, s[0:3], 0 offset:416
	buffer_load_dword v131, off, s[0:3], 0 offset:428
	buffer_load_dword v130, off, s[0:3], 0 offset:424
	s_waitcnt vmcnt(2)
	v_fmac_f64_e32 v[122:123], v[126:127], v[128:129]
	ds_read2_b64 v[126:129], v124 offset0:113 offset1:114
	s_waitcnt vmcnt(0) lgkmcnt(0)
	v_fmac_f64_e32 v[122:123], v[130:131], v[126:127]
	buffer_load_dword v127, off, s[0:3], 0 offset:436
	buffer_load_dword v126, off, s[0:3], 0 offset:432
	buffer_load_dword v131, off, s[0:3], 0 offset:444
	buffer_load_dword v130, off, s[0:3], 0 offset:440
	s_waitcnt vmcnt(2)
	v_fmac_f64_e32 v[122:123], v[126:127], v[128:129]
	ds_read2_b64 v[126:129], v124 offset0:115 offset1:116
	s_waitcnt vmcnt(0) lgkmcnt(0)
	v_fmac_f64_e32 v[122:123], v[130:131], v[126:127]
	buffer_load_dword v127, off, s[0:3], 0 offset:452
	buffer_load_dword v126, off, s[0:3], 0 offset:448
	s_waitcnt vmcnt(0)
	v_fmac_f64_e32 v[122:123], v[126:127], v[128:129]
	buffer_load_dword v129, off, s[0:3], 0 offset:460
	buffer_load_dword v128, off, s[0:3], 0 offset:456
	ds_read2_b64 v[124:127], v124 offset0:117 offset1:118
	s_waitcnt vmcnt(0) lgkmcnt(0)
	v_fmac_f64_e32 v[122:123], v[128:129], v[124:125]
	buffer_load_dword v125, off, s[0:3], 0 offset:468
	buffer_load_dword v124, off, s[0:3], 0 offset:464
	s_waitcnt vmcnt(0)
	v_fmac_f64_e32 v[122:123], v[124:125], v[126:127]
	v_add_f64 v[120:121], v[120:121], -v[122:123]
	buffer_store_dword v121, off, s[0:3], 0 offset:36
	buffer_store_dword v120, off, s[0:3], 0 offset:32
	s_and_saveexec_b64 s[4:5], vcc
	s_cbranch_execz .LBB122_355
; %bb.354:
	buffer_load_dword v120, off, s[0:3], 0 offset:24
	buffer_load_dword v121, off, s[0:3], 0 offset:28
	v_mov_b32_e32 v122, 0
	buffer_store_dword v122, off, s[0:3], 0 offset:24
	buffer_store_dword v122, off, s[0:3], 0 offset:28
	s_waitcnt vmcnt(2)
	ds_write_b64 v1, v[120:121]
.LBB122_355:
	s_or_b64 exec, exec, s[4:5]
	s_waitcnt lgkmcnt(0)
	; wave barrier
	s_waitcnt lgkmcnt(0)
	buffer_load_dword v120, off, s[0:3], 0 offset:24
	buffer_load_dword v121, off, s[0:3], 0 offset:28
	;; [unrolled: 1-line block ×16, first 2 shown]
	v_mov_b32_e32 v124, 0
	ds_read_b128 v[126:129], v124 offset:512
	v_cmp_lt_u32_e32 vcc, 2, v0
	s_waitcnt vmcnt(12) lgkmcnt(0)
	v_fma_f64 v[122:123], v[122:123], v[126:127], 0
	s_waitcnt vmcnt(10)
	v_fmac_f64_e32 v[122:123], v[130:131], v[128:129]
	ds_read_b128 v[126:129], v124 offset:528
	s_waitcnt vmcnt(8) lgkmcnt(0)
	v_fmac_f64_e32 v[122:123], v[132:133], v[126:127]
	s_waitcnt vmcnt(6)
	v_fmac_f64_e32 v[122:123], v[134:135], v[128:129]
	ds_read_b128 v[126:129], v124 offset:544
	s_waitcnt vmcnt(4) lgkmcnt(0)
	v_fmac_f64_e32 v[122:123], v[136:137], v[126:127]
	;; [unrolled: 5-line block ×3, first 2 shown]
	buffer_load_dword v127, off, s[0:3], 0 offset:92
	buffer_load_dword v126, off, s[0:3], 0 offset:88
	buffer_load_dword v131, off, s[0:3], 0 offset:100
	buffer_load_dword v130, off, s[0:3], 0 offset:96
	s_waitcnt vmcnt(2)
	v_fmac_f64_e32 v[122:123], v[126:127], v[128:129]
	ds_read_b128 v[126:129], v124 offset:576
	s_waitcnt vmcnt(0) lgkmcnt(0)
	v_fmac_f64_e32 v[122:123], v[130:131], v[126:127]
	buffer_load_dword v127, off, s[0:3], 0 offset:108
	buffer_load_dword v126, off, s[0:3], 0 offset:104
	buffer_load_dword v131, off, s[0:3], 0 offset:116
	buffer_load_dword v130, off, s[0:3], 0 offset:112
	s_waitcnt vmcnt(2)
	v_fmac_f64_e32 v[122:123], v[126:127], v[128:129]
	ds_read_b128 v[126:129], v124 offset:592
	s_waitcnt vmcnt(0) lgkmcnt(0)
	v_fmac_f64_e32 v[122:123], v[130:131], v[126:127]
	;; [unrolled: 9-line block ×23, first 2 shown]
	buffer_load_dword v127, off, s[0:3], 0 offset:460
	buffer_load_dword v126, off, s[0:3], 0 offset:456
	s_waitcnt vmcnt(0)
	v_fmac_f64_e32 v[122:123], v[126:127], v[128:129]
	buffer_load_dword v127, off, s[0:3], 0 offset:468
	buffer_load_dword v126, off, s[0:3], 0 offset:464
	ds_read_b64 v[128:129], v124 offset:944
	s_waitcnt vmcnt(0) lgkmcnt(0)
	v_fmac_f64_e32 v[122:123], v[126:127], v[128:129]
	v_add_f64 v[120:121], v[120:121], -v[122:123]
	buffer_store_dword v121, off, s[0:3], 0 offset:28
	buffer_store_dword v120, off, s[0:3], 0 offset:24
	s_and_saveexec_b64 s[4:5], vcc
	s_cbranch_execz .LBB122_357
; %bb.356:
	buffer_load_dword v120, off, s[0:3], 0 offset:16
	buffer_load_dword v121, off, s[0:3], 0 offset:20
	s_waitcnt vmcnt(0)
	ds_write_b64 v1, v[120:121]
	buffer_store_dword v124, off, s[0:3], 0 offset:16
	buffer_store_dword v124, off, s[0:3], 0 offset:20
.LBB122_357:
	s_or_b64 exec, exec, s[4:5]
	s_waitcnt lgkmcnt(0)
	; wave barrier
	s_waitcnt lgkmcnt(0)
	buffer_load_dword v120, off, s[0:3], 0 offset:16
	buffer_load_dword v121, off, s[0:3], 0 offset:20
	;; [unrolled: 1-line block ×16, first 2 shown]
	ds_read2_b64 v[126:129], v124 offset0:63 offset1:64
	v_cmp_lt_u32_e32 vcc, 1, v0
	s_waitcnt vmcnt(12) lgkmcnt(0)
	v_fma_f64 v[122:123], v[122:123], v[126:127], 0
	s_waitcnt vmcnt(10)
	v_fmac_f64_e32 v[122:123], v[130:131], v[128:129]
	ds_read2_b64 v[126:129], v124 offset0:65 offset1:66
	s_waitcnt vmcnt(8) lgkmcnt(0)
	v_fmac_f64_e32 v[122:123], v[132:133], v[126:127]
	s_waitcnt vmcnt(6)
	v_fmac_f64_e32 v[122:123], v[134:135], v[128:129]
	ds_read2_b64 v[126:129], v124 offset0:67 offset1:68
	s_waitcnt vmcnt(4) lgkmcnt(0)
	v_fmac_f64_e32 v[122:123], v[136:137], v[126:127]
	;; [unrolled: 5-line block ×3, first 2 shown]
	buffer_load_dword v127, off, s[0:3], 0 offset:84
	buffer_load_dword v126, off, s[0:3], 0 offset:80
	buffer_load_dword v131, off, s[0:3], 0 offset:92
	buffer_load_dword v130, off, s[0:3], 0 offset:88
	s_waitcnt vmcnt(2)
	v_fmac_f64_e32 v[122:123], v[126:127], v[128:129]
	ds_read2_b64 v[126:129], v124 offset0:71 offset1:72
	s_waitcnt vmcnt(0) lgkmcnt(0)
	v_fmac_f64_e32 v[122:123], v[130:131], v[126:127]
	buffer_load_dword v127, off, s[0:3], 0 offset:100
	buffer_load_dword v126, off, s[0:3], 0 offset:96
	buffer_load_dword v131, off, s[0:3], 0 offset:108
	buffer_load_dword v130, off, s[0:3], 0 offset:104
	s_waitcnt vmcnt(2)
	v_fmac_f64_e32 v[122:123], v[126:127], v[128:129]
	ds_read2_b64 v[126:129], v124 offset0:73 offset1:74
	s_waitcnt vmcnt(0) lgkmcnt(0)
	v_fmac_f64_e32 v[122:123], v[130:131], v[126:127]
	;; [unrolled: 9-line block ×23, first 2 shown]
	buffer_load_dword v127, off, s[0:3], 0 offset:452
	buffer_load_dword v126, off, s[0:3], 0 offset:448
	s_waitcnt vmcnt(0)
	v_fmac_f64_e32 v[122:123], v[126:127], v[128:129]
	buffer_load_dword v129, off, s[0:3], 0 offset:460
	buffer_load_dword v128, off, s[0:3], 0 offset:456
	ds_read2_b64 v[124:127], v124 offset0:117 offset1:118
	s_waitcnt vmcnt(0) lgkmcnt(0)
	v_fmac_f64_e32 v[122:123], v[128:129], v[124:125]
	buffer_load_dword v125, off, s[0:3], 0 offset:468
	buffer_load_dword v124, off, s[0:3], 0 offset:464
	s_waitcnt vmcnt(0)
	v_fmac_f64_e32 v[122:123], v[124:125], v[126:127]
	v_add_f64 v[120:121], v[120:121], -v[122:123]
	buffer_store_dword v121, off, s[0:3], 0 offset:20
	buffer_store_dword v120, off, s[0:3], 0 offset:16
	s_and_saveexec_b64 s[4:5], vcc
	s_cbranch_execz .LBB122_359
; %bb.358:
	buffer_load_dword v120, off, s[0:3], 0 offset:8
	buffer_load_dword v121, off, s[0:3], 0 offset:12
	v_mov_b32_e32 v122, 0
	buffer_store_dword v122, off, s[0:3], 0 offset:8
	buffer_store_dword v122, off, s[0:3], 0 offset:12
	s_waitcnt vmcnt(2)
	ds_write_b64 v1, v[120:121]
.LBB122_359:
	s_or_b64 exec, exec, s[4:5]
	s_waitcnt lgkmcnt(0)
	; wave barrier
	s_waitcnt lgkmcnt(0)
	buffer_load_dword v120, off, s[0:3], 0 offset:8
	buffer_load_dword v121, off, s[0:3], 0 offset:12
	;; [unrolled: 1-line block ×16, first 2 shown]
	v_mov_b32_e32 v124, 0
	ds_read_b128 v[126:129], v124 offset:496
	v_cmp_ne_u32_e32 vcc, 0, v0
	s_waitcnt vmcnt(12) lgkmcnt(0)
	v_fma_f64 v[122:123], v[122:123], v[126:127], 0
	s_waitcnt vmcnt(10)
	v_fmac_f64_e32 v[122:123], v[130:131], v[128:129]
	ds_read_b128 v[126:129], v124 offset:512
	s_waitcnt vmcnt(8) lgkmcnt(0)
	v_fmac_f64_e32 v[122:123], v[132:133], v[126:127]
	s_waitcnt vmcnt(6)
	v_fmac_f64_e32 v[122:123], v[134:135], v[128:129]
	ds_read_b128 v[126:129], v124 offset:528
	s_waitcnt vmcnt(4) lgkmcnt(0)
	v_fmac_f64_e32 v[122:123], v[136:137], v[126:127]
	;; [unrolled: 5-line block ×3, first 2 shown]
	buffer_load_dword v127, off, s[0:3], 0 offset:76
	buffer_load_dword v126, off, s[0:3], 0 offset:72
	buffer_load_dword v131, off, s[0:3], 0 offset:84
	buffer_load_dword v130, off, s[0:3], 0 offset:80
	s_waitcnt vmcnt(2)
	v_fmac_f64_e32 v[122:123], v[126:127], v[128:129]
	ds_read_b128 v[126:129], v124 offset:560
	s_waitcnt vmcnt(0) lgkmcnt(0)
	v_fmac_f64_e32 v[122:123], v[130:131], v[126:127]
	buffer_load_dword v127, off, s[0:3], 0 offset:92
	buffer_load_dword v126, off, s[0:3], 0 offset:88
	buffer_load_dword v131, off, s[0:3], 0 offset:100
	buffer_load_dword v130, off, s[0:3], 0 offset:96
	s_waitcnt vmcnt(2)
	v_fmac_f64_e32 v[122:123], v[126:127], v[128:129]
	ds_read_b128 v[126:129], v124 offset:576
	s_waitcnt vmcnt(0) lgkmcnt(0)
	v_fmac_f64_e32 v[122:123], v[130:131], v[126:127]
	;; [unrolled: 9-line block ×24, first 2 shown]
	buffer_load_dword v127, off, s[0:3], 0 offset:460
	buffer_load_dword v126, off, s[0:3], 0 offset:456
	s_waitcnt vmcnt(0)
	v_fmac_f64_e32 v[122:123], v[126:127], v[128:129]
	buffer_load_dword v127, off, s[0:3], 0 offset:468
	buffer_load_dword v126, off, s[0:3], 0 offset:464
	ds_read_b64 v[128:129], v124 offset:944
	s_waitcnt vmcnt(0) lgkmcnt(0)
	v_fmac_f64_e32 v[122:123], v[126:127], v[128:129]
	v_add_f64 v[120:121], v[120:121], -v[122:123]
	buffer_store_dword v121, off, s[0:3], 0 offset:12
	buffer_store_dword v120, off, s[0:3], 0 offset:8
	s_and_saveexec_b64 s[4:5], vcc
	s_cbranch_execz .LBB122_361
; %bb.360:
	buffer_load_dword v120, off, s[0:3], 0
	buffer_load_dword v121, off, s[0:3], 0 offset:4
	s_waitcnt vmcnt(0)
	ds_write_b64 v1, v[120:121]
	buffer_store_dword v124, off, s[0:3], 0
	buffer_store_dword v124, off, s[0:3], 0 offset:4
.LBB122_361:
	s_or_b64 exec, exec, s[4:5]
	s_waitcnt lgkmcnt(0)
	; wave barrier
	s_waitcnt lgkmcnt(0)
	buffer_load_dword v0, off, s[0:3], 0
	buffer_load_dword v1, off, s[0:3], 0 offset:4
	buffer_load_dword v126, off, s[0:3], 0 offset:8
	;; [unrolled: 1-line block ×15, first 2 shown]
	ds_read2_b64 v[120:123], v124 offset0:61 offset1:62
	s_and_b64 vcc, exec, s[16:17]
	s_waitcnt vmcnt(12) lgkmcnt(0)
	v_fma_f64 v[120:121], v[126:127], v[120:121], 0
	s_waitcnt vmcnt(10)
	v_fmac_f64_e32 v[120:121], v[128:129], v[122:123]
	ds_read2_b64 v[126:129], v124 offset0:63 offset1:64
	s_waitcnt vmcnt(8) lgkmcnt(0)
	v_fmac_f64_e32 v[120:121], v[130:131], v[126:127]
	s_waitcnt vmcnt(6)
	v_fmac_f64_e32 v[120:121], v[132:133], v[128:129]
	ds_read2_b64 v[126:129], v124 offset0:65 offset1:66
	s_waitcnt vmcnt(4) lgkmcnt(0)
	v_fmac_f64_e32 v[120:121], v[134:135], v[126:127]
	s_waitcnt vmcnt(2)
	v_fmac_f64_e32 v[120:121], v[136:137], v[128:129]
	ds_read2_b64 v[126:129], v124 offset0:67 offset1:68
	buffer_load_dword v123, off, s[0:3], 0 offset:68
	buffer_load_dword v122, off, s[0:3], 0 offset:64
	s_waitcnt vmcnt(2) lgkmcnt(0)
	v_fmac_f64_e32 v[120:121], v[138:139], v[126:127]
	s_waitcnt vmcnt(0)
	v_fmac_f64_e32 v[120:121], v[122:123], v[128:129]
	buffer_load_dword v123, off, s[0:3], 0 offset:76
	buffer_load_dword v122, off, s[0:3], 0 offset:72
	ds_read2_b64 v[126:129], v124 offset0:69 offset1:70
	s_waitcnt vmcnt(0) lgkmcnt(0)
	v_fmac_f64_e32 v[120:121], v[122:123], v[126:127]
	buffer_load_dword v123, off, s[0:3], 0 offset:84
	buffer_load_dword v122, off, s[0:3], 0 offset:80
	s_waitcnt vmcnt(0)
	v_fmac_f64_e32 v[120:121], v[122:123], v[128:129]
	buffer_load_dword v123, off, s[0:3], 0 offset:92
	buffer_load_dword v122, off, s[0:3], 0 offset:88
	ds_read2_b64 v[126:129], v124 offset0:71 offset1:72
	s_waitcnt vmcnt(0) lgkmcnt(0)
	v_fmac_f64_e32 v[120:121], v[122:123], v[126:127]
	buffer_load_dword v123, off, s[0:3], 0 offset:100
	buffer_load_dword v122, off, s[0:3], 0 offset:96
	;; [unrolled: 9-line block ×25, first 2 shown]
	s_waitcnt vmcnt(0)
	v_fmac_f64_e32 v[120:121], v[124:125], v[126:127]
	v_add_f64 v[0:1], v[0:1], -v[120:121]
	buffer_store_dword v1, off, s[0:3], 0 offset:4
	buffer_store_dword v0, off, s[0:3], 0
	s_cbranch_vccz .LBB122_479
; %bb.362:
	v_pk_mov_b32 v[0:1], s[10:11], s[10:11] op_sel:[0,1]
	flat_load_dword v0, v[0:1] offset:228
	s_waitcnt vmcnt(0) lgkmcnt(0)
	v_add_u32_e32 v0, -1, v0
	v_cmp_ne_u32_e32 vcc, 57, v0
	s_and_saveexec_b64 s[4:5], vcc
	s_cbranch_execz .LBB122_364
; %bb.363:
	v_mov_b32_e32 v1, 0
	v_lshl_add_u32 v0, v0, 3, v1
	buffer_load_dword v1, v0, s[0:3], 0 offen
	buffer_load_dword v120, v0, s[0:3], 0 offen offset:4
	s_waitcnt vmcnt(1)
	buffer_store_dword v1, off, s[0:3], 0 offset:456
	s_waitcnt vmcnt(1)
	buffer_store_dword v120, off, s[0:3], 0 offset:460
	buffer_store_dword v122, v0, s[0:3], 0 offen
	buffer_store_dword v123, v0, s[0:3], 0 offen offset:4
.LBB122_364:
	s_or_b64 exec, exec, s[4:5]
	v_pk_mov_b32 v[0:1], s[10:11], s[10:11] op_sel:[0,1]
	flat_load_dword v0, v[0:1] offset:224
	s_waitcnt vmcnt(0) lgkmcnt(0)
	v_add_u32_e32 v0, -1, v0
	v_cmp_ne_u32_e32 vcc, 56, v0
	s_and_saveexec_b64 s[4:5], vcc
	s_cbranch_execz .LBB122_366
; %bb.365:
	v_mov_b32_e32 v1, 0
	v_lshl_add_u32 v0, v0, 3, v1
	buffer_load_dword v1, v0, s[0:3], 0 offen
	buffer_load_dword v120, v0, s[0:3], 0 offen offset:4
	buffer_load_dword v121, off, s[0:3], 0 offset:452
	buffer_load_dword v122, off, s[0:3], 0 offset:448
	s_waitcnt vmcnt(3)
	buffer_store_dword v1, off, s[0:3], 0 offset:448
	s_waitcnt vmcnt(3)
	buffer_store_dword v120, off, s[0:3], 0 offset:452
	s_waitcnt vmcnt(3)
	buffer_store_dword v121, v0, s[0:3], 0 offen offset:4
	s_waitcnt vmcnt(3)
	buffer_store_dword v122, v0, s[0:3], 0 offen
.LBB122_366:
	s_or_b64 exec, exec, s[4:5]
	v_pk_mov_b32 v[0:1], s[10:11], s[10:11] op_sel:[0,1]
	flat_load_dword v0, v[0:1] offset:220
	s_waitcnt vmcnt(0) lgkmcnt(0)
	v_add_u32_e32 v0, -1, v0
	v_cmp_ne_u32_e32 vcc, 55, v0
	s_and_saveexec_b64 s[4:5], vcc
	s_cbranch_execz .LBB122_368
; %bb.367:
	v_mov_b32_e32 v1, 0
	v_lshl_add_u32 v0, v0, 3, v1
	buffer_load_dword v1, v0, s[0:3], 0 offen
	buffer_load_dword v120, v0, s[0:3], 0 offen offset:4
	buffer_load_dword v121, off, s[0:3], 0 offset:440
	buffer_load_dword v122, off, s[0:3], 0 offset:444
	s_waitcnt vmcnt(3)
	buffer_store_dword v1, off, s[0:3], 0 offset:440
	s_waitcnt vmcnt(3)
	buffer_store_dword v120, off, s[0:3], 0 offset:444
	s_waitcnt vmcnt(3)
	buffer_store_dword v121, v0, s[0:3], 0 offen
	s_waitcnt vmcnt(3)
	buffer_store_dword v122, v0, s[0:3], 0 offen offset:4
.LBB122_368:
	s_or_b64 exec, exec, s[4:5]
	v_pk_mov_b32 v[0:1], s[10:11], s[10:11] op_sel:[0,1]
	flat_load_dword v0, v[0:1] offset:216
	s_waitcnt vmcnt(0) lgkmcnt(0)
	v_add_u32_e32 v0, -1, v0
	v_cmp_ne_u32_e32 vcc, 54, v0
	s_and_saveexec_b64 s[4:5], vcc
	s_cbranch_execz .LBB122_370
; %bb.369:
	v_mov_b32_e32 v1, 0
	v_lshl_add_u32 v0, v0, 3, v1
	buffer_load_dword v1, v0, s[0:3], 0 offen
	buffer_load_dword v120, v0, s[0:3], 0 offen offset:4
	buffer_load_dword v121, off, s[0:3], 0 offset:436
	buffer_load_dword v122, off, s[0:3], 0 offset:432
	s_waitcnt vmcnt(3)
	buffer_store_dword v1, off, s[0:3], 0 offset:432
	s_waitcnt vmcnt(3)
	buffer_store_dword v120, off, s[0:3], 0 offset:436
	s_waitcnt vmcnt(3)
	buffer_store_dword v121, v0, s[0:3], 0 offen offset:4
	s_waitcnt vmcnt(3)
	buffer_store_dword v122, v0, s[0:3], 0 offen
.LBB122_370:
	s_or_b64 exec, exec, s[4:5]
	v_pk_mov_b32 v[0:1], s[10:11], s[10:11] op_sel:[0,1]
	flat_load_dword v0, v[0:1] offset:212
	s_waitcnt vmcnt(0) lgkmcnt(0)
	v_add_u32_e32 v0, -1, v0
	v_cmp_ne_u32_e32 vcc, 53, v0
	s_and_saveexec_b64 s[4:5], vcc
	s_cbranch_execz .LBB122_372
; %bb.371:
	v_mov_b32_e32 v1, 0
	v_lshl_add_u32 v0, v0, 3, v1
	buffer_load_dword v1, v0, s[0:3], 0 offen
	buffer_load_dword v120, v0, s[0:3], 0 offen offset:4
	buffer_load_dword v121, off, s[0:3], 0 offset:424
	buffer_load_dword v122, off, s[0:3], 0 offset:428
	s_waitcnt vmcnt(3)
	buffer_store_dword v1, off, s[0:3], 0 offset:424
	s_waitcnt vmcnt(3)
	buffer_store_dword v120, off, s[0:3], 0 offset:428
	s_waitcnt vmcnt(3)
	buffer_store_dword v121, v0, s[0:3], 0 offen
	s_waitcnt vmcnt(3)
	buffer_store_dword v122, v0, s[0:3], 0 offen offset:4
.LBB122_372:
	;; [unrolled: 48-line block ×28, first 2 shown]
	s_or_b64 exec, exec, s[4:5]
	v_pk_mov_b32 v[0:1], s[10:11], s[10:11] op_sel:[0,1]
	flat_load_dword v120, v[0:1]
	s_nop 0
	buffer_load_dword v0, off, s[0:3], 0
	buffer_load_dword v1, off, s[0:3], 0 offset:4
	s_waitcnt vmcnt(0) lgkmcnt(0)
	v_add_u32_e32 v120, -1, v120
	v_cmp_ne_u32_e32 vcc, 0, v120
	s_and_saveexec_b64 s[4:5], vcc
	s_cbranch_execz .LBB122_478
; %bb.477:
	v_mov_b32_e32 v121, 0
	v_lshl_add_u32 v120, v120, 3, v121
	buffer_load_dword v121, v120, s[0:3], 0 offen offset:4
	buffer_load_dword v122, v120, s[0:3], 0 offen
	s_waitcnt vmcnt(1)
	buffer_store_dword v121, off, s[0:3], 0 offset:4
	s_waitcnt vmcnt(1)
	buffer_store_dword v122, off, s[0:3], 0
	buffer_store_dword v1, v120, s[0:3], 0 offen offset:4
	buffer_store_dword v0, v120, s[0:3], 0 offen
	buffer_load_dword v0, off, s[0:3], 0
	s_nop 0
	buffer_load_dword v1, off, s[0:3], 0 offset:4
.LBB122_478:
	s_or_b64 exec, exec, s[4:5]
.LBB122_479:
	s_waitcnt vmcnt(0)
	global_store_dwordx2 v[4:5], v[0:1], off
	buffer_load_dword v0, off, s[0:3], 0 offset:8
	s_nop 0
	buffer_load_dword v1, off, s[0:3], 0 offset:12
	buffer_load_dword v4, off, s[0:3], 0 offset:16
	;; [unrolled: 1-line block ×15, first 2 shown]
	s_waitcnt vmcnt(14)
	global_store_dwordx2 v[2:3], v[0:1], off
	s_waitcnt vmcnt(13)
	global_store_dwordx2 v[6:7], v[4:5], off
	;; [unrolled: 2-line block ×8, first 2 shown]
	buffer_load_dword v0, off, s[0:3], 0 offset:72
	buffer_load_dword v1, off, s[0:3], 0 offset:76
	s_waitcnt vmcnt(0)
	global_store_dwordx2 v[18:19], v[0:1], off
	buffer_load_dword v0, off, s[0:3], 0 offset:80
	s_nop 0
	buffer_load_dword v1, off, s[0:3], 0 offset:84
	s_waitcnt vmcnt(0)
	global_store_dwordx2 v[22:23], v[0:1], off
	buffer_load_dword v0, off, s[0:3], 0 offset:88
	s_nop 0
	;; [unrolled: 5-line block ×49, first 2 shown]
	buffer_load_dword v1, off, s[0:3], 0 offset:468
	s_waitcnt vmcnt(0)
	global_store_dwordx2 v[30:31], v[0:1], off
	s_endpgm
	.section	.rodata,"a",@progbits
	.p2align	6, 0x0
	.amdhsa_kernel _ZN9rocsolver6v33100L18getri_kernel_smallILi59EdPKPdEEvT1_iilPiilS6_bb
		.amdhsa_group_segment_fixed_size 952
		.amdhsa_private_segment_fixed_size 480
		.amdhsa_kernarg_size 60
		.amdhsa_user_sgpr_count 8
		.amdhsa_user_sgpr_private_segment_buffer 1
		.amdhsa_user_sgpr_dispatch_ptr 0
		.amdhsa_user_sgpr_queue_ptr 0
		.amdhsa_user_sgpr_kernarg_segment_ptr 1
		.amdhsa_user_sgpr_dispatch_id 0
		.amdhsa_user_sgpr_flat_scratch_init 1
		.amdhsa_user_sgpr_kernarg_preload_length 0
		.amdhsa_user_sgpr_kernarg_preload_offset 0
		.amdhsa_user_sgpr_private_segment_size 0
		.amdhsa_uses_dynamic_stack 0
		.amdhsa_system_sgpr_private_segment_wavefront_offset 1
		.amdhsa_system_sgpr_workgroup_id_x 1
		.amdhsa_system_sgpr_workgroup_id_y 0
		.amdhsa_system_sgpr_workgroup_id_z 0
		.amdhsa_system_sgpr_workgroup_info 0
		.amdhsa_system_vgpr_workitem_id 0
		.amdhsa_next_free_vgpr 166
		.amdhsa_next_free_sgpr 22
		.amdhsa_accum_offset 168
		.amdhsa_reserve_vcc 1
		.amdhsa_reserve_flat_scratch 1
		.amdhsa_float_round_mode_32 0
		.amdhsa_float_round_mode_16_64 0
		.amdhsa_float_denorm_mode_32 3
		.amdhsa_float_denorm_mode_16_64 3
		.amdhsa_dx10_clamp 1
		.amdhsa_ieee_mode 1
		.amdhsa_fp16_overflow 0
		.amdhsa_tg_split 0
		.amdhsa_exception_fp_ieee_invalid_op 0
		.amdhsa_exception_fp_denorm_src 0
		.amdhsa_exception_fp_ieee_div_zero 0
		.amdhsa_exception_fp_ieee_overflow 0
		.amdhsa_exception_fp_ieee_underflow 0
		.amdhsa_exception_fp_ieee_inexact 0
		.amdhsa_exception_int_div_zero 0
	.end_amdhsa_kernel
	.section	.text._ZN9rocsolver6v33100L18getri_kernel_smallILi59EdPKPdEEvT1_iilPiilS6_bb,"axG",@progbits,_ZN9rocsolver6v33100L18getri_kernel_smallILi59EdPKPdEEvT1_iilPiilS6_bb,comdat
.Lfunc_end122:
	.size	_ZN9rocsolver6v33100L18getri_kernel_smallILi59EdPKPdEEvT1_iilPiilS6_bb, .Lfunc_end122-_ZN9rocsolver6v33100L18getri_kernel_smallILi59EdPKPdEEvT1_iilPiilS6_bb
                                        ; -- End function
	.section	.AMDGPU.csdata,"",@progbits
; Kernel info:
; codeLenInByte = 79004
; NumSgprs: 28
; NumVgprs: 166
; NumAgprs: 0
; TotalNumVgprs: 166
; ScratchSize: 480
; MemoryBound: 1
; FloatMode: 240
; IeeeMode: 1
; LDSByteSize: 952 bytes/workgroup (compile time only)
; SGPRBlocks: 3
; VGPRBlocks: 20
; NumSGPRsForWavesPerEU: 28
; NumVGPRsForWavesPerEU: 166
; AccumOffset: 168
; Occupancy: 3
; WaveLimiterHint : 1
; COMPUTE_PGM_RSRC2:SCRATCH_EN: 1
; COMPUTE_PGM_RSRC2:USER_SGPR: 8
; COMPUTE_PGM_RSRC2:TRAP_HANDLER: 0
; COMPUTE_PGM_RSRC2:TGID_X_EN: 1
; COMPUTE_PGM_RSRC2:TGID_Y_EN: 0
; COMPUTE_PGM_RSRC2:TGID_Z_EN: 0
; COMPUTE_PGM_RSRC2:TIDIG_COMP_CNT: 0
; COMPUTE_PGM_RSRC3_GFX90A:ACCUM_OFFSET: 41
; COMPUTE_PGM_RSRC3_GFX90A:TG_SPLIT: 0
	.section	.text._ZN9rocsolver6v33100L18getri_kernel_smallILi60EdPKPdEEvT1_iilPiilS6_bb,"axG",@progbits,_ZN9rocsolver6v33100L18getri_kernel_smallILi60EdPKPdEEvT1_iilPiilS6_bb,comdat
	.globl	_ZN9rocsolver6v33100L18getri_kernel_smallILi60EdPKPdEEvT1_iilPiilS6_bb ; -- Begin function _ZN9rocsolver6v33100L18getri_kernel_smallILi60EdPKPdEEvT1_iilPiilS6_bb
	.p2align	8
	.type	_ZN9rocsolver6v33100L18getri_kernel_smallILi60EdPKPdEEvT1_iilPiilS6_bb,@function
_ZN9rocsolver6v33100L18getri_kernel_smallILi60EdPKPdEEvT1_iilPiilS6_bb: ; @_ZN9rocsolver6v33100L18getri_kernel_smallILi60EdPKPdEEvT1_iilPiilS6_bb
; %bb.0:
	s_add_u32 flat_scratch_lo, s6, s9
	s_addc_u32 flat_scratch_hi, s7, 0
	s_add_u32 s0, s0, s9
	s_addc_u32 s1, s1, 0
	v_cmp_gt_u32_e32 vcc, 60, v0
	s_and_saveexec_b64 s[6:7], vcc
	s_cbranch_execz .LBB123_248
; %bb.1:
	s_load_dword s20, s[4:5], 0x38
	s_load_dwordx2 s[6:7], s[4:5], 0x0
	s_load_dwordx4 s[12:15], s[4:5], 0x28
	s_waitcnt lgkmcnt(0)
	s_bitcmp1_b32 s20, 8
	s_cselect_b64 s[16:17], -1, 0
	s_ashr_i32 s9, s8, 31
	s_lshl_b64 s[10:11], s[8:9], 3
	s_add_u32 s6, s6, s10
	s_addc_u32 s7, s7, s11
	s_load_dwordx2 s[18:19], s[6:7], 0x0
	s_bfe_u32 s6, s20, 0x10008
	s_cmp_eq_u32 s6, 0
                                        ; implicit-def: $sgpr10_sgpr11
	s_cbranch_scc1 .LBB123_3
; %bb.2:
	s_load_dword s6, s[4:5], 0x20
	s_load_dwordx2 s[10:11], s[4:5], 0x18
	s_mul_i32 s7, s8, s13
	s_mul_hi_u32 s13, s8, s12
	s_add_i32 s13, s13, s7
	s_mul_i32 s21, s9, s12
	s_add_i32 s13, s13, s21
	s_mul_i32 s12, s8, s12
	s_waitcnt lgkmcnt(0)
	s_ashr_i32 s7, s6, 31
	s_lshl_b64 s[12:13], s[12:13], 2
	s_add_u32 s10, s10, s12
	s_addc_u32 s11, s11, s13
	s_lshl_b64 s[6:7], s[6:7], 2
	s_add_u32 s10, s10, s6
	s_addc_u32 s11, s11, s7
.LBB123_3:
	s_load_dwordx2 s[6:7], s[4:5], 0x8
	v_lshlrev_b32_e32 v1, 3, v0
	s_waitcnt lgkmcnt(0)
	s_ashr_i32 s5, s6, 31
	s_mov_b32 s4, s6
	s_lshl_b64 s[4:5], s[4:5], 3
	s_add_u32 s4, s18, s4
	s_addc_u32 s5, s19, s5
	v_mov_b32_e32 v2, s5
	v_add_co_u32_e32 v4, vcc, s4, v1
	s_ashr_i32 s13, s7, 31
	s_mov_b32 s12, s7
	s_add_i32 s6, s7, s7
	v_addc_co_u32_e32 v5, vcc, 0, v2, vcc
	s_lshl_b64 s[12:13], s[12:13], 3
	v_add_u32_e32 v8, s6, v0
	v_mov_b32_e32 v3, s13
	v_add_co_u32_e32 v2, vcc, s12, v4
	v_ashrrev_i32_e32 v9, 31, v8
	v_addc_co_u32_e32 v3, vcc, v5, v3, vcc
	v_lshlrev_b64 v[6:7], 3, v[8:9]
	v_add_u32_e32 v10, s7, v8
	v_mov_b32_e32 v9, s5
	v_add_co_u32_e32 v6, vcc, s4, v6
	v_ashrrev_i32_e32 v11, 31, v10
	v_addc_co_u32_e32 v7, vcc, v9, v7, vcc
	v_lshlrev_b64 v[8:9], 3, v[10:11]
	;; [unrolled: 6-line block ×6, first 2 shown]
	v_mov_b32_e32 v19, s5
	v_add_co_u32_e32 v16, vcc, s4, v16
	v_add_u32_e32 v18, s7, v18
	v_addc_co_u32_e32 v17, vcc, v19, v17, vcc
	v_ashrrev_i32_e32 v19, 31, v18
	v_lshlrev_b64 v[20:21], 3, v[18:19]
	v_add_u32_e32 v22, s7, v18
	v_mov_b32_e32 v19, s5
	v_add_co_u32_e32 v20, vcc, s4, v20
	v_ashrrev_i32_e32 v23, 31, v22
	v_addc_co_u32_e32 v21, vcc, v19, v21, vcc
	v_lshlrev_b64 v[18:19], 3, v[22:23]
	v_add_u32_e32 v24, s7, v22
	v_mov_b32_e32 v23, s5
	v_add_co_u32_e32 v18, vcc, s4, v18
	v_ashrrev_i32_e32 v25, 31, v24
	v_addc_co_u32_e32 v19, vcc, v23, v19, vcc
	;; [unrolled: 6-line block ×4, first 2 shown]
	v_lshlrev_b64 v[26:27], 3, v[28:29]
	v_mov_b32_e32 v29, s5
	v_add_co_u32_e32 v26, vcc, s4, v26
	global_load_dwordx2 v[36:37], v1, s[4:5]
	global_load_dwordx2 v[44:45], v[2:3], off
	global_load_dwordx2 v[42:43], v[6:7], off
	;; [unrolled: 1-line block ×8, first 2 shown]
	v_addc_co_u32_e32 v27, vcc, v29, v27, vcc
	global_load_dwordx2 v[60:61], v[18:19], off
	global_load_dwordx2 v[58:59], v[22:23], off
	;; [unrolled: 1-line block ×4, first 2 shown]
	v_add_u32_e32 v30, s7, v28
	v_ashrrev_i32_e32 v31, 31, v30
	v_lshlrev_b64 v[28:29], 3, v[30:31]
	v_add_u32_e32 v32, s7, v30
	v_mov_b32_e32 v31, s5
	v_add_co_u32_e32 v28, vcc, s4, v28
	v_ashrrev_i32_e32 v33, 31, v32
	v_addc_co_u32_e32 v29, vcc, v31, v29, vcc
	v_lshlrev_b64 v[30:31], 3, v[32:33]
	v_add_u32_e32 v34, s7, v32
	v_mov_b32_e32 v33, s5
	v_add_co_u32_e32 v30, vcc, s4, v30
	v_ashrrev_i32_e32 v35, 31, v34
	v_addc_co_u32_e32 v31, vcc, v33, v31, vcc
	v_lshlrev_b64 v[32:33], 3, v[34:35]
	v_mov_b32_e32 v35, s5
	v_add_co_u32_e32 v32, vcc, s4, v32
	v_addc_co_u32_e32 v33, vcc, v35, v33, vcc
	global_load_dwordx2 v[66:67], v[28:29], off
	global_load_dwordx2 v[64:65], v[30:31], off
	;; [unrolled: 1-line block ×3, first 2 shown]
	v_add_u32_e32 v68, s7, v34
	v_add_u32_e32 v70, s7, v68
	;; [unrolled: 1-line block ×44, first 2 shown]
	v_ashrrev_i32_e32 v35, 31, v34
	v_lshlrev_b64 v[34:35], 3, v[34:35]
	v_mov_b32_e32 v69, s5
	v_add_co_u32_e32 v34, vcc, s4, v34
	v_addc_co_u32_e32 v35, vcc, v69, v35, vcc
	v_ashrrev_i32_e32 v69, 31, v68
	global_load_dwordx2 v[124:125], v[34:35], off
	s_waitcnt vmcnt(16)
	buffer_store_dword v37, off, s[0:3], 0 offset:4
	buffer_store_dword v36, off, s[0:3], 0
	s_waitcnt vmcnt(17)
	buffer_store_dword v45, off, s[0:3], 0 offset:12
	buffer_store_dword v44, off, s[0:3], 0 offset:8
	s_waitcnt vmcnt(18)
	buffer_store_dword v43, off, s[0:3], 0 offset:20
	buffer_store_dword v42, off, s[0:3], 0 offset:16
	;; [unrolled: 3-line block ×12, first 2 shown]
	v_lshlrev_b64 v[36:37], 3, v[68:69]
	v_mov_b32_e32 v38, s5
	v_add_co_u32_e32 v36, vcc, s4, v36
	v_ashrrev_i32_e32 v71, 31, v70
	v_addc_co_u32_e32 v37, vcc, v38, v37, vcc
	v_lshlrev_b64 v[38:39], 3, v[70:71]
	v_mov_b32_e32 v40, s5
	v_add_co_u32_e32 v68, vcc, s4, v38
	v_ashrrev_i32_e32 v73, 31, v72
	v_addc_co_u32_e32 v69, vcc, v40, v39, vcc
	v_lshlrev_b64 v[38:39], 3, v[72:73]
	v_add_co_u32_e32 v58, vcc, s4, v38
	v_ashrrev_i32_e32 v75, 31, v74
	v_addc_co_u32_e32 v59, vcc, v40, v39, vcc
	v_lshlrev_b64 v[38:39], 3, v[74:75]
	global_load_dwordx2 v[156:157], v[36:37], off
	v_add_co_u32_e32 v48, vcc, s4, v38
	v_ashrrev_i32_e32 v77, 31, v76
	v_addc_co_u32_e32 v49, vcc, v40, v39, vcc
	v_lshlrev_b64 v[38:39], 3, v[76:77]
	s_waitcnt vmcnt(30)
	buffer_store_dword v66, off, s[0:3], 0 offset:104
	buffer_store_dword v67, off, s[0:3], 0 offset:108
	s_waitcnt vmcnt(31)
	buffer_store_dword v65, off, s[0:3], 0 offset:116
	buffer_store_dword v64, off, s[0:3], 0 offset:112
	s_waitcnt vmcnt(32)
	buffer_store_dword v62, off, s[0:3], 0 offset:120
	buffer_store_dword v63, off, s[0:3], 0 offset:124
	v_add_co_u32_e32 v38, vcc, s4, v38
	v_addc_co_u32_e32 v39, vcc, v40, v39, vcc
	global_load_dwordx2 v[158:159], v[68:69], off
	global_load_dwordx2 v[160:161], v[58:59], off
	;; [unrolled: 1-line block ×4, first 2 shown]
	v_ashrrev_i32_e32 v79, 31, v78
	v_lshlrev_b64 v[40:41], 3, v[78:79]
	v_mov_b32_e32 v42, s5
	v_add_co_u32_e32 v70, vcc, s4, v40
	v_ashrrev_i32_e32 v81, 31, v80
	v_addc_co_u32_e32 v71, vcc, v42, v41, vcc
	v_lshlrev_b64 v[40:41], 3, v[80:81]
	v_add_co_u32_e32 v60, vcc, s4, v40
	v_ashrrev_i32_e32 v83, 31, v82
	v_addc_co_u32_e32 v61, vcc, v42, v41, vcc
	v_lshlrev_b64 v[40:41], 3, v[82:83]
	;; [unrolled: 4-line block ×4, first 2 shown]
	v_mov_b32_e32 v44, s5
	v_add_co_u32_e32 v72, vcc, s4, v42
	v_ashrrev_i32_e32 v89, 31, v88
	v_addc_co_u32_e32 v73, vcc, v44, v43, vcc
	v_lshlrev_b64 v[42:43], 3, v[88:89]
	v_add_co_u32_e32 v62, vcc, s4, v42
	v_ashrrev_i32_e32 v91, 31, v90
	v_addc_co_u32_e32 v63, vcc, v44, v43, vcc
	v_lshlrev_b64 v[42:43], 3, v[90:91]
	;; [unrolled: 4-line block ×4, first 2 shown]
	v_mov_b32_e32 v46, s5
	v_add_co_u32_e32 v74, vcc, s4, v44
	v_ashrrev_i32_e32 v97, 31, v96
	v_addc_co_u32_e32 v75, vcc, v46, v45, vcc
	v_lshlrev_b64 v[44:45], 3, v[96:97]
	v_add_co_u32_e32 v64, vcc, s4, v44
	v_ashrrev_i32_e32 v99, 31, v98
	v_addc_co_u32_e32 v65, vcc, v46, v45, vcc
	v_lshlrev_b64 v[44:45], 3, v[98:99]
	;; [unrolled: 4-line block ×3, first 2 shown]
	v_add_co_u32_e32 v44, vcc, s4, v44
	global_load_dwordx2 v[80:81], v[70:71], off
	global_load_dwordx2 v[82:83], v[60:61], off
	;; [unrolled: 1-line block ×8, first 2 shown]
	v_addc_co_u32_e32 v45, vcc, v46, v45, vcc
	global_load_dwordx2 v[94:95], v[74:75], off
	global_load_dwordx2 v[96:97], v[64:65], off
	;; [unrolled: 1-line block ×4, first 2 shown]
	v_ashrrev_i32_e32 v103, 31, v102
	v_lshlrev_b64 v[46:47], 3, v[102:103]
	v_mov_b32_e32 v56, s5
	v_add_co_u32_e32 v76, vcc, s4, v46
	v_ashrrev_i32_e32 v105, 31, v104
	v_addc_co_u32_e32 v77, vcc, v56, v47, vcc
	v_lshlrev_b64 v[46:47], 3, v[104:105]
	v_add_co_u32_e32 v78, vcc, s4, v46
	v_ashrrev_i32_e32 v109, 31, v108
	v_addc_co_u32_e32 v79, vcc, v56, v47, vcc
	v_lshlrev_b64 v[46:47], 3, v[108:109]
	v_add_co_u32_e32 v66, vcc, s4, v46
	v_ashrrev_i32_e32 v113, 31, v112
	v_addc_co_u32_e32 v67, vcc, v56, v47, vcc
	v_lshlrev_b64 v[46:47], 3, v[112:113]
	v_mov_b32_e32 v57, s5
	v_add_co_u32_e32 v56, vcc, s4, v46
	v_ashrrev_i32_e32 v117, 31, v116
	v_addc_co_u32_e32 v57, vcc, v57, v47, vcc
	v_lshlrev_b64 v[46:47], 3, v[116:117]
	v_mov_b32_e32 v104, s5
	v_add_co_u32_e32 v46, vcc, s4, v46
	global_load_dwordx2 v[102:103], v[76:77], off
	v_addc_co_u32_e32 v47, vcc, v104, v47, vcc
	global_load_dwordx2 v[104:105], v[78:79], off
	global_load_dwordx2 v[108:109], v[66:67], off
	;; [unrolled: 1-line block ×3, first 2 shown]
	v_ashrrev_i32_e32 v107, 31, v106
	s_waitcnt vmcnt(26)
	buffer_store_dword v156, off, s[0:3], 0 offset:128
	buffer_store_dword v157, off, s[0:3], 0 offset:132
	s_waitcnt vmcnt(21)
	buffer_store_dword v158, off, s[0:3], 0 offset:136
	buffer_store_dword v159, off, s[0:3], 0 offset:140
	global_load_dwordx2 v[116:117], v[46:47], off
	s_waitcnt vmcnt(23)
	buffer_store_dword v160, off, s[0:3], 0 offset:144
	buffer_store_dword v161, off, s[0:3], 0 offset:148
	s_waitcnt vmcnt(24)
	buffer_store_dword v163, off, s[0:3], 0 offset:156
	buffer_store_dword v162, off, s[0:3], 0 offset:152
	;; [unrolled: 3-line block ×19, first 2 shown]
	v_lshlrev_b64 v[80:81], 3, v[106:107]
	v_mov_b32_e32 v82, s5
	v_add_co_u32_e32 v90, vcc, s4, v80
	v_ashrrev_i32_e32 v111, 31, v110
	v_addc_co_u32_e32 v91, vcc, v82, v81, vcc
	v_lshlrev_b64 v[80:81], 3, v[110:111]
	v_mov_b32_e32 v83, s5
	v_add_co_u32_e32 v82, vcc, s4, v80
	v_ashrrev_i32_e32 v115, 31, v114
	v_addc_co_u32_e32 v83, vcc, v83, v81, vcc
	;; [unrolled: 5-line block ×4, first 2 shown]
	v_lshlrev_b64 v[84:85], 3, v[120:121]
	v_add_co_u32_e32 v102, vcc, s4, v84
	v_ashrrev_i32_e32 v123, 31, v122
	v_addc_co_u32_e32 v103, vcc, v86, v85, vcc
	v_lshlrev_b64 v[84:85], 3, v[122:123]
	v_add_co_u32_e32 v92, vcc, s4, v84
	v_ashrrev_i32_e32 v127, 31, v126
	v_addc_co_u32_e32 v93, vcc, v86, v85, vcc
	;; [unrolled: 4-line block ×3, first 2 shown]
	v_lshlrev_b64 v[86:87], 3, v[128:129]
	v_mov_b32_e32 v88, s5
	v_add_co_u32_e32 v114, vcc, s4, v86
	v_ashrrev_i32_e32 v131, 31, v130
	v_addc_co_u32_e32 v115, vcc, v88, v87, vcc
	v_lshlrev_b64 v[86:87], 3, v[130:131]
	v_add_co_u32_e32 v104, vcc, s4, v86
	v_ashrrev_i32_e32 v133, 31, v132
	v_addc_co_u32_e32 v105, vcc, v88, v87, vcc
	v_lshlrev_b64 v[86:87], 3, v[132:133]
	;; [unrolled: 4-line block ×4, first 2 shown]
	global_load_dwordx2 v[156:157], v[90:91], off
	global_load_dwordx2 v[158:159], v[82:83], off
	;; [unrolled: 1-line block ×3, first 2 shown]
	s_waitcnt vmcnt(41)
	buffer_store_dword v117, off, s[0:3], 0 offset:300
	buffer_store_dword v116, off, s[0:3], 0 offset:296
	v_mov_b32_e32 v96, s5
	v_add_co_u32_e32 v116, vcc, s4, v88
	v_ashrrev_i32_e32 v139, 31, v138
	v_addc_co_u32_e32 v117, vcc, v96, v89, vcc
	v_lshlrev_b64 v[88:89], 3, v[138:139]
	v_add_co_u32_e32 v106, vcc, s4, v88
	v_ashrrev_i32_e32 v141, 31, v140
	v_addc_co_u32_e32 v107, vcc, v96, v89, vcc
	v_lshlrev_b64 v[88:89], 3, v[140:141]
	v_mov_b32_e32 v97, s5
	v_add_co_u32_e32 v96, vcc, s4, v88
	v_ashrrev_i32_e32 v143, 31, v142
	v_addc_co_u32_e32 v97, vcc, v97, v89, vcc
	v_lshlrev_b64 v[88:89], 3, v[142:143]
	v_mov_b32_e32 v98, s5
	;; [unrolled: 5-line block ×3, first 2 shown]
	v_add_co_u32_e32 v118, vcc, s4, v98
	v_ashrrev_i32_e32 v147, 31, v146
	v_addc_co_u32_e32 v119, vcc, v100, v99, vcc
	v_lshlrev_b64 v[98:99], 3, v[146:147]
	v_add_co_u32_e32 v108, vcc, s4, v98
	v_ashrrev_i32_e32 v149, 31, v148
	v_addc_co_u32_e32 v109, vcc, v100, v99, vcc
	v_lshlrev_b64 v[98:99], 3, v[148:149]
	v_add_co_u32_e32 v98, vcc, s4, v98
	global_load_dwordx2 v[122:123], v[112:113], off
	global_load_dwordx2 v[126:127], v[102:103], off
	;; [unrolled: 1-line block ×12, first 2 shown]
	v_addc_co_u32_e32 v99, vcc, v100, v99, vcc
	global_load_dwordx2 v[144:145], v[118:119], off
	global_load_dwordx2 v[146:147], v[108:109], off
	;; [unrolled: 1-line block ×3, first 2 shown]
	v_ashrrev_i32_e32 v151, 31, v150
	v_lshlrev_b64 v[100:101], 3, v[150:151]
	v_mov_b32_e32 v110, s5
	v_add_co_u32_e32 v120, vcc, s4, v100
	v_ashrrev_i32_e32 v153, 31, v152
	v_addc_co_u32_e32 v121, vcc, v110, v101, vcc
	v_lshlrev_b64 v[100:101], 3, v[152:153]
	v_mov_b32_e32 v111, s5
	v_add_co_u32_e32 v110, vcc, s4, v100
	v_ashrrev_i32_e32 v155, 31, v154
	v_addc_co_u32_e32 v111, vcc, v111, v101, vcc
	v_lshlrev_b64 v[100:101], 3, v[154:155]
	v_mov_b32_e32 v150, s5
	v_add_co_u32_e32 v100, vcc, s4, v100
	v_addc_co_u32_e32 v101, vcc, v150, v101, vcc
	global_load_dwordx2 v[150:151], v[120:121], off
	global_load_dwordx2 v[152:153], v[110:111], off
	;; [unrolled: 1-line block ×3, first 2 shown]
	s_bitcmp0_b32 s20, 0
	s_mov_b64 s[6:7], -1
	s_waitcnt vmcnt(22)
	buffer_store_dword v157, off, s[0:3], 0 offset:308
	buffer_store_dword v156, off, s[0:3], 0 offset:304
	s_waitcnt vmcnt(23)
	buffer_store_dword v158, off, s[0:3], 0 offset:312
	buffer_store_dword v159, off, s[0:3], 0 offset:316
	;; [unrolled: 3-line block ×21, first 2 shown]
	buffer_store_dword v124, off, s[0:3], 0 offset:472
	buffer_store_dword v125, off, s[0:3], 0 offset:476
	s_cbranch_scc1 .LBB123_246
; %bb.4:
	v_cmp_eq_u32_e64 s[4:5], 0, v0
	s_and_saveexec_b64 s[6:7], s[4:5]
	s_cbranch_execz .LBB123_6
; %bb.5:
	v_mov_b32_e32 v122, 0
	ds_write_b32 v122, v122 offset:960
.LBB123_6:
	s_or_b64 exec, exec, s[6:7]
	v_mov_b32_e32 v122, 0
	v_lshl_add_u32 v122, v0, 3, v122
	s_waitcnt lgkmcnt(0)
	; wave barrier
	s_waitcnt lgkmcnt(0)
	buffer_load_dword v124, v122, s[0:3], 0 offen
	buffer_load_dword v125, v122, s[0:3], 0 offen offset:4
	s_waitcnt vmcnt(0)
	v_cmp_eq_f64_e32 vcc, 0, v[124:125]
	s_and_saveexec_b64 s[12:13], vcc
	s_cbranch_execz .LBB123_10
; %bb.7:
	v_mov_b32_e32 v123, 0
	ds_read_b32 v125, v123 offset:960
	v_add_u32_e32 v124, 1, v0
	s_waitcnt lgkmcnt(0)
	v_readfirstlane_b32 s6, v125
	s_cmp_eq_u32 s6, 0
	s_cselect_b64 s[18:19], -1, 0
	v_cmp_gt_i32_e32 vcc, s6, v124
	s_or_b64 s[18:19], s[18:19], vcc
	s_and_b64 exec, exec, s[18:19]
	s_cbranch_execz .LBB123_10
; %bb.8:
	s_mov_b64 s[18:19], 0
	v_mov_b32_e32 v125, s6
.LBB123_9:                              ; =>This Inner Loop Header: Depth=1
	ds_cmpst_rtn_b32 v125, v123, v125, v124 offset:960
	s_waitcnt lgkmcnt(0)
	v_cmp_ne_u32_e32 vcc, 0, v125
	v_cmp_le_i32_e64 s[6:7], v125, v124
	s_and_b64 s[6:7], vcc, s[6:7]
	s_and_b64 s[6:7], exec, s[6:7]
	s_or_b64 s[18:19], s[6:7], s[18:19]
	s_andn2_b64 exec, exec, s[18:19]
	s_cbranch_execnz .LBB123_9
.LBB123_10:
	s_or_b64 exec, exec, s[12:13]
	v_mov_b32_e32 v124, 0
	s_waitcnt lgkmcnt(0)
	; wave barrier
	ds_read_b32 v123, v124 offset:960
	s_and_saveexec_b64 s[6:7], s[4:5]
	s_cbranch_execz .LBB123_12
; %bb.11:
	s_lshl_b64 s[12:13], s[8:9], 2
	s_add_u32 s12, s14, s12
	s_addc_u32 s13, s15, s13
	s_waitcnt lgkmcnt(0)
	global_store_dword v124, v123, s[12:13]
.LBB123_12:
	s_or_b64 exec, exec, s[6:7]
	s_waitcnt lgkmcnt(0)
	v_cmp_ne_u32_e32 vcc, 0, v123
	s_mov_b64 s[6:7], 0
	s_cbranch_vccnz .LBB123_246
; %bb.13:
	buffer_load_dword v124, v122, s[0:3], 0 offen
	buffer_load_dword v125, v122, s[0:3], 0 offen offset:4
	s_waitcnt vmcnt(0)
	v_div_scale_f64 v[126:127], s[6:7], v[124:125], v[124:125], 1.0
	v_rcp_f64_e32 v[128:129], v[126:127]
	v_div_scale_f64 v[130:131], vcc, 1.0, v[124:125], 1.0
	v_fma_f64 v[132:133], -v[126:127], v[128:129], 1.0
	v_fmac_f64_e32 v[128:129], v[128:129], v[132:133]
	v_fma_f64 v[132:133], -v[126:127], v[128:129], 1.0
	v_fmac_f64_e32 v[128:129], v[128:129], v[132:133]
	v_mul_f64 v[132:133], v[130:131], v[128:129]
	v_fma_f64 v[126:127], -v[126:127], v[132:133], v[130:131]
	v_div_fmas_f64 v[126:127], v[126:127], v[128:129], v[132:133]
	v_div_fixup_f64 v[126:127], v[126:127], v[124:125], 1.0
	buffer_store_dword v127, v122, s[0:3], 0 offen offset:4
	buffer_store_dword v126, v122, s[0:3], 0 offen
	buffer_load_dword v129, off, s[0:3], 0 offset:12
	buffer_load_dword v128, off, s[0:3], 0 offset:8
	v_add_u32_e32 v124, 0x1e0, v1
	v_xor_b32_e32 v127, 0x80000000, v127
	s_waitcnt vmcnt(0)
	ds_write2_b64 v1, v[126:127], v[128:129] offset1:60
	s_waitcnt lgkmcnt(0)
	; wave barrier
	s_waitcnt lgkmcnt(0)
	s_and_saveexec_b64 s[6:7], s[4:5]
	s_cbranch_execz .LBB123_15
; %bb.14:
	buffer_load_dword v126, v122, s[0:3], 0 offen
	buffer_load_dword v127, v122, s[0:3], 0 offen offset:4
	v_mov_b32_e32 v123, 0
	ds_read_b64 v[128:129], v124
	ds_read_b64 v[130:131], v123 offset:8
	s_waitcnt vmcnt(0) lgkmcnt(1)
	v_fma_f64 v[126:127], v[126:127], v[128:129], 0
	s_waitcnt lgkmcnt(0)
	v_mul_f64 v[126:127], v[126:127], v[130:131]
	buffer_store_dword v126, off, s[0:3], 0 offset:8
	buffer_store_dword v127, off, s[0:3], 0 offset:12
.LBB123_15:
	s_or_b64 exec, exec, s[6:7]
	s_waitcnt lgkmcnt(0)
	; wave barrier
	buffer_load_dword v126, off, s[0:3], 0 offset:16
	buffer_load_dword v127, off, s[0:3], 0 offset:20
	v_cmp_gt_u32_e32 vcc, 2, v0
	s_waitcnt vmcnt(0)
	ds_write_b64 v124, v[126:127]
	s_waitcnt lgkmcnt(0)
	; wave barrier
	s_waitcnt lgkmcnt(0)
	s_and_saveexec_b64 s[6:7], vcc
	s_cbranch_execz .LBB123_17
; %bb.16:
	buffer_load_dword v123, v122, s[0:3], 0 offen offset:4
	buffer_load_dword v130, off, s[0:3], 0 offset:8
	s_nop 0
	buffer_load_dword v122, v122, s[0:3], 0 offen
	s_nop 0
	buffer_load_dword v131, off, s[0:3], 0 offset:12
	ds_read_b64 v[132:133], v124
	v_mov_b32_e32 v125, 0
	ds_read2_b64 v[126:129], v125 offset0:2 offset1:61
	s_waitcnt vmcnt(1) lgkmcnt(1)
	v_fma_f64 v[122:123], v[122:123], v[132:133], 0
	s_waitcnt vmcnt(0) lgkmcnt(0)
	v_fma_f64 v[128:129], v[130:131], v[128:129], v[122:123]
	v_cndmask_b32_e64 v123, v123, v129, s[4:5]
	v_cndmask_b32_e64 v122, v122, v128, s[4:5]
	v_mul_f64 v[122:123], v[122:123], v[126:127]
	buffer_store_dword v123, off, s[0:3], 0 offset:20
	buffer_store_dword v122, off, s[0:3], 0 offset:16
.LBB123_17:
	s_or_b64 exec, exec, s[6:7]
	s_waitcnt lgkmcnt(0)
	; wave barrier
	buffer_load_dword v122, off, s[0:3], 0 offset:24
	buffer_load_dword v123, off, s[0:3], 0 offset:28
	v_cmp_gt_u32_e32 vcc, 3, v0
	v_add_u32_e32 v125, -1, v0
	s_waitcnt vmcnt(0)
	ds_write_b64 v124, v[122:123]
	s_waitcnt lgkmcnt(0)
	; wave barrier
	s_waitcnt lgkmcnt(0)
	s_and_saveexec_b64 s[4:5], vcc
	s_cbranch_execz .LBB123_21
; %bb.18:
	v_add_u32_e32 v126, -1, v0
	v_add_u32_e32 v127, 0x1e0, v1
	v_add_u32_e32 v128, 0, v1
	s_mov_b64 s[6:7], 0
	v_pk_mov_b32 v[122:123], 0, 0
.LBB123_19:                             ; =>This Inner Loop Header: Depth=1
	buffer_load_dword v130, v128, s[0:3], 0 offen
	buffer_load_dword v131, v128, s[0:3], 0 offen offset:4
	ds_read_b64 v[132:133], v127
	v_add_u32_e32 v126, 1, v126
	v_cmp_lt_u32_e32 vcc, 1, v126
	v_add_u32_e32 v127, 8, v127
	v_add_u32_e32 v128, 8, v128
	s_or_b64 s[6:7], vcc, s[6:7]
	s_waitcnt vmcnt(0) lgkmcnt(0)
	v_fmac_f64_e32 v[122:123], v[130:131], v[132:133]
	s_andn2_b64 exec, exec, s[6:7]
	s_cbranch_execnz .LBB123_19
; %bb.20:
	s_or_b64 exec, exec, s[6:7]
	v_mov_b32_e32 v126, 0
	ds_read_b64 v[126:127], v126 offset:24
	s_waitcnt lgkmcnt(0)
	v_mul_f64 v[122:123], v[122:123], v[126:127]
	buffer_store_dword v123, off, s[0:3], 0 offset:28
	buffer_store_dword v122, off, s[0:3], 0 offset:24
.LBB123_21:
	s_or_b64 exec, exec, s[4:5]
	s_waitcnt lgkmcnt(0)
	; wave barrier
	buffer_load_dword v122, off, s[0:3], 0 offset:32
	buffer_load_dword v123, off, s[0:3], 0 offset:36
	v_cmp_gt_u32_e32 vcc, 4, v0
	s_waitcnt vmcnt(0)
	ds_write_b64 v124, v[122:123]
	s_waitcnt lgkmcnt(0)
	; wave barrier
	s_waitcnt lgkmcnt(0)
	s_and_saveexec_b64 s[4:5], vcc
	s_cbranch_execz .LBB123_25
; %bb.22:
	v_add_u32_e32 v126, -1, v0
	v_add_u32_e32 v127, 0x1e0, v1
	v_add_u32_e32 v128, 0, v1
	s_mov_b64 s[6:7], 0
	v_pk_mov_b32 v[122:123], 0, 0
.LBB123_23:                             ; =>This Inner Loop Header: Depth=1
	buffer_load_dword v130, v128, s[0:3], 0 offen
	buffer_load_dword v131, v128, s[0:3], 0 offen offset:4
	ds_read_b64 v[132:133], v127
	v_add_u32_e32 v126, 1, v126
	v_cmp_lt_u32_e32 vcc, 2, v126
	v_add_u32_e32 v127, 8, v127
	v_add_u32_e32 v128, 8, v128
	s_or_b64 s[6:7], vcc, s[6:7]
	s_waitcnt vmcnt(0) lgkmcnt(0)
	v_fmac_f64_e32 v[122:123], v[130:131], v[132:133]
	s_andn2_b64 exec, exec, s[6:7]
	s_cbranch_execnz .LBB123_23
; %bb.24:
	s_or_b64 exec, exec, s[6:7]
	v_mov_b32_e32 v126, 0
	ds_read_b64 v[126:127], v126 offset:32
	s_waitcnt lgkmcnt(0)
	v_mul_f64 v[122:123], v[122:123], v[126:127]
	buffer_store_dword v123, off, s[0:3], 0 offset:36
	buffer_store_dword v122, off, s[0:3], 0 offset:32
.LBB123_25:
	s_or_b64 exec, exec, s[4:5]
	s_waitcnt lgkmcnt(0)
	; wave barrier
	buffer_load_dword v122, off, s[0:3], 0 offset:40
	buffer_load_dword v123, off, s[0:3], 0 offset:44
	v_cmp_gt_u32_e32 vcc, 5, v0
	;; [unrolled: 41-line block ×21, first 2 shown]
	s_waitcnt vmcnt(0)
	ds_write_b64 v124, v[122:123]
	s_waitcnt lgkmcnt(0)
	; wave barrier
	s_waitcnt lgkmcnt(0)
	s_and_saveexec_b64 s[4:5], vcc
	s_cbranch_execz .LBB123_105
; %bb.102:
	v_add_u32_e32 v126, -1, v0
	v_add_u32_e32 v127, 0x1e0, v1
	v_add_u32_e32 v128, 0, v1
	s_mov_b64 s[6:7], 0
	v_pk_mov_b32 v[122:123], 0, 0
.LBB123_103:                            ; =>This Inner Loop Header: Depth=1
	buffer_load_dword v130, v128, s[0:3], 0 offen
	buffer_load_dword v131, v128, s[0:3], 0 offen offset:4
	ds_read_b64 v[132:133], v127
	v_add_u32_e32 v126, 1, v126
	v_cmp_lt_u32_e32 vcc, 22, v126
	v_add_u32_e32 v127, 8, v127
	v_add_u32_e32 v128, 8, v128
	s_or_b64 s[6:7], vcc, s[6:7]
	s_waitcnt vmcnt(0) lgkmcnt(0)
	v_fmac_f64_e32 v[122:123], v[130:131], v[132:133]
	s_andn2_b64 exec, exec, s[6:7]
	s_cbranch_execnz .LBB123_103
; %bb.104:
	s_or_b64 exec, exec, s[6:7]
	v_mov_b32_e32 v126, 0
	ds_read_b64 v[126:127], v126 offset:192
	s_waitcnt lgkmcnt(0)
	v_mul_f64 v[122:123], v[122:123], v[126:127]
	buffer_store_dword v123, off, s[0:3], 0 offset:196
	buffer_store_dword v122, off, s[0:3], 0 offset:192
.LBB123_105:
	s_or_b64 exec, exec, s[4:5]
	s_waitcnt lgkmcnt(0)
	; wave barrier
	buffer_load_dword v122, off, s[0:3], 0 offset:200
	buffer_load_dword v123, off, s[0:3], 0 offset:204
	v_cmp_gt_u32_e32 vcc, 25, v0
	s_waitcnt vmcnt(0)
	ds_write_b64 v124, v[122:123]
	s_waitcnt lgkmcnt(0)
	; wave barrier
	s_waitcnt lgkmcnt(0)
	s_and_saveexec_b64 s[4:5], vcc
	s_cbranch_execz .LBB123_109
; %bb.106:
	v_add_u32_e32 v126, -1, v0
	v_add_u32_e32 v127, 0x1e0, v1
	v_add_u32_e32 v128, 0, v1
	s_mov_b64 s[6:7], 0
	v_pk_mov_b32 v[122:123], 0, 0
.LBB123_107:                            ; =>This Inner Loop Header: Depth=1
	buffer_load_dword v130, v128, s[0:3], 0 offen
	buffer_load_dword v131, v128, s[0:3], 0 offen offset:4
	ds_read_b64 v[132:133], v127
	v_add_u32_e32 v126, 1, v126
	v_cmp_lt_u32_e32 vcc, 23, v126
	v_add_u32_e32 v127, 8, v127
	v_add_u32_e32 v128, 8, v128
	s_or_b64 s[6:7], vcc, s[6:7]
	s_waitcnt vmcnt(0) lgkmcnt(0)
	v_fmac_f64_e32 v[122:123], v[130:131], v[132:133]
	s_andn2_b64 exec, exec, s[6:7]
	s_cbranch_execnz .LBB123_107
; %bb.108:
	s_or_b64 exec, exec, s[6:7]
	v_mov_b32_e32 v126, 0
	ds_read_b64 v[126:127], v126 offset:200
	s_waitcnt lgkmcnt(0)
	v_mul_f64 v[122:123], v[122:123], v[126:127]
	buffer_store_dword v123, off, s[0:3], 0 offset:204
	buffer_store_dword v122, off, s[0:3], 0 offset:200
.LBB123_109:
	s_or_b64 exec, exec, s[4:5]
	s_waitcnt lgkmcnt(0)
	; wave barrier
	buffer_load_dword v122, off, s[0:3], 0 offset:208
	buffer_load_dword v123, off, s[0:3], 0 offset:212
	v_cmp_gt_u32_e32 vcc, 26, v0
	;; [unrolled: 41-line block ×34, first 2 shown]
	s_waitcnt vmcnt(0)
	ds_write_b64 v124, v[122:123]
	s_waitcnt lgkmcnt(0)
	; wave barrier
	s_waitcnt lgkmcnt(0)
	s_and_saveexec_b64 s[4:5], vcc
	s_cbranch_execz .LBB123_241
; %bb.238:
	v_add_u32_e32 v126, -1, v0
	v_add_u32_e32 v127, 0x1e0, v1
	v_add_u32_e32 v128, 0, v1
	s_mov_b64 s[6:7], 0
	v_pk_mov_b32 v[122:123], 0, 0
.LBB123_239:                            ; =>This Inner Loop Header: Depth=1
	buffer_load_dword v130, v128, s[0:3], 0 offen
	buffer_load_dword v131, v128, s[0:3], 0 offen offset:4
	ds_read_b64 v[132:133], v127
	v_add_u32_e32 v126, 1, v126
	v_cmp_lt_u32_e32 vcc, 56, v126
	v_add_u32_e32 v127, 8, v127
	v_add_u32_e32 v128, 8, v128
	s_or_b64 s[6:7], vcc, s[6:7]
	s_waitcnt vmcnt(0) lgkmcnt(0)
	v_fmac_f64_e32 v[122:123], v[130:131], v[132:133]
	s_andn2_b64 exec, exec, s[6:7]
	s_cbranch_execnz .LBB123_239
; %bb.240:
	s_or_b64 exec, exec, s[6:7]
	v_mov_b32_e32 v126, 0
	ds_read_b64 v[126:127], v126 offset:464
	s_waitcnt lgkmcnt(0)
	v_mul_f64 v[122:123], v[122:123], v[126:127]
	buffer_store_dword v123, off, s[0:3], 0 offset:468
	buffer_store_dword v122, off, s[0:3], 0 offset:464
.LBB123_241:
	s_or_b64 exec, exec, s[4:5]
	s_waitcnt lgkmcnt(0)
	; wave barrier
	buffer_load_dword v122, off, s[0:3], 0 offset:472
	buffer_load_dword v123, off, s[0:3], 0 offset:476
	v_cmp_ne_u32_e32 vcc, 59, v0
	s_waitcnt vmcnt(0)
	ds_write_b64 v124, v[122:123]
	s_waitcnt lgkmcnt(0)
	; wave barrier
	s_waitcnt lgkmcnt(0)
	s_and_saveexec_b64 s[4:5], vcc
	s_cbranch_execz .LBB123_245
; %bb.242:
	v_add_u32_e32 v124, 0x1e0, v1
	v_add_u32_e32 v1, 0, v1
	s_mov_b64 s[6:7], 0
	v_pk_mov_b32 v[122:123], 0, 0
.LBB123_243:                            ; =>This Inner Loop Header: Depth=1
	buffer_load_dword v126, v1, s[0:3], 0 offen
	buffer_load_dword v127, v1, s[0:3], 0 offen offset:4
	ds_read_b64 v[128:129], v124
	v_add_u32_e32 v125, 1, v125
	v_cmp_lt_u32_e32 vcc, 57, v125
	v_add_u32_e32 v124, 8, v124
	v_add_u32_e32 v1, 8, v1
	s_or_b64 s[6:7], vcc, s[6:7]
	s_waitcnt vmcnt(0) lgkmcnt(0)
	v_fmac_f64_e32 v[122:123], v[126:127], v[128:129]
	s_andn2_b64 exec, exec, s[6:7]
	s_cbranch_execnz .LBB123_243
; %bb.244:
	s_or_b64 exec, exec, s[6:7]
	v_mov_b32_e32 v1, 0
	ds_read_b64 v[124:125], v1 offset:472
	s_waitcnt lgkmcnt(0)
	v_mul_f64 v[122:123], v[122:123], v[124:125]
	buffer_store_dword v123, off, s[0:3], 0 offset:476
	buffer_store_dword v122, off, s[0:3], 0 offset:472
.LBB123_245:
	s_or_b64 exec, exec, s[4:5]
	s_mov_b64 s[6:7], -1
	s_waitcnt lgkmcnt(0)
	; wave barrier
.LBB123_246:
	s_and_b64 vcc, exec, s[6:7]
	s_cbranch_vccz .LBB123_248
; %bb.247:
	s_lshl_b64 s[4:5], s[8:9], 2
	s_add_u32 s4, s14, s4
	s_addc_u32 s5, s15, s5
	v_mov_b32_e32 v1, 0
	global_load_dword v1, v1, s[4:5]
	s_waitcnt vmcnt(0)
	v_cmp_ne_u32_e32 vcc, 0, v1
	s_cbranch_vccz .LBB123_249
.LBB123_248:
	s_endpgm
.LBB123_249:
	v_mov_b32_e32 v1, 0x1e0
	v_lshl_add_u32 v1, v0, 3, v1
	v_cmp_eq_u32_e32 vcc, 59, v0
	s_and_saveexec_b64 s[4:5], vcc
	s_cbranch_execz .LBB123_251
; %bb.250:
	buffer_load_dword v122, off, s[0:3], 0 offset:464
	buffer_load_dword v123, off, s[0:3], 0 offset:468
	v_mov_b32_e32 v124, 0
	buffer_store_dword v124, off, s[0:3], 0 offset:464
	buffer_store_dword v124, off, s[0:3], 0 offset:468
	s_waitcnt vmcnt(2)
	ds_write_b64 v1, v[122:123]
.LBB123_251:
	s_or_b64 exec, exec, s[4:5]
	s_waitcnt lgkmcnt(0)
	; wave barrier
	s_waitcnt lgkmcnt(0)
	buffer_load_dword v124, off, s[0:3], 0 offset:472
	buffer_load_dword v125, off, s[0:3], 0 offset:476
	;; [unrolled: 1-line block ×4, first 2 shown]
	v_mov_b32_e32 v122, 0
	ds_read_b64 v[128:129], v122 offset:952
	v_cmp_lt_u32_e32 vcc, 57, v0
	s_waitcnt vmcnt(2) lgkmcnt(0)
	v_fma_f64 v[124:125], v[124:125], v[128:129], 0
	s_waitcnt vmcnt(0)
	v_add_f64 v[124:125], v[126:127], -v[124:125]
	buffer_store_dword v124, off, s[0:3], 0 offset:464
	buffer_store_dword v125, off, s[0:3], 0 offset:468
	s_and_saveexec_b64 s[4:5], vcc
	s_cbranch_execz .LBB123_253
; %bb.252:
	buffer_load_dword v124, off, s[0:3], 0 offset:456
	buffer_load_dword v125, off, s[0:3], 0 offset:460
	s_waitcnt vmcnt(0)
	ds_write_b64 v1, v[124:125]
	buffer_store_dword v122, off, s[0:3], 0 offset:456
	buffer_store_dword v122, off, s[0:3], 0 offset:460
.LBB123_253:
	s_or_b64 exec, exec, s[4:5]
	s_waitcnt lgkmcnt(0)
	; wave barrier
	s_waitcnt lgkmcnt(0)
	buffer_load_dword v126, off, s[0:3], 0 offset:464
	buffer_load_dword v127, off, s[0:3], 0 offset:468
	;; [unrolled: 1-line block ×6, first 2 shown]
	ds_read_b128 v[122:125], v122 offset:944
	v_cmp_lt_u32_e32 vcc, 56, v0
	s_waitcnt vmcnt(4) lgkmcnt(0)
	v_fma_f64 v[122:123], v[126:127], v[122:123], 0
	s_waitcnt vmcnt(2)
	v_fmac_f64_e32 v[122:123], v[128:129], v[124:125]
	s_waitcnt vmcnt(0)
	v_add_f64 v[122:123], v[130:131], -v[122:123]
	buffer_store_dword v122, off, s[0:3], 0 offset:456
	buffer_store_dword v123, off, s[0:3], 0 offset:460
	s_and_saveexec_b64 s[4:5], vcc
	s_cbranch_execz .LBB123_255
; %bb.254:
	buffer_load_dword v122, off, s[0:3], 0 offset:448
	buffer_load_dword v123, off, s[0:3], 0 offset:452
	v_mov_b32_e32 v124, 0
	buffer_store_dword v124, off, s[0:3], 0 offset:448
	buffer_store_dword v124, off, s[0:3], 0 offset:452
	s_waitcnt vmcnt(2)
	ds_write_b64 v1, v[122:123]
.LBB123_255:
	s_or_b64 exec, exec, s[4:5]
	s_waitcnt lgkmcnt(0)
	; wave barrier
	s_waitcnt lgkmcnt(0)
	buffer_load_dword v128, off, s[0:3], 0 offset:456
	buffer_load_dword v129, off, s[0:3], 0 offset:460
	buffer_load_dword v130, off, s[0:3], 0 offset:464
	buffer_load_dword v131, off, s[0:3], 0 offset:468
	buffer_load_dword v132, off, s[0:3], 0 offset:472
	buffer_load_dword v133, off, s[0:3], 0 offset:476
	buffer_load_dword v134, off, s[0:3], 0 offset:448
	buffer_load_dword v135, off, s[0:3], 0 offset:452
	v_mov_b32_e32 v122, 0
	ds_read2_b64 v[124:127], v122 offset0:117 offset1:118
	ds_read_b64 v[136:137], v122 offset:952
	v_cmp_lt_u32_e32 vcc, 55, v0
	s_waitcnt vmcnt(6) lgkmcnt(1)
	v_fma_f64 v[124:125], v[128:129], v[124:125], 0
	s_waitcnt vmcnt(4)
	v_fmac_f64_e32 v[124:125], v[130:131], v[126:127]
	s_waitcnt vmcnt(2) lgkmcnt(0)
	v_fmac_f64_e32 v[124:125], v[132:133], v[136:137]
	s_waitcnt vmcnt(0)
	v_add_f64 v[124:125], v[134:135], -v[124:125]
	buffer_store_dword v124, off, s[0:3], 0 offset:448
	buffer_store_dword v125, off, s[0:3], 0 offset:452
	s_and_saveexec_b64 s[4:5], vcc
	s_cbranch_execz .LBB123_257
; %bb.256:
	buffer_load_dword v124, off, s[0:3], 0 offset:440
	buffer_load_dword v125, off, s[0:3], 0 offset:444
	s_waitcnt vmcnt(0)
	ds_write_b64 v1, v[124:125]
	buffer_store_dword v122, off, s[0:3], 0 offset:440
	buffer_store_dword v122, off, s[0:3], 0 offset:444
.LBB123_257:
	s_or_b64 exec, exec, s[4:5]
	s_waitcnt lgkmcnt(0)
	; wave barrier
	s_waitcnt lgkmcnt(0)
	buffer_load_dword v132, off, s[0:3], 0 offset:448
	buffer_load_dword v133, off, s[0:3], 0 offset:452
	;; [unrolled: 1-line block ×10, first 2 shown]
	ds_read_b128 v[124:127], v122 offset:928
	ds_read_b128 v[128:131], v122 offset:944
	v_cmp_lt_u32_e32 vcc, 54, v0
	s_waitcnt vmcnt(8) lgkmcnt(1)
	v_fma_f64 v[122:123], v[132:133], v[124:125], 0
	s_waitcnt vmcnt(6)
	v_fmac_f64_e32 v[122:123], v[134:135], v[126:127]
	s_waitcnt vmcnt(4) lgkmcnt(0)
	v_fmac_f64_e32 v[122:123], v[136:137], v[128:129]
	s_waitcnt vmcnt(2)
	v_fmac_f64_e32 v[122:123], v[138:139], v[130:131]
	s_waitcnt vmcnt(0)
	v_add_f64 v[122:123], v[140:141], -v[122:123]
	buffer_store_dword v122, off, s[0:3], 0 offset:440
	buffer_store_dword v123, off, s[0:3], 0 offset:444
	s_and_saveexec_b64 s[4:5], vcc
	s_cbranch_execz .LBB123_259
; %bb.258:
	buffer_load_dword v122, off, s[0:3], 0 offset:432
	buffer_load_dword v123, off, s[0:3], 0 offset:436
	v_mov_b32_e32 v124, 0
	buffer_store_dword v124, off, s[0:3], 0 offset:432
	buffer_store_dword v124, off, s[0:3], 0 offset:436
	s_waitcnt vmcnt(2)
	ds_write_b64 v1, v[122:123]
.LBB123_259:
	s_or_b64 exec, exec, s[4:5]
	s_waitcnt lgkmcnt(0)
	; wave barrier
	s_waitcnt lgkmcnt(0)
	buffer_load_dword v132, off, s[0:3], 0 offset:440
	buffer_load_dword v133, off, s[0:3], 0 offset:444
	;; [unrolled: 1-line block ×12, first 2 shown]
	v_mov_b32_e32 v122, 0
	ds_read2_b64 v[124:127], v122 offset0:115 offset1:116
	ds_read2_b64 v[128:131], v122 offset0:117 offset1:118
	ds_read_b64 v[144:145], v122 offset:952
	v_cmp_lt_u32_e32 vcc, 53, v0
	s_waitcnt vmcnt(10) lgkmcnt(2)
	v_fma_f64 v[124:125], v[132:133], v[124:125], 0
	s_waitcnt vmcnt(8)
	v_fmac_f64_e32 v[124:125], v[134:135], v[126:127]
	s_waitcnt vmcnt(6) lgkmcnt(1)
	v_fmac_f64_e32 v[124:125], v[136:137], v[128:129]
	s_waitcnt vmcnt(4)
	v_fmac_f64_e32 v[124:125], v[138:139], v[130:131]
	s_waitcnt vmcnt(2) lgkmcnt(0)
	v_fmac_f64_e32 v[124:125], v[140:141], v[144:145]
	s_waitcnt vmcnt(0)
	v_add_f64 v[124:125], v[142:143], -v[124:125]
	buffer_store_dword v124, off, s[0:3], 0 offset:432
	buffer_store_dword v125, off, s[0:3], 0 offset:436
	s_and_saveexec_b64 s[4:5], vcc
	s_cbranch_execz .LBB123_261
; %bb.260:
	buffer_load_dword v124, off, s[0:3], 0 offset:424
	buffer_load_dword v125, off, s[0:3], 0 offset:428
	s_waitcnt vmcnt(0)
	ds_write_b64 v1, v[124:125]
	buffer_store_dword v122, off, s[0:3], 0 offset:424
	buffer_store_dword v122, off, s[0:3], 0 offset:428
.LBB123_261:
	s_or_b64 exec, exec, s[4:5]
	s_waitcnt lgkmcnt(0)
	; wave barrier
	s_waitcnt lgkmcnt(0)
	buffer_load_dword v136, off, s[0:3], 0 offset:432
	buffer_load_dword v137, off, s[0:3], 0 offset:436
	;; [unrolled: 1-line block ×14, first 2 shown]
	ds_read_b128 v[124:127], v122 offset:912
	ds_read_b128 v[128:131], v122 offset:928
	;; [unrolled: 1-line block ×3, first 2 shown]
	v_cmp_lt_u32_e32 vcc, 52, v0
	s_waitcnt vmcnt(12) lgkmcnt(2)
	v_fma_f64 v[122:123], v[136:137], v[124:125], 0
	s_waitcnt vmcnt(10)
	v_fmac_f64_e32 v[122:123], v[138:139], v[126:127]
	s_waitcnt vmcnt(8) lgkmcnt(1)
	v_fmac_f64_e32 v[122:123], v[140:141], v[128:129]
	s_waitcnt vmcnt(6)
	v_fmac_f64_e32 v[122:123], v[142:143], v[130:131]
	s_waitcnt vmcnt(4) lgkmcnt(0)
	v_fmac_f64_e32 v[122:123], v[144:145], v[132:133]
	s_waitcnt vmcnt(2)
	v_fmac_f64_e32 v[122:123], v[146:147], v[134:135]
	s_waitcnt vmcnt(0)
	v_add_f64 v[122:123], v[148:149], -v[122:123]
	buffer_store_dword v122, off, s[0:3], 0 offset:424
	buffer_store_dword v123, off, s[0:3], 0 offset:428
	s_and_saveexec_b64 s[4:5], vcc
	s_cbranch_execz .LBB123_263
; %bb.262:
	buffer_load_dword v122, off, s[0:3], 0 offset:416
	buffer_load_dword v123, off, s[0:3], 0 offset:420
	v_mov_b32_e32 v124, 0
	buffer_store_dword v124, off, s[0:3], 0 offset:416
	buffer_store_dword v124, off, s[0:3], 0 offset:420
	s_waitcnt vmcnt(2)
	ds_write_b64 v1, v[122:123]
.LBB123_263:
	s_or_b64 exec, exec, s[4:5]
	s_waitcnt lgkmcnt(0)
	; wave barrier
	s_waitcnt lgkmcnt(0)
	buffer_load_dword v136, off, s[0:3], 0 offset:424
	buffer_load_dword v137, off, s[0:3], 0 offset:428
	;; [unrolled: 1-line block ×16, first 2 shown]
	v_mov_b32_e32 v122, 0
	ds_read2_b64 v[124:127], v122 offset0:113 offset1:114
	ds_read2_b64 v[128:131], v122 offset0:115 offset1:116
	;; [unrolled: 1-line block ×3, first 2 shown]
	ds_read_b64 v[152:153], v122 offset:952
	v_cmp_lt_u32_e32 vcc, 51, v0
	s_waitcnt vmcnt(14) lgkmcnt(3)
	v_fma_f64 v[124:125], v[136:137], v[124:125], 0
	s_waitcnt vmcnt(12)
	v_fmac_f64_e32 v[124:125], v[138:139], v[126:127]
	s_waitcnt vmcnt(10) lgkmcnt(2)
	v_fmac_f64_e32 v[124:125], v[140:141], v[128:129]
	s_waitcnt vmcnt(8)
	v_fmac_f64_e32 v[124:125], v[142:143], v[130:131]
	s_waitcnt vmcnt(6) lgkmcnt(1)
	v_fmac_f64_e32 v[124:125], v[144:145], v[132:133]
	;; [unrolled: 4-line block ×3, first 2 shown]
	s_waitcnt vmcnt(0)
	v_add_f64 v[124:125], v[150:151], -v[124:125]
	buffer_store_dword v124, off, s[0:3], 0 offset:416
	buffer_store_dword v125, off, s[0:3], 0 offset:420
	s_and_saveexec_b64 s[4:5], vcc
	s_cbranch_execz .LBB123_265
; %bb.264:
	buffer_load_dword v124, off, s[0:3], 0 offset:408
	buffer_load_dword v125, off, s[0:3], 0 offset:412
	s_waitcnt vmcnt(0)
	ds_write_b64 v1, v[124:125]
	buffer_store_dword v122, off, s[0:3], 0 offset:408
	buffer_store_dword v122, off, s[0:3], 0 offset:412
.LBB123_265:
	s_or_b64 exec, exec, s[4:5]
	s_waitcnt lgkmcnt(0)
	; wave barrier
	s_waitcnt lgkmcnt(0)
	buffer_load_dword v140, off, s[0:3], 0 offset:416
	buffer_load_dword v141, off, s[0:3], 0 offset:420
	buffer_load_dword v142, off, s[0:3], 0 offset:424
	buffer_load_dword v143, off, s[0:3], 0 offset:428
	buffer_load_dword v144, off, s[0:3], 0 offset:432
	buffer_load_dword v145, off, s[0:3], 0 offset:436
	buffer_load_dword v146, off, s[0:3], 0 offset:440
	buffer_load_dword v147, off, s[0:3], 0 offset:444
	buffer_load_dword v148, off, s[0:3], 0 offset:448
	buffer_load_dword v149, off, s[0:3], 0 offset:452
	buffer_load_dword v150, off, s[0:3], 0 offset:456
	buffer_load_dword v151, off, s[0:3], 0 offset:460
	buffer_load_dword v152, off, s[0:3], 0 offset:464
	buffer_load_dword v153, off, s[0:3], 0 offset:468
	buffer_load_dword v155, off, s[0:3], 0 offset:476
	buffer_load_dword v154, off, s[0:3], 0 offset:472
	buffer_load_dword v156, off, s[0:3], 0 offset:408
	buffer_load_dword v157, off, s[0:3], 0 offset:412
	ds_read_b128 v[124:127], v122 offset:896
	ds_read_b128 v[128:131], v122 offset:912
	ds_read_b128 v[132:135], v122 offset:928
	ds_read_b128 v[136:139], v122 offset:944
	v_cmp_lt_u32_e32 vcc, 50, v0
	s_waitcnt vmcnt(16) lgkmcnt(3)
	v_fma_f64 v[122:123], v[140:141], v[124:125], 0
	s_waitcnt vmcnt(14)
	v_fmac_f64_e32 v[122:123], v[142:143], v[126:127]
	s_waitcnt vmcnt(12) lgkmcnt(2)
	v_fmac_f64_e32 v[122:123], v[144:145], v[128:129]
	s_waitcnt vmcnt(10)
	v_fmac_f64_e32 v[122:123], v[146:147], v[130:131]
	s_waitcnt vmcnt(8) lgkmcnt(1)
	v_fmac_f64_e32 v[122:123], v[148:149], v[132:133]
	s_waitcnt vmcnt(6)
	v_fmac_f64_e32 v[122:123], v[150:151], v[134:135]
	s_waitcnt vmcnt(4) lgkmcnt(0)
	v_fmac_f64_e32 v[122:123], v[152:153], v[136:137]
	s_waitcnt vmcnt(2)
	v_fmac_f64_e32 v[122:123], v[154:155], v[138:139]
	s_waitcnt vmcnt(0)
	v_add_f64 v[122:123], v[156:157], -v[122:123]
	buffer_store_dword v122, off, s[0:3], 0 offset:408
	buffer_store_dword v123, off, s[0:3], 0 offset:412
	s_and_saveexec_b64 s[4:5], vcc
	s_cbranch_execz .LBB123_267
; %bb.266:
	buffer_load_dword v122, off, s[0:3], 0 offset:400
	buffer_load_dword v123, off, s[0:3], 0 offset:404
	v_mov_b32_e32 v124, 0
	buffer_store_dword v124, off, s[0:3], 0 offset:400
	buffer_store_dword v124, off, s[0:3], 0 offset:404
	s_waitcnt vmcnt(2)
	ds_write_b64 v1, v[122:123]
.LBB123_267:
	s_or_b64 exec, exec, s[4:5]
	s_waitcnt lgkmcnt(0)
	; wave barrier
	s_waitcnt lgkmcnt(0)
	buffer_load_dword v140, off, s[0:3], 0 offset:408
	buffer_load_dword v141, off, s[0:3], 0 offset:412
	buffer_load_dword v142, off, s[0:3], 0 offset:416
	buffer_load_dword v143, off, s[0:3], 0 offset:420
	buffer_load_dword v144, off, s[0:3], 0 offset:424
	buffer_load_dword v145, off, s[0:3], 0 offset:428
	buffer_load_dword v146, off, s[0:3], 0 offset:432
	buffer_load_dword v147, off, s[0:3], 0 offset:436
	buffer_load_dword v148, off, s[0:3], 0 offset:440
	buffer_load_dword v149, off, s[0:3], 0 offset:444
	buffer_load_dword v150, off, s[0:3], 0 offset:448
	buffer_load_dword v151, off, s[0:3], 0 offset:452
	buffer_load_dword v152, off, s[0:3], 0 offset:456
	buffer_load_dword v153, off, s[0:3], 0 offset:460
	buffer_load_dword v155, off, s[0:3], 0 offset:476
	buffer_load_dword v154, off, s[0:3], 0 offset:472
	buffer_load_dword v157, off, s[0:3], 0 offset:468
	buffer_load_dword v156, off, s[0:3], 0 offset:464
	buffer_load_dword v158, off, s[0:3], 0 offset:400
	buffer_load_dword v159, off, s[0:3], 0 offset:404
	v_mov_b32_e32 v122, 0
	ds_read2_b64 v[124:127], v122 offset0:111 offset1:112
	ds_read2_b64 v[128:131], v122 offset0:113 offset1:114
	;; [unrolled: 1-line block ×4, first 2 shown]
	ds_read_b64 v[160:161], v122 offset:952
	v_cmp_lt_u32_e32 vcc, 49, v0
	s_waitcnt vmcnt(18) lgkmcnt(4)
	v_fma_f64 v[124:125], v[140:141], v[124:125], 0
	s_waitcnt vmcnt(16)
	v_fmac_f64_e32 v[124:125], v[142:143], v[126:127]
	s_waitcnt vmcnt(14) lgkmcnt(3)
	v_fmac_f64_e32 v[124:125], v[144:145], v[128:129]
	s_waitcnt vmcnt(12)
	v_fmac_f64_e32 v[124:125], v[146:147], v[130:131]
	s_waitcnt vmcnt(10) lgkmcnt(2)
	v_fmac_f64_e32 v[124:125], v[148:149], v[132:133]
	s_waitcnt vmcnt(8)
	v_fmac_f64_e32 v[124:125], v[150:151], v[134:135]
	s_waitcnt vmcnt(6) lgkmcnt(1)
	v_fmac_f64_e32 v[124:125], v[152:153], v[136:137]
	s_waitcnt vmcnt(2)
	v_fmac_f64_e32 v[124:125], v[156:157], v[138:139]
	s_waitcnt lgkmcnt(0)
	v_fmac_f64_e32 v[124:125], v[154:155], v[160:161]
	s_waitcnt vmcnt(0)
	v_add_f64 v[124:125], v[158:159], -v[124:125]
	buffer_store_dword v124, off, s[0:3], 0 offset:400
	buffer_store_dword v125, off, s[0:3], 0 offset:404
	s_and_saveexec_b64 s[4:5], vcc
	s_cbranch_execz .LBB123_269
; %bb.268:
	buffer_load_dword v124, off, s[0:3], 0 offset:392
	buffer_load_dword v125, off, s[0:3], 0 offset:396
	s_waitcnt vmcnt(0)
	ds_write_b64 v1, v[124:125]
	buffer_store_dword v122, off, s[0:3], 0 offset:392
	buffer_store_dword v122, off, s[0:3], 0 offset:396
.LBB123_269:
	s_or_b64 exec, exec, s[4:5]
	s_waitcnt lgkmcnt(0)
	; wave barrier
	s_waitcnt lgkmcnt(0)
	buffer_load_dword v144, off, s[0:3], 0 offset:400
	buffer_load_dword v145, off, s[0:3], 0 offset:404
	;; [unrolled: 1-line block ×22, first 2 shown]
	ds_read_b128 v[124:127], v122 offset:880
	ds_read_b128 v[128:131], v122 offset:896
	ds_read_b128 v[132:135], v122 offset:912
	ds_read_b128 v[136:139], v122 offset:928
	ds_read_b128 v[140:143], v122 offset:944
	v_cmp_lt_u32_e32 vcc, 48, v0
	s_waitcnt vmcnt(20) lgkmcnt(4)
	v_fma_f64 v[122:123], v[144:145], v[124:125], 0
	s_waitcnt vmcnt(18)
	v_fmac_f64_e32 v[122:123], v[146:147], v[126:127]
	s_waitcnt vmcnt(16) lgkmcnt(3)
	v_fmac_f64_e32 v[122:123], v[148:149], v[128:129]
	s_waitcnt vmcnt(14)
	v_fmac_f64_e32 v[122:123], v[150:151], v[130:131]
	s_waitcnt vmcnt(12) lgkmcnt(2)
	v_fmac_f64_e32 v[122:123], v[152:153], v[132:133]
	;; [unrolled: 4-line block ×3, first 2 shown]
	s_waitcnt vmcnt(3)
	v_fmac_f64_e32 v[122:123], v[162:163], v[138:139]
	s_waitcnt lgkmcnt(0)
	v_fmac_f64_e32 v[122:123], v[160:161], v[140:141]
	s_waitcnt vmcnt(2)
	v_fmac_f64_e32 v[122:123], v[158:159], v[142:143]
	s_waitcnt vmcnt(0)
	v_add_f64 v[122:123], v[164:165], -v[122:123]
	buffer_store_dword v122, off, s[0:3], 0 offset:392
	buffer_store_dword v123, off, s[0:3], 0 offset:396
	s_and_saveexec_b64 s[4:5], vcc
	s_cbranch_execz .LBB123_271
; %bb.270:
	buffer_load_dword v122, off, s[0:3], 0 offset:384
	buffer_load_dword v123, off, s[0:3], 0 offset:388
	v_mov_b32_e32 v124, 0
	buffer_store_dword v124, off, s[0:3], 0 offset:384
	buffer_store_dword v124, off, s[0:3], 0 offset:388
	s_waitcnt vmcnt(2)
	ds_write_b64 v1, v[122:123]
.LBB123_271:
	s_or_b64 exec, exec, s[4:5]
	s_waitcnt lgkmcnt(0)
	; wave barrier
	s_waitcnt lgkmcnt(0)
	buffer_load_dword v128, off, s[0:3], 0 offset:384
	buffer_load_dword v129, off, s[0:3], 0 offset:388
	;; [unrolled: 1-line block ×16, first 2 shown]
	v_mov_b32_e32 v122, 0
	ds_read2_b64 v[124:127], v122 offset0:109 offset1:110
	v_cmp_lt_u32_e32 vcc, 47, v0
	s_waitcnt vmcnt(12) lgkmcnt(0)
	v_fma_f64 v[130:131], v[130:131], v[124:125], 0
	s_waitcnt vmcnt(10)
	v_fmac_f64_e32 v[130:131], v[132:133], v[126:127]
	ds_read2_b64 v[124:127], v122 offset0:111 offset1:112
	s_waitcnt vmcnt(8) lgkmcnt(0)
	v_fmac_f64_e32 v[130:131], v[134:135], v[124:125]
	s_waitcnt vmcnt(6)
	v_fmac_f64_e32 v[130:131], v[136:137], v[126:127]
	ds_read2_b64 v[124:127], v122 offset0:113 offset1:114
	s_waitcnt vmcnt(4) lgkmcnt(0)
	v_fmac_f64_e32 v[130:131], v[138:139], v[124:125]
	;; [unrolled: 5-line block ×3, first 2 shown]
	buffer_load_dword v125, off, s[0:3], 0 offset:452
	buffer_load_dword v124, off, s[0:3], 0 offset:448
	;; [unrolled: 1-line block ×4, first 2 shown]
	s_waitcnt vmcnt(2)
	v_fmac_f64_e32 v[130:131], v[124:125], v[126:127]
	ds_read2_b64 v[124:127], v122 offset0:117 offset1:118
	s_waitcnt vmcnt(0) lgkmcnt(0)
	v_fmac_f64_e32 v[130:131], v[132:133], v[124:125]
	buffer_load_dword v125, off, s[0:3], 0 offset:468
	buffer_load_dword v124, off, s[0:3], 0 offset:464
	s_waitcnt vmcnt(0)
	v_fmac_f64_e32 v[130:131], v[124:125], v[126:127]
	buffer_load_dword v125, off, s[0:3], 0 offset:476
	buffer_load_dword v124, off, s[0:3], 0 offset:472
	ds_read_b64 v[126:127], v122 offset:952
	s_waitcnt vmcnt(0) lgkmcnt(0)
	v_fmac_f64_e32 v[130:131], v[124:125], v[126:127]
	v_add_f64 v[124:125], v[128:129], -v[130:131]
	buffer_store_dword v125, off, s[0:3], 0 offset:388
	buffer_store_dword v124, off, s[0:3], 0 offset:384
	s_and_saveexec_b64 s[4:5], vcc
	s_cbranch_execz .LBB123_273
; %bb.272:
	buffer_load_dword v124, off, s[0:3], 0 offset:376
	buffer_load_dword v125, off, s[0:3], 0 offset:380
	s_waitcnt vmcnt(0)
	ds_write_b64 v1, v[124:125]
	buffer_store_dword v122, off, s[0:3], 0 offset:376
	buffer_store_dword v122, off, s[0:3], 0 offset:380
.LBB123_273:
	s_or_b64 exec, exec, s[4:5]
	s_waitcnt lgkmcnt(0)
	; wave barrier
	s_waitcnt lgkmcnt(0)
	buffer_load_dword v140, off, s[0:3], 0 offset:376
	buffer_load_dword v141, off, s[0:3], 0 offset:380
	;; [unrolled: 1-line block ×16, first 2 shown]
	ds_read_b128 v[124:127], v122 offset:864
	ds_read_b128 v[128:131], v122 offset:880
	;; [unrolled: 1-line block ×4, first 2 shown]
	v_cmp_lt_u32_e32 vcc, 46, v0
	s_waitcnt vmcnt(12) lgkmcnt(3)
	v_fma_f64 v[142:143], v[142:143], v[124:125], 0
	buffer_load_dword v125, off, s[0:3], 0 offset:444
	buffer_load_dword v124, off, s[0:3], 0 offset:440
	s_waitcnt vmcnt(12)
	v_fmac_f64_e32 v[142:143], v[144:145], v[126:127]
	s_waitcnt vmcnt(10) lgkmcnt(2)
	v_fmac_f64_e32 v[142:143], v[146:147], v[128:129]
	buffer_load_dword v129, off, s[0:3], 0 offset:452
	buffer_load_dword v128, off, s[0:3], 0 offset:448
	s_waitcnt vmcnt(10)
	v_fmac_f64_e32 v[142:143], v[148:149], v[130:131]
	s_waitcnt vmcnt(8) lgkmcnt(1)
	v_fmac_f64_e32 v[142:143], v[150:151], v[132:133]
	s_waitcnt vmcnt(6)
	v_fmac_f64_e32 v[142:143], v[152:153], v[134:135]
	s_waitcnt vmcnt(4) lgkmcnt(0)
	v_fmac_f64_e32 v[142:143], v[154:155], v[136:137]
	s_waitcnt vmcnt(2)
	v_fmac_f64_e32 v[142:143], v[124:125], v[138:139]
	ds_read_b128 v[124:127], v122 offset:928
	s_waitcnt vmcnt(0) lgkmcnt(0)
	v_fmac_f64_e32 v[142:143], v[128:129], v[124:125]
	buffer_load_dword v125, off, s[0:3], 0 offset:460
	buffer_load_dword v124, off, s[0:3], 0 offset:456
	s_waitcnt vmcnt(0)
	v_fmac_f64_e32 v[142:143], v[124:125], v[126:127]
	buffer_load_dword v127, off, s[0:3], 0 offset:468
	buffer_load_dword v126, off, s[0:3], 0 offset:464
	ds_read_b128 v[122:125], v122 offset:944
	s_waitcnt vmcnt(0) lgkmcnt(0)
	v_fmac_f64_e32 v[142:143], v[126:127], v[122:123]
	buffer_load_dword v123, off, s[0:3], 0 offset:476
	buffer_load_dword v122, off, s[0:3], 0 offset:472
	s_waitcnt vmcnt(0)
	v_fmac_f64_e32 v[142:143], v[122:123], v[124:125]
	v_add_f64 v[122:123], v[140:141], -v[142:143]
	buffer_store_dword v123, off, s[0:3], 0 offset:380
	buffer_store_dword v122, off, s[0:3], 0 offset:376
	s_and_saveexec_b64 s[4:5], vcc
	s_cbranch_execz .LBB123_275
; %bb.274:
	buffer_load_dword v122, off, s[0:3], 0 offset:368
	buffer_load_dword v123, off, s[0:3], 0 offset:372
	v_mov_b32_e32 v124, 0
	buffer_store_dword v124, off, s[0:3], 0 offset:368
	buffer_store_dword v124, off, s[0:3], 0 offset:372
	s_waitcnt vmcnt(2)
	ds_write_b64 v1, v[122:123]
.LBB123_275:
	s_or_b64 exec, exec, s[4:5]
	s_waitcnt lgkmcnt(0)
	; wave barrier
	s_waitcnt lgkmcnt(0)
	buffer_load_dword v128, off, s[0:3], 0 offset:368
	buffer_load_dword v129, off, s[0:3], 0 offset:372
	;; [unrolled: 1-line block ×16, first 2 shown]
	v_mov_b32_e32 v122, 0
	ds_read2_b64 v[124:127], v122 offset0:107 offset1:108
	v_cmp_lt_u32_e32 vcc, 45, v0
	s_waitcnt vmcnt(12) lgkmcnt(0)
	v_fma_f64 v[130:131], v[130:131], v[124:125], 0
	s_waitcnt vmcnt(10)
	v_fmac_f64_e32 v[130:131], v[132:133], v[126:127]
	ds_read2_b64 v[124:127], v122 offset0:109 offset1:110
	s_waitcnt vmcnt(8) lgkmcnt(0)
	v_fmac_f64_e32 v[130:131], v[134:135], v[124:125]
	s_waitcnt vmcnt(6)
	v_fmac_f64_e32 v[130:131], v[136:137], v[126:127]
	ds_read2_b64 v[124:127], v122 offset0:111 offset1:112
	s_waitcnt vmcnt(4) lgkmcnt(0)
	v_fmac_f64_e32 v[130:131], v[138:139], v[124:125]
	;; [unrolled: 5-line block ×3, first 2 shown]
	buffer_load_dword v125, off, s[0:3], 0 offset:436
	buffer_load_dword v124, off, s[0:3], 0 offset:432
	buffer_load_dword v133, off, s[0:3], 0 offset:444
	buffer_load_dword v132, off, s[0:3], 0 offset:440
	s_waitcnt vmcnt(2)
	v_fmac_f64_e32 v[130:131], v[124:125], v[126:127]
	ds_read2_b64 v[124:127], v122 offset0:115 offset1:116
	s_waitcnt vmcnt(0) lgkmcnt(0)
	v_fmac_f64_e32 v[130:131], v[132:133], v[124:125]
	buffer_load_dword v125, off, s[0:3], 0 offset:452
	buffer_load_dword v124, off, s[0:3], 0 offset:448
	;; [unrolled: 1-line block ×4, first 2 shown]
	s_waitcnt vmcnt(2)
	v_fmac_f64_e32 v[130:131], v[124:125], v[126:127]
	ds_read2_b64 v[124:127], v122 offset0:117 offset1:118
	s_waitcnt vmcnt(0) lgkmcnt(0)
	v_fmac_f64_e32 v[130:131], v[132:133], v[124:125]
	buffer_load_dword v125, off, s[0:3], 0 offset:468
	buffer_load_dword v124, off, s[0:3], 0 offset:464
	s_waitcnt vmcnt(0)
	v_fmac_f64_e32 v[130:131], v[124:125], v[126:127]
	buffer_load_dword v125, off, s[0:3], 0 offset:476
	buffer_load_dword v124, off, s[0:3], 0 offset:472
	ds_read_b64 v[126:127], v122 offset:952
	s_waitcnt vmcnt(0) lgkmcnt(0)
	v_fmac_f64_e32 v[130:131], v[124:125], v[126:127]
	v_add_f64 v[124:125], v[128:129], -v[130:131]
	buffer_store_dword v125, off, s[0:3], 0 offset:372
	buffer_store_dword v124, off, s[0:3], 0 offset:368
	s_and_saveexec_b64 s[4:5], vcc
	s_cbranch_execz .LBB123_277
; %bb.276:
	buffer_load_dword v124, off, s[0:3], 0 offset:360
	buffer_load_dword v125, off, s[0:3], 0 offset:364
	s_waitcnt vmcnt(0)
	ds_write_b64 v1, v[124:125]
	buffer_store_dword v122, off, s[0:3], 0 offset:360
	buffer_store_dword v122, off, s[0:3], 0 offset:364
.LBB123_277:
	s_or_b64 exec, exec, s[4:5]
	s_waitcnt lgkmcnt(0)
	; wave barrier
	s_waitcnt lgkmcnt(0)
	buffer_load_dword v140, off, s[0:3], 0 offset:360
	buffer_load_dword v141, off, s[0:3], 0 offset:364
	;; [unrolled: 1-line block ×16, first 2 shown]
	ds_read_b128 v[124:127], v122 offset:848
	ds_read_b128 v[128:131], v122 offset:864
	;; [unrolled: 1-line block ×4, first 2 shown]
	v_cmp_lt_u32_e32 vcc, 44, v0
	s_waitcnt vmcnt(12) lgkmcnt(3)
	v_fma_f64 v[142:143], v[142:143], v[124:125], 0
	buffer_load_dword v125, off, s[0:3], 0 offset:428
	buffer_load_dword v124, off, s[0:3], 0 offset:424
	s_waitcnt vmcnt(12)
	v_fmac_f64_e32 v[142:143], v[144:145], v[126:127]
	s_waitcnt vmcnt(10) lgkmcnt(2)
	v_fmac_f64_e32 v[142:143], v[146:147], v[128:129]
	buffer_load_dword v129, off, s[0:3], 0 offset:436
	buffer_load_dword v128, off, s[0:3], 0 offset:432
	s_waitcnt vmcnt(10)
	v_fmac_f64_e32 v[142:143], v[148:149], v[130:131]
	s_waitcnt vmcnt(8) lgkmcnt(1)
	v_fmac_f64_e32 v[142:143], v[150:151], v[132:133]
	s_waitcnt vmcnt(6)
	v_fmac_f64_e32 v[142:143], v[152:153], v[134:135]
	s_waitcnt vmcnt(4) lgkmcnt(0)
	v_fmac_f64_e32 v[142:143], v[154:155], v[136:137]
	s_waitcnt vmcnt(2)
	v_fmac_f64_e32 v[142:143], v[124:125], v[138:139]
	ds_read_b128 v[124:127], v122 offset:912
	s_waitcnt vmcnt(0) lgkmcnt(0)
	v_fmac_f64_e32 v[142:143], v[128:129], v[124:125]
	buffer_load_dword v125, off, s[0:3], 0 offset:444
	buffer_load_dword v124, off, s[0:3], 0 offset:440
	;; [unrolled: 1-line block ×4, first 2 shown]
	s_waitcnt vmcnt(2)
	v_fmac_f64_e32 v[142:143], v[124:125], v[126:127]
	ds_read_b128 v[124:127], v122 offset:928
	s_waitcnt vmcnt(0) lgkmcnt(0)
	v_fmac_f64_e32 v[142:143], v[128:129], v[124:125]
	buffer_load_dword v125, off, s[0:3], 0 offset:460
	buffer_load_dword v124, off, s[0:3], 0 offset:456
	s_waitcnt vmcnt(0)
	v_fmac_f64_e32 v[142:143], v[124:125], v[126:127]
	buffer_load_dword v127, off, s[0:3], 0 offset:468
	buffer_load_dword v126, off, s[0:3], 0 offset:464
	ds_read_b128 v[122:125], v122 offset:944
	s_waitcnt vmcnt(0) lgkmcnt(0)
	v_fmac_f64_e32 v[142:143], v[126:127], v[122:123]
	buffer_load_dword v123, off, s[0:3], 0 offset:476
	buffer_load_dword v122, off, s[0:3], 0 offset:472
	s_waitcnt vmcnt(0)
	v_fmac_f64_e32 v[142:143], v[122:123], v[124:125]
	v_add_f64 v[122:123], v[140:141], -v[142:143]
	buffer_store_dword v123, off, s[0:3], 0 offset:364
	buffer_store_dword v122, off, s[0:3], 0 offset:360
	s_and_saveexec_b64 s[4:5], vcc
	s_cbranch_execz .LBB123_279
; %bb.278:
	buffer_load_dword v122, off, s[0:3], 0 offset:352
	buffer_load_dword v123, off, s[0:3], 0 offset:356
	v_mov_b32_e32 v124, 0
	buffer_store_dword v124, off, s[0:3], 0 offset:352
	buffer_store_dword v124, off, s[0:3], 0 offset:356
	s_waitcnt vmcnt(2)
	ds_write_b64 v1, v[122:123]
.LBB123_279:
	s_or_b64 exec, exec, s[4:5]
	s_waitcnt lgkmcnt(0)
	; wave barrier
	s_waitcnt lgkmcnt(0)
	buffer_load_dword v128, off, s[0:3], 0 offset:352
	buffer_load_dword v129, off, s[0:3], 0 offset:356
	;; [unrolled: 1-line block ×16, first 2 shown]
	v_mov_b32_e32 v122, 0
	ds_read2_b64 v[124:127], v122 offset0:105 offset1:106
	v_cmp_lt_u32_e32 vcc, 43, v0
	s_waitcnt vmcnt(12) lgkmcnt(0)
	v_fma_f64 v[130:131], v[130:131], v[124:125], 0
	s_waitcnt vmcnt(10)
	v_fmac_f64_e32 v[130:131], v[132:133], v[126:127]
	ds_read2_b64 v[124:127], v122 offset0:107 offset1:108
	s_waitcnt vmcnt(8) lgkmcnt(0)
	v_fmac_f64_e32 v[130:131], v[134:135], v[124:125]
	s_waitcnt vmcnt(6)
	v_fmac_f64_e32 v[130:131], v[136:137], v[126:127]
	ds_read2_b64 v[124:127], v122 offset0:109 offset1:110
	s_waitcnt vmcnt(4) lgkmcnt(0)
	v_fmac_f64_e32 v[130:131], v[138:139], v[124:125]
	;; [unrolled: 5-line block ×3, first 2 shown]
	buffer_load_dword v125, off, s[0:3], 0 offset:420
	buffer_load_dword v124, off, s[0:3], 0 offset:416
	buffer_load_dword v133, off, s[0:3], 0 offset:428
	buffer_load_dword v132, off, s[0:3], 0 offset:424
	s_waitcnt vmcnt(2)
	v_fmac_f64_e32 v[130:131], v[124:125], v[126:127]
	ds_read2_b64 v[124:127], v122 offset0:113 offset1:114
	s_waitcnt vmcnt(0) lgkmcnt(0)
	v_fmac_f64_e32 v[130:131], v[132:133], v[124:125]
	buffer_load_dword v125, off, s[0:3], 0 offset:436
	buffer_load_dword v124, off, s[0:3], 0 offset:432
	buffer_load_dword v133, off, s[0:3], 0 offset:444
	buffer_load_dword v132, off, s[0:3], 0 offset:440
	s_waitcnt vmcnt(2)
	v_fmac_f64_e32 v[130:131], v[124:125], v[126:127]
	ds_read2_b64 v[124:127], v122 offset0:115 offset1:116
	s_waitcnt vmcnt(0) lgkmcnt(0)
	v_fmac_f64_e32 v[130:131], v[132:133], v[124:125]
	;; [unrolled: 9-line block ×3, first 2 shown]
	buffer_load_dword v125, off, s[0:3], 0 offset:468
	buffer_load_dword v124, off, s[0:3], 0 offset:464
	s_waitcnt vmcnt(0)
	v_fmac_f64_e32 v[130:131], v[124:125], v[126:127]
	buffer_load_dword v125, off, s[0:3], 0 offset:476
	buffer_load_dword v124, off, s[0:3], 0 offset:472
	ds_read_b64 v[126:127], v122 offset:952
	s_waitcnt vmcnt(0) lgkmcnt(0)
	v_fmac_f64_e32 v[130:131], v[124:125], v[126:127]
	v_add_f64 v[124:125], v[128:129], -v[130:131]
	buffer_store_dword v125, off, s[0:3], 0 offset:356
	buffer_store_dword v124, off, s[0:3], 0 offset:352
	s_and_saveexec_b64 s[4:5], vcc
	s_cbranch_execz .LBB123_281
; %bb.280:
	buffer_load_dword v124, off, s[0:3], 0 offset:344
	buffer_load_dword v125, off, s[0:3], 0 offset:348
	s_waitcnt vmcnt(0)
	ds_write_b64 v1, v[124:125]
	buffer_store_dword v122, off, s[0:3], 0 offset:344
	buffer_store_dword v122, off, s[0:3], 0 offset:348
.LBB123_281:
	s_or_b64 exec, exec, s[4:5]
	s_waitcnt lgkmcnt(0)
	; wave barrier
	s_waitcnt lgkmcnt(0)
	buffer_load_dword v140, off, s[0:3], 0 offset:344
	buffer_load_dword v141, off, s[0:3], 0 offset:348
	;; [unrolled: 1-line block ×16, first 2 shown]
	ds_read_b128 v[124:127], v122 offset:832
	ds_read_b128 v[128:131], v122 offset:848
	;; [unrolled: 1-line block ×4, first 2 shown]
	v_cmp_lt_u32_e32 vcc, 42, v0
	s_waitcnt vmcnt(12) lgkmcnt(3)
	v_fma_f64 v[142:143], v[142:143], v[124:125], 0
	buffer_load_dword v125, off, s[0:3], 0 offset:412
	buffer_load_dword v124, off, s[0:3], 0 offset:408
	s_waitcnt vmcnt(12)
	v_fmac_f64_e32 v[142:143], v[144:145], v[126:127]
	s_waitcnt vmcnt(10) lgkmcnt(2)
	v_fmac_f64_e32 v[142:143], v[146:147], v[128:129]
	buffer_load_dword v129, off, s[0:3], 0 offset:420
	buffer_load_dword v128, off, s[0:3], 0 offset:416
	s_waitcnt vmcnt(10)
	v_fmac_f64_e32 v[142:143], v[148:149], v[130:131]
	s_waitcnt vmcnt(8) lgkmcnt(1)
	v_fmac_f64_e32 v[142:143], v[150:151], v[132:133]
	s_waitcnt vmcnt(6)
	v_fmac_f64_e32 v[142:143], v[152:153], v[134:135]
	s_waitcnt vmcnt(4) lgkmcnt(0)
	v_fmac_f64_e32 v[142:143], v[154:155], v[136:137]
	s_waitcnt vmcnt(2)
	v_fmac_f64_e32 v[142:143], v[124:125], v[138:139]
	ds_read_b128 v[124:127], v122 offset:896
	s_waitcnt vmcnt(0) lgkmcnt(0)
	v_fmac_f64_e32 v[142:143], v[128:129], v[124:125]
	buffer_load_dword v125, off, s[0:3], 0 offset:428
	buffer_load_dword v124, off, s[0:3], 0 offset:424
	;; [unrolled: 1-line block ×4, first 2 shown]
	s_waitcnt vmcnt(2)
	v_fmac_f64_e32 v[142:143], v[124:125], v[126:127]
	ds_read_b128 v[124:127], v122 offset:912
	s_waitcnt vmcnt(0) lgkmcnt(0)
	v_fmac_f64_e32 v[142:143], v[128:129], v[124:125]
	buffer_load_dword v125, off, s[0:3], 0 offset:444
	buffer_load_dword v124, off, s[0:3], 0 offset:440
	;; [unrolled: 1-line block ×4, first 2 shown]
	s_waitcnt vmcnt(2)
	v_fmac_f64_e32 v[142:143], v[124:125], v[126:127]
	ds_read_b128 v[124:127], v122 offset:928
	s_waitcnt vmcnt(0) lgkmcnt(0)
	v_fmac_f64_e32 v[142:143], v[128:129], v[124:125]
	buffer_load_dword v125, off, s[0:3], 0 offset:460
	buffer_load_dword v124, off, s[0:3], 0 offset:456
	s_waitcnt vmcnt(0)
	v_fmac_f64_e32 v[142:143], v[124:125], v[126:127]
	buffer_load_dword v127, off, s[0:3], 0 offset:468
	buffer_load_dword v126, off, s[0:3], 0 offset:464
	ds_read_b128 v[122:125], v122 offset:944
	s_waitcnt vmcnt(0) lgkmcnt(0)
	v_fmac_f64_e32 v[142:143], v[126:127], v[122:123]
	buffer_load_dword v123, off, s[0:3], 0 offset:476
	buffer_load_dword v122, off, s[0:3], 0 offset:472
	s_waitcnt vmcnt(0)
	v_fmac_f64_e32 v[142:143], v[122:123], v[124:125]
	v_add_f64 v[122:123], v[140:141], -v[142:143]
	buffer_store_dword v123, off, s[0:3], 0 offset:348
	buffer_store_dword v122, off, s[0:3], 0 offset:344
	s_and_saveexec_b64 s[4:5], vcc
	s_cbranch_execz .LBB123_283
; %bb.282:
	buffer_load_dword v122, off, s[0:3], 0 offset:336
	buffer_load_dword v123, off, s[0:3], 0 offset:340
	v_mov_b32_e32 v124, 0
	buffer_store_dword v124, off, s[0:3], 0 offset:336
	buffer_store_dword v124, off, s[0:3], 0 offset:340
	s_waitcnt vmcnt(2)
	ds_write_b64 v1, v[122:123]
.LBB123_283:
	s_or_b64 exec, exec, s[4:5]
	s_waitcnt lgkmcnt(0)
	; wave barrier
	s_waitcnt lgkmcnt(0)
	buffer_load_dword v122, off, s[0:3], 0 offset:336
	buffer_load_dword v123, off, s[0:3], 0 offset:340
	;; [unrolled: 1-line block ×16, first 2 shown]
	v_mov_b32_e32 v126, 0
	ds_read2_b64 v[128:131], v126 offset0:103 offset1:104
	v_cmp_lt_u32_e32 vcc, 41, v0
	s_waitcnt vmcnt(12) lgkmcnt(0)
	v_fma_f64 v[124:125], v[124:125], v[128:129], 0
	s_waitcnt vmcnt(10)
	v_fmac_f64_e32 v[124:125], v[132:133], v[130:131]
	ds_read2_b64 v[128:131], v126 offset0:105 offset1:106
	s_waitcnt vmcnt(8) lgkmcnt(0)
	v_fmac_f64_e32 v[124:125], v[134:135], v[128:129]
	s_waitcnt vmcnt(6)
	v_fmac_f64_e32 v[124:125], v[136:137], v[130:131]
	ds_read2_b64 v[128:131], v126 offset0:107 offset1:108
	s_waitcnt vmcnt(4) lgkmcnt(0)
	v_fmac_f64_e32 v[124:125], v[138:139], v[128:129]
	s_waitcnt vmcnt(2)
	v_fmac_f64_e32 v[124:125], v[140:141], v[130:131]
	ds_read2_b64 v[128:131], v126 offset0:109 offset1:110
	s_waitcnt vmcnt(0) lgkmcnt(0)
	v_fmac_f64_e32 v[124:125], v[142:143], v[128:129]
	buffer_load_dword v129, off, s[0:3], 0 offset:404
	buffer_load_dword v128, off, s[0:3], 0 offset:400
	buffer_load_dword v133, off, s[0:3], 0 offset:412
	buffer_load_dword v132, off, s[0:3], 0 offset:408
	s_waitcnt vmcnt(2)
	v_fmac_f64_e32 v[124:125], v[128:129], v[130:131]
	ds_read2_b64 v[128:131], v126 offset0:111 offset1:112
	s_waitcnt vmcnt(0) lgkmcnt(0)
	v_fmac_f64_e32 v[124:125], v[132:133], v[128:129]
	buffer_load_dword v129, off, s[0:3], 0 offset:420
	buffer_load_dword v128, off, s[0:3], 0 offset:416
	buffer_load_dword v133, off, s[0:3], 0 offset:428
	buffer_load_dword v132, off, s[0:3], 0 offset:424
	s_waitcnt vmcnt(2)
	v_fmac_f64_e32 v[124:125], v[128:129], v[130:131]
	ds_read2_b64 v[128:131], v126 offset0:113 offset1:114
	s_waitcnt vmcnt(0) lgkmcnt(0)
	v_fmac_f64_e32 v[124:125], v[132:133], v[128:129]
	;; [unrolled: 9-line block ×4, first 2 shown]
	buffer_load_dword v129, off, s[0:3], 0 offset:468
	buffer_load_dword v128, off, s[0:3], 0 offset:464
	s_waitcnt vmcnt(0)
	v_fmac_f64_e32 v[124:125], v[128:129], v[130:131]
	buffer_load_dword v129, off, s[0:3], 0 offset:476
	buffer_load_dword v128, off, s[0:3], 0 offset:472
	ds_read_b64 v[130:131], v126 offset:952
	s_waitcnt vmcnt(0) lgkmcnt(0)
	v_fmac_f64_e32 v[124:125], v[128:129], v[130:131]
	v_add_f64 v[122:123], v[122:123], -v[124:125]
	buffer_store_dword v123, off, s[0:3], 0 offset:340
	buffer_store_dword v122, off, s[0:3], 0 offset:336
	s_and_saveexec_b64 s[4:5], vcc
	s_cbranch_execz .LBB123_285
; %bb.284:
	buffer_load_dword v122, off, s[0:3], 0 offset:328
	buffer_load_dword v123, off, s[0:3], 0 offset:332
	s_waitcnt vmcnt(0)
	ds_write_b64 v1, v[122:123]
	buffer_store_dword v126, off, s[0:3], 0 offset:328
	buffer_store_dword v126, off, s[0:3], 0 offset:332
.LBB123_285:
	s_or_b64 exec, exec, s[4:5]
	s_waitcnt lgkmcnt(0)
	; wave barrier
	s_waitcnt lgkmcnt(0)
	buffer_load_dword v122, off, s[0:3], 0 offset:328
	buffer_load_dword v123, off, s[0:3], 0 offset:332
	;; [unrolled: 1-line block ×16, first 2 shown]
	ds_read_b128 v[128:131], v126 offset:816
	ds_read_b128 v[132:135], v126 offset:832
	;; [unrolled: 1-line block ×4, first 2 shown]
	v_cmp_lt_u32_e32 vcc, 40, v0
	s_waitcnt vmcnt(12) lgkmcnt(3)
	v_fma_f64 v[124:125], v[124:125], v[128:129], 0
	buffer_load_dword v129, off, s[0:3], 0 offset:396
	buffer_load_dword v128, off, s[0:3], 0 offset:392
	s_waitcnt vmcnt(12)
	v_fmac_f64_e32 v[124:125], v[144:145], v[130:131]
	s_waitcnt vmcnt(10) lgkmcnt(2)
	v_fmac_f64_e32 v[124:125], v[146:147], v[132:133]
	buffer_load_dword v133, off, s[0:3], 0 offset:404
	buffer_load_dword v132, off, s[0:3], 0 offset:400
	s_waitcnt vmcnt(10)
	v_fmac_f64_e32 v[124:125], v[148:149], v[134:135]
	s_waitcnt vmcnt(8) lgkmcnt(1)
	v_fmac_f64_e32 v[124:125], v[150:151], v[136:137]
	s_waitcnt vmcnt(6)
	v_fmac_f64_e32 v[124:125], v[152:153], v[138:139]
	s_waitcnt vmcnt(4) lgkmcnt(0)
	v_fmac_f64_e32 v[124:125], v[154:155], v[140:141]
	s_waitcnt vmcnt(2)
	v_fmac_f64_e32 v[124:125], v[128:129], v[142:143]
	ds_read_b128 v[128:131], v126 offset:880
	s_waitcnt vmcnt(0) lgkmcnt(0)
	v_fmac_f64_e32 v[124:125], v[132:133], v[128:129]
	buffer_load_dword v129, off, s[0:3], 0 offset:412
	buffer_load_dword v128, off, s[0:3], 0 offset:408
	buffer_load_dword v133, off, s[0:3], 0 offset:420
	buffer_load_dword v132, off, s[0:3], 0 offset:416
	s_waitcnt vmcnt(2)
	v_fmac_f64_e32 v[124:125], v[128:129], v[130:131]
	ds_read_b128 v[128:131], v126 offset:896
	s_waitcnt vmcnt(0) lgkmcnt(0)
	v_fmac_f64_e32 v[124:125], v[132:133], v[128:129]
	buffer_load_dword v129, off, s[0:3], 0 offset:428
	buffer_load_dword v128, off, s[0:3], 0 offset:424
	buffer_load_dword v133, off, s[0:3], 0 offset:436
	buffer_load_dword v132, off, s[0:3], 0 offset:432
	;; [unrolled: 9-line block ×3, first 2 shown]
	s_waitcnt vmcnt(2)
	v_fmac_f64_e32 v[124:125], v[128:129], v[130:131]
	ds_read_b128 v[128:131], v126 offset:928
	s_waitcnt vmcnt(0) lgkmcnt(0)
	v_fmac_f64_e32 v[124:125], v[132:133], v[128:129]
	buffer_load_dword v129, off, s[0:3], 0 offset:460
	buffer_load_dword v128, off, s[0:3], 0 offset:456
	s_waitcnt vmcnt(0)
	v_fmac_f64_e32 v[124:125], v[128:129], v[130:131]
	buffer_load_dword v131, off, s[0:3], 0 offset:468
	buffer_load_dword v130, off, s[0:3], 0 offset:464
	ds_read_b128 v[126:129], v126 offset:944
	s_waitcnt vmcnt(0) lgkmcnt(0)
	v_fmac_f64_e32 v[124:125], v[130:131], v[126:127]
	buffer_load_dword v127, off, s[0:3], 0 offset:476
	buffer_load_dword v126, off, s[0:3], 0 offset:472
	s_waitcnt vmcnt(0)
	v_fmac_f64_e32 v[124:125], v[126:127], v[128:129]
	v_add_f64 v[122:123], v[122:123], -v[124:125]
	buffer_store_dword v123, off, s[0:3], 0 offset:332
	buffer_store_dword v122, off, s[0:3], 0 offset:328
	s_and_saveexec_b64 s[4:5], vcc
	s_cbranch_execz .LBB123_287
; %bb.286:
	buffer_load_dword v122, off, s[0:3], 0 offset:320
	buffer_load_dword v123, off, s[0:3], 0 offset:324
	v_mov_b32_e32 v124, 0
	buffer_store_dword v124, off, s[0:3], 0 offset:320
	buffer_store_dword v124, off, s[0:3], 0 offset:324
	s_waitcnt vmcnt(2)
	ds_write_b64 v1, v[122:123]
.LBB123_287:
	s_or_b64 exec, exec, s[4:5]
	s_waitcnt lgkmcnt(0)
	; wave barrier
	s_waitcnt lgkmcnt(0)
	buffer_load_dword v122, off, s[0:3], 0 offset:320
	buffer_load_dword v123, off, s[0:3], 0 offset:324
	;; [unrolled: 1-line block ×16, first 2 shown]
	v_mov_b32_e32 v126, 0
	ds_read2_b64 v[128:131], v126 offset0:101 offset1:102
	v_cmp_lt_u32_e32 vcc, 39, v0
	s_waitcnt vmcnt(12) lgkmcnt(0)
	v_fma_f64 v[124:125], v[124:125], v[128:129], 0
	s_waitcnt vmcnt(10)
	v_fmac_f64_e32 v[124:125], v[132:133], v[130:131]
	ds_read2_b64 v[128:131], v126 offset0:103 offset1:104
	s_waitcnt vmcnt(8) lgkmcnt(0)
	v_fmac_f64_e32 v[124:125], v[134:135], v[128:129]
	s_waitcnt vmcnt(6)
	v_fmac_f64_e32 v[124:125], v[136:137], v[130:131]
	ds_read2_b64 v[128:131], v126 offset0:105 offset1:106
	s_waitcnt vmcnt(4) lgkmcnt(0)
	v_fmac_f64_e32 v[124:125], v[138:139], v[128:129]
	;; [unrolled: 5-line block ×3, first 2 shown]
	buffer_load_dword v129, off, s[0:3], 0 offset:388
	buffer_load_dword v128, off, s[0:3], 0 offset:384
	buffer_load_dword v133, off, s[0:3], 0 offset:396
	buffer_load_dword v132, off, s[0:3], 0 offset:392
	s_waitcnt vmcnt(2)
	v_fmac_f64_e32 v[124:125], v[128:129], v[130:131]
	ds_read2_b64 v[128:131], v126 offset0:109 offset1:110
	s_waitcnt vmcnt(0) lgkmcnt(0)
	v_fmac_f64_e32 v[124:125], v[132:133], v[128:129]
	buffer_load_dword v129, off, s[0:3], 0 offset:404
	buffer_load_dword v128, off, s[0:3], 0 offset:400
	buffer_load_dword v133, off, s[0:3], 0 offset:412
	buffer_load_dword v132, off, s[0:3], 0 offset:408
	s_waitcnt vmcnt(2)
	v_fmac_f64_e32 v[124:125], v[128:129], v[130:131]
	ds_read2_b64 v[128:131], v126 offset0:111 offset1:112
	s_waitcnt vmcnt(0) lgkmcnt(0)
	v_fmac_f64_e32 v[124:125], v[132:133], v[128:129]
	;; [unrolled: 9-line block ×5, first 2 shown]
	buffer_load_dword v129, off, s[0:3], 0 offset:468
	buffer_load_dword v128, off, s[0:3], 0 offset:464
	s_waitcnt vmcnt(0)
	v_fmac_f64_e32 v[124:125], v[128:129], v[130:131]
	buffer_load_dword v129, off, s[0:3], 0 offset:476
	buffer_load_dword v128, off, s[0:3], 0 offset:472
	ds_read_b64 v[130:131], v126 offset:952
	s_waitcnt vmcnt(0) lgkmcnt(0)
	v_fmac_f64_e32 v[124:125], v[128:129], v[130:131]
	v_add_f64 v[122:123], v[122:123], -v[124:125]
	buffer_store_dword v123, off, s[0:3], 0 offset:324
	buffer_store_dword v122, off, s[0:3], 0 offset:320
	s_and_saveexec_b64 s[4:5], vcc
	s_cbranch_execz .LBB123_289
; %bb.288:
	buffer_load_dword v122, off, s[0:3], 0 offset:312
	buffer_load_dword v123, off, s[0:3], 0 offset:316
	s_waitcnt vmcnt(0)
	ds_write_b64 v1, v[122:123]
	buffer_store_dword v126, off, s[0:3], 0 offset:312
	buffer_store_dword v126, off, s[0:3], 0 offset:316
.LBB123_289:
	s_or_b64 exec, exec, s[4:5]
	s_waitcnt lgkmcnt(0)
	; wave barrier
	s_waitcnt lgkmcnt(0)
	buffer_load_dword v122, off, s[0:3], 0 offset:312
	buffer_load_dword v123, off, s[0:3], 0 offset:316
	;; [unrolled: 1-line block ×16, first 2 shown]
	ds_read_b128 v[128:131], v126 offset:800
	ds_read_b128 v[132:135], v126 offset:816
	;; [unrolled: 1-line block ×4, first 2 shown]
	v_cmp_lt_u32_e32 vcc, 38, v0
	s_waitcnt vmcnt(12) lgkmcnt(3)
	v_fma_f64 v[124:125], v[124:125], v[128:129], 0
	buffer_load_dword v129, off, s[0:3], 0 offset:380
	buffer_load_dword v128, off, s[0:3], 0 offset:376
	s_waitcnt vmcnt(12)
	v_fmac_f64_e32 v[124:125], v[144:145], v[130:131]
	s_waitcnt vmcnt(10) lgkmcnt(2)
	v_fmac_f64_e32 v[124:125], v[146:147], v[132:133]
	buffer_load_dword v133, off, s[0:3], 0 offset:388
	buffer_load_dword v132, off, s[0:3], 0 offset:384
	s_waitcnt vmcnt(10)
	v_fmac_f64_e32 v[124:125], v[148:149], v[134:135]
	s_waitcnt vmcnt(8) lgkmcnt(1)
	v_fmac_f64_e32 v[124:125], v[150:151], v[136:137]
	s_waitcnt vmcnt(6)
	v_fmac_f64_e32 v[124:125], v[152:153], v[138:139]
	s_waitcnt vmcnt(4) lgkmcnt(0)
	v_fmac_f64_e32 v[124:125], v[154:155], v[140:141]
	s_waitcnt vmcnt(2)
	v_fmac_f64_e32 v[124:125], v[128:129], v[142:143]
	ds_read_b128 v[128:131], v126 offset:864
	s_waitcnt vmcnt(0) lgkmcnt(0)
	v_fmac_f64_e32 v[124:125], v[132:133], v[128:129]
	buffer_load_dword v129, off, s[0:3], 0 offset:396
	buffer_load_dword v128, off, s[0:3], 0 offset:392
	buffer_load_dword v133, off, s[0:3], 0 offset:404
	buffer_load_dword v132, off, s[0:3], 0 offset:400
	s_waitcnt vmcnt(2)
	v_fmac_f64_e32 v[124:125], v[128:129], v[130:131]
	ds_read_b128 v[128:131], v126 offset:880
	s_waitcnt vmcnt(0) lgkmcnt(0)
	v_fmac_f64_e32 v[124:125], v[132:133], v[128:129]
	buffer_load_dword v129, off, s[0:3], 0 offset:412
	buffer_load_dword v128, off, s[0:3], 0 offset:408
	buffer_load_dword v133, off, s[0:3], 0 offset:420
	buffer_load_dword v132, off, s[0:3], 0 offset:416
	;; [unrolled: 9-line block ×4, first 2 shown]
	s_waitcnt vmcnt(2)
	v_fmac_f64_e32 v[124:125], v[128:129], v[130:131]
	ds_read_b128 v[128:131], v126 offset:928
	s_waitcnt vmcnt(0) lgkmcnt(0)
	v_fmac_f64_e32 v[124:125], v[132:133], v[128:129]
	buffer_load_dword v129, off, s[0:3], 0 offset:460
	buffer_load_dword v128, off, s[0:3], 0 offset:456
	s_waitcnt vmcnt(0)
	v_fmac_f64_e32 v[124:125], v[128:129], v[130:131]
	buffer_load_dword v131, off, s[0:3], 0 offset:468
	buffer_load_dword v130, off, s[0:3], 0 offset:464
	ds_read_b128 v[126:129], v126 offset:944
	s_waitcnt vmcnt(0) lgkmcnt(0)
	v_fmac_f64_e32 v[124:125], v[130:131], v[126:127]
	buffer_load_dword v127, off, s[0:3], 0 offset:476
	buffer_load_dword v126, off, s[0:3], 0 offset:472
	s_waitcnt vmcnt(0)
	v_fmac_f64_e32 v[124:125], v[126:127], v[128:129]
	v_add_f64 v[122:123], v[122:123], -v[124:125]
	buffer_store_dword v123, off, s[0:3], 0 offset:316
	buffer_store_dword v122, off, s[0:3], 0 offset:312
	s_and_saveexec_b64 s[4:5], vcc
	s_cbranch_execz .LBB123_291
; %bb.290:
	buffer_load_dword v122, off, s[0:3], 0 offset:304
	buffer_load_dword v123, off, s[0:3], 0 offset:308
	v_mov_b32_e32 v124, 0
	buffer_store_dword v124, off, s[0:3], 0 offset:304
	buffer_store_dword v124, off, s[0:3], 0 offset:308
	s_waitcnt vmcnt(2)
	ds_write_b64 v1, v[122:123]
.LBB123_291:
	s_or_b64 exec, exec, s[4:5]
	s_waitcnt lgkmcnt(0)
	; wave barrier
	s_waitcnt lgkmcnt(0)
	buffer_load_dword v122, off, s[0:3], 0 offset:304
	buffer_load_dword v123, off, s[0:3], 0 offset:308
	;; [unrolled: 1-line block ×16, first 2 shown]
	v_mov_b32_e32 v126, 0
	ds_read2_b64 v[128:131], v126 offset0:99 offset1:100
	v_cmp_lt_u32_e32 vcc, 37, v0
	s_waitcnt vmcnt(12) lgkmcnt(0)
	v_fma_f64 v[124:125], v[124:125], v[128:129], 0
	s_waitcnt vmcnt(10)
	v_fmac_f64_e32 v[124:125], v[132:133], v[130:131]
	ds_read2_b64 v[128:131], v126 offset0:101 offset1:102
	s_waitcnt vmcnt(8) lgkmcnt(0)
	v_fmac_f64_e32 v[124:125], v[134:135], v[128:129]
	s_waitcnt vmcnt(6)
	v_fmac_f64_e32 v[124:125], v[136:137], v[130:131]
	ds_read2_b64 v[128:131], v126 offset0:103 offset1:104
	s_waitcnt vmcnt(4) lgkmcnt(0)
	v_fmac_f64_e32 v[124:125], v[138:139], v[128:129]
	;; [unrolled: 5-line block ×3, first 2 shown]
	buffer_load_dword v129, off, s[0:3], 0 offset:372
	buffer_load_dword v128, off, s[0:3], 0 offset:368
	buffer_load_dword v133, off, s[0:3], 0 offset:380
	buffer_load_dword v132, off, s[0:3], 0 offset:376
	s_waitcnt vmcnt(2)
	v_fmac_f64_e32 v[124:125], v[128:129], v[130:131]
	ds_read2_b64 v[128:131], v126 offset0:107 offset1:108
	s_waitcnt vmcnt(0) lgkmcnt(0)
	v_fmac_f64_e32 v[124:125], v[132:133], v[128:129]
	buffer_load_dword v129, off, s[0:3], 0 offset:388
	buffer_load_dword v128, off, s[0:3], 0 offset:384
	buffer_load_dword v133, off, s[0:3], 0 offset:396
	buffer_load_dword v132, off, s[0:3], 0 offset:392
	s_waitcnt vmcnt(2)
	v_fmac_f64_e32 v[124:125], v[128:129], v[130:131]
	ds_read2_b64 v[128:131], v126 offset0:109 offset1:110
	s_waitcnt vmcnt(0) lgkmcnt(0)
	v_fmac_f64_e32 v[124:125], v[132:133], v[128:129]
	;; [unrolled: 9-line block ×6, first 2 shown]
	buffer_load_dword v129, off, s[0:3], 0 offset:468
	buffer_load_dword v128, off, s[0:3], 0 offset:464
	s_waitcnt vmcnt(0)
	v_fmac_f64_e32 v[124:125], v[128:129], v[130:131]
	buffer_load_dword v129, off, s[0:3], 0 offset:476
	buffer_load_dword v128, off, s[0:3], 0 offset:472
	ds_read_b64 v[130:131], v126 offset:952
	s_waitcnt vmcnt(0) lgkmcnt(0)
	v_fmac_f64_e32 v[124:125], v[128:129], v[130:131]
	v_add_f64 v[122:123], v[122:123], -v[124:125]
	buffer_store_dword v123, off, s[0:3], 0 offset:308
	buffer_store_dword v122, off, s[0:3], 0 offset:304
	s_and_saveexec_b64 s[4:5], vcc
	s_cbranch_execz .LBB123_293
; %bb.292:
	buffer_load_dword v122, off, s[0:3], 0 offset:296
	buffer_load_dword v123, off, s[0:3], 0 offset:300
	s_waitcnt vmcnt(0)
	ds_write_b64 v1, v[122:123]
	buffer_store_dword v126, off, s[0:3], 0 offset:296
	buffer_store_dword v126, off, s[0:3], 0 offset:300
.LBB123_293:
	s_or_b64 exec, exec, s[4:5]
	s_waitcnt lgkmcnt(0)
	; wave barrier
	s_waitcnt lgkmcnt(0)
	buffer_load_dword v122, off, s[0:3], 0 offset:296
	buffer_load_dword v123, off, s[0:3], 0 offset:300
	;; [unrolled: 1-line block ×16, first 2 shown]
	ds_read_b128 v[128:131], v126 offset:784
	ds_read_b128 v[132:135], v126 offset:800
	;; [unrolled: 1-line block ×4, first 2 shown]
	v_cmp_lt_u32_e32 vcc, 36, v0
	s_waitcnt vmcnt(12) lgkmcnt(3)
	v_fma_f64 v[124:125], v[124:125], v[128:129], 0
	buffer_load_dword v129, off, s[0:3], 0 offset:364
	buffer_load_dword v128, off, s[0:3], 0 offset:360
	s_waitcnt vmcnt(12)
	v_fmac_f64_e32 v[124:125], v[144:145], v[130:131]
	s_waitcnt vmcnt(10) lgkmcnt(2)
	v_fmac_f64_e32 v[124:125], v[146:147], v[132:133]
	buffer_load_dword v133, off, s[0:3], 0 offset:372
	buffer_load_dword v132, off, s[0:3], 0 offset:368
	s_waitcnt vmcnt(10)
	v_fmac_f64_e32 v[124:125], v[148:149], v[134:135]
	s_waitcnt vmcnt(8) lgkmcnt(1)
	v_fmac_f64_e32 v[124:125], v[150:151], v[136:137]
	s_waitcnt vmcnt(6)
	v_fmac_f64_e32 v[124:125], v[152:153], v[138:139]
	s_waitcnt vmcnt(4) lgkmcnt(0)
	v_fmac_f64_e32 v[124:125], v[154:155], v[140:141]
	s_waitcnt vmcnt(2)
	v_fmac_f64_e32 v[124:125], v[128:129], v[142:143]
	ds_read_b128 v[128:131], v126 offset:848
	s_waitcnt vmcnt(0) lgkmcnt(0)
	v_fmac_f64_e32 v[124:125], v[132:133], v[128:129]
	buffer_load_dword v129, off, s[0:3], 0 offset:380
	buffer_load_dword v128, off, s[0:3], 0 offset:376
	buffer_load_dword v133, off, s[0:3], 0 offset:388
	buffer_load_dword v132, off, s[0:3], 0 offset:384
	s_waitcnt vmcnt(2)
	v_fmac_f64_e32 v[124:125], v[128:129], v[130:131]
	ds_read_b128 v[128:131], v126 offset:864
	s_waitcnt vmcnt(0) lgkmcnt(0)
	v_fmac_f64_e32 v[124:125], v[132:133], v[128:129]
	buffer_load_dword v129, off, s[0:3], 0 offset:396
	buffer_load_dword v128, off, s[0:3], 0 offset:392
	buffer_load_dword v133, off, s[0:3], 0 offset:404
	buffer_load_dword v132, off, s[0:3], 0 offset:400
	;; [unrolled: 9-line block ×5, first 2 shown]
	s_waitcnt vmcnt(2)
	v_fmac_f64_e32 v[124:125], v[128:129], v[130:131]
	ds_read_b128 v[128:131], v126 offset:928
	s_waitcnt vmcnt(0) lgkmcnt(0)
	v_fmac_f64_e32 v[124:125], v[132:133], v[128:129]
	buffer_load_dword v129, off, s[0:3], 0 offset:460
	buffer_load_dword v128, off, s[0:3], 0 offset:456
	s_waitcnt vmcnt(0)
	v_fmac_f64_e32 v[124:125], v[128:129], v[130:131]
	buffer_load_dword v131, off, s[0:3], 0 offset:468
	buffer_load_dword v130, off, s[0:3], 0 offset:464
	ds_read_b128 v[126:129], v126 offset:944
	s_waitcnt vmcnt(0) lgkmcnt(0)
	v_fmac_f64_e32 v[124:125], v[130:131], v[126:127]
	buffer_load_dword v127, off, s[0:3], 0 offset:476
	buffer_load_dword v126, off, s[0:3], 0 offset:472
	s_waitcnt vmcnt(0)
	v_fmac_f64_e32 v[124:125], v[126:127], v[128:129]
	v_add_f64 v[122:123], v[122:123], -v[124:125]
	buffer_store_dword v123, off, s[0:3], 0 offset:300
	buffer_store_dword v122, off, s[0:3], 0 offset:296
	s_and_saveexec_b64 s[4:5], vcc
	s_cbranch_execz .LBB123_295
; %bb.294:
	buffer_load_dword v122, off, s[0:3], 0 offset:288
	buffer_load_dword v123, off, s[0:3], 0 offset:292
	v_mov_b32_e32 v124, 0
	buffer_store_dword v124, off, s[0:3], 0 offset:288
	buffer_store_dword v124, off, s[0:3], 0 offset:292
	s_waitcnt vmcnt(2)
	ds_write_b64 v1, v[122:123]
.LBB123_295:
	s_or_b64 exec, exec, s[4:5]
	s_waitcnt lgkmcnt(0)
	; wave barrier
	s_waitcnt lgkmcnt(0)
	buffer_load_dword v122, off, s[0:3], 0 offset:288
	buffer_load_dword v123, off, s[0:3], 0 offset:292
	;; [unrolled: 1-line block ×16, first 2 shown]
	v_mov_b32_e32 v126, 0
	ds_read2_b64 v[128:131], v126 offset0:97 offset1:98
	v_cmp_lt_u32_e32 vcc, 35, v0
	s_waitcnt vmcnt(12) lgkmcnt(0)
	v_fma_f64 v[124:125], v[124:125], v[128:129], 0
	s_waitcnt vmcnt(10)
	v_fmac_f64_e32 v[124:125], v[132:133], v[130:131]
	ds_read2_b64 v[128:131], v126 offset0:99 offset1:100
	s_waitcnt vmcnt(8) lgkmcnt(0)
	v_fmac_f64_e32 v[124:125], v[134:135], v[128:129]
	s_waitcnt vmcnt(6)
	v_fmac_f64_e32 v[124:125], v[136:137], v[130:131]
	ds_read2_b64 v[128:131], v126 offset0:101 offset1:102
	s_waitcnt vmcnt(4) lgkmcnt(0)
	v_fmac_f64_e32 v[124:125], v[138:139], v[128:129]
	;; [unrolled: 5-line block ×3, first 2 shown]
	buffer_load_dword v129, off, s[0:3], 0 offset:356
	buffer_load_dword v128, off, s[0:3], 0 offset:352
	buffer_load_dword v133, off, s[0:3], 0 offset:364
	buffer_load_dword v132, off, s[0:3], 0 offset:360
	s_waitcnt vmcnt(2)
	v_fmac_f64_e32 v[124:125], v[128:129], v[130:131]
	ds_read2_b64 v[128:131], v126 offset0:105 offset1:106
	s_waitcnt vmcnt(0) lgkmcnt(0)
	v_fmac_f64_e32 v[124:125], v[132:133], v[128:129]
	buffer_load_dword v129, off, s[0:3], 0 offset:372
	buffer_load_dword v128, off, s[0:3], 0 offset:368
	buffer_load_dword v133, off, s[0:3], 0 offset:380
	buffer_load_dword v132, off, s[0:3], 0 offset:376
	s_waitcnt vmcnt(2)
	v_fmac_f64_e32 v[124:125], v[128:129], v[130:131]
	ds_read2_b64 v[128:131], v126 offset0:107 offset1:108
	s_waitcnt vmcnt(0) lgkmcnt(0)
	v_fmac_f64_e32 v[124:125], v[132:133], v[128:129]
	;; [unrolled: 9-line block ×7, first 2 shown]
	buffer_load_dword v129, off, s[0:3], 0 offset:468
	buffer_load_dword v128, off, s[0:3], 0 offset:464
	s_waitcnt vmcnt(0)
	v_fmac_f64_e32 v[124:125], v[128:129], v[130:131]
	buffer_load_dword v129, off, s[0:3], 0 offset:476
	buffer_load_dword v128, off, s[0:3], 0 offset:472
	ds_read_b64 v[130:131], v126 offset:952
	s_waitcnt vmcnt(0) lgkmcnt(0)
	v_fmac_f64_e32 v[124:125], v[128:129], v[130:131]
	v_add_f64 v[122:123], v[122:123], -v[124:125]
	buffer_store_dword v123, off, s[0:3], 0 offset:292
	buffer_store_dword v122, off, s[0:3], 0 offset:288
	s_and_saveexec_b64 s[4:5], vcc
	s_cbranch_execz .LBB123_297
; %bb.296:
	buffer_load_dword v122, off, s[0:3], 0 offset:280
	buffer_load_dword v123, off, s[0:3], 0 offset:284
	s_waitcnt vmcnt(0)
	ds_write_b64 v1, v[122:123]
	buffer_store_dword v126, off, s[0:3], 0 offset:280
	buffer_store_dword v126, off, s[0:3], 0 offset:284
.LBB123_297:
	s_or_b64 exec, exec, s[4:5]
	s_waitcnt lgkmcnt(0)
	; wave barrier
	s_waitcnt lgkmcnt(0)
	buffer_load_dword v122, off, s[0:3], 0 offset:280
	buffer_load_dword v123, off, s[0:3], 0 offset:284
	;; [unrolled: 1-line block ×16, first 2 shown]
	ds_read_b128 v[128:131], v126 offset:768
	ds_read_b128 v[132:135], v126 offset:784
	;; [unrolled: 1-line block ×4, first 2 shown]
	v_cmp_lt_u32_e32 vcc, 34, v0
	s_waitcnt vmcnt(12) lgkmcnt(3)
	v_fma_f64 v[124:125], v[124:125], v[128:129], 0
	buffer_load_dword v129, off, s[0:3], 0 offset:348
	buffer_load_dword v128, off, s[0:3], 0 offset:344
	s_waitcnt vmcnt(12)
	v_fmac_f64_e32 v[124:125], v[144:145], v[130:131]
	s_waitcnt vmcnt(10) lgkmcnt(2)
	v_fmac_f64_e32 v[124:125], v[146:147], v[132:133]
	buffer_load_dword v133, off, s[0:3], 0 offset:356
	buffer_load_dword v132, off, s[0:3], 0 offset:352
	s_waitcnt vmcnt(10)
	v_fmac_f64_e32 v[124:125], v[148:149], v[134:135]
	s_waitcnt vmcnt(8) lgkmcnt(1)
	v_fmac_f64_e32 v[124:125], v[150:151], v[136:137]
	s_waitcnt vmcnt(6)
	v_fmac_f64_e32 v[124:125], v[152:153], v[138:139]
	s_waitcnt vmcnt(4) lgkmcnt(0)
	v_fmac_f64_e32 v[124:125], v[154:155], v[140:141]
	s_waitcnt vmcnt(2)
	v_fmac_f64_e32 v[124:125], v[128:129], v[142:143]
	ds_read_b128 v[128:131], v126 offset:832
	s_waitcnt vmcnt(0) lgkmcnt(0)
	v_fmac_f64_e32 v[124:125], v[132:133], v[128:129]
	buffer_load_dword v129, off, s[0:3], 0 offset:364
	buffer_load_dword v128, off, s[0:3], 0 offset:360
	buffer_load_dword v133, off, s[0:3], 0 offset:372
	buffer_load_dword v132, off, s[0:3], 0 offset:368
	s_waitcnt vmcnt(2)
	v_fmac_f64_e32 v[124:125], v[128:129], v[130:131]
	ds_read_b128 v[128:131], v126 offset:848
	s_waitcnt vmcnt(0) lgkmcnt(0)
	v_fmac_f64_e32 v[124:125], v[132:133], v[128:129]
	buffer_load_dword v129, off, s[0:3], 0 offset:380
	buffer_load_dword v128, off, s[0:3], 0 offset:376
	buffer_load_dword v133, off, s[0:3], 0 offset:388
	buffer_load_dword v132, off, s[0:3], 0 offset:384
	;; [unrolled: 9-line block ×6, first 2 shown]
	s_waitcnt vmcnt(2)
	v_fmac_f64_e32 v[124:125], v[128:129], v[130:131]
	ds_read_b128 v[128:131], v126 offset:928
	s_waitcnt vmcnt(0) lgkmcnt(0)
	v_fmac_f64_e32 v[124:125], v[132:133], v[128:129]
	buffer_load_dword v129, off, s[0:3], 0 offset:460
	buffer_load_dword v128, off, s[0:3], 0 offset:456
	s_waitcnt vmcnt(0)
	v_fmac_f64_e32 v[124:125], v[128:129], v[130:131]
	buffer_load_dword v131, off, s[0:3], 0 offset:468
	buffer_load_dword v130, off, s[0:3], 0 offset:464
	ds_read_b128 v[126:129], v126 offset:944
	s_waitcnt vmcnt(0) lgkmcnt(0)
	v_fmac_f64_e32 v[124:125], v[130:131], v[126:127]
	buffer_load_dword v127, off, s[0:3], 0 offset:476
	buffer_load_dword v126, off, s[0:3], 0 offset:472
	s_waitcnt vmcnt(0)
	v_fmac_f64_e32 v[124:125], v[126:127], v[128:129]
	v_add_f64 v[122:123], v[122:123], -v[124:125]
	buffer_store_dword v123, off, s[0:3], 0 offset:284
	buffer_store_dword v122, off, s[0:3], 0 offset:280
	s_and_saveexec_b64 s[4:5], vcc
	s_cbranch_execz .LBB123_299
; %bb.298:
	buffer_load_dword v122, off, s[0:3], 0 offset:272
	buffer_load_dword v123, off, s[0:3], 0 offset:276
	v_mov_b32_e32 v124, 0
	buffer_store_dword v124, off, s[0:3], 0 offset:272
	buffer_store_dword v124, off, s[0:3], 0 offset:276
	s_waitcnt vmcnt(2)
	ds_write_b64 v1, v[122:123]
.LBB123_299:
	s_or_b64 exec, exec, s[4:5]
	s_waitcnt lgkmcnt(0)
	; wave barrier
	s_waitcnt lgkmcnt(0)
	buffer_load_dword v122, off, s[0:3], 0 offset:272
	buffer_load_dword v123, off, s[0:3], 0 offset:276
	;; [unrolled: 1-line block ×16, first 2 shown]
	v_mov_b32_e32 v126, 0
	ds_read2_b64 v[128:131], v126 offset0:95 offset1:96
	v_cmp_lt_u32_e32 vcc, 33, v0
	s_waitcnt vmcnt(12) lgkmcnt(0)
	v_fma_f64 v[124:125], v[124:125], v[128:129], 0
	s_waitcnt vmcnt(10)
	v_fmac_f64_e32 v[124:125], v[132:133], v[130:131]
	ds_read2_b64 v[128:131], v126 offset0:97 offset1:98
	s_waitcnt vmcnt(8) lgkmcnt(0)
	v_fmac_f64_e32 v[124:125], v[134:135], v[128:129]
	s_waitcnt vmcnt(6)
	v_fmac_f64_e32 v[124:125], v[136:137], v[130:131]
	ds_read2_b64 v[128:131], v126 offset0:99 offset1:100
	s_waitcnt vmcnt(4) lgkmcnt(0)
	v_fmac_f64_e32 v[124:125], v[138:139], v[128:129]
	;; [unrolled: 5-line block ×3, first 2 shown]
	buffer_load_dword v129, off, s[0:3], 0 offset:340
	buffer_load_dword v128, off, s[0:3], 0 offset:336
	buffer_load_dword v133, off, s[0:3], 0 offset:348
	buffer_load_dword v132, off, s[0:3], 0 offset:344
	s_waitcnt vmcnt(2)
	v_fmac_f64_e32 v[124:125], v[128:129], v[130:131]
	ds_read2_b64 v[128:131], v126 offset0:103 offset1:104
	s_waitcnt vmcnt(0) lgkmcnt(0)
	v_fmac_f64_e32 v[124:125], v[132:133], v[128:129]
	buffer_load_dword v129, off, s[0:3], 0 offset:356
	buffer_load_dword v128, off, s[0:3], 0 offset:352
	buffer_load_dword v133, off, s[0:3], 0 offset:364
	buffer_load_dword v132, off, s[0:3], 0 offset:360
	s_waitcnt vmcnt(2)
	v_fmac_f64_e32 v[124:125], v[128:129], v[130:131]
	ds_read2_b64 v[128:131], v126 offset0:105 offset1:106
	s_waitcnt vmcnt(0) lgkmcnt(0)
	v_fmac_f64_e32 v[124:125], v[132:133], v[128:129]
	;; [unrolled: 9-line block ×8, first 2 shown]
	buffer_load_dword v129, off, s[0:3], 0 offset:468
	buffer_load_dword v128, off, s[0:3], 0 offset:464
	s_waitcnt vmcnt(0)
	v_fmac_f64_e32 v[124:125], v[128:129], v[130:131]
	buffer_load_dword v129, off, s[0:3], 0 offset:476
	buffer_load_dword v128, off, s[0:3], 0 offset:472
	ds_read_b64 v[130:131], v126 offset:952
	s_waitcnt vmcnt(0) lgkmcnt(0)
	v_fmac_f64_e32 v[124:125], v[128:129], v[130:131]
	v_add_f64 v[122:123], v[122:123], -v[124:125]
	buffer_store_dword v123, off, s[0:3], 0 offset:276
	buffer_store_dword v122, off, s[0:3], 0 offset:272
	s_and_saveexec_b64 s[4:5], vcc
	s_cbranch_execz .LBB123_301
; %bb.300:
	buffer_load_dword v122, off, s[0:3], 0 offset:264
	buffer_load_dword v123, off, s[0:3], 0 offset:268
	s_waitcnt vmcnt(0)
	ds_write_b64 v1, v[122:123]
	buffer_store_dword v126, off, s[0:3], 0 offset:264
	buffer_store_dword v126, off, s[0:3], 0 offset:268
.LBB123_301:
	s_or_b64 exec, exec, s[4:5]
	s_waitcnt lgkmcnt(0)
	; wave barrier
	s_waitcnt lgkmcnt(0)
	buffer_load_dword v122, off, s[0:3], 0 offset:264
	buffer_load_dword v123, off, s[0:3], 0 offset:268
	;; [unrolled: 1-line block ×16, first 2 shown]
	ds_read_b128 v[128:131], v126 offset:752
	ds_read_b128 v[132:135], v126 offset:768
	;; [unrolled: 1-line block ×4, first 2 shown]
	v_cmp_lt_u32_e32 vcc, 32, v0
	s_waitcnt vmcnt(12) lgkmcnt(3)
	v_fma_f64 v[124:125], v[124:125], v[128:129], 0
	buffer_load_dword v129, off, s[0:3], 0 offset:332
	buffer_load_dword v128, off, s[0:3], 0 offset:328
	s_waitcnt vmcnt(12)
	v_fmac_f64_e32 v[124:125], v[144:145], v[130:131]
	s_waitcnt vmcnt(10) lgkmcnt(2)
	v_fmac_f64_e32 v[124:125], v[146:147], v[132:133]
	buffer_load_dword v133, off, s[0:3], 0 offset:340
	buffer_load_dword v132, off, s[0:3], 0 offset:336
	s_waitcnt vmcnt(10)
	v_fmac_f64_e32 v[124:125], v[148:149], v[134:135]
	s_waitcnt vmcnt(8) lgkmcnt(1)
	v_fmac_f64_e32 v[124:125], v[150:151], v[136:137]
	s_waitcnt vmcnt(6)
	v_fmac_f64_e32 v[124:125], v[152:153], v[138:139]
	s_waitcnt vmcnt(4) lgkmcnt(0)
	v_fmac_f64_e32 v[124:125], v[154:155], v[140:141]
	s_waitcnt vmcnt(2)
	v_fmac_f64_e32 v[124:125], v[128:129], v[142:143]
	ds_read_b128 v[128:131], v126 offset:816
	s_waitcnt vmcnt(0) lgkmcnt(0)
	v_fmac_f64_e32 v[124:125], v[132:133], v[128:129]
	buffer_load_dword v129, off, s[0:3], 0 offset:348
	buffer_load_dword v128, off, s[0:3], 0 offset:344
	buffer_load_dword v133, off, s[0:3], 0 offset:356
	buffer_load_dword v132, off, s[0:3], 0 offset:352
	s_waitcnt vmcnt(2)
	v_fmac_f64_e32 v[124:125], v[128:129], v[130:131]
	ds_read_b128 v[128:131], v126 offset:832
	s_waitcnt vmcnt(0) lgkmcnt(0)
	v_fmac_f64_e32 v[124:125], v[132:133], v[128:129]
	buffer_load_dword v129, off, s[0:3], 0 offset:364
	buffer_load_dword v128, off, s[0:3], 0 offset:360
	buffer_load_dword v133, off, s[0:3], 0 offset:372
	buffer_load_dword v132, off, s[0:3], 0 offset:368
	;; [unrolled: 9-line block ×7, first 2 shown]
	s_waitcnt vmcnt(2)
	v_fmac_f64_e32 v[124:125], v[128:129], v[130:131]
	ds_read_b128 v[128:131], v126 offset:928
	s_waitcnt vmcnt(0) lgkmcnt(0)
	v_fmac_f64_e32 v[124:125], v[132:133], v[128:129]
	buffer_load_dword v129, off, s[0:3], 0 offset:460
	buffer_load_dword v128, off, s[0:3], 0 offset:456
	s_waitcnt vmcnt(0)
	v_fmac_f64_e32 v[124:125], v[128:129], v[130:131]
	buffer_load_dword v131, off, s[0:3], 0 offset:468
	buffer_load_dword v130, off, s[0:3], 0 offset:464
	ds_read_b128 v[126:129], v126 offset:944
	s_waitcnt vmcnt(0) lgkmcnt(0)
	v_fmac_f64_e32 v[124:125], v[130:131], v[126:127]
	buffer_load_dword v127, off, s[0:3], 0 offset:476
	buffer_load_dword v126, off, s[0:3], 0 offset:472
	s_waitcnt vmcnt(0)
	v_fmac_f64_e32 v[124:125], v[126:127], v[128:129]
	v_add_f64 v[122:123], v[122:123], -v[124:125]
	buffer_store_dword v123, off, s[0:3], 0 offset:268
	buffer_store_dword v122, off, s[0:3], 0 offset:264
	s_and_saveexec_b64 s[4:5], vcc
	s_cbranch_execz .LBB123_303
; %bb.302:
	buffer_load_dword v122, off, s[0:3], 0 offset:256
	buffer_load_dword v123, off, s[0:3], 0 offset:260
	v_mov_b32_e32 v124, 0
	buffer_store_dword v124, off, s[0:3], 0 offset:256
	buffer_store_dword v124, off, s[0:3], 0 offset:260
	s_waitcnt vmcnt(2)
	ds_write_b64 v1, v[122:123]
.LBB123_303:
	s_or_b64 exec, exec, s[4:5]
	s_waitcnt lgkmcnt(0)
	; wave barrier
	s_waitcnt lgkmcnt(0)
	buffer_load_dword v122, off, s[0:3], 0 offset:256
	buffer_load_dword v123, off, s[0:3], 0 offset:260
	;; [unrolled: 1-line block ×16, first 2 shown]
	v_mov_b32_e32 v126, 0
	ds_read2_b64 v[128:131], v126 offset0:93 offset1:94
	v_cmp_lt_u32_e32 vcc, 31, v0
	s_waitcnt vmcnt(12) lgkmcnt(0)
	v_fma_f64 v[124:125], v[124:125], v[128:129], 0
	s_waitcnt vmcnt(10)
	v_fmac_f64_e32 v[124:125], v[132:133], v[130:131]
	ds_read2_b64 v[128:131], v126 offset0:95 offset1:96
	s_waitcnt vmcnt(8) lgkmcnt(0)
	v_fmac_f64_e32 v[124:125], v[134:135], v[128:129]
	s_waitcnt vmcnt(6)
	v_fmac_f64_e32 v[124:125], v[136:137], v[130:131]
	ds_read2_b64 v[128:131], v126 offset0:97 offset1:98
	s_waitcnt vmcnt(4) lgkmcnt(0)
	v_fmac_f64_e32 v[124:125], v[138:139], v[128:129]
	;; [unrolled: 5-line block ×3, first 2 shown]
	buffer_load_dword v129, off, s[0:3], 0 offset:324
	buffer_load_dword v128, off, s[0:3], 0 offset:320
	buffer_load_dword v133, off, s[0:3], 0 offset:332
	buffer_load_dword v132, off, s[0:3], 0 offset:328
	s_waitcnt vmcnt(2)
	v_fmac_f64_e32 v[124:125], v[128:129], v[130:131]
	ds_read2_b64 v[128:131], v126 offset0:101 offset1:102
	s_waitcnt vmcnt(0) lgkmcnt(0)
	v_fmac_f64_e32 v[124:125], v[132:133], v[128:129]
	buffer_load_dword v129, off, s[0:3], 0 offset:340
	buffer_load_dword v128, off, s[0:3], 0 offset:336
	buffer_load_dword v133, off, s[0:3], 0 offset:348
	buffer_load_dword v132, off, s[0:3], 0 offset:344
	s_waitcnt vmcnt(2)
	v_fmac_f64_e32 v[124:125], v[128:129], v[130:131]
	ds_read2_b64 v[128:131], v126 offset0:103 offset1:104
	s_waitcnt vmcnt(0) lgkmcnt(0)
	v_fmac_f64_e32 v[124:125], v[132:133], v[128:129]
	;; [unrolled: 9-line block ×9, first 2 shown]
	buffer_load_dword v129, off, s[0:3], 0 offset:468
	buffer_load_dword v128, off, s[0:3], 0 offset:464
	s_waitcnt vmcnt(0)
	v_fmac_f64_e32 v[124:125], v[128:129], v[130:131]
	buffer_load_dword v129, off, s[0:3], 0 offset:476
	buffer_load_dword v128, off, s[0:3], 0 offset:472
	ds_read_b64 v[130:131], v126 offset:952
	s_waitcnt vmcnt(0) lgkmcnt(0)
	v_fmac_f64_e32 v[124:125], v[128:129], v[130:131]
	v_add_f64 v[122:123], v[122:123], -v[124:125]
	buffer_store_dword v123, off, s[0:3], 0 offset:260
	buffer_store_dword v122, off, s[0:3], 0 offset:256
	s_and_saveexec_b64 s[4:5], vcc
	s_cbranch_execz .LBB123_305
; %bb.304:
	buffer_load_dword v122, off, s[0:3], 0 offset:248
	buffer_load_dword v123, off, s[0:3], 0 offset:252
	s_waitcnt vmcnt(0)
	ds_write_b64 v1, v[122:123]
	buffer_store_dword v126, off, s[0:3], 0 offset:248
	buffer_store_dword v126, off, s[0:3], 0 offset:252
.LBB123_305:
	s_or_b64 exec, exec, s[4:5]
	s_waitcnt lgkmcnt(0)
	; wave barrier
	s_waitcnt lgkmcnt(0)
	buffer_load_dword v122, off, s[0:3], 0 offset:248
	buffer_load_dword v123, off, s[0:3], 0 offset:252
	buffer_load_dword v124, off, s[0:3], 0 offset:256
	buffer_load_dword v125, off, s[0:3], 0 offset:260
	buffer_load_dword v144, off, s[0:3], 0 offset:264
	buffer_load_dword v145, off, s[0:3], 0 offset:268
	buffer_load_dword v146, off, s[0:3], 0 offset:272
	buffer_load_dword v147, off, s[0:3], 0 offset:276
	buffer_load_dword v148, off, s[0:3], 0 offset:280
	buffer_load_dword v149, off, s[0:3], 0 offset:284
	buffer_load_dword v150, off, s[0:3], 0 offset:288
	buffer_load_dword v151, off, s[0:3], 0 offset:292
	buffer_load_dword v152, off, s[0:3], 0 offset:296
	buffer_load_dword v153, off, s[0:3], 0 offset:300
	buffer_load_dword v154, off, s[0:3], 0 offset:304
	buffer_load_dword v155, off, s[0:3], 0 offset:308
	ds_read_b128 v[128:131], v126 offset:736
	ds_read_b128 v[132:135], v126 offset:752
	;; [unrolled: 1-line block ×4, first 2 shown]
	v_cmp_lt_u32_e32 vcc, 30, v0
	s_waitcnt vmcnt(12) lgkmcnt(3)
	v_fma_f64 v[124:125], v[124:125], v[128:129], 0
	buffer_load_dword v129, off, s[0:3], 0 offset:316
	buffer_load_dword v128, off, s[0:3], 0 offset:312
	s_waitcnt vmcnt(12)
	v_fmac_f64_e32 v[124:125], v[144:145], v[130:131]
	s_waitcnt vmcnt(10) lgkmcnt(2)
	v_fmac_f64_e32 v[124:125], v[146:147], v[132:133]
	buffer_load_dword v133, off, s[0:3], 0 offset:324
	buffer_load_dword v132, off, s[0:3], 0 offset:320
	s_waitcnt vmcnt(10)
	v_fmac_f64_e32 v[124:125], v[148:149], v[134:135]
	s_waitcnt vmcnt(8) lgkmcnt(1)
	v_fmac_f64_e32 v[124:125], v[150:151], v[136:137]
	s_waitcnt vmcnt(6)
	v_fmac_f64_e32 v[124:125], v[152:153], v[138:139]
	s_waitcnt vmcnt(4) lgkmcnt(0)
	v_fmac_f64_e32 v[124:125], v[154:155], v[140:141]
	s_waitcnt vmcnt(2)
	v_fmac_f64_e32 v[124:125], v[128:129], v[142:143]
	ds_read_b128 v[128:131], v126 offset:800
	s_waitcnt vmcnt(0) lgkmcnt(0)
	v_fmac_f64_e32 v[124:125], v[132:133], v[128:129]
	buffer_load_dword v129, off, s[0:3], 0 offset:332
	buffer_load_dword v128, off, s[0:3], 0 offset:328
	buffer_load_dword v133, off, s[0:3], 0 offset:340
	buffer_load_dword v132, off, s[0:3], 0 offset:336
	s_waitcnt vmcnt(2)
	v_fmac_f64_e32 v[124:125], v[128:129], v[130:131]
	ds_read_b128 v[128:131], v126 offset:816
	s_waitcnt vmcnt(0) lgkmcnt(0)
	v_fmac_f64_e32 v[124:125], v[132:133], v[128:129]
	buffer_load_dword v129, off, s[0:3], 0 offset:348
	buffer_load_dword v128, off, s[0:3], 0 offset:344
	buffer_load_dword v133, off, s[0:3], 0 offset:356
	buffer_load_dword v132, off, s[0:3], 0 offset:352
	;; [unrolled: 9-line block ×8, first 2 shown]
	s_waitcnt vmcnt(2)
	v_fmac_f64_e32 v[124:125], v[128:129], v[130:131]
	ds_read_b128 v[128:131], v126 offset:928
	s_waitcnt vmcnt(0) lgkmcnt(0)
	v_fmac_f64_e32 v[124:125], v[132:133], v[128:129]
	buffer_load_dword v129, off, s[0:3], 0 offset:460
	buffer_load_dword v128, off, s[0:3], 0 offset:456
	s_waitcnt vmcnt(0)
	v_fmac_f64_e32 v[124:125], v[128:129], v[130:131]
	buffer_load_dword v131, off, s[0:3], 0 offset:468
	buffer_load_dword v130, off, s[0:3], 0 offset:464
	ds_read_b128 v[126:129], v126 offset:944
	s_waitcnt vmcnt(0) lgkmcnt(0)
	v_fmac_f64_e32 v[124:125], v[130:131], v[126:127]
	buffer_load_dword v127, off, s[0:3], 0 offset:476
	buffer_load_dword v126, off, s[0:3], 0 offset:472
	s_waitcnt vmcnt(0)
	v_fmac_f64_e32 v[124:125], v[126:127], v[128:129]
	v_add_f64 v[122:123], v[122:123], -v[124:125]
	buffer_store_dword v123, off, s[0:3], 0 offset:252
	buffer_store_dword v122, off, s[0:3], 0 offset:248
	s_and_saveexec_b64 s[4:5], vcc
	s_cbranch_execz .LBB123_307
; %bb.306:
	buffer_load_dword v122, off, s[0:3], 0 offset:240
	buffer_load_dword v123, off, s[0:3], 0 offset:244
	v_mov_b32_e32 v124, 0
	buffer_store_dword v124, off, s[0:3], 0 offset:240
	buffer_store_dword v124, off, s[0:3], 0 offset:244
	s_waitcnt vmcnt(2)
	ds_write_b64 v1, v[122:123]
.LBB123_307:
	s_or_b64 exec, exec, s[4:5]
	s_waitcnt lgkmcnt(0)
	; wave barrier
	s_waitcnt lgkmcnt(0)
	buffer_load_dword v122, off, s[0:3], 0 offset:240
	buffer_load_dword v123, off, s[0:3], 0 offset:244
	;; [unrolled: 1-line block ×16, first 2 shown]
	v_mov_b32_e32 v126, 0
	ds_read2_b64 v[128:131], v126 offset0:91 offset1:92
	v_cmp_lt_u32_e32 vcc, 29, v0
	s_waitcnt vmcnt(12) lgkmcnt(0)
	v_fma_f64 v[124:125], v[124:125], v[128:129], 0
	s_waitcnt vmcnt(10)
	v_fmac_f64_e32 v[124:125], v[132:133], v[130:131]
	ds_read2_b64 v[128:131], v126 offset0:93 offset1:94
	s_waitcnt vmcnt(8) lgkmcnt(0)
	v_fmac_f64_e32 v[124:125], v[134:135], v[128:129]
	s_waitcnt vmcnt(6)
	v_fmac_f64_e32 v[124:125], v[136:137], v[130:131]
	ds_read2_b64 v[128:131], v126 offset0:95 offset1:96
	s_waitcnt vmcnt(4) lgkmcnt(0)
	v_fmac_f64_e32 v[124:125], v[138:139], v[128:129]
	;; [unrolled: 5-line block ×3, first 2 shown]
	buffer_load_dword v129, off, s[0:3], 0 offset:308
	buffer_load_dword v128, off, s[0:3], 0 offset:304
	buffer_load_dword v133, off, s[0:3], 0 offset:316
	buffer_load_dword v132, off, s[0:3], 0 offset:312
	s_waitcnt vmcnt(2)
	v_fmac_f64_e32 v[124:125], v[128:129], v[130:131]
	ds_read2_b64 v[128:131], v126 offset0:99 offset1:100
	s_waitcnt vmcnt(0) lgkmcnt(0)
	v_fmac_f64_e32 v[124:125], v[132:133], v[128:129]
	buffer_load_dword v129, off, s[0:3], 0 offset:324
	buffer_load_dword v128, off, s[0:3], 0 offset:320
	buffer_load_dword v133, off, s[0:3], 0 offset:332
	buffer_load_dword v132, off, s[0:3], 0 offset:328
	s_waitcnt vmcnt(2)
	v_fmac_f64_e32 v[124:125], v[128:129], v[130:131]
	ds_read2_b64 v[128:131], v126 offset0:101 offset1:102
	s_waitcnt vmcnt(0) lgkmcnt(0)
	v_fmac_f64_e32 v[124:125], v[132:133], v[128:129]
	;; [unrolled: 9-line block ×10, first 2 shown]
	buffer_load_dword v129, off, s[0:3], 0 offset:468
	buffer_load_dword v128, off, s[0:3], 0 offset:464
	s_waitcnt vmcnt(0)
	v_fmac_f64_e32 v[124:125], v[128:129], v[130:131]
	buffer_load_dword v129, off, s[0:3], 0 offset:476
	buffer_load_dword v128, off, s[0:3], 0 offset:472
	ds_read_b64 v[130:131], v126 offset:952
	s_waitcnt vmcnt(0) lgkmcnt(0)
	v_fmac_f64_e32 v[124:125], v[128:129], v[130:131]
	v_add_f64 v[122:123], v[122:123], -v[124:125]
	buffer_store_dword v123, off, s[0:3], 0 offset:244
	buffer_store_dword v122, off, s[0:3], 0 offset:240
	s_and_saveexec_b64 s[4:5], vcc
	s_cbranch_execz .LBB123_309
; %bb.308:
	buffer_load_dword v122, off, s[0:3], 0 offset:232
	buffer_load_dword v123, off, s[0:3], 0 offset:236
	s_waitcnt vmcnt(0)
	ds_write_b64 v1, v[122:123]
	buffer_store_dword v126, off, s[0:3], 0 offset:232
	buffer_store_dword v126, off, s[0:3], 0 offset:236
.LBB123_309:
	s_or_b64 exec, exec, s[4:5]
	s_waitcnt lgkmcnt(0)
	; wave barrier
	s_waitcnt lgkmcnt(0)
	buffer_load_dword v122, off, s[0:3], 0 offset:232
	buffer_load_dword v123, off, s[0:3], 0 offset:236
	;; [unrolled: 1-line block ×16, first 2 shown]
	ds_read_b128 v[128:131], v126 offset:720
	ds_read_b128 v[132:135], v126 offset:736
	;; [unrolled: 1-line block ×4, first 2 shown]
	v_cmp_lt_u32_e32 vcc, 28, v0
	s_waitcnt vmcnt(12) lgkmcnt(3)
	v_fma_f64 v[124:125], v[124:125], v[128:129], 0
	buffer_load_dword v129, off, s[0:3], 0 offset:300
	buffer_load_dword v128, off, s[0:3], 0 offset:296
	s_waitcnt vmcnt(12)
	v_fmac_f64_e32 v[124:125], v[144:145], v[130:131]
	s_waitcnt vmcnt(10) lgkmcnt(2)
	v_fmac_f64_e32 v[124:125], v[146:147], v[132:133]
	buffer_load_dword v133, off, s[0:3], 0 offset:308
	buffer_load_dword v132, off, s[0:3], 0 offset:304
	s_waitcnt vmcnt(10)
	v_fmac_f64_e32 v[124:125], v[148:149], v[134:135]
	s_waitcnt vmcnt(8) lgkmcnt(1)
	v_fmac_f64_e32 v[124:125], v[150:151], v[136:137]
	s_waitcnt vmcnt(6)
	v_fmac_f64_e32 v[124:125], v[152:153], v[138:139]
	s_waitcnt vmcnt(4) lgkmcnt(0)
	v_fmac_f64_e32 v[124:125], v[154:155], v[140:141]
	s_waitcnt vmcnt(2)
	v_fmac_f64_e32 v[124:125], v[128:129], v[142:143]
	ds_read_b128 v[128:131], v126 offset:784
	s_waitcnt vmcnt(0) lgkmcnt(0)
	v_fmac_f64_e32 v[124:125], v[132:133], v[128:129]
	buffer_load_dword v129, off, s[0:3], 0 offset:316
	buffer_load_dword v128, off, s[0:3], 0 offset:312
	buffer_load_dword v133, off, s[0:3], 0 offset:324
	buffer_load_dword v132, off, s[0:3], 0 offset:320
	s_waitcnt vmcnt(2)
	v_fmac_f64_e32 v[124:125], v[128:129], v[130:131]
	ds_read_b128 v[128:131], v126 offset:800
	s_waitcnt vmcnt(0) lgkmcnt(0)
	v_fmac_f64_e32 v[124:125], v[132:133], v[128:129]
	buffer_load_dword v129, off, s[0:3], 0 offset:332
	buffer_load_dword v128, off, s[0:3], 0 offset:328
	buffer_load_dword v133, off, s[0:3], 0 offset:340
	buffer_load_dword v132, off, s[0:3], 0 offset:336
	;; [unrolled: 9-line block ×9, first 2 shown]
	s_waitcnt vmcnt(2)
	v_fmac_f64_e32 v[124:125], v[128:129], v[130:131]
	ds_read_b128 v[128:131], v126 offset:928
	s_waitcnt vmcnt(0) lgkmcnt(0)
	v_fmac_f64_e32 v[124:125], v[132:133], v[128:129]
	buffer_load_dword v129, off, s[0:3], 0 offset:460
	buffer_load_dword v128, off, s[0:3], 0 offset:456
	s_waitcnt vmcnt(0)
	v_fmac_f64_e32 v[124:125], v[128:129], v[130:131]
	buffer_load_dword v131, off, s[0:3], 0 offset:468
	buffer_load_dword v130, off, s[0:3], 0 offset:464
	ds_read_b128 v[126:129], v126 offset:944
	s_waitcnt vmcnt(0) lgkmcnt(0)
	v_fmac_f64_e32 v[124:125], v[130:131], v[126:127]
	buffer_load_dword v127, off, s[0:3], 0 offset:476
	buffer_load_dword v126, off, s[0:3], 0 offset:472
	s_waitcnt vmcnt(0)
	v_fmac_f64_e32 v[124:125], v[126:127], v[128:129]
	v_add_f64 v[122:123], v[122:123], -v[124:125]
	buffer_store_dword v123, off, s[0:3], 0 offset:236
	buffer_store_dword v122, off, s[0:3], 0 offset:232
	s_and_saveexec_b64 s[4:5], vcc
	s_cbranch_execz .LBB123_311
; %bb.310:
	buffer_load_dword v122, off, s[0:3], 0 offset:224
	buffer_load_dword v123, off, s[0:3], 0 offset:228
	v_mov_b32_e32 v124, 0
	buffer_store_dword v124, off, s[0:3], 0 offset:224
	buffer_store_dword v124, off, s[0:3], 0 offset:228
	s_waitcnt vmcnt(2)
	ds_write_b64 v1, v[122:123]
.LBB123_311:
	s_or_b64 exec, exec, s[4:5]
	s_waitcnt lgkmcnt(0)
	; wave barrier
	s_waitcnt lgkmcnt(0)
	buffer_load_dword v122, off, s[0:3], 0 offset:224
	buffer_load_dword v123, off, s[0:3], 0 offset:228
	;; [unrolled: 1-line block ×16, first 2 shown]
	v_mov_b32_e32 v126, 0
	ds_read2_b64 v[128:131], v126 offset0:89 offset1:90
	v_cmp_lt_u32_e32 vcc, 27, v0
	s_waitcnt vmcnt(12) lgkmcnt(0)
	v_fma_f64 v[124:125], v[124:125], v[128:129], 0
	s_waitcnt vmcnt(10)
	v_fmac_f64_e32 v[124:125], v[132:133], v[130:131]
	ds_read2_b64 v[128:131], v126 offset0:91 offset1:92
	s_waitcnt vmcnt(8) lgkmcnt(0)
	v_fmac_f64_e32 v[124:125], v[134:135], v[128:129]
	s_waitcnt vmcnt(6)
	v_fmac_f64_e32 v[124:125], v[136:137], v[130:131]
	ds_read2_b64 v[128:131], v126 offset0:93 offset1:94
	s_waitcnt vmcnt(4) lgkmcnt(0)
	v_fmac_f64_e32 v[124:125], v[138:139], v[128:129]
	;; [unrolled: 5-line block ×3, first 2 shown]
	buffer_load_dword v129, off, s[0:3], 0 offset:292
	buffer_load_dword v128, off, s[0:3], 0 offset:288
	buffer_load_dword v133, off, s[0:3], 0 offset:300
	buffer_load_dword v132, off, s[0:3], 0 offset:296
	s_waitcnt vmcnt(2)
	v_fmac_f64_e32 v[124:125], v[128:129], v[130:131]
	ds_read2_b64 v[128:131], v126 offset0:97 offset1:98
	s_waitcnt vmcnt(0) lgkmcnt(0)
	v_fmac_f64_e32 v[124:125], v[132:133], v[128:129]
	buffer_load_dword v129, off, s[0:3], 0 offset:308
	buffer_load_dword v128, off, s[0:3], 0 offset:304
	buffer_load_dword v133, off, s[0:3], 0 offset:316
	buffer_load_dword v132, off, s[0:3], 0 offset:312
	s_waitcnt vmcnt(2)
	v_fmac_f64_e32 v[124:125], v[128:129], v[130:131]
	ds_read2_b64 v[128:131], v126 offset0:99 offset1:100
	s_waitcnt vmcnt(0) lgkmcnt(0)
	v_fmac_f64_e32 v[124:125], v[132:133], v[128:129]
	;; [unrolled: 9-line block ×11, first 2 shown]
	buffer_load_dword v129, off, s[0:3], 0 offset:468
	buffer_load_dword v128, off, s[0:3], 0 offset:464
	s_waitcnt vmcnt(0)
	v_fmac_f64_e32 v[124:125], v[128:129], v[130:131]
	buffer_load_dword v129, off, s[0:3], 0 offset:476
	buffer_load_dword v128, off, s[0:3], 0 offset:472
	ds_read_b64 v[130:131], v126 offset:952
	s_waitcnt vmcnt(0) lgkmcnt(0)
	v_fmac_f64_e32 v[124:125], v[128:129], v[130:131]
	v_add_f64 v[122:123], v[122:123], -v[124:125]
	buffer_store_dword v123, off, s[0:3], 0 offset:228
	buffer_store_dword v122, off, s[0:3], 0 offset:224
	s_and_saveexec_b64 s[4:5], vcc
	s_cbranch_execz .LBB123_313
; %bb.312:
	buffer_load_dword v122, off, s[0:3], 0 offset:216
	buffer_load_dword v123, off, s[0:3], 0 offset:220
	s_waitcnt vmcnt(0)
	ds_write_b64 v1, v[122:123]
	buffer_store_dword v126, off, s[0:3], 0 offset:216
	buffer_store_dword v126, off, s[0:3], 0 offset:220
.LBB123_313:
	s_or_b64 exec, exec, s[4:5]
	s_waitcnt lgkmcnt(0)
	; wave barrier
	s_waitcnt lgkmcnt(0)
	buffer_load_dword v122, off, s[0:3], 0 offset:216
	buffer_load_dword v123, off, s[0:3], 0 offset:220
	;; [unrolled: 1-line block ×16, first 2 shown]
	ds_read_b128 v[128:131], v126 offset:704
	ds_read_b128 v[132:135], v126 offset:720
	;; [unrolled: 1-line block ×4, first 2 shown]
	v_cmp_lt_u32_e32 vcc, 26, v0
	s_waitcnt vmcnt(12) lgkmcnt(3)
	v_fma_f64 v[124:125], v[124:125], v[128:129], 0
	buffer_load_dword v129, off, s[0:3], 0 offset:284
	buffer_load_dword v128, off, s[0:3], 0 offset:280
	s_waitcnt vmcnt(12)
	v_fmac_f64_e32 v[124:125], v[144:145], v[130:131]
	s_waitcnt vmcnt(10) lgkmcnt(2)
	v_fmac_f64_e32 v[124:125], v[146:147], v[132:133]
	buffer_load_dword v133, off, s[0:3], 0 offset:292
	buffer_load_dword v132, off, s[0:3], 0 offset:288
	s_waitcnt vmcnt(10)
	v_fmac_f64_e32 v[124:125], v[148:149], v[134:135]
	s_waitcnt vmcnt(8) lgkmcnt(1)
	v_fmac_f64_e32 v[124:125], v[150:151], v[136:137]
	s_waitcnt vmcnt(6)
	v_fmac_f64_e32 v[124:125], v[152:153], v[138:139]
	s_waitcnt vmcnt(4) lgkmcnt(0)
	v_fmac_f64_e32 v[124:125], v[154:155], v[140:141]
	s_waitcnt vmcnt(2)
	v_fmac_f64_e32 v[124:125], v[128:129], v[142:143]
	ds_read_b128 v[128:131], v126 offset:768
	s_waitcnt vmcnt(0) lgkmcnt(0)
	v_fmac_f64_e32 v[124:125], v[132:133], v[128:129]
	buffer_load_dword v129, off, s[0:3], 0 offset:300
	buffer_load_dword v128, off, s[0:3], 0 offset:296
	buffer_load_dword v133, off, s[0:3], 0 offset:308
	buffer_load_dword v132, off, s[0:3], 0 offset:304
	s_waitcnt vmcnt(2)
	v_fmac_f64_e32 v[124:125], v[128:129], v[130:131]
	ds_read_b128 v[128:131], v126 offset:784
	s_waitcnt vmcnt(0) lgkmcnt(0)
	v_fmac_f64_e32 v[124:125], v[132:133], v[128:129]
	buffer_load_dword v129, off, s[0:3], 0 offset:316
	buffer_load_dword v128, off, s[0:3], 0 offset:312
	buffer_load_dword v133, off, s[0:3], 0 offset:324
	buffer_load_dword v132, off, s[0:3], 0 offset:320
	;; [unrolled: 9-line block ×10, first 2 shown]
	s_waitcnt vmcnt(2)
	v_fmac_f64_e32 v[124:125], v[128:129], v[130:131]
	ds_read_b128 v[128:131], v126 offset:928
	s_waitcnt vmcnt(0) lgkmcnt(0)
	v_fmac_f64_e32 v[124:125], v[132:133], v[128:129]
	buffer_load_dword v129, off, s[0:3], 0 offset:460
	buffer_load_dword v128, off, s[0:3], 0 offset:456
	s_waitcnt vmcnt(0)
	v_fmac_f64_e32 v[124:125], v[128:129], v[130:131]
	buffer_load_dword v131, off, s[0:3], 0 offset:468
	buffer_load_dword v130, off, s[0:3], 0 offset:464
	ds_read_b128 v[126:129], v126 offset:944
	s_waitcnt vmcnt(0) lgkmcnt(0)
	v_fmac_f64_e32 v[124:125], v[130:131], v[126:127]
	buffer_load_dword v127, off, s[0:3], 0 offset:476
	buffer_load_dword v126, off, s[0:3], 0 offset:472
	s_waitcnt vmcnt(0)
	v_fmac_f64_e32 v[124:125], v[126:127], v[128:129]
	v_add_f64 v[122:123], v[122:123], -v[124:125]
	buffer_store_dword v123, off, s[0:3], 0 offset:220
	buffer_store_dword v122, off, s[0:3], 0 offset:216
	s_and_saveexec_b64 s[4:5], vcc
	s_cbranch_execz .LBB123_315
; %bb.314:
	buffer_load_dword v122, off, s[0:3], 0 offset:208
	buffer_load_dword v123, off, s[0:3], 0 offset:212
	v_mov_b32_e32 v124, 0
	buffer_store_dword v124, off, s[0:3], 0 offset:208
	buffer_store_dword v124, off, s[0:3], 0 offset:212
	s_waitcnt vmcnt(2)
	ds_write_b64 v1, v[122:123]
.LBB123_315:
	s_or_b64 exec, exec, s[4:5]
	s_waitcnt lgkmcnt(0)
	; wave barrier
	s_waitcnt lgkmcnt(0)
	buffer_load_dword v122, off, s[0:3], 0 offset:208
	buffer_load_dword v123, off, s[0:3], 0 offset:212
	;; [unrolled: 1-line block ×16, first 2 shown]
	v_mov_b32_e32 v126, 0
	ds_read2_b64 v[128:131], v126 offset0:87 offset1:88
	v_cmp_lt_u32_e32 vcc, 25, v0
	s_waitcnt vmcnt(12) lgkmcnt(0)
	v_fma_f64 v[124:125], v[124:125], v[128:129], 0
	s_waitcnt vmcnt(10)
	v_fmac_f64_e32 v[124:125], v[132:133], v[130:131]
	ds_read2_b64 v[128:131], v126 offset0:89 offset1:90
	s_waitcnt vmcnt(8) lgkmcnt(0)
	v_fmac_f64_e32 v[124:125], v[134:135], v[128:129]
	s_waitcnt vmcnt(6)
	v_fmac_f64_e32 v[124:125], v[136:137], v[130:131]
	ds_read2_b64 v[128:131], v126 offset0:91 offset1:92
	s_waitcnt vmcnt(4) lgkmcnt(0)
	v_fmac_f64_e32 v[124:125], v[138:139], v[128:129]
	;; [unrolled: 5-line block ×3, first 2 shown]
	buffer_load_dword v129, off, s[0:3], 0 offset:276
	buffer_load_dword v128, off, s[0:3], 0 offset:272
	buffer_load_dword v133, off, s[0:3], 0 offset:284
	buffer_load_dword v132, off, s[0:3], 0 offset:280
	s_waitcnt vmcnt(2)
	v_fmac_f64_e32 v[124:125], v[128:129], v[130:131]
	ds_read2_b64 v[128:131], v126 offset0:95 offset1:96
	s_waitcnt vmcnt(0) lgkmcnt(0)
	v_fmac_f64_e32 v[124:125], v[132:133], v[128:129]
	buffer_load_dword v129, off, s[0:3], 0 offset:292
	buffer_load_dword v128, off, s[0:3], 0 offset:288
	buffer_load_dword v133, off, s[0:3], 0 offset:300
	buffer_load_dword v132, off, s[0:3], 0 offset:296
	s_waitcnt vmcnt(2)
	v_fmac_f64_e32 v[124:125], v[128:129], v[130:131]
	ds_read2_b64 v[128:131], v126 offset0:97 offset1:98
	s_waitcnt vmcnt(0) lgkmcnt(0)
	v_fmac_f64_e32 v[124:125], v[132:133], v[128:129]
	;; [unrolled: 9-line block ×12, first 2 shown]
	buffer_load_dword v129, off, s[0:3], 0 offset:468
	buffer_load_dword v128, off, s[0:3], 0 offset:464
	s_waitcnt vmcnt(0)
	v_fmac_f64_e32 v[124:125], v[128:129], v[130:131]
	buffer_load_dword v129, off, s[0:3], 0 offset:476
	buffer_load_dword v128, off, s[0:3], 0 offset:472
	ds_read_b64 v[130:131], v126 offset:952
	s_waitcnt vmcnt(0) lgkmcnt(0)
	v_fmac_f64_e32 v[124:125], v[128:129], v[130:131]
	v_add_f64 v[122:123], v[122:123], -v[124:125]
	buffer_store_dword v123, off, s[0:3], 0 offset:212
	buffer_store_dword v122, off, s[0:3], 0 offset:208
	s_and_saveexec_b64 s[4:5], vcc
	s_cbranch_execz .LBB123_317
; %bb.316:
	buffer_load_dword v122, off, s[0:3], 0 offset:200
	buffer_load_dword v123, off, s[0:3], 0 offset:204
	s_waitcnt vmcnt(0)
	ds_write_b64 v1, v[122:123]
	buffer_store_dword v126, off, s[0:3], 0 offset:200
	buffer_store_dword v126, off, s[0:3], 0 offset:204
.LBB123_317:
	s_or_b64 exec, exec, s[4:5]
	s_waitcnt lgkmcnt(0)
	; wave barrier
	s_waitcnt lgkmcnt(0)
	buffer_load_dword v122, off, s[0:3], 0 offset:200
	buffer_load_dword v123, off, s[0:3], 0 offset:204
	buffer_load_dword v124, off, s[0:3], 0 offset:208
	buffer_load_dword v125, off, s[0:3], 0 offset:212
	buffer_load_dword v144, off, s[0:3], 0 offset:216
	buffer_load_dword v145, off, s[0:3], 0 offset:220
	buffer_load_dword v146, off, s[0:3], 0 offset:224
	buffer_load_dword v147, off, s[0:3], 0 offset:228
	buffer_load_dword v148, off, s[0:3], 0 offset:232
	buffer_load_dword v149, off, s[0:3], 0 offset:236
	buffer_load_dword v150, off, s[0:3], 0 offset:240
	buffer_load_dword v151, off, s[0:3], 0 offset:244
	buffer_load_dword v152, off, s[0:3], 0 offset:248
	buffer_load_dword v153, off, s[0:3], 0 offset:252
	buffer_load_dword v154, off, s[0:3], 0 offset:256
	buffer_load_dword v155, off, s[0:3], 0 offset:260
	ds_read_b128 v[128:131], v126 offset:688
	ds_read_b128 v[132:135], v126 offset:704
	;; [unrolled: 1-line block ×4, first 2 shown]
	v_cmp_lt_u32_e32 vcc, 24, v0
	s_waitcnt vmcnt(12) lgkmcnt(3)
	v_fma_f64 v[124:125], v[124:125], v[128:129], 0
	buffer_load_dword v129, off, s[0:3], 0 offset:268
	buffer_load_dword v128, off, s[0:3], 0 offset:264
	s_waitcnt vmcnt(12)
	v_fmac_f64_e32 v[124:125], v[144:145], v[130:131]
	s_waitcnt vmcnt(10) lgkmcnt(2)
	v_fmac_f64_e32 v[124:125], v[146:147], v[132:133]
	buffer_load_dword v133, off, s[0:3], 0 offset:276
	buffer_load_dword v132, off, s[0:3], 0 offset:272
	s_waitcnt vmcnt(10)
	v_fmac_f64_e32 v[124:125], v[148:149], v[134:135]
	s_waitcnt vmcnt(8) lgkmcnt(1)
	v_fmac_f64_e32 v[124:125], v[150:151], v[136:137]
	s_waitcnt vmcnt(6)
	v_fmac_f64_e32 v[124:125], v[152:153], v[138:139]
	s_waitcnt vmcnt(4) lgkmcnt(0)
	v_fmac_f64_e32 v[124:125], v[154:155], v[140:141]
	s_waitcnt vmcnt(2)
	v_fmac_f64_e32 v[124:125], v[128:129], v[142:143]
	ds_read_b128 v[128:131], v126 offset:752
	s_waitcnt vmcnt(0) lgkmcnt(0)
	v_fmac_f64_e32 v[124:125], v[132:133], v[128:129]
	buffer_load_dword v129, off, s[0:3], 0 offset:284
	buffer_load_dword v128, off, s[0:3], 0 offset:280
	buffer_load_dword v133, off, s[0:3], 0 offset:292
	buffer_load_dword v132, off, s[0:3], 0 offset:288
	s_waitcnt vmcnt(2)
	v_fmac_f64_e32 v[124:125], v[128:129], v[130:131]
	ds_read_b128 v[128:131], v126 offset:768
	s_waitcnt vmcnt(0) lgkmcnt(0)
	v_fmac_f64_e32 v[124:125], v[132:133], v[128:129]
	buffer_load_dword v129, off, s[0:3], 0 offset:300
	buffer_load_dword v128, off, s[0:3], 0 offset:296
	buffer_load_dword v133, off, s[0:3], 0 offset:308
	buffer_load_dword v132, off, s[0:3], 0 offset:304
	;; [unrolled: 9-line block ×11, first 2 shown]
	s_waitcnt vmcnt(2)
	v_fmac_f64_e32 v[124:125], v[128:129], v[130:131]
	ds_read_b128 v[128:131], v126 offset:928
	s_waitcnt vmcnt(0) lgkmcnt(0)
	v_fmac_f64_e32 v[124:125], v[132:133], v[128:129]
	buffer_load_dword v129, off, s[0:3], 0 offset:460
	buffer_load_dword v128, off, s[0:3], 0 offset:456
	s_waitcnt vmcnt(0)
	v_fmac_f64_e32 v[124:125], v[128:129], v[130:131]
	buffer_load_dword v131, off, s[0:3], 0 offset:468
	buffer_load_dword v130, off, s[0:3], 0 offset:464
	ds_read_b128 v[126:129], v126 offset:944
	s_waitcnt vmcnt(0) lgkmcnt(0)
	v_fmac_f64_e32 v[124:125], v[130:131], v[126:127]
	buffer_load_dword v127, off, s[0:3], 0 offset:476
	buffer_load_dword v126, off, s[0:3], 0 offset:472
	s_waitcnt vmcnt(0)
	v_fmac_f64_e32 v[124:125], v[126:127], v[128:129]
	v_add_f64 v[122:123], v[122:123], -v[124:125]
	buffer_store_dword v123, off, s[0:3], 0 offset:204
	buffer_store_dword v122, off, s[0:3], 0 offset:200
	s_and_saveexec_b64 s[4:5], vcc
	s_cbranch_execz .LBB123_319
; %bb.318:
	buffer_load_dword v122, off, s[0:3], 0 offset:192
	buffer_load_dword v123, off, s[0:3], 0 offset:196
	v_mov_b32_e32 v124, 0
	buffer_store_dword v124, off, s[0:3], 0 offset:192
	buffer_store_dword v124, off, s[0:3], 0 offset:196
	s_waitcnt vmcnt(2)
	ds_write_b64 v1, v[122:123]
.LBB123_319:
	s_or_b64 exec, exec, s[4:5]
	s_waitcnt lgkmcnt(0)
	; wave barrier
	s_waitcnt lgkmcnt(0)
	buffer_load_dword v122, off, s[0:3], 0 offset:192
	buffer_load_dword v123, off, s[0:3], 0 offset:196
	;; [unrolled: 1-line block ×16, first 2 shown]
	v_mov_b32_e32 v126, 0
	ds_read2_b64 v[128:131], v126 offset0:85 offset1:86
	v_cmp_lt_u32_e32 vcc, 23, v0
	s_waitcnt vmcnt(12) lgkmcnt(0)
	v_fma_f64 v[124:125], v[124:125], v[128:129], 0
	s_waitcnt vmcnt(10)
	v_fmac_f64_e32 v[124:125], v[132:133], v[130:131]
	ds_read2_b64 v[128:131], v126 offset0:87 offset1:88
	s_waitcnt vmcnt(8) lgkmcnt(0)
	v_fmac_f64_e32 v[124:125], v[134:135], v[128:129]
	s_waitcnt vmcnt(6)
	v_fmac_f64_e32 v[124:125], v[136:137], v[130:131]
	ds_read2_b64 v[128:131], v126 offset0:89 offset1:90
	s_waitcnt vmcnt(4) lgkmcnt(0)
	v_fmac_f64_e32 v[124:125], v[138:139], v[128:129]
	;; [unrolled: 5-line block ×3, first 2 shown]
	buffer_load_dword v129, off, s[0:3], 0 offset:260
	buffer_load_dword v128, off, s[0:3], 0 offset:256
	buffer_load_dword v133, off, s[0:3], 0 offset:268
	buffer_load_dword v132, off, s[0:3], 0 offset:264
	s_waitcnt vmcnt(2)
	v_fmac_f64_e32 v[124:125], v[128:129], v[130:131]
	ds_read2_b64 v[128:131], v126 offset0:93 offset1:94
	s_waitcnt vmcnt(0) lgkmcnt(0)
	v_fmac_f64_e32 v[124:125], v[132:133], v[128:129]
	buffer_load_dword v129, off, s[0:3], 0 offset:276
	buffer_load_dword v128, off, s[0:3], 0 offset:272
	buffer_load_dword v133, off, s[0:3], 0 offset:284
	buffer_load_dword v132, off, s[0:3], 0 offset:280
	s_waitcnt vmcnt(2)
	v_fmac_f64_e32 v[124:125], v[128:129], v[130:131]
	ds_read2_b64 v[128:131], v126 offset0:95 offset1:96
	s_waitcnt vmcnt(0) lgkmcnt(0)
	v_fmac_f64_e32 v[124:125], v[132:133], v[128:129]
	;; [unrolled: 9-line block ×13, first 2 shown]
	buffer_load_dword v129, off, s[0:3], 0 offset:468
	buffer_load_dword v128, off, s[0:3], 0 offset:464
	s_waitcnt vmcnt(0)
	v_fmac_f64_e32 v[124:125], v[128:129], v[130:131]
	buffer_load_dword v129, off, s[0:3], 0 offset:476
	buffer_load_dword v128, off, s[0:3], 0 offset:472
	ds_read_b64 v[130:131], v126 offset:952
	s_waitcnt vmcnt(0) lgkmcnt(0)
	v_fmac_f64_e32 v[124:125], v[128:129], v[130:131]
	v_add_f64 v[122:123], v[122:123], -v[124:125]
	buffer_store_dword v123, off, s[0:3], 0 offset:196
	buffer_store_dword v122, off, s[0:3], 0 offset:192
	s_and_saveexec_b64 s[4:5], vcc
	s_cbranch_execz .LBB123_321
; %bb.320:
	buffer_load_dword v122, off, s[0:3], 0 offset:184
	buffer_load_dword v123, off, s[0:3], 0 offset:188
	s_waitcnt vmcnt(0)
	ds_write_b64 v1, v[122:123]
	buffer_store_dword v126, off, s[0:3], 0 offset:184
	buffer_store_dword v126, off, s[0:3], 0 offset:188
.LBB123_321:
	s_or_b64 exec, exec, s[4:5]
	s_waitcnt lgkmcnt(0)
	; wave barrier
	s_waitcnt lgkmcnt(0)
	buffer_load_dword v122, off, s[0:3], 0 offset:184
	buffer_load_dword v123, off, s[0:3], 0 offset:188
	;; [unrolled: 1-line block ×16, first 2 shown]
	ds_read_b128 v[128:131], v126 offset:672
	ds_read_b128 v[132:135], v126 offset:688
	;; [unrolled: 1-line block ×4, first 2 shown]
	v_cmp_lt_u32_e32 vcc, 22, v0
	s_waitcnt vmcnt(12) lgkmcnt(3)
	v_fma_f64 v[124:125], v[124:125], v[128:129], 0
	buffer_load_dword v129, off, s[0:3], 0 offset:252
	buffer_load_dword v128, off, s[0:3], 0 offset:248
	s_waitcnt vmcnt(12)
	v_fmac_f64_e32 v[124:125], v[144:145], v[130:131]
	s_waitcnt vmcnt(10) lgkmcnt(2)
	v_fmac_f64_e32 v[124:125], v[146:147], v[132:133]
	buffer_load_dword v133, off, s[0:3], 0 offset:260
	buffer_load_dword v132, off, s[0:3], 0 offset:256
	s_waitcnt vmcnt(10)
	v_fmac_f64_e32 v[124:125], v[148:149], v[134:135]
	s_waitcnt vmcnt(8) lgkmcnt(1)
	v_fmac_f64_e32 v[124:125], v[150:151], v[136:137]
	s_waitcnt vmcnt(6)
	v_fmac_f64_e32 v[124:125], v[152:153], v[138:139]
	s_waitcnt vmcnt(4) lgkmcnt(0)
	v_fmac_f64_e32 v[124:125], v[154:155], v[140:141]
	s_waitcnt vmcnt(2)
	v_fmac_f64_e32 v[124:125], v[128:129], v[142:143]
	ds_read_b128 v[128:131], v126 offset:736
	s_waitcnt vmcnt(0) lgkmcnt(0)
	v_fmac_f64_e32 v[124:125], v[132:133], v[128:129]
	buffer_load_dword v129, off, s[0:3], 0 offset:268
	buffer_load_dword v128, off, s[0:3], 0 offset:264
	buffer_load_dword v133, off, s[0:3], 0 offset:276
	buffer_load_dword v132, off, s[0:3], 0 offset:272
	s_waitcnt vmcnt(2)
	v_fmac_f64_e32 v[124:125], v[128:129], v[130:131]
	ds_read_b128 v[128:131], v126 offset:752
	s_waitcnt vmcnt(0) lgkmcnt(0)
	v_fmac_f64_e32 v[124:125], v[132:133], v[128:129]
	buffer_load_dword v129, off, s[0:3], 0 offset:284
	buffer_load_dword v128, off, s[0:3], 0 offset:280
	buffer_load_dword v133, off, s[0:3], 0 offset:292
	buffer_load_dword v132, off, s[0:3], 0 offset:288
	;; [unrolled: 9-line block ×12, first 2 shown]
	s_waitcnt vmcnt(2)
	v_fmac_f64_e32 v[124:125], v[128:129], v[130:131]
	ds_read_b128 v[128:131], v126 offset:928
	s_waitcnt vmcnt(0) lgkmcnt(0)
	v_fmac_f64_e32 v[124:125], v[132:133], v[128:129]
	buffer_load_dword v129, off, s[0:3], 0 offset:460
	buffer_load_dword v128, off, s[0:3], 0 offset:456
	s_waitcnt vmcnt(0)
	v_fmac_f64_e32 v[124:125], v[128:129], v[130:131]
	buffer_load_dword v131, off, s[0:3], 0 offset:468
	buffer_load_dword v130, off, s[0:3], 0 offset:464
	ds_read_b128 v[126:129], v126 offset:944
	s_waitcnt vmcnt(0) lgkmcnt(0)
	v_fmac_f64_e32 v[124:125], v[130:131], v[126:127]
	buffer_load_dword v127, off, s[0:3], 0 offset:476
	buffer_load_dword v126, off, s[0:3], 0 offset:472
	s_waitcnt vmcnt(0)
	v_fmac_f64_e32 v[124:125], v[126:127], v[128:129]
	v_add_f64 v[122:123], v[122:123], -v[124:125]
	buffer_store_dword v123, off, s[0:3], 0 offset:188
	buffer_store_dword v122, off, s[0:3], 0 offset:184
	s_and_saveexec_b64 s[4:5], vcc
	s_cbranch_execz .LBB123_323
; %bb.322:
	buffer_load_dword v122, off, s[0:3], 0 offset:176
	buffer_load_dword v123, off, s[0:3], 0 offset:180
	v_mov_b32_e32 v124, 0
	buffer_store_dword v124, off, s[0:3], 0 offset:176
	buffer_store_dword v124, off, s[0:3], 0 offset:180
	s_waitcnt vmcnt(2)
	ds_write_b64 v1, v[122:123]
.LBB123_323:
	s_or_b64 exec, exec, s[4:5]
	s_waitcnt lgkmcnt(0)
	; wave barrier
	s_waitcnt lgkmcnt(0)
	buffer_load_dword v122, off, s[0:3], 0 offset:176
	buffer_load_dword v123, off, s[0:3], 0 offset:180
	;; [unrolled: 1-line block ×16, first 2 shown]
	v_mov_b32_e32 v126, 0
	ds_read2_b64 v[128:131], v126 offset0:83 offset1:84
	v_cmp_lt_u32_e32 vcc, 21, v0
	s_waitcnt vmcnt(12) lgkmcnt(0)
	v_fma_f64 v[124:125], v[124:125], v[128:129], 0
	s_waitcnt vmcnt(10)
	v_fmac_f64_e32 v[124:125], v[132:133], v[130:131]
	ds_read2_b64 v[128:131], v126 offset0:85 offset1:86
	s_waitcnt vmcnt(8) lgkmcnt(0)
	v_fmac_f64_e32 v[124:125], v[134:135], v[128:129]
	s_waitcnt vmcnt(6)
	v_fmac_f64_e32 v[124:125], v[136:137], v[130:131]
	ds_read2_b64 v[128:131], v126 offset0:87 offset1:88
	s_waitcnt vmcnt(4) lgkmcnt(0)
	v_fmac_f64_e32 v[124:125], v[138:139], v[128:129]
	;; [unrolled: 5-line block ×3, first 2 shown]
	buffer_load_dword v129, off, s[0:3], 0 offset:244
	buffer_load_dword v128, off, s[0:3], 0 offset:240
	buffer_load_dword v133, off, s[0:3], 0 offset:252
	buffer_load_dword v132, off, s[0:3], 0 offset:248
	s_waitcnt vmcnt(2)
	v_fmac_f64_e32 v[124:125], v[128:129], v[130:131]
	ds_read2_b64 v[128:131], v126 offset0:91 offset1:92
	s_waitcnt vmcnt(0) lgkmcnt(0)
	v_fmac_f64_e32 v[124:125], v[132:133], v[128:129]
	buffer_load_dword v129, off, s[0:3], 0 offset:260
	buffer_load_dword v128, off, s[0:3], 0 offset:256
	buffer_load_dword v133, off, s[0:3], 0 offset:268
	buffer_load_dword v132, off, s[0:3], 0 offset:264
	s_waitcnt vmcnt(2)
	v_fmac_f64_e32 v[124:125], v[128:129], v[130:131]
	ds_read2_b64 v[128:131], v126 offset0:93 offset1:94
	s_waitcnt vmcnt(0) lgkmcnt(0)
	v_fmac_f64_e32 v[124:125], v[132:133], v[128:129]
	;; [unrolled: 9-line block ×14, first 2 shown]
	buffer_load_dword v129, off, s[0:3], 0 offset:468
	buffer_load_dword v128, off, s[0:3], 0 offset:464
	s_waitcnt vmcnt(0)
	v_fmac_f64_e32 v[124:125], v[128:129], v[130:131]
	buffer_load_dword v129, off, s[0:3], 0 offset:476
	buffer_load_dword v128, off, s[0:3], 0 offset:472
	ds_read_b64 v[130:131], v126 offset:952
	s_waitcnt vmcnt(0) lgkmcnt(0)
	v_fmac_f64_e32 v[124:125], v[128:129], v[130:131]
	v_add_f64 v[122:123], v[122:123], -v[124:125]
	buffer_store_dword v123, off, s[0:3], 0 offset:180
	buffer_store_dword v122, off, s[0:3], 0 offset:176
	s_and_saveexec_b64 s[4:5], vcc
	s_cbranch_execz .LBB123_325
; %bb.324:
	buffer_load_dword v122, off, s[0:3], 0 offset:168
	buffer_load_dword v123, off, s[0:3], 0 offset:172
	s_waitcnt vmcnt(0)
	ds_write_b64 v1, v[122:123]
	buffer_store_dword v126, off, s[0:3], 0 offset:168
	buffer_store_dword v126, off, s[0:3], 0 offset:172
.LBB123_325:
	s_or_b64 exec, exec, s[4:5]
	s_waitcnt lgkmcnt(0)
	; wave barrier
	s_waitcnt lgkmcnt(0)
	buffer_load_dword v122, off, s[0:3], 0 offset:168
	buffer_load_dword v123, off, s[0:3], 0 offset:172
	;; [unrolled: 1-line block ×16, first 2 shown]
	ds_read_b128 v[128:131], v126 offset:656
	ds_read_b128 v[132:135], v126 offset:672
	;; [unrolled: 1-line block ×4, first 2 shown]
	v_cmp_lt_u32_e32 vcc, 20, v0
	s_waitcnt vmcnt(12) lgkmcnt(3)
	v_fma_f64 v[124:125], v[124:125], v[128:129], 0
	buffer_load_dword v129, off, s[0:3], 0 offset:236
	buffer_load_dword v128, off, s[0:3], 0 offset:232
	s_waitcnt vmcnt(12)
	v_fmac_f64_e32 v[124:125], v[144:145], v[130:131]
	s_waitcnt vmcnt(10) lgkmcnt(2)
	v_fmac_f64_e32 v[124:125], v[146:147], v[132:133]
	buffer_load_dword v133, off, s[0:3], 0 offset:244
	buffer_load_dword v132, off, s[0:3], 0 offset:240
	s_waitcnt vmcnt(10)
	v_fmac_f64_e32 v[124:125], v[148:149], v[134:135]
	s_waitcnt vmcnt(8) lgkmcnt(1)
	v_fmac_f64_e32 v[124:125], v[150:151], v[136:137]
	s_waitcnt vmcnt(6)
	v_fmac_f64_e32 v[124:125], v[152:153], v[138:139]
	s_waitcnt vmcnt(4) lgkmcnt(0)
	v_fmac_f64_e32 v[124:125], v[154:155], v[140:141]
	s_waitcnt vmcnt(2)
	v_fmac_f64_e32 v[124:125], v[128:129], v[142:143]
	ds_read_b128 v[128:131], v126 offset:720
	s_waitcnt vmcnt(0) lgkmcnt(0)
	v_fmac_f64_e32 v[124:125], v[132:133], v[128:129]
	buffer_load_dword v129, off, s[0:3], 0 offset:252
	buffer_load_dword v128, off, s[0:3], 0 offset:248
	buffer_load_dword v133, off, s[0:3], 0 offset:260
	buffer_load_dword v132, off, s[0:3], 0 offset:256
	s_waitcnt vmcnt(2)
	v_fmac_f64_e32 v[124:125], v[128:129], v[130:131]
	ds_read_b128 v[128:131], v126 offset:736
	s_waitcnt vmcnt(0) lgkmcnt(0)
	v_fmac_f64_e32 v[124:125], v[132:133], v[128:129]
	buffer_load_dword v129, off, s[0:3], 0 offset:268
	buffer_load_dword v128, off, s[0:3], 0 offset:264
	buffer_load_dword v133, off, s[0:3], 0 offset:276
	buffer_load_dword v132, off, s[0:3], 0 offset:272
	;; [unrolled: 9-line block ×13, first 2 shown]
	s_waitcnt vmcnt(2)
	v_fmac_f64_e32 v[124:125], v[128:129], v[130:131]
	ds_read_b128 v[128:131], v126 offset:928
	s_waitcnt vmcnt(0) lgkmcnt(0)
	v_fmac_f64_e32 v[124:125], v[132:133], v[128:129]
	buffer_load_dword v129, off, s[0:3], 0 offset:460
	buffer_load_dword v128, off, s[0:3], 0 offset:456
	s_waitcnt vmcnt(0)
	v_fmac_f64_e32 v[124:125], v[128:129], v[130:131]
	buffer_load_dword v131, off, s[0:3], 0 offset:468
	buffer_load_dword v130, off, s[0:3], 0 offset:464
	ds_read_b128 v[126:129], v126 offset:944
	s_waitcnt vmcnt(0) lgkmcnt(0)
	v_fmac_f64_e32 v[124:125], v[130:131], v[126:127]
	buffer_load_dword v127, off, s[0:3], 0 offset:476
	buffer_load_dword v126, off, s[0:3], 0 offset:472
	s_waitcnt vmcnt(0)
	v_fmac_f64_e32 v[124:125], v[126:127], v[128:129]
	v_add_f64 v[122:123], v[122:123], -v[124:125]
	buffer_store_dword v123, off, s[0:3], 0 offset:172
	buffer_store_dword v122, off, s[0:3], 0 offset:168
	s_and_saveexec_b64 s[4:5], vcc
	s_cbranch_execz .LBB123_327
; %bb.326:
	buffer_load_dword v122, off, s[0:3], 0 offset:160
	buffer_load_dword v123, off, s[0:3], 0 offset:164
	v_mov_b32_e32 v124, 0
	buffer_store_dword v124, off, s[0:3], 0 offset:160
	buffer_store_dword v124, off, s[0:3], 0 offset:164
	s_waitcnt vmcnt(2)
	ds_write_b64 v1, v[122:123]
.LBB123_327:
	s_or_b64 exec, exec, s[4:5]
	s_waitcnt lgkmcnt(0)
	; wave barrier
	s_waitcnt lgkmcnt(0)
	buffer_load_dword v122, off, s[0:3], 0 offset:160
	buffer_load_dword v123, off, s[0:3], 0 offset:164
	buffer_load_dword v124, off, s[0:3], 0 offset:168
	buffer_load_dword v125, off, s[0:3], 0 offset:172
	buffer_load_dword v132, off, s[0:3], 0 offset:176
	buffer_load_dword v133, off, s[0:3], 0 offset:180
	buffer_load_dword v134, off, s[0:3], 0 offset:184
	buffer_load_dword v135, off, s[0:3], 0 offset:188
	buffer_load_dword v136, off, s[0:3], 0 offset:192
	buffer_load_dword v137, off, s[0:3], 0 offset:196
	buffer_load_dword v138, off, s[0:3], 0 offset:200
	buffer_load_dword v139, off, s[0:3], 0 offset:204
	buffer_load_dword v140, off, s[0:3], 0 offset:208
	buffer_load_dword v141, off, s[0:3], 0 offset:212
	buffer_load_dword v142, off, s[0:3], 0 offset:216
	buffer_load_dword v143, off, s[0:3], 0 offset:220
	v_mov_b32_e32 v126, 0
	ds_read2_b64 v[128:131], v126 offset0:81 offset1:82
	v_cmp_lt_u32_e32 vcc, 19, v0
	s_waitcnt vmcnt(12) lgkmcnt(0)
	v_fma_f64 v[124:125], v[124:125], v[128:129], 0
	s_waitcnt vmcnt(10)
	v_fmac_f64_e32 v[124:125], v[132:133], v[130:131]
	ds_read2_b64 v[128:131], v126 offset0:83 offset1:84
	s_waitcnt vmcnt(8) lgkmcnt(0)
	v_fmac_f64_e32 v[124:125], v[134:135], v[128:129]
	s_waitcnt vmcnt(6)
	v_fmac_f64_e32 v[124:125], v[136:137], v[130:131]
	ds_read2_b64 v[128:131], v126 offset0:85 offset1:86
	s_waitcnt vmcnt(4) lgkmcnt(0)
	v_fmac_f64_e32 v[124:125], v[138:139], v[128:129]
	;; [unrolled: 5-line block ×3, first 2 shown]
	buffer_load_dword v129, off, s[0:3], 0 offset:228
	buffer_load_dword v128, off, s[0:3], 0 offset:224
	buffer_load_dword v133, off, s[0:3], 0 offset:236
	buffer_load_dword v132, off, s[0:3], 0 offset:232
	s_waitcnt vmcnt(2)
	v_fmac_f64_e32 v[124:125], v[128:129], v[130:131]
	ds_read2_b64 v[128:131], v126 offset0:89 offset1:90
	s_waitcnt vmcnt(0) lgkmcnt(0)
	v_fmac_f64_e32 v[124:125], v[132:133], v[128:129]
	buffer_load_dword v129, off, s[0:3], 0 offset:244
	buffer_load_dword v128, off, s[0:3], 0 offset:240
	buffer_load_dword v133, off, s[0:3], 0 offset:252
	buffer_load_dword v132, off, s[0:3], 0 offset:248
	s_waitcnt vmcnt(2)
	v_fmac_f64_e32 v[124:125], v[128:129], v[130:131]
	ds_read2_b64 v[128:131], v126 offset0:91 offset1:92
	s_waitcnt vmcnt(0) lgkmcnt(0)
	v_fmac_f64_e32 v[124:125], v[132:133], v[128:129]
	;; [unrolled: 9-line block ×15, first 2 shown]
	buffer_load_dword v129, off, s[0:3], 0 offset:468
	buffer_load_dword v128, off, s[0:3], 0 offset:464
	s_waitcnt vmcnt(0)
	v_fmac_f64_e32 v[124:125], v[128:129], v[130:131]
	buffer_load_dword v129, off, s[0:3], 0 offset:476
	buffer_load_dword v128, off, s[0:3], 0 offset:472
	ds_read_b64 v[130:131], v126 offset:952
	s_waitcnt vmcnt(0) lgkmcnt(0)
	v_fmac_f64_e32 v[124:125], v[128:129], v[130:131]
	v_add_f64 v[122:123], v[122:123], -v[124:125]
	buffer_store_dword v123, off, s[0:3], 0 offset:164
	buffer_store_dword v122, off, s[0:3], 0 offset:160
	s_and_saveexec_b64 s[4:5], vcc
	s_cbranch_execz .LBB123_329
; %bb.328:
	buffer_load_dword v122, off, s[0:3], 0 offset:152
	buffer_load_dword v123, off, s[0:3], 0 offset:156
	s_waitcnt vmcnt(0)
	ds_write_b64 v1, v[122:123]
	buffer_store_dword v126, off, s[0:3], 0 offset:152
	buffer_store_dword v126, off, s[0:3], 0 offset:156
.LBB123_329:
	s_or_b64 exec, exec, s[4:5]
	s_waitcnt lgkmcnt(0)
	; wave barrier
	s_waitcnt lgkmcnt(0)
	buffer_load_dword v122, off, s[0:3], 0 offset:152
	buffer_load_dword v123, off, s[0:3], 0 offset:156
	;; [unrolled: 1-line block ×16, first 2 shown]
	ds_read_b128 v[128:131], v126 offset:640
	ds_read_b128 v[132:135], v126 offset:656
	;; [unrolled: 1-line block ×4, first 2 shown]
	v_cmp_lt_u32_e32 vcc, 18, v0
	s_waitcnt vmcnt(12) lgkmcnt(3)
	v_fma_f64 v[124:125], v[124:125], v[128:129], 0
	buffer_load_dword v129, off, s[0:3], 0 offset:220
	buffer_load_dword v128, off, s[0:3], 0 offset:216
	s_waitcnt vmcnt(12)
	v_fmac_f64_e32 v[124:125], v[144:145], v[130:131]
	s_waitcnt vmcnt(10) lgkmcnt(2)
	v_fmac_f64_e32 v[124:125], v[146:147], v[132:133]
	buffer_load_dword v133, off, s[0:3], 0 offset:228
	buffer_load_dword v132, off, s[0:3], 0 offset:224
	s_waitcnt vmcnt(10)
	v_fmac_f64_e32 v[124:125], v[148:149], v[134:135]
	s_waitcnt vmcnt(8) lgkmcnt(1)
	v_fmac_f64_e32 v[124:125], v[150:151], v[136:137]
	s_waitcnt vmcnt(6)
	v_fmac_f64_e32 v[124:125], v[152:153], v[138:139]
	s_waitcnt vmcnt(4) lgkmcnt(0)
	v_fmac_f64_e32 v[124:125], v[154:155], v[140:141]
	s_waitcnt vmcnt(2)
	v_fmac_f64_e32 v[124:125], v[128:129], v[142:143]
	ds_read_b128 v[128:131], v126 offset:704
	s_waitcnt vmcnt(0) lgkmcnt(0)
	v_fmac_f64_e32 v[124:125], v[132:133], v[128:129]
	buffer_load_dword v129, off, s[0:3], 0 offset:236
	buffer_load_dword v128, off, s[0:3], 0 offset:232
	buffer_load_dword v133, off, s[0:3], 0 offset:244
	buffer_load_dword v132, off, s[0:3], 0 offset:240
	s_waitcnt vmcnt(2)
	v_fmac_f64_e32 v[124:125], v[128:129], v[130:131]
	ds_read_b128 v[128:131], v126 offset:720
	s_waitcnt vmcnt(0) lgkmcnt(0)
	v_fmac_f64_e32 v[124:125], v[132:133], v[128:129]
	buffer_load_dword v129, off, s[0:3], 0 offset:252
	buffer_load_dword v128, off, s[0:3], 0 offset:248
	buffer_load_dword v133, off, s[0:3], 0 offset:260
	buffer_load_dword v132, off, s[0:3], 0 offset:256
	;; [unrolled: 9-line block ×14, first 2 shown]
	s_waitcnt vmcnt(2)
	v_fmac_f64_e32 v[124:125], v[128:129], v[130:131]
	ds_read_b128 v[128:131], v126 offset:928
	s_waitcnt vmcnt(0) lgkmcnt(0)
	v_fmac_f64_e32 v[124:125], v[132:133], v[128:129]
	buffer_load_dword v129, off, s[0:3], 0 offset:460
	buffer_load_dword v128, off, s[0:3], 0 offset:456
	s_waitcnt vmcnt(0)
	v_fmac_f64_e32 v[124:125], v[128:129], v[130:131]
	buffer_load_dword v131, off, s[0:3], 0 offset:468
	buffer_load_dword v130, off, s[0:3], 0 offset:464
	ds_read_b128 v[126:129], v126 offset:944
	s_waitcnt vmcnt(0) lgkmcnt(0)
	v_fmac_f64_e32 v[124:125], v[130:131], v[126:127]
	buffer_load_dword v127, off, s[0:3], 0 offset:476
	buffer_load_dword v126, off, s[0:3], 0 offset:472
	s_waitcnt vmcnt(0)
	v_fmac_f64_e32 v[124:125], v[126:127], v[128:129]
	v_add_f64 v[122:123], v[122:123], -v[124:125]
	buffer_store_dword v123, off, s[0:3], 0 offset:156
	buffer_store_dword v122, off, s[0:3], 0 offset:152
	s_and_saveexec_b64 s[4:5], vcc
	s_cbranch_execz .LBB123_331
; %bb.330:
	buffer_load_dword v122, off, s[0:3], 0 offset:144
	buffer_load_dword v123, off, s[0:3], 0 offset:148
	v_mov_b32_e32 v124, 0
	buffer_store_dword v124, off, s[0:3], 0 offset:144
	buffer_store_dword v124, off, s[0:3], 0 offset:148
	s_waitcnt vmcnt(2)
	ds_write_b64 v1, v[122:123]
.LBB123_331:
	s_or_b64 exec, exec, s[4:5]
	s_waitcnt lgkmcnt(0)
	; wave barrier
	s_waitcnt lgkmcnt(0)
	buffer_load_dword v122, off, s[0:3], 0 offset:144
	buffer_load_dword v123, off, s[0:3], 0 offset:148
	;; [unrolled: 1-line block ×16, first 2 shown]
	v_mov_b32_e32 v126, 0
	ds_read2_b64 v[128:131], v126 offset0:79 offset1:80
	v_cmp_lt_u32_e32 vcc, 17, v0
	s_waitcnt vmcnt(12) lgkmcnt(0)
	v_fma_f64 v[124:125], v[124:125], v[128:129], 0
	s_waitcnt vmcnt(10)
	v_fmac_f64_e32 v[124:125], v[132:133], v[130:131]
	ds_read2_b64 v[128:131], v126 offset0:81 offset1:82
	s_waitcnt vmcnt(8) lgkmcnt(0)
	v_fmac_f64_e32 v[124:125], v[134:135], v[128:129]
	s_waitcnt vmcnt(6)
	v_fmac_f64_e32 v[124:125], v[136:137], v[130:131]
	ds_read2_b64 v[128:131], v126 offset0:83 offset1:84
	s_waitcnt vmcnt(4) lgkmcnt(0)
	v_fmac_f64_e32 v[124:125], v[138:139], v[128:129]
	;; [unrolled: 5-line block ×3, first 2 shown]
	buffer_load_dword v129, off, s[0:3], 0 offset:212
	buffer_load_dword v128, off, s[0:3], 0 offset:208
	buffer_load_dword v133, off, s[0:3], 0 offset:220
	buffer_load_dword v132, off, s[0:3], 0 offset:216
	s_waitcnt vmcnt(2)
	v_fmac_f64_e32 v[124:125], v[128:129], v[130:131]
	ds_read2_b64 v[128:131], v126 offset0:87 offset1:88
	s_waitcnt vmcnt(0) lgkmcnt(0)
	v_fmac_f64_e32 v[124:125], v[132:133], v[128:129]
	buffer_load_dword v129, off, s[0:3], 0 offset:228
	buffer_load_dword v128, off, s[0:3], 0 offset:224
	buffer_load_dword v133, off, s[0:3], 0 offset:236
	buffer_load_dword v132, off, s[0:3], 0 offset:232
	s_waitcnt vmcnt(2)
	v_fmac_f64_e32 v[124:125], v[128:129], v[130:131]
	ds_read2_b64 v[128:131], v126 offset0:89 offset1:90
	s_waitcnt vmcnt(0) lgkmcnt(0)
	v_fmac_f64_e32 v[124:125], v[132:133], v[128:129]
	;; [unrolled: 9-line block ×16, first 2 shown]
	buffer_load_dword v129, off, s[0:3], 0 offset:468
	buffer_load_dword v128, off, s[0:3], 0 offset:464
	s_waitcnt vmcnt(0)
	v_fmac_f64_e32 v[124:125], v[128:129], v[130:131]
	buffer_load_dword v129, off, s[0:3], 0 offset:476
	buffer_load_dword v128, off, s[0:3], 0 offset:472
	ds_read_b64 v[130:131], v126 offset:952
	s_waitcnt vmcnt(0) lgkmcnt(0)
	v_fmac_f64_e32 v[124:125], v[128:129], v[130:131]
	v_add_f64 v[122:123], v[122:123], -v[124:125]
	buffer_store_dword v123, off, s[0:3], 0 offset:148
	buffer_store_dword v122, off, s[0:3], 0 offset:144
	s_and_saveexec_b64 s[4:5], vcc
	s_cbranch_execz .LBB123_333
; %bb.332:
	buffer_load_dword v122, off, s[0:3], 0 offset:136
	buffer_load_dword v123, off, s[0:3], 0 offset:140
	s_waitcnt vmcnt(0)
	ds_write_b64 v1, v[122:123]
	buffer_store_dword v126, off, s[0:3], 0 offset:136
	buffer_store_dword v126, off, s[0:3], 0 offset:140
.LBB123_333:
	s_or_b64 exec, exec, s[4:5]
	s_waitcnt lgkmcnt(0)
	; wave barrier
	s_waitcnt lgkmcnt(0)
	buffer_load_dword v122, off, s[0:3], 0 offset:136
	buffer_load_dword v123, off, s[0:3], 0 offset:140
	;; [unrolled: 1-line block ×16, first 2 shown]
	ds_read_b128 v[128:131], v126 offset:624
	ds_read_b128 v[132:135], v126 offset:640
	ds_read_b128 v[136:139], v126 offset:656
	ds_read_b128 v[140:143], v126 offset:672
	v_cmp_lt_u32_e32 vcc, 16, v0
	s_waitcnt vmcnt(12) lgkmcnt(3)
	v_fma_f64 v[124:125], v[124:125], v[128:129], 0
	buffer_load_dword v129, off, s[0:3], 0 offset:204
	buffer_load_dword v128, off, s[0:3], 0 offset:200
	s_waitcnt vmcnt(12)
	v_fmac_f64_e32 v[124:125], v[144:145], v[130:131]
	s_waitcnt vmcnt(10) lgkmcnt(2)
	v_fmac_f64_e32 v[124:125], v[146:147], v[132:133]
	buffer_load_dword v133, off, s[0:3], 0 offset:212
	buffer_load_dword v132, off, s[0:3], 0 offset:208
	s_waitcnt vmcnt(10)
	v_fmac_f64_e32 v[124:125], v[148:149], v[134:135]
	s_waitcnt vmcnt(8) lgkmcnt(1)
	v_fmac_f64_e32 v[124:125], v[150:151], v[136:137]
	s_waitcnt vmcnt(6)
	v_fmac_f64_e32 v[124:125], v[152:153], v[138:139]
	s_waitcnt vmcnt(4) lgkmcnt(0)
	v_fmac_f64_e32 v[124:125], v[154:155], v[140:141]
	s_waitcnt vmcnt(2)
	v_fmac_f64_e32 v[124:125], v[128:129], v[142:143]
	ds_read_b128 v[128:131], v126 offset:688
	s_waitcnt vmcnt(0) lgkmcnt(0)
	v_fmac_f64_e32 v[124:125], v[132:133], v[128:129]
	buffer_load_dword v129, off, s[0:3], 0 offset:220
	buffer_load_dword v128, off, s[0:3], 0 offset:216
	buffer_load_dword v133, off, s[0:3], 0 offset:228
	buffer_load_dword v132, off, s[0:3], 0 offset:224
	s_waitcnt vmcnt(2)
	v_fmac_f64_e32 v[124:125], v[128:129], v[130:131]
	ds_read_b128 v[128:131], v126 offset:704
	s_waitcnt vmcnt(0) lgkmcnt(0)
	v_fmac_f64_e32 v[124:125], v[132:133], v[128:129]
	buffer_load_dword v129, off, s[0:3], 0 offset:236
	buffer_load_dword v128, off, s[0:3], 0 offset:232
	buffer_load_dword v133, off, s[0:3], 0 offset:244
	buffer_load_dword v132, off, s[0:3], 0 offset:240
	;; [unrolled: 9-line block ×15, first 2 shown]
	s_waitcnt vmcnt(2)
	v_fmac_f64_e32 v[124:125], v[128:129], v[130:131]
	ds_read_b128 v[128:131], v126 offset:928
	s_waitcnt vmcnt(0) lgkmcnt(0)
	v_fmac_f64_e32 v[124:125], v[132:133], v[128:129]
	buffer_load_dword v129, off, s[0:3], 0 offset:460
	buffer_load_dword v128, off, s[0:3], 0 offset:456
	s_waitcnt vmcnt(0)
	v_fmac_f64_e32 v[124:125], v[128:129], v[130:131]
	buffer_load_dword v131, off, s[0:3], 0 offset:468
	buffer_load_dword v130, off, s[0:3], 0 offset:464
	ds_read_b128 v[126:129], v126 offset:944
	s_waitcnt vmcnt(0) lgkmcnt(0)
	v_fmac_f64_e32 v[124:125], v[130:131], v[126:127]
	buffer_load_dword v127, off, s[0:3], 0 offset:476
	buffer_load_dword v126, off, s[0:3], 0 offset:472
	s_waitcnt vmcnt(0)
	v_fmac_f64_e32 v[124:125], v[126:127], v[128:129]
	v_add_f64 v[122:123], v[122:123], -v[124:125]
	buffer_store_dword v123, off, s[0:3], 0 offset:140
	buffer_store_dword v122, off, s[0:3], 0 offset:136
	s_and_saveexec_b64 s[4:5], vcc
	s_cbranch_execz .LBB123_335
; %bb.334:
	buffer_load_dword v122, off, s[0:3], 0 offset:128
	buffer_load_dword v123, off, s[0:3], 0 offset:132
	v_mov_b32_e32 v124, 0
	buffer_store_dword v124, off, s[0:3], 0 offset:128
	buffer_store_dword v124, off, s[0:3], 0 offset:132
	s_waitcnt vmcnt(2)
	ds_write_b64 v1, v[122:123]
.LBB123_335:
	s_or_b64 exec, exec, s[4:5]
	s_waitcnt lgkmcnt(0)
	; wave barrier
	s_waitcnt lgkmcnt(0)
	buffer_load_dword v122, off, s[0:3], 0 offset:128
	buffer_load_dword v123, off, s[0:3], 0 offset:132
	;; [unrolled: 1-line block ×16, first 2 shown]
	v_mov_b32_e32 v126, 0
	ds_read2_b64 v[128:131], v126 offset0:77 offset1:78
	v_cmp_lt_u32_e32 vcc, 15, v0
	s_waitcnt vmcnt(12) lgkmcnt(0)
	v_fma_f64 v[124:125], v[124:125], v[128:129], 0
	s_waitcnt vmcnt(10)
	v_fmac_f64_e32 v[124:125], v[132:133], v[130:131]
	ds_read2_b64 v[128:131], v126 offset0:79 offset1:80
	s_waitcnt vmcnt(8) lgkmcnt(0)
	v_fmac_f64_e32 v[124:125], v[134:135], v[128:129]
	s_waitcnt vmcnt(6)
	v_fmac_f64_e32 v[124:125], v[136:137], v[130:131]
	ds_read2_b64 v[128:131], v126 offset0:81 offset1:82
	s_waitcnt vmcnt(4) lgkmcnt(0)
	v_fmac_f64_e32 v[124:125], v[138:139], v[128:129]
	;; [unrolled: 5-line block ×3, first 2 shown]
	buffer_load_dword v129, off, s[0:3], 0 offset:196
	buffer_load_dword v128, off, s[0:3], 0 offset:192
	buffer_load_dword v133, off, s[0:3], 0 offset:204
	buffer_load_dword v132, off, s[0:3], 0 offset:200
	s_waitcnt vmcnt(2)
	v_fmac_f64_e32 v[124:125], v[128:129], v[130:131]
	ds_read2_b64 v[128:131], v126 offset0:85 offset1:86
	s_waitcnt vmcnt(0) lgkmcnt(0)
	v_fmac_f64_e32 v[124:125], v[132:133], v[128:129]
	buffer_load_dword v129, off, s[0:3], 0 offset:212
	buffer_load_dword v128, off, s[0:3], 0 offset:208
	buffer_load_dword v133, off, s[0:3], 0 offset:220
	buffer_load_dword v132, off, s[0:3], 0 offset:216
	s_waitcnt vmcnt(2)
	v_fmac_f64_e32 v[124:125], v[128:129], v[130:131]
	ds_read2_b64 v[128:131], v126 offset0:87 offset1:88
	s_waitcnt vmcnt(0) lgkmcnt(0)
	v_fmac_f64_e32 v[124:125], v[132:133], v[128:129]
	;; [unrolled: 9-line block ×17, first 2 shown]
	buffer_load_dword v129, off, s[0:3], 0 offset:468
	buffer_load_dword v128, off, s[0:3], 0 offset:464
	s_waitcnt vmcnt(0)
	v_fmac_f64_e32 v[124:125], v[128:129], v[130:131]
	buffer_load_dword v129, off, s[0:3], 0 offset:476
	buffer_load_dword v128, off, s[0:3], 0 offset:472
	ds_read_b64 v[130:131], v126 offset:952
	s_waitcnt vmcnt(0) lgkmcnt(0)
	v_fmac_f64_e32 v[124:125], v[128:129], v[130:131]
	v_add_f64 v[122:123], v[122:123], -v[124:125]
	buffer_store_dword v123, off, s[0:3], 0 offset:132
	buffer_store_dword v122, off, s[0:3], 0 offset:128
	s_and_saveexec_b64 s[4:5], vcc
	s_cbranch_execz .LBB123_337
; %bb.336:
	buffer_load_dword v122, off, s[0:3], 0 offset:120
	buffer_load_dword v123, off, s[0:3], 0 offset:124
	s_waitcnt vmcnt(0)
	ds_write_b64 v1, v[122:123]
	buffer_store_dword v126, off, s[0:3], 0 offset:120
	buffer_store_dword v126, off, s[0:3], 0 offset:124
.LBB123_337:
	s_or_b64 exec, exec, s[4:5]
	s_waitcnt lgkmcnt(0)
	; wave barrier
	s_waitcnt lgkmcnt(0)
	buffer_load_dword v122, off, s[0:3], 0 offset:120
	buffer_load_dword v123, off, s[0:3], 0 offset:124
	;; [unrolled: 1-line block ×16, first 2 shown]
	ds_read_b128 v[128:131], v126 offset:608
	ds_read_b128 v[132:135], v126 offset:624
	ds_read_b128 v[136:139], v126 offset:640
	ds_read_b128 v[140:143], v126 offset:656
	v_cmp_lt_u32_e32 vcc, 14, v0
	s_waitcnt vmcnt(12) lgkmcnt(3)
	v_fma_f64 v[124:125], v[124:125], v[128:129], 0
	buffer_load_dword v129, off, s[0:3], 0 offset:188
	buffer_load_dword v128, off, s[0:3], 0 offset:184
	s_waitcnt vmcnt(12)
	v_fmac_f64_e32 v[124:125], v[144:145], v[130:131]
	s_waitcnt vmcnt(10) lgkmcnt(2)
	v_fmac_f64_e32 v[124:125], v[146:147], v[132:133]
	buffer_load_dword v133, off, s[0:3], 0 offset:196
	buffer_load_dword v132, off, s[0:3], 0 offset:192
	s_waitcnt vmcnt(10)
	v_fmac_f64_e32 v[124:125], v[148:149], v[134:135]
	s_waitcnt vmcnt(8) lgkmcnt(1)
	v_fmac_f64_e32 v[124:125], v[150:151], v[136:137]
	s_waitcnt vmcnt(6)
	v_fmac_f64_e32 v[124:125], v[152:153], v[138:139]
	s_waitcnt vmcnt(4) lgkmcnt(0)
	v_fmac_f64_e32 v[124:125], v[154:155], v[140:141]
	s_waitcnt vmcnt(2)
	v_fmac_f64_e32 v[124:125], v[128:129], v[142:143]
	ds_read_b128 v[128:131], v126 offset:672
	s_waitcnt vmcnt(0) lgkmcnt(0)
	v_fmac_f64_e32 v[124:125], v[132:133], v[128:129]
	buffer_load_dword v129, off, s[0:3], 0 offset:204
	buffer_load_dword v128, off, s[0:3], 0 offset:200
	buffer_load_dword v133, off, s[0:3], 0 offset:212
	buffer_load_dword v132, off, s[0:3], 0 offset:208
	s_waitcnt vmcnt(2)
	v_fmac_f64_e32 v[124:125], v[128:129], v[130:131]
	ds_read_b128 v[128:131], v126 offset:688
	s_waitcnt vmcnt(0) lgkmcnt(0)
	v_fmac_f64_e32 v[124:125], v[132:133], v[128:129]
	buffer_load_dword v129, off, s[0:3], 0 offset:220
	buffer_load_dword v128, off, s[0:3], 0 offset:216
	buffer_load_dword v133, off, s[0:3], 0 offset:228
	buffer_load_dword v132, off, s[0:3], 0 offset:224
	;; [unrolled: 9-line block ×16, first 2 shown]
	s_waitcnt vmcnt(2)
	v_fmac_f64_e32 v[124:125], v[128:129], v[130:131]
	ds_read_b128 v[128:131], v126 offset:928
	s_waitcnt vmcnt(0) lgkmcnt(0)
	v_fmac_f64_e32 v[124:125], v[132:133], v[128:129]
	buffer_load_dword v129, off, s[0:3], 0 offset:460
	buffer_load_dword v128, off, s[0:3], 0 offset:456
	s_waitcnt vmcnt(0)
	v_fmac_f64_e32 v[124:125], v[128:129], v[130:131]
	buffer_load_dword v131, off, s[0:3], 0 offset:468
	buffer_load_dword v130, off, s[0:3], 0 offset:464
	ds_read_b128 v[126:129], v126 offset:944
	s_waitcnt vmcnt(0) lgkmcnt(0)
	v_fmac_f64_e32 v[124:125], v[130:131], v[126:127]
	buffer_load_dword v127, off, s[0:3], 0 offset:476
	buffer_load_dword v126, off, s[0:3], 0 offset:472
	s_waitcnt vmcnt(0)
	v_fmac_f64_e32 v[124:125], v[126:127], v[128:129]
	v_add_f64 v[122:123], v[122:123], -v[124:125]
	buffer_store_dword v123, off, s[0:3], 0 offset:124
	buffer_store_dword v122, off, s[0:3], 0 offset:120
	s_and_saveexec_b64 s[4:5], vcc
	s_cbranch_execz .LBB123_339
; %bb.338:
	buffer_load_dword v122, off, s[0:3], 0 offset:112
	buffer_load_dword v123, off, s[0:3], 0 offset:116
	v_mov_b32_e32 v124, 0
	buffer_store_dword v124, off, s[0:3], 0 offset:112
	buffer_store_dword v124, off, s[0:3], 0 offset:116
	s_waitcnt vmcnt(2)
	ds_write_b64 v1, v[122:123]
.LBB123_339:
	s_or_b64 exec, exec, s[4:5]
	s_waitcnt lgkmcnt(0)
	; wave barrier
	s_waitcnt lgkmcnt(0)
	buffer_load_dword v122, off, s[0:3], 0 offset:112
	buffer_load_dword v123, off, s[0:3], 0 offset:116
	;; [unrolled: 1-line block ×16, first 2 shown]
	v_mov_b32_e32 v126, 0
	ds_read2_b64 v[128:131], v126 offset0:75 offset1:76
	v_cmp_lt_u32_e32 vcc, 13, v0
	s_waitcnt vmcnt(12) lgkmcnt(0)
	v_fma_f64 v[124:125], v[124:125], v[128:129], 0
	s_waitcnt vmcnt(10)
	v_fmac_f64_e32 v[124:125], v[132:133], v[130:131]
	ds_read2_b64 v[128:131], v126 offset0:77 offset1:78
	s_waitcnt vmcnt(8) lgkmcnt(0)
	v_fmac_f64_e32 v[124:125], v[134:135], v[128:129]
	s_waitcnt vmcnt(6)
	v_fmac_f64_e32 v[124:125], v[136:137], v[130:131]
	ds_read2_b64 v[128:131], v126 offset0:79 offset1:80
	s_waitcnt vmcnt(4) lgkmcnt(0)
	v_fmac_f64_e32 v[124:125], v[138:139], v[128:129]
	;; [unrolled: 5-line block ×3, first 2 shown]
	buffer_load_dword v129, off, s[0:3], 0 offset:180
	buffer_load_dword v128, off, s[0:3], 0 offset:176
	buffer_load_dword v133, off, s[0:3], 0 offset:188
	buffer_load_dword v132, off, s[0:3], 0 offset:184
	s_waitcnt vmcnt(2)
	v_fmac_f64_e32 v[124:125], v[128:129], v[130:131]
	ds_read2_b64 v[128:131], v126 offset0:83 offset1:84
	s_waitcnt vmcnt(0) lgkmcnt(0)
	v_fmac_f64_e32 v[124:125], v[132:133], v[128:129]
	buffer_load_dword v129, off, s[0:3], 0 offset:196
	buffer_load_dword v128, off, s[0:3], 0 offset:192
	buffer_load_dword v133, off, s[0:3], 0 offset:204
	buffer_load_dword v132, off, s[0:3], 0 offset:200
	s_waitcnt vmcnt(2)
	v_fmac_f64_e32 v[124:125], v[128:129], v[130:131]
	ds_read2_b64 v[128:131], v126 offset0:85 offset1:86
	s_waitcnt vmcnt(0) lgkmcnt(0)
	v_fmac_f64_e32 v[124:125], v[132:133], v[128:129]
	;; [unrolled: 9-line block ×18, first 2 shown]
	buffer_load_dword v129, off, s[0:3], 0 offset:468
	buffer_load_dword v128, off, s[0:3], 0 offset:464
	s_waitcnt vmcnt(0)
	v_fmac_f64_e32 v[124:125], v[128:129], v[130:131]
	buffer_load_dword v129, off, s[0:3], 0 offset:476
	buffer_load_dword v128, off, s[0:3], 0 offset:472
	ds_read_b64 v[130:131], v126 offset:952
	s_waitcnt vmcnt(0) lgkmcnt(0)
	v_fmac_f64_e32 v[124:125], v[128:129], v[130:131]
	v_add_f64 v[122:123], v[122:123], -v[124:125]
	buffer_store_dword v123, off, s[0:3], 0 offset:116
	buffer_store_dword v122, off, s[0:3], 0 offset:112
	s_and_saveexec_b64 s[4:5], vcc
	s_cbranch_execz .LBB123_341
; %bb.340:
	buffer_load_dword v122, off, s[0:3], 0 offset:104
	buffer_load_dword v123, off, s[0:3], 0 offset:108
	s_waitcnt vmcnt(0)
	ds_write_b64 v1, v[122:123]
	buffer_store_dword v126, off, s[0:3], 0 offset:104
	buffer_store_dword v126, off, s[0:3], 0 offset:108
.LBB123_341:
	s_or_b64 exec, exec, s[4:5]
	s_waitcnt lgkmcnt(0)
	; wave barrier
	s_waitcnt lgkmcnt(0)
	buffer_load_dword v122, off, s[0:3], 0 offset:104
	buffer_load_dword v123, off, s[0:3], 0 offset:108
	;; [unrolled: 1-line block ×16, first 2 shown]
	ds_read_b128 v[128:131], v126 offset:592
	ds_read_b128 v[132:135], v126 offset:608
	;; [unrolled: 1-line block ×4, first 2 shown]
	v_cmp_lt_u32_e32 vcc, 12, v0
	s_waitcnt vmcnt(12) lgkmcnt(3)
	v_fma_f64 v[124:125], v[124:125], v[128:129], 0
	buffer_load_dword v129, off, s[0:3], 0 offset:172
	buffer_load_dword v128, off, s[0:3], 0 offset:168
	s_waitcnt vmcnt(12)
	v_fmac_f64_e32 v[124:125], v[144:145], v[130:131]
	s_waitcnt vmcnt(10) lgkmcnt(2)
	v_fmac_f64_e32 v[124:125], v[146:147], v[132:133]
	buffer_load_dword v133, off, s[0:3], 0 offset:180
	buffer_load_dword v132, off, s[0:3], 0 offset:176
	s_waitcnt vmcnt(10)
	v_fmac_f64_e32 v[124:125], v[148:149], v[134:135]
	s_waitcnt vmcnt(8) lgkmcnt(1)
	v_fmac_f64_e32 v[124:125], v[150:151], v[136:137]
	s_waitcnt vmcnt(6)
	v_fmac_f64_e32 v[124:125], v[152:153], v[138:139]
	s_waitcnt vmcnt(4) lgkmcnt(0)
	v_fmac_f64_e32 v[124:125], v[154:155], v[140:141]
	s_waitcnt vmcnt(2)
	v_fmac_f64_e32 v[124:125], v[128:129], v[142:143]
	ds_read_b128 v[128:131], v126 offset:656
	s_waitcnt vmcnt(0) lgkmcnt(0)
	v_fmac_f64_e32 v[124:125], v[132:133], v[128:129]
	buffer_load_dword v129, off, s[0:3], 0 offset:188
	buffer_load_dword v128, off, s[0:3], 0 offset:184
	buffer_load_dword v133, off, s[0:3], 0 offset:196
	buffer_load_dword v132, off, s[0:3], 0 offset:192
	s_waitcnt vmcnt(2)
	v_fmac_f64_e32 v[124:125], v[128:129], v[130:131]
	ds_read_b128 v[128:131], v126 offset:672
	s_waitcnt vmcnt(0) lgkmcnt(0)
	v_fmac_f64_e32 v[124:125], v[132:133], v[128:129]
	buffer_load_dword v129, off, s[0:3], 0 offset:204
	buffer_load_dword v128, off, s[0:3], 0 offset:200
	buffer_load_dword v133, off, s[0:3], 0 offset:212
	buffer_load_dword v132, off, s[0:3], 0 offset:208
	;; [unrolled: 9-line block ×17, first 2 shown]
	s_waitcnt vmcnt(2)
	v_fmac_f64_e32 v[124:125], v[128:129], v[130:131]
	ds_read_b128 v[128:131], v126 offset:928
	s_waitcnt vmcnt(0) lgkmcnt(0)
	v_fmac_f64_e32 v[124:125], v[132:133], v[128:129]
	buffer_load_dword v129, off, s[0:3], 0 offset:460
	buffer_load_dword v128, off, s[0:3], 0 offset:456
	s_waitcnt vmcnt(0)
	v_fmac_f64_e32 v[124:125], v[128:129], v[130:131]
	buffer_load_dword v131, off, s[0:3], 0 offset:468
	buffer_load_dword v130, off, s[0:3], 0 offset:464
	ds_read_b128 v[126:129], v126 offset:944
	s_waitcnt vmcnt(0) lgkmcnt(0)
	v_fmac_f64_e32 v[124:125], v[130:131], v[126:127]
	buffer_load_dword v127, off, s[0:3], 0 offset:476
	buffer_load_dword v126, off, s[0:3], 0 offset:472
	s_waitcnt vmcnt(0)
	v_fmac_f64_e32 v[124:125], v[126:127], v[128:129]
	v_add_f64 v[122:123], v[122:123], -v[124:125]
	buffer_store_dword v123, off, s[0:3], 0 offset:108
	buffer_store_dword v122, off, s[0:3], 0 offset:104
	s_and_saveexec_b64 s[4:5], vcc
	s_cbranch_execz .LBB123_343
; %bb.342:
	buffer_load_dword v122, off, s[0:3], 0 offset:96
	buffer_load_dword v123, off, s[0:3], 0 offset:100
	v_mov_b32_e32 v124, 0
	buffer_store_dword v124, off, s[0:3], 0 offset:96
	buffer_store_dword v124, off, s[0:3], 0 offset:100
	s_waitcnt vmcnt(2)
	ds_write_b64 v1, v[122:123]
.LBB123_343:
	s_or_b64 exec, exec, s[4:5]
	s_waitcnt lgkmcnt(0)
	; wave barrier
	s_waitcnt lgkmcnt(0)
	buffer_load_dword v122, off, s[0:3], 0 offset:96
	buffer_load_dword v123, off, s[0:3], 0 offset:100
	;; [unrolled: 1-line block ×16, first 2 shown]
	v_mov_b32_e32 v126, 0
	ds_read2_b64 v[128:131], v126 offset0:73 offset1:74
	v_cmp_lt_u32_e32 vcc, 11, v0
	s_waitcnt vmcnt(12) lgkmcnt(0)
	v_fma_f64 v[124:125], v[124:125], v[128:129], 0
	s_waitcnt vmcnt(10)
	v_fmac_f64_e32 v[124:125], v[132:133], v[130:131]
	ds_read2_b64 v[128:131], v126 offset0:75 offset1:76
	s_waitcnt vmcnt(8) lgkmcnt(0)
	v_fmac_f64_e32 v[124:125], v[134:135], v[128:129]
	s_waitcnt vmcnt(6)
	v_fmac_f64_e32 v[124:125], v[136:137], v[130:131]
	ds_read2_b64 v[128:131], v126 offset0:77 offset1:78
	s_waitcnt vmcnt(4) lgkmcnt(0)
	v_fmac_f64_e32 v[124:125], v[138:139], v[128:129]
	;; [unrolled: 5-line block ×3, first 2 shown]
	buffer_load_dword v129, off, s[0:3], 0 offset:164
	buffer_load_dword v128, off, s[0:3], 0 offset:160
	buffer_load_dword v133, off, s[0:3], 0 offset:172
	buffer_load_dword v132, off, s[0:3], 0 offset:168
	s_waitcnt vmcnt(2)
	v_fmac_f64_e32 v[124:125], v[128:129], v[130:131]
	ds_read2_b64 v[128:131], v126 offset0:81 offset1:82
	s_waitcnt vmcnt(0) lgkmcnt(0)
	v_fmac_f64_e32 v[124:125], v[132:133], v[128:129]
	buffer_load_dword v129, off, s[0:3], 0 offset:180
	buffer_load_dword v128, off, s[0:3], 0 offset:176
	buffer_load_dword v133, off, s[0:3], 0 offset:188
	buffer_load_dword v132, off, s[0:3], 0 offset:184
	s_waitcnt vmcnt(2)
	v_fmac_f64_e32 v[124:125], v[128:129], v[130:131]
	ds_read2_b64 v[128:131], v126 offset0:83 offset1:84
	s_waitcnt vmcnt(0) lgkmcnt(0)
	v_fmac_f64_e32 v[124:125], v[132:133], v[128:129]
	buffer_load_dword v129, off, s[0:3], 0 offset:196
	buffer_load_dword v128, off, s[0:3], 0 offset:192
	buffer_load_dword v133, off, s[0:3], 0 offset:204
	buffer_load_dword v132, off, s[0:3], 0 offset:200
	s_waitcnt vmcnt(2)
	v_fmac_f64_e32 v[124:125], v[128:129], v[130:131]
	ds_read2_b64 v[128:131], v126 offset0:85 offset1:86
	s_waitcnt vmcnt(0) lgkmcnt(0)
	v_fmac_f64_e32 v[124:125], v[132:133], v[128:129]
	buffer_load_dword v129, off, s[0:3], 0 offset:212
	buffer_load_dword v128, off, s[0:3], 0 offset:208
	buffer_load_dword v133, off, s[0:3], 0 offset:220
	buffer_load_dword v132, off, s[0:3], 0 offset:216
	s_waitcnt vmcnt(2)
	v_fmac_f64_e32 v[124:125], v[128:129], v[130:131]
	ds_read2_b64 v[128:131], v126 offset0:87 offset1:88
	s_waitcnt vmcnt(0) lgkmcnt(0)
	v_fmac_f64_e32 v[124:125], v[132:133], v[128:129]
	buffer_load_dword v129, off, s[0:3], 0 offset:228
	buffer_load_dword v128, off, s[0:3], 0 offset:224
	buffer_load_dword v133, off, s[0:3], 0 offset:236
	buffer_load_dword v132, off, s[0:3], 0 offset:232
	s_waitcnt vmcnt(2)
	v_fmac_f64_e32 v[124:125], v[128:129], v[130:131]
	ds_read2_b64 v[128:131], v126 offset0:89 offset1:90
	s_waitcnt vmcnt(0) lgkmcnt(0)
	v_fmac_f64_e32 v[124:125], v[132:133], v[128:129]
	buffer_load_dword v129, off, s[0:3], 0 offset:244
	buffer_load_dword v128, off, s[0:3], 0 offset:240
	buffer_load_dword v133, off, s[0:3], 0 offset:252
	buffer_load_dword v132, off, s[0:3], 0 offset:248
	s_waitcnt vmcnt(2)
	v_fmac_f64_e32 v[124:125], v[128:129], v[130:131]
	ds_read2_b64 v[128:131], v126 offset0:91 offset1:92
	s_waitcnt vmcnt(0) lgkmcnt(0)
	v_fmac_f64_e32 v[124:125], v[132:133], v[128:129]
	buffer_load_dword v129, off, s[0:3], 0 offset:260
	buffer_load_dword v128, off, s[0:3], 0 offset:256
	buffer_load_dword v133, off, s[0:3], 0 offset:268
	buffer_load_dword v132, off, s[0:3], 0 offset:264
	s_waitcnt vmcnt(2)
	v_fmac_f64_e32 v[124:125], v[128:129], v[130:131]
	ds_read2_b64 v[128:131], v126 offset0:93 offset1:94
	s_waitcnt vmcnt(0) lgkmcnt(0)
	v_fmac_f64_e32 v[124:125], v[132:133], v[128:129]
	buffer_load_dword v129, off, s[0:3], 0 offset:276
	buffer_load_dword v128, off, s[0:3], 0 offset:272
	buffer_load_dword v133, off, s[0:3], 0 offset:284
	buffer_load_dword v132, off, s[0:3], 0 offset:280
	s_waitcnt vmcnt(2)
	v_fmac_f64_e32 v[124:125], v[128:129], v[130:131]
	ds_read2_b64 v[128:131], v126 offset0:95 offset1:96
	s_waitcnt vmcnt(0) lgkmcnt(0)
	v_fmac_f64_e32 v[124:125], v[132:133], v[128:129]
	buffer_load_dword v129, off, s[0:3], 0 offset:292
	buffer_load_dword v128, off, s[0:3], 0 offset:288
	buffer_load_dword v133, off, s[0:3], 0 offset:300
	buffer_load_dword v132, off, s[0:3], 0 offset:296
	s_waitcnt vmcnt(2)
	v_fmac_f64_e32 v[124:125], v[128:129], v[130:131]
	ds_read2_b64 v[128:131], v126 offset0:97 offset1:98
	s_waitcnt vmcnt(0) lgkmcnt(0)
	v_fmac_f64_e32 v[124:125], v[132:133], v[128:129]
	buffer_load_dword v129, off, s[0:3], 0 offset:308
	buffer_load_dword v128, off, s[0:3], 0 offset:304
	buffer_load_dword v133, off, s[0:3], 0 offset:316
	buffer_load_dword v132, off, s[0:3], 0 offset:312
	s_waitcnt vmcnt(2)
	v_fmac_f64_e32 v[124:125], v[128:129], v[130:131]
	ds_read2_b64 v[128:131], v126 offset0:99 offset1:100
	s_waitcnt vmcnt(0) lgkmcnt(0)
	v_fmac_f64_e32 v[124:125], v[132:133], v[128:129]
	buffer_load_dword v129, off, s[0:3], 0 offset:324
	buffer_load_dword v128, off, s[0:3], 0 offset:320
	buffer_load_dword v133, off, s[0:3], 0 offset:332
	buffer_load_dword v132, off, s[0:3], 0 offset:328
	s_waitcnt vmcnt(2)
	v_fmac_f64_e32 v[124:125], v[128:129], v[130:131]
	ds_read2_b64 v[128:131], v126 offset0:101 offset1:102
	s_waitcnt vmcnt(0) lgkmcnt(0)
	v_fmac_f64_e32 v[124:125], v[132:133], v[128:129]
	buffer_load_dword v129, off, s[0:3], 0 offset:340
	buffer_load_dword v128, off, s[0:3], 0 offset:336
	buffer_load_dword v133, off, s[0:3], 0 offset:348
	buffer_load_dword v132, off, s[0:3], 0 offset:344
	s_waitcnt vmcnt(2)
	v_fmac_f64_e32 v[124:125], v[128:129], v[130:131]
	ds_read2_b64 v[128:131], v126 offset0:103 offset1:104
	s_waitcnt vmcnt(0) lgkmcnt(0)
	v_fmac_f64_e32 v[124:125], v[132:133], v[128:129]
	buffer_load_dword v129, off, s[0:3], 0 offset:356
	buffer_load_dword v128, off, s[0:3], 0 offset:352
	buffer_load_dword v133, off, s[0:3], 0 offset:364
	buffer_load_dword v132, off, s[0:3], 0 offset:360
	s_waitcnt vmcnt(2)
	v_fmac_f64_e32 v[124:125], v[128:129], v[130:131]
	ds_read2_b64 v[128:131], v126 offset0:105 offset1:106
	s_waitcnt vmcnt(0) lgkmcnt(0)
	v_fmac_f64_e32 v[124:125], v[132:133], v[128:129]
	buffer_load_dword v129, off, s[0:3], 0 offset:372
	buffer_load_dword v128, off, s[0:3], 0 offset:368
	buffer_load_dword v133, off, s[0:3], 0 offset:380
	buffer_load_dword v132, off, s[0:3], 0 offset:376
	s_waitcnt vmcnt(2)
	v_fmac_f64_e32 v[124:125], v[128:129], v[130:131]
	ds_read2_b64 v[128:131], v126 offset0:107 offset1:108
	s_waitcnt vmcnt(0) lgkmcnt(0)
	v_fmac_f64_e32 v[124:125], v[132:133], v[128:129]
	buffer_load_dword v129, off, s[0:3], 0 offset:388
	buffer_load_dword v128, off, s[0:3], 0 offset:384
	buffer_load_dword v133, off, s[0:3], 0 offset:396
	buffer_load_dword v132, off, s[0:3], 0 offset:392
	s_waitcnt vmcnt(2)
	v_fmac_f64_e32 v[124:125], v[128:129], v[130:131]
	ds_read2_b64 v[128:131], v126 offset0:109 offset1:110
	s_waitcnt vmcnt(0) lgkmcnt(0)
	v_fmac_f64_e32 v[124:125], v[132:133], v[128:129]
	buffer_load_dword v129, off, s[0:3], 0 offset:404
	buffer_load_dword v128, off, s[0:3], 0 offset:400
	buffer_load_dword v133, off, s[0:3], 0 offset:412
	buffer_load_dword v132, off, s[0:3], 0 offset:408
	s_waitcnt vmcnt(2)
	v_fmac_f64_e32 v[124:125], v[128:129], v[130:131]
	ds_read2_b64 v[128:131], v126 offset0:111 offset1:112
	s_waitcnt vmcnt(0) lgkmcnt(0)
	v_fmac_f64_e32 v[124:125], v[132:133], v[128:129]
	buffer_load_dword v129, off, s[0:3], 0 offset:420
	buffer_load_dword v128, off, s[0:3], 0 offset:416
	buffer_load_dword v133, off, s[0:3], 0 offset:428
	buffer_load_dword v132, off, s[0:3], 0 offset:424
	s_waitcnt vmcnt(2)
	v_fmac_f64_e32 v[124:125], v[128:129], v[130:131]
	ds_read2_b64 v[128:131], v126 offset0:113 offset1:114
	s_waitcnt vmcnt(0) lgkmcnt(0)
	v_fmac_f64_e32 v[124:125], v[132:133], v[128:129]
	buffer_load_dword v129, off, s[0:3], 0 offset:436
	buffer_load_dword v128, off, s[0:3], 0 offset:432
	buffer_load_dword v133, off, s[0:3], 0 offset:444
	buffer_load_dword v132, off, s[0:3], 0 offset:440
	s_waitcnt vmcnt(2)
	v_fmac_f64_e32 v[124:125], v[128:129], v[130:131]
	ds_read2_b64 v[128:131], v126 offset0:115 offset1:116
	s_waitcnt vmcnt(0) lgkmcnt(0)
	v_fmac_f64_e32 v[124:125], v[132:133], v[128:129]
	buffer_load_dword v129, off, s[0:3], 0 offset:452
	buffer_load_dword v128, off, s[0:3], 0 offset:448
	buffer_load_dword v133, off, s[0:3], 0 offset:460
	buffer_load_dword v132, off, s[0:3], 0 offset:456
	s_waitcnt vmcnt(2)
	v_fmac_f64_e32 v[124:125], v[128:129], v[130:131]
	ds_read2_b64 v[128:131], v126 offset0:117 offset1:118
	s_waitcnt vmcnt(0) lgkmcnt(0)
	v_fmac_f64_e32 v[124:125], v[132:133], v[128:129]
	buffer_load_dword v129, off, s[0:3], 0 offset:468
	buffer_load_dword v128, off, s[0:3], 0 offset:464
	s_waitcnt vmcnt(0)
	v_fmac_f64_e32 v[124:125], v[128:129], v[130:131]
	buffer_load_dword v129, off, s[0:3], 0 offset:476
	buffer_load_dword v128, off, s[0:3], 0 offset:472
	ds_read_b64 v[130:131], v126 offset:952
	s_waitcnt vmcnt(0) lgkmcnt(0)
	v_fmac_f64_e32 v[124:125], v[128:129], v[130:131]
	v_add_f64 v[122:123], v[122:123], -v[124:125]
	buffer_store_dword v123, off, s[0:3], 0 offset:100
	buffer_store_dword v122, off, s[0:3], 0 offset:96
	s_and_saveexec_b64 s[4:5], vcc
	s_cbranch_execz .LBB123_345
; %bb.344:
	buffer_load_dword v122, off, s[0:3], 0 offset:88
	buffer_load_dword v123, off, s[0:3], 0 offset:92
	s_waitcnt vmcnt(0)
	ds_write_b64 v1, v[122:123]
	buffer_store_dword v126, off, s[0:3], 0 offset:88
	buffer_store_dword v126, off, s[0:3], 0 offset:92
.LBB123_345:
	s_or_b64 exec, exec, s[4:5]
	s_waitcnt lgkmcnt(0)
	; wave barrier
	s_waitcnt lgkmcnt(0)
	buffer_load_dword v122, off, s[0:3], 0 offset:88
	buffer_load_dword v123, off, s[0:3], 0 offset:92
	;; [unrolled: 1-line block ×16, first 2 shown]
	ds_read_b128 v[128:131], v126 offset:576
	ds_read_b128 v[132:135], v126 offset:592
	;; [unrolled: 1-line block ×4, first 2 shown]
	v_cmp_lt_u32_e32 vcc, 10, v0
	s_waitcnt vmcnt(12) lgkmcnt(3)
	v_fma_f64 v[124:125], v[124:125], v[128:129], 0
	buffer_load_dword v129, off, s[0:3], 0 offset:156
	buffer_load_dword v128, off, s[0:3], 0 offset:152
	s_waitcnt vmcnt(12)
	v_fmac_f64_e32 v[124:125], v[144:145], v[130:131]
	s_waitcnt vmcnt(10) lgkmcnt(2)
	v_fmac_f64_e32 v[124:125], v[146:147], v[132:133]
	buffer_load_dword v133, off, s[0:3], 0 offset:164
	buffer_load_dword v132, off, s[0:3], 0 offset:160
	s_waitcnt vmcnt(10)
	v_fmac_f64_e32 v[124:125], v[148:149], v[134:135]
	s_waitcnt vmcnt(8) lgkmcnt(1)
	v_fmac_f64_e32 v[124:125], v[150:151], v[136:137]
	s_waitcnt vmcnt(6)
	v_fmac_f64_e32 v[124:125], v[152:153], v[138:139]
	s_waitcnt vmcnt(4) lgkmcnt(0)
	v_fmac_f64_e32 v[124:125], v[154:155], v[140:141]
	s_waitcnt vmcnt(2)
	v_fmac_f64_e32 v[124:125], v[128:129], v[142:143]
	ds_read_b128 v[128:131], v126 offset:640
	s_waitcnt vmcnt(0) lgkmcnt(0)
	v_fmac_f64_e32 v[124:125], v[132:133], v[128:129]
	buffer_load_dword v129, off, s[0:3], 0 offset:172
	buffer_load_dword v128, off, s[0:3], 0 offset:168
	buffer_load_dword v133, off, s[0:3], 0 offset:180
	buffer_load_dword v132, off, s[0:3], 0 offset:176
	s_waitcnt vmcnt(2)
	v_fmac_f64_e32 v[124:125], v[128:129], v[130:131]
	ds_read_b128 v[128:131], v126 offset:656
	s_waitcnt vmcnt(0) lgkmcnt(0)
	v_fmac_f64_e32 v[124:125], v[132:133], v[128:129]
	buffer_load_dword v129, off, s[0:3], 0 offset:188
	buffer_load_dword v128, off, s[0:3], 0 offset:184
	buffer_load_dword v133, off, s[0:3], 0 offset:196
	buffer_load_dword v132, off, s[0:3], 0 offset:192
	;; [unrolled: 9-line block ×18, first 2 shown]
	s_waitcnt vmcnt(2)
	v_fmac_f64_e32 v[124:125], v[128:129], v[130:131]
	ds_read_b128 v[128:131], v126 offset:928
	s_waitcnt vmcnt(0) lgkmcnt(0)
	v_fmac_f64_e32 v[124:125], v[132:133], v[128:129]
	buffer_load_dword v129, off, s[0:3], 0 offset:460
	buffer_load_dword v128, off, s[0:3], 0 offset:456
	s_waitcnt vmcnt(0)
	v_fmac_f64_e32 v[124:125], v[128:129], v[130:131]
	buffer_load_dword v131, off, s[0:3], 0 offset:468
	buffer_load_dword v130, off, s[0:3], 0 offset:464
	ds_read_b128 v[126:129], v126 offset:944
	s_waitcnt vmcnt(0) lgkmcnt(0)
	v_fmac_f64_e32 v[124:125], v[130:131], v[126:127]
	buffer_load_dword v127, off, s[0:3], 0 offset:476
	buffer_load_dword v126, off, s[0:3], 0 offset:472
	s_waitcnt vmcnt(0)
	v_fmac_f64_e32 v[124:125], v[126:127], v[128:129]
	v_add_f64 v[122:123], v[122:123], -v[124:125]
	buffer_store_dword v123, off, s[0:3], 0 offset:92
	buffer_store_dword v122, off, s[0:3], 0 offset:88
	s_and_saveexec_b64 s[4:5], vcc
	s_cbranch_execz .LBB123_347
; %bb.346:
	buffer_load_dword v122, off, s[0:3], 0 offset:80
	buffer_load_dword v123, off, s[0:3], 0 offset:84
	v_mov_b32_e32 v124, 0
	buffer_store_dword v124, off, s[0:3], 0 offset:80
	buffer_store_dword v124, off, s[0:3], 0 offset:84
	s_waitcnt vmcnt(2)
	ds_write_b64 v1, v[122:123]
.LBB123_347:
	s_or_b64 exec, exec, s[4:5]
	s_waitcnt lgkmcnt(0)
	; wave barrier
	s_waitcnt lgkmcnt(0)
	buffer_load_dword v122, off, s[0:3], 0 offset:80
	buffer_load_dword v123, off, s[0:3], 0 offset:84
	;; [unrolled: 1-line block ×16, first 2 shown]
	v_mov_b32_e32 v126, 0
	ds_read2_b64 v[128:131], v126 offset0:71 offset1:72
	v_cmp_lt_u32_e32 vcc, 9, v0
	s_waitcnt vmcnt(12) lgkmcnt(0)
	v_fma_f64 v[124:125], v[124:125], v[128:129], 0
	s_waitcnt vmcnt(10)
	v_fmac_f64_e32 v[124:125], v[132:133], v[130:131]
	ds_read2_b64 v[128:131], v126 offset0:73 offset1:74
	s_waitcnt vmcnt(8) lgkmcnt(0)
	v_fmac_f64_e32 v[124:125], v[134:135], v[128:129]
	s_waitcnt vmcnt(6)
	v_fmac_f64_e32 v[124:125], v[136:137], v[130:131]
	ds_read2_b64 v[128:131], v126 offset0:75 offset1:76
	s_waitcnt vmcnt(4) lgkmcnt(0)
	v_fmac_f64_e32 v[124:125], v[138:139], v[128:129]
	;; [unrolled: 5-line block ×3, first 2 shown]
	buffer_load_dword v129, off, s[0:3], 0 offset:148
	buffer_load_dword v128, off, s[0:3], 0 offset:144
	buffer_load_dword v133, off, s[0:3], 0 offset:156
	buffer_load_dword v132, off, s[0:3], 0 offset:152
	s_waitcnt vmcnt(2)
	v_fmac_f64_e32 v[124:125], v[128:129], v[130:131]
	ds_read2_b64 v[128:131], v126 offset0:79 offset1:80
	s_waitcnt vmcnt(0) lgkmcnt(0)
	v_fmac_f64_e32 v[124:125], v[132:133], v[128:129]
	buffer_load_dword v129, off, s[0:3], 0 offset:164
	buffer_load_dword v128, off, s[0:3], 0 offset:160
	buffer_load_dword v133, off, s[0:3], 0 offset:172
	buffer_load_dword v132, off, s[0:3], 0 offset:168
	s_waitcnt vmcnt(2)
	v_fmac_f64_e32 v[124:125], v[128:129], v[130:131]
	ds_read2_b64 v[128:131], v126 offset0:81 offset1:82
	s_waitcnt vmcnt(0) lgkmcnt(0)
	v_fmac_f64_e32 v[124:125], v[132:133], v[128:129]
	;; [unrolled: 9-line block ×20, first 2 shown]
	buffer_load_dword v129, off, s[0:3], 0 offset:468
	buffer_load_dword v128, off, s[0:3], 0 offset:464
	s_waitcnt vmcnt(0)
	v_fmac_f64_e32 v[124:125], v[128:129], v[130:131]
	buffer_load_dword v129, off, s[0:3], 0 offset:476
	buffer_load_dword v128, off, s[0:3], 0 offset:472
	ds_read_b64 v[130:131], v126 offset:952
	s_waitcnt vmcnt(0) lgkmcnt(0)
	v_fmac_f64_e32 v[124:125], v[128:129], v[130:131]
	v_add_f64 v[122:123], v[122:123], -v[124:125]
	buffer_store_dword v123, off, s[0:3], 0 offset:84
	buffer_store_dword v122, off, s[0:3], 0 offset:80
	s_and_saveexec_b64 s[4:5], vcc
	s_cbranch_execz .LBB123_349
; %bb.348:
	buffer_load_dword v122, off, s[0:3], 0 offset:72
	buffer_load_dword v123, off, s[0:3], 0 offset:76
	s_waitcnt vmcnt(0)
	ds_write_b64 v1, v[122:123]
	buffer_store_dword v126, off, s[0:3], 0 offset:72
	buffer_store_dword v126, off, s[0:3], 0 offset:76
.LBB123_349:
	s_or_b64 exec, exec, s[4:5]
	s_waitcnt lgkmcnt(0)
	; wave barrier
	s_waitcnt lgkmcnt(0)
	buffer_load_dword v122, off, s[0:3], 0 offset:72
	buffer_load_dword v123, off, s[0:3], 0 offset:76
	;; [unrolled: 1-line block ×16, first 2 shown]
	ds_read_b128 v[128:131], v126 offset:560
	v_cmp_lt_u32_e32 vcc, 8, v0
	s_waitcnt vmcnt(12) lgkmcnt(0)
	v_fma_f64 v[124:125], v[124:125], v[128:129], 0
	s_waitcnt vmcnt(10)
	v_fmac_f64_e32 v[124:125], v[132:133], v[130:131]
	ds_read_b128 v[128:131], v126 offset:576
	s_waitcnt vmcnt(8) lgkmcnt(0)
	v_fmac_f64_e32 v[124:125], v[134:135], v[128:129]
	s_waitcnt vmcnt(6)
	v_fmac_f64_e32 v[124:125], v[136:137], v[130:131]
	ds_read_b128 v[128:131], v126 offset:592
	s_waitcnt vmcnt(4) lgkmcnt(0)
	v_fmac_f64_e32 v[124:125], v[138:139], v[128:129]
	;; [unrolled: 5-line block ×3, first 2 shown]
	buffer_load_dword v129, off, s[0:3], 0 offset:140
	buffer_load_dword v128, off, s[0:3], 0 offset:136
	buffer_load_dword v133, off, s[0:3], 0 offset:148
	buffer_load_dword v132, off, s[0:3], 0 offset:144
	s_waitcnt vmcnt(2)
	v_fmac_f64_e32 v[124:125], v[128:129], v[130:131]
	ds_read_b128 v[128:131], v126 offset:624
	s_waitcnt vmcnt(0) lgkmcnt(0)
	v_fmac_f64_e32 v[124:125], v[132:133], v[128:129]
	buffer_load_dword v129, off, s[0:3], 0 offset:156
	buffer_load_dword v128, off, s[0:3], 0 offset:152
	buffer_load_dword v133, off, s[0:3], 0 offset:164
	buffer_load_dword v132, off, s[0:3], 0 offset:160
	s_waitcnt vmcnt(2)
	v_fmac_f64_e32 v[124:125], v[128:129], v[130:131]
	ds_read_b128 v[128:131], v126 offset:640
	s_waitcnt vmcnt(0) lgkmcnt(0)
	v_fmac_f64_e32 v[124:125], v[132:133], v[128:129]
	;; [unrolled: 9-line block ×20, first 2 shown]
	buffer_load_dword v129, off, s[0:3], 0 offset:460
	buffer_load_dword v128, off, s[0:3], 0 offset:456
	s_waitcnt vmcnt(0)
	v_fmac_f64_e32 v[124:125], v[128:129], v[130:131]
	buffer_load_dword v131, off, s[0:3], 0 offset:468
	buffer_load_dword v130, off, s[0:3], 0 offset:464
	ds_read_b128 v[126:129], v126 offset:944
	s_waitcnt vmcnt(0) lgkmcnt(0)
	v_fmac_f64_e32 v[124:125], v[130:131], v[126:127]
	buffer_load_dword v127, off, s[0:3], 0 offset:476
	buffer_load_dword v126, off, s[0:3], 0 offset:472
	s_waitcnt vmcnt(0)
	v_fmac_f64_e32 v[124:125], v[126:127], v[128:129]
	v_add_f64 v[122:123], v[122:123], -v[124:125]
	buffer_store_dword v123, off, s[0:3], 0 offset:76
	buffer_store_dword v122, off, s[0:3], 0 offset:72
	s_and_saveexec_b64 s[4:5], vcc
	s_cbranch_execz .LBB123_351
; %bb.350:
	buffer_load_dword v122, off, s[0:3], 0 offset:64
	buffer_load_dword v123, off, s[0:3], 0 offset:68
	v_mov_b32_e32 v124, 0
	buffer_store_dword v124, off, s[0:3], 0 offset:64
	buffer_store_dword v124, off, s[0:3], 0 offset:68
	s_waitcnt vmcnt(2)
	ds_write_b64 v1, v[122:123]
.LBB123_351:
	s_or_b64 exec, exec, s[4:5]
	s_waitcnt lgkmcnt(0)
	; wave barrier
	s_waitcnt lgkmcnt(0)
	buffer_load_dword v122, off, s[0:3], 0 offset:64
	buffer_load_dword v123, off, s[0:3], 0 offset:68
	buffer_load_dword v124, off, s[0:3], 0 offset:72
	buffer_load_dword v125, off, s[0:3], 0 offset:76
	buffer_load_dword v132, off, s[0:3], 0 offset:80
	buffer_load_dword v133, off, s[0:3], 0 offset:84
	buffer_load_dword v134, off, s[0:3], 0 offset:88
	buffer_load_dword v135, off, s[0:3], 0 offset:92
	buffer_load_dword v136, off, s[0:3], 0 offset:96
	buffer_load_dword v137, off, s[0:3], 0 offset:100
	buffer_load_dword v138, off, s[0:3], 0 offset:104
	buffer_load_dword v139, off, s[0:3], 0 offset:108
	buffer_load_dword v140, off, s[0:3], 0 offset:112
	buffer_load_dword v141, off, s[0:3], 0 offset:116
	buffer_load_dword v142, off, s[0:3], 0 offset:120
	buffer_load_dword v143, off, s[0:3], 0 offset:124
	v_mov_b32_e32 v126, 0
	ds_read2_b64 v[128:131], v126 offset0:69 offset1:70
	v_cmp_lt_u32_e32 vcc, 7, v0
	s_waitcnt vmcnt(12) lgkmcnt(0)
	v_fma_f64 v[124:125], v[124:125], v[128:129], 0
	s_waitcnt vmcnt(10)
	v_fmac_f64_e32 v[124:125], v[132:133], v[130:131]
	ds_read2_b64 v[128:131], v126 offset0:71 offset1:72
	s_waitcnt vmcnt(8) lgkmcnt(0)
	v_fmac_f64_e32 v[124:125], v[134:135], v[128:129]
	s_waitcnt vmcnt(6)
	v_fmac_f64_e32 v[124:125], v[136:137], v[130:131]
	ds_read2_b64 v[128:131], v126 offset0:73 offset1:74
	s_waitcnt vmcnt(4) lgkmcnt(0)
	v_fmac_f64_e32 v[124:125], v[138:139], v[128:129]
	;; [unrolled: 5-line block ×3, first 2 shown]
	buffer_load_dword v129, off, s[0:3], 0 offset:132
	buffer_load_dword v128, off, s[0:3], 0 offset:128
	buffer_load_dword v133, off, s[0:3], 0 offset:140
	buffer_load_dword v132, off, s[0:3], 0 offset:136
	s_waitcnt vmcnt(2)
	v_fmac_f64_e32 v[124:125], v[128:129], v[130:131]
	ds_read2_b64 v[128:131], v126 offset0:77 offset1:78
	s_waitcnt vmcnt(0) lgkmcnt(0)
	v_fmac_f64_e32 v[124:125], v[132:133], v[128:129]
	buffer_load_dword v129, off, s[0:3], 0 offset:148
	buffer_load_dword v128, off, s[0:3], 0 offset:144
	buffer_load_dword v133, off, s[0:3], 0 offset:156
	buffer_load_dword v132, off, s[0:3], 0 offset:152
	s_waitcnt vmcnt(2)
	v_fmac_f64_e32 v[124:125], v[128:129], v[130:131]
	ds_read2_b64 v[128:131], v126 offset0:79 offset1:80
	s_waitcnt vmcnt(0) lgkmcnt(0)
	v_fmac_f64_e32 v[124:125], v[132:133], v[128:129]
	buffer_load_dword v129, off, s[0:3], 0 offset:164
	buffer_load_dword v128, off, s[0:3], 0 offset:160
	buffer_load_dword v133, off, s[0:3], 0 offset:172
	buffer_load_dword v132, off, s[0:3], 0 offset:168
	s_waitcnt vmcnt(2)
	v_fmac_f64_e32 v[124:125], v[128:129], v[130:131]
	ds_read2_b64 v[128:131], v126 offset0:81 offset1:82
	s_waitcnt vmcnt(0) lgkmcnt(0)
	v_fmac_f64_e32 v[124:125], v[132:133], v[128:129]
	buffer_load_dword v129, off, s[0:3], 0 offset:180
	buffer_load_dword v128, off, s[0:3], 0 offset:176
	buffer_load_dword v133, off, s[0:3], 0 offset:188
	buffer_load_dword v132, off, s[0:3], 0 offset:184
	s_waitcnt vmcnt(2)
	v_fmac_f64_e32 v[124:125], v[128:129], v[130:131]
	ds_read2_b64 v[128:131], v126 offset0:83 offset1:84
	s_waitcnt vmcnt(0) lgkmcnt(0)
	v_fmac_f64_e32 v[124:125], v[132:133], v[128:129]
	buffer_load_dword v129, off, s[0:3], 0 offset:196
	buffer_load_dword v128, off, s[0:3], 0 offset:192
	buffer_load_dword v133, off, s[0:3], 0 offset:204
	buffer_load_dword v132, off, s[0:3], 0 offset:200
	s_waitcnt vmcnt(2)
	v_fmac_f64_e32 v[124:125], v[128:129], v[130:131]
	ds_read2_b64 v[128:131], v126 offset0:85 offset1:86
	s_waitcnt vmcnt(0) lgkmcnt(0)
	v_fmac_f64_e32 v[124:125], v[132:133], v[128:129]
	buffer_load_dword v129, off, s[0:3], 0 offset:212
	buffer_load_dword v128, off, s[0:3], 0 offset:208
	buffer_load_dword v133, off, s[0:3], 0 offset:220
	buffer_load_dword v132, off, s[0:3], 0 offset:216
	s_waitcnt vmcnt(2)
	v_fmac_f64_e32 v[124:125], v[128:129], v[130:131]
	ds_read2_b64 v[128:131], v126 offset0:87 offset1:88
	s_waitcnt vmcnt(0) lgkmcnt(0)
	v_fmac_f64_e32 v[124:125], v[132:133], v[128:129]
	buffer_load_dword v129, off, s[0:3], 0 offset:228
	buffer_load_dword v128, off, s[0:3], 0 offset:224
	buffer_load_dword v133, off, s[0:3], 0 offset:236
	buffer_load_dword v132, off, s[0:3], 0 offset:232
	s_waitcnt vmcnt(2)
	v_fmac_f64_e32 v[124:125], v[128:129], v[130:131]
	ds_read2_b64 v[128:131], v126 offset0:89 offset1:90
	s_waitcnt vmcnt(0) lgkmcnt(0)
	v_fmac_f64_e32 v[124:125], v[132:133], v[128:129]
	buffer_load_dword v129, off, s[0:3], 0 offset:244
	buffer_load_dword v128, off, s[0:3], 0 offset:240
	buffer_load_dword v133, off, s[0:3], 0 offset:252
	buffer_load_dword v132, off, s[0:3], 0 offset:248
	s_waitcnt vmcnt(2)
	v_fmac_f64_e32 v[124:125], v[128:129], v[130:131]
	ds_read2_b64 v[128:131], v126 offset0:91 offset1:92
	s_waitcnt vmcnt(0) lgkmcnt(0)
	v_fmac_f64_e32 v[124:125], v[132:133], v[128:129]
	buffer_load_dword v129, off, s[0:3], 0 offset:260
	buffer_load_dword v128, off, s[0:3], 0 offset:256
	buffer_load_dword v133, off, s[0:3], 0 offset:268
	buffer_load_dword v132, off, s[0:3], 0 offset:264
	s_waitcnt vmcnt(2)
	v_fmac_f64_e32 v[124:125], v[128:129], v[130:131]
	ds_read2_b64 v[128:131], v126 offset0:93 offset1:94
	s_waitcnt vmcnt(0) lgkmcnt(0)
	v_fmac_f64_e32 v[124:125], v[132:133], v[128:129]
	buffer_load_dword v129, off, s[0:3], 0 offset:276
	buffer_load_dword v128, off, s[0:3], 0 offset:272
	buffer_load_dword v133, off, s[0:3], 0 offset:284
	buffer_load_dword v132, off, s[0:3], 0 offset:280
	s_waitcnt vmcnt(2)
	v_fmac_f64_e32 v[124:125], v[128:129], v[130:131]
	ds_read2_b64 v[128:131], v126 offset0:95 offset1:96
	s_waitcnt vmcnt(0) lgkmcnt(0)
	v_fmac_f64_e32 v[124:125], v[132:133], v[128:129]
	buffer_load_dword v129, off, s[0:3], 0 offset:292
	buffer_load_dword v128, off, s[0:3], 0 offset:288
	buffer_load_dword v133, off, s[0:3], 0 offset:300
	buffer_load_dword v132, off, s[0:3], 0 offset:296
	s_waitcnt vmcnt(2)
	v_fmac_f64_e32 v[124:125], v[128:129], v[130:131]
	ds_read2_b64 v[128:131], v126 offset0:97 offset1:98
	s_waitcnt vmcnt(0) lgkmcnt(0)
	v_fmac_f64_e32 v[124:125], v[132:133], v[128:129]
	buffer_load_dword v129, off, s[0:3], 0 offset:308
	buffer_load_dword v128, off, s[0:3], 0 offset:304
	buffer_load_dword v133, off, s[0:3], 0 offset:316
	buffer_load_dword v132, off, s[0:3], 0 offset:312
	s_waitcnt vmcnt(2)
	v_fmac_f64_e32 v[124:125], v[128:129], v[130:131]
	ds_read2_b64 v[128:131], v126 offset0:99 offset1:100
	s_waitcnt vmcnt(0) lgkmcnt(0)
	v_fmac_f64_e32 v[124:125], v[132:133], v[128:129]
	buffer_load_dword v129, off, s[0:3], 0 offset:324
	buffer_load_dword v128, off, s[0:3], 0 offset:320
	buffer_load_dword v133, off, s[0:3], 0 offset:332
	buffer_load_dword v132, off, s[0:3], 0 offset:328
	s_waitcnt vmcnt(2)
	v_fmac_f64_e32 v[124:125], v[128:129], v[130:131]
	ds_read2_b64 v[128:131], v126 offset0:101 offset1:102
	s_waitcnt vmcnt(0) lgkmcnt(0)
	v_fmac_f64_e32 v[124:125], v[132:133], v[128:129]
	buffer_load_dword v129, off, s[0:3], 0 offset:340
	buffer_load_dword v128, off, s[0:3], 0 offset:336
	buffer_load_dword v133, off, s[0:3], 0 offset:348
	buffer_load_dword v132, off, s[0:3], 0 offset:344
	s_waitcnt vmcnt(2)
	v_fmac_f64_e32 v[124:125], v[128:129], v[130:131]
	ds_read2_b64 v[128:131], v126 offset0:103 offset1:104
	s_waitcnt vmcnt(0) lgkmcnt(0)
	v_fmac_f64_e32 v[124:125], v[132:133], v[128:129]
	buffer_load_dword v129, off, s[0:3], 0 offset:356
	buffer_load_dword v128, off, s[0:3], 0 offset:352
	buffer_load_dword v133, off, s[0:3], 0 offset:364
	buffer_load_dword v132, off, s[0:3], 0 offset:360
	s_waitcnt vmcnt(2)
	v_fmac_f64_e32 v[124:125], v[128:129], v[130:131]
	ds_read2_b64 v[128:131], v126 offset0:105 offset1:106
	s_waitcnt vmcnt(0) lgkmcnt(0)
	v_fmac_f64_e32 v[124:125], v[132:133], v[128:129]
	buffer_load_dword v129, off, s[0:3], 0 offset:372
	buffer_load_dword v128, off, s[0:3], 0 offset:368
	buffer_load_dword v133, off, s[0:3], 0 offset:380
	buffer_load_dword v132, off, s[0:3], 0 offset:376
	s_waitcnt vmcnt(2)
	v_fmac_f64_e32 v[124:125], v[128:129], v[130:131]
	ds_read2_b64 v[128:131], v126 offset0:107 offset1:108
	s_waitcnt vmcnt(0) lgkmcnt(0)
	v_fmac_f64_e32 v[124:125], v[132:133], v[128:129]
	buffer_load_dword v129, off, s[0:3], 0 offset:388
	buffer_load_dword v128, off, s[0:3], 0 offset:384
	buffer_load_dword v133, off, s[0:3], 0 offset:396
	buffer_load_dword v132, off, s[0:3], 0 offset:392
	s_waitcnt vmcnt(2)
	v_fmac_f64_e32 v[124:125], v[128:129], v[130:131]
	ds_read2_b64 v[128:131], v126 offset0:109 offset1:110
	s_waitcnt vmcnt(0) lgkmcnt(0)
	v_fmac_f64_e32 v[124:125], v[132:133], v[128:129]
	buffer_load_dword v129, off, s[0:3], 0 offset:404
	buffer_load_dword v128, off, s[0:3], 0 offset:400
	buffer_load_dword v133, off, s[0:3], 0 offset:412
	buffer_load_dword v132, off, s[0:3], 0 offset:408
	s_waitcnt vmcnt(2)
	v_fmac_f64_e32 v[124:125], v[128:129], v[130:131]
	ds_read2_b64 v[128:131], v126 offset0:111 offset1:112
	s_waitcnt vmcnt(0) lgkmcnt(0)
	v_fmac_f64_e32 v[124:125], v[132:133], v[128:129]
	buffer_load_dword v129, off, s[0:3], 0 offset:420
	buffer_load_dword v128, off, s[0:3], 0 offset:416
	buffer_load_dword v133, off, s[0:3], 0 offset:428
	buffer_load_dword v132, off, s[0:3], 0 offset:424
	s_waitcnt vmcnt(2)
	v_fmac_f64_e32 v[124:125], v[128:129], v[130:131]
	ds_read2_b64 v[128:131], v126 offset0:113 offset1:114
	s_waitcnt vmcnt(0) lgkmcnt(0)
	v_fmac_f64_e32 v[124:125], v[132:133], v[128:129]
	buffer_load_dword v129, off, s[0:3], 0 offset:436
	buffer_load_dword v128, off, s[0:3], 0 offset:432
	buffer_load_dword v133, off, s[0:3], 0 offset:444
	buffer_load_dword v132, off, s[0:3], 0 offset:440
	s_waitcnt vmcnt(2)
	v_fmac_f64_e32 v[124:125], v[128:129], v[130:131]
	ds_read2_b64 v[128:131], v126 offset0:115 offset1:116
	s_waitcnt vmcnt(0) lgkmcnt(0)
	v_fmac_f64_e32 v[124:125], v[132:133], v[128:129]
	buffer_load_dword v129, off, s[0:3], 0 offset:452
	buffer_load_dword v128, off, s[0:3], 0 offset:448
	buffer_load_dword v133, off, s[0:3], 0 offset:460
	buffer_load_dword v132, off, s[0:3], 0 offset:456
	s_waitcnt vmcnt(2)
	v_fmac_f64_e32 v[124:125], v[128:129], v[130:131]
	ds_read2_b64 v[128:131], v126 offset0:117 offset1:118
	s_waitcnt vmcnt(0) lgkmcnt(0)
	v_fmac_f64_e32 v[124:125], v[132:133], v[128:129]
	buffer_load_dword v129, off, s[0:3], 0 offset:468
	buffer_load_dword v128, off, s[0:3], 0 offset:464
	s_waitcnt vmcnt(0)
	v_fmac_f64_e32 v[124:125], v[128:129], v[130:131]
	buffer_load_dword v129, off, s[0:3], 0 offset:476
	buffer_load_dword v128, off, s[0:3], 0 offset:472
	ds_read_b64 v[130:131], v126 offset:952
	s_waitcnt vmcnt(0) lgkmcnt(0)
	v_fmac_f64_e32 v[124:125], v[128:129], v[130:131]
	v_add_f64 v[122:123], v[122:123], -v[124:125]
	buffer_store_dword v123, off, s[0:3], 0 offset:68
	buffer_store_dword v122, off, s[0:3], 0 offset:64
	s_and_saveexec_b64 s[4:5], vcc
	s_cbranch_execz .LBB123_353
; %bb.352:
	buffer_load_dword v122, off, s[0:3], 0 offset:56
	buffer_load_dword v123, off, s[0:3], 0 offset:60
	s_waitcnt vmcnt(0)
	ds_write_b64 v1, v[122:123]
	buffer_store_dword v126, off, s[0:3], 0 offset:56
	buffer_store_dword v126, off, s[0:3], 0 offset:60
.LBB123_353:
	s_or_b64 exec, exec, s[4:5]
	s_waitcnt lgkmcnt(0)
	; wave barrier
	s_waitcnt lgkmcnt(0)
	buffer_load_dword v122, off, s[0:3], 0 offset:56
	buffer_load_dword v123, off, s[0:3], 0 offset:60
	;; [unrolled: 1-line block ×16, first 2 shown]
	ds_read_b128 v[128:131], v126 offset:544
	v_cmp_lt_u32_e32 vcc, 6, v0
	s_waitcnt vmcnt(12) lgkmcnt(0)
	v_fma_f64 v[124:125], v[124:125], v[128:129], 0
	s_waitcnt vmcnt(10)
	v_fmac_f64_e32 v[124:125], v[132:133], v[130:131]
	ds_read_b128 v[128:131], v126 offset:560
	s_waitcnt vmcnt(8) lgkmcnt(0)
	v_fmac_f64_e32 v[124:125], v[134:135], v[128:129]
	s_waitcnt vmcnt(6)
	v_fmac_f64_e32 v[124:125], v[136:137], v[130:131]
	ds_read_b128 v[128:131], v126 offset:576
	s_waitcnt vmcnt(4) lgkmcnt(0)
	v_fmac_f64_e32 v[124:125], v[138:139], v[128:129]
	s_waitcnt vmcnt(2)
	v_fmac_f64_e32 v[124:125], v[140:141], v[130:131]
	ds_read_b128 v[128:131], v126 offset:592
	s_waitcnt vmcnt(0) lgkmcnt(0)
	v_fmac_f64_e32 v[124:125], v[142:143], v[128:129]
	buffer_load_dword v129, off, s[0:3], 0 offset:124
	buffer_load_dword v128, off, s[0:3], 0 offset:120
	buffer_load_dword v133, off, s[0:3], 0 offset:132
	buffer_load_dword v132, off, s[0:3], 0 offset:128
	s_waitcnt vmcnt(2)
	v_fmac_f64_e32 v[124:125], v[128:129], v[130:131]
	ds_read_b128 v[128:131], v126 offset:608
	s_waitcnt vmcnt(0) lgkmcnt(0)
	v_fmac_f64_e32 v[124:125], v[132:133], v[128:129]
	buffer_load_dword v129, off, s[0:3], 0 offset:140
	buffer_load_dword v128, off, s[0:3], 0 offset:136
	buffer_load_dword v133, off, s[0:3], 0 offset:148
	buffer_load_dword v132, off, s[0:3], 0 offset:144
	s_waitcnt vmcnt(2)
	v_fmac_f64_e32 v[124:125], v[128:129], v[130:131]
	ds_read_b128 v[128:131], v126 offset:624
	s_waitcnt vmcnt(0) lgkmcnt(0)
	v_fmac_f64_e32 v[124:125], v[132:133], v[128:129]
	;; [unrolled: 9-line block ×21, first 2 shown]
	buffer_load_dword v129, off, s[0:3], 0 offset:460
	buffer_load_dword v128, off, s[0:3], 0 offset:456
	s_waitcnt vmcnt(0)
	v_fmac_f64_e32 v[124:125], v[128:129], v[130:131]
	buffer_load_dword v131, off, s[0:3], 0 offset:468
	buffer_load_dword v130, off, s[0:3], 0 offset:464
	ds_read_b128 v[126:129], v126 offset:944
	s_waitcnt vmcnt(0) lgkmcnt(0)
	v_fmac_f64_e32 v[124:125], v[130:131], v[126:127]
	buffer_load_dword v127, off, s[0:3], 0 offset:476
	buffer_load_dword v126, off, s[0:3], 0 offset:472
	s_waitcnt vmcnt(0)
	v_fmac_f64_e32 v[124:125], v[126:127], v[128:129]
	v_add_f64 v[122:123], v[122:123], -v[124:125]
	buffer_store_dword v123, off, s[0:3], 0 offset:60
	buffer_store_dword v122, off, s[0:3], 0 offset:56
	s_and_saveexec_b64 s[4:5], vcc
	s_cbranch_execz .LBB123_355
; %bb.354:
	buffer_load_dword v122, off, s[0:3], 0 offset:48
	buffer_load_dword v123, off, s[0:3], 0 offset:52
	v_mov_b32_e32 v124, 0
	buffer_store_dword v124, off, s[0:3], 0 offset:48
	buffer_store_dword v124, off, s[0:3], 0 offset:52
	s_waitcnt vmcnt(2)
	ds_write_b64 v1, v[122:123]
.LBB123_355:
	s_or_b64 exec, exec, s[4:5]
	s_waitcnt lgkmcnt(0)
	; wave barrier
	s_waitcnt lgkmcnt(0)
	buffer_load_dword v122, off, s[0:3], 0 offset:48
	buffer_load_dword v123, off, s[0:3], 0 offset:52
	;; [unrolled: 1-line block ×16, first 2 shown]
	v_mov_b32_e32 v126, 0
	ds_read2_b64 v[128:131], v126 offset0:67 offset1:68
	v_cmp_lt_u32_e32 vcc, 5, v0
	s_waitcnt vmcnt(12) lgkmcnt(0)
	v_fma_f64 v[124:125], v[124:125], v[128:129], 0
	s_waitcnt vmcnt(10)
	v_fmac_f64_e32 v[124:125], v[132:133], v[130:131]
	ds_read2_b64 v[128:131], v126 offset0:69 offset1:70
	s_waitcnt vmcnt(8) lgkmcnt(0)
	v_fmac_f64_e32 v[124:125], v[134:135], v[128:129]
	s_waitcnt vmcnt(6)
	v_fmac_f64_e32 v[124:125], v[136:137], v[130:131]
	ds_read2_b64 v[128:131], v126 offset0:71 offset1:72
	s_waitcnt vmcnt(4) lgkmcnt(0)
	v_fmac_f64_e32 v[124:125], v[138:139], v[128:129]
	;; [unrolled: 5-line block ×3, first 2 shown]
	buffer_load_dword v129, off, s[0:3], 0 offset:116
	buffer_load_dword v128, off, s[0:3], 0 offset:112
	buffer_load_dword v133, off, s[0:3], 0 offset:124
	buffer_load_dword v132, off, s[0:3], 0 offset:120
	s_waitcnt vmcnt(2)
	v_fmac_f64_e32 v[124:125], v[128:129], v[130:131]
	ds_read2_b64 v[128:131], v126 offset0:75 offset1:76
	s_waitcnt vmcnt(0) lgkmcnt(0)
	v_fmac_f64_e32 v[124:125], v[132:133], v[128:129]
	buffer_load_dword v129, off, s[0:3], 0 offset:132
	buffer_load_dword v128, off, s[0:3], 0 offset:128
	buffer_load_dword v133, off, s[0:3], 0 offset:140
	buffer_load_dword v132, off, s[0:3], 0 offset:136
	s_waitcnt vmcnt(2)
	v_fmac_f64_e32 v[124:125], v[128:129], v[130:131]
	ds_read2_b64 v[128:131], v126 offset0:77 offset1:78
	s_waitcnt vmcnt(0) lgkmcnt(0)
	v_fmac_f64_e32 v[124:125], v[132:133], v[128:129]
	;; [unrolled: 9-line block ×22, first 2 shown]
	buffer_load_dword v129, off, s[0:3], 0 offset:468
	buffer_load_dword v128, off, s[0:3], 0 offset:464
	s_waitcnt vmcnt(0)
	v_fmac_f64_e32 v[124:125], v[128:129], v[130:131]
	buffer_load_dword v129, off, s[0:3], 0 offset:476
	buffer_load_dword v128, off, s[0:3], 0 offset:472
	ds_read_b64 v[130:131], v126 offset:952
	s_waitcnt vmcnt(0) lgkmcnt(0)
	v_fmac_f64_e32 v[124:125], v[128:129], v[130:131]
	v_add_f64 v[122:123], v[122:123], -v[124:125]
	buffer_store_dword v123, off, s[0:3], 0 offset:52
	buffer_store_dword v122, off, s[0:3], 0 offset:48
	s_and_saveexec_b64 s[4:5], vcc
	s_cbranch_execz .LBB123_357
; %bb.356:
	buffer_load_dword v122, off, s[0:3], 0 offset:40
	buffer_load_dword v123, off, s[0:3], 0 offset:44
	s_waitcnt vmcnt(0)
	ds_write_b64 v1, v[122:123]
	buffer_store_dword v126, off, s[0:3], 0 offset:40
	buffer_store_dword v126, off, s[0:3], 0 offset:44
.LBB123_357:
	s_or_b64 exec, exec, s[4:5]
	s_waitcnt lgkmcnt(0)
	; wave barrier
	s_waitcnt lgkmcnt(0)
	buffer_load_dword v122, off, s[0:3], 0 offset:40
	buffer_load_dword v123, off, s[0:3], 0 offset:44
	;; [unrolled: 1-line block ×16, first 2 shown]
	ds_read_b128 v[128:131], v126 offset:528
	v_cmp_lt_u32_e32 vcc, 4, v0
	s_waitcnt vmcnt(12) lgkmcnt(0)
	v_fma_f64 v[124:125], v[124:125], v[128:129], 0
	s_waitcnt vmcnt(10)
	v_fmac_f64_e32 v[124:125], v[132:133], v[130:131]
	ds_read_b128 v[128:131], v126 offset:544
	s_waitcnt vmcnt(8) lgkmcnt(0)
	v_fmac_f64_e32 v[124:125], v[134:135], v[128:129]
	s_waitcnt vmcnt(6)
	v_fmac_f64_e32 v[124:125], v[136:137], v[130:131]
	ds_read_b128 v[128:131], v126 offset:560
	s_waitcnt vmcnt(4) lgkmcnt(0)
	v_fmac_f64_e32 v[124:125], v[138:139], v[128:129]
	;; [unrolled: 5-line block ×3, first 2 shown]
	buffer_load_dword v129, off, s[0:3], 0 offset:108
	buffer_load_dword v128, off, s[0:3], 0 offset:104
	buffer_load_dword v133, off, s[0:3], 0 offset:116
	buffer_load_dword v132, off, s[0:3], 0 offset:112
	s_waitcnt vmcnt(2)
	v_fmac_f64_e32 v[124:125], v[128:129], v[130:131]
	ds_read_b128 v[128:131], v126 offset:592
	s_waitcnt vmcnt(0) lgkmcnt(0)
	v_fmac_f64_e32 v[124:125], v[132:133], v[128:129]
	buffer_load_dword v129, off, s[0:3], 0 offset:124
	buffer_load_dword v128, off, s[0:3], 0 offset:120
	buffer_load_dword v133, off, s[0:3], 0 offset:132
	buffer_load_dword v132, off, s[0:3], 0 offset:128
	s_waitcnt vmcnt(2)
	v_fmac_f64_e32 v[124:125], v[128:129], v[130:131]
	ds_read_b128 v[128:131], v126 offset:608
	s_waitcnt vmcnt(0) lgkmcnt(0)
	v_fmac_f64_e32 v[124:125], v[132:133], v[128:129]
	;; [unrolled: 9-line block ×22, first 2 shown]
	buffer_load_dword v129, off, s[0:3], 0 offset:460
	buffer_load_dword v128, off, s[0:3], 0 offset:456
	s_waitcnt vmcnt(0)
	v_fmac_f64_e32 v[124:125], v[128:129], v[130:131]
	buffer_load_dword v131, off, s[0:3], 0 offset:468
	buffer_load_dword v130, off, s[0:3], 0 offset:464
	ds_read_b128 v[126:129], v126 offset:944
	s_waitcnt vmcnt(0) lgkmcnt(0)
	v_fmac_f64_e32 v[124:125], v[130:131], v[126:127]
	buffer_load_dword v127, off, s[0:3], 0 offset:476
	buffer_load_dword v126, off, s[0:3], 0 offset:472
	s_waitcnt vmcnt(0)
	v_fmac_f64_e32 v[124:125], v[126:127], v[128:129]
	v_add_f64 v[122:123], v[122:123], -v[124:125]
	buffer_store_dword v123, off, s[0:3], 0 offset:44
	buffer_store_dword v122, off, s[0:3], 0 offset:40
	s_and_saveexec_b64 s[4:5], vcc
	s_cbranch_execz .LBB123_359
; %bb.358:
	buffer_load_dword v122, off, s[0:3], 0 offset:32
	buffer_load_dword v123, off, s[0:3], 0 offset:36
	v_mov_b32_e32 v124, 0
	buffer_store_dword v124, off, s[0:3], 0 offset:32
	buffer_store_dword v124, off, s[0:3], 0 offset:36
	s_waitcnt vmcnt(2)
	ds_write_b64 v1, v[122:123]
.LBB123_359:
	s_or_b64 exec, exec, s[4:5]
	s_waitcnt lgkmcnt(0)
	; wave barrier
	s_waitcnt lgkmcnt(0)
	buffer_load_dword v122, off, s[0:3], 0 offset:32
	buffer_load_dword v123, off, s[0:3], 0 offset:36
	buffer_load_dword v124, off, s[0:3], 0 offset:40
	buffer_load_dword v125, off, s[0:3], 0 offset:44
	buffer_load_dword v132, off, s[0:3], 0 offset:48
	buffer_load_dword v133, off, s[0:3], 0 offset:52
	buffer_load_dword v134, off, s[0:3], 0 offset:56
	buffer_load_dword v135, off, s[0:3], 0 offset:60
	buffer_load_dword v136, off, s[0:3], 0 offset:64
	buffer_load_dword v137, off, s[0:3], 0 offset:68
	buffer_load_dword v138, off, s[0:3], 0 offset:72
	buffer_load_dword v139, off, s[0:3], 0 offset:76
	buffer_load_dword v140, off, s[0:3], 0 offset:80
	buffer_load_dword v141, off, s[0:3], 0 offset:84
	buffer_load_dword v142, off, s[0:3], 0 offset:88
	buffer_load_dword v143, off, s[0:3], 0 offset:92
	v_mov_b32_e32 v126, 0
	ds_read2_b64 v[128:131], v126 offset0:65 offset1:66
	v_cmp_lt_u32_e32 vcc, 3, v0
	s_waitcnt vmcnt(12) lgkmcnt(0)
	v_fma_f64 v[124:125], v[124:125], v[128:129], 0
	s_waitcnt vmcnt(10)
	v_fmac_f64_e32 v[124:125], v[132:133], v[130:131]
	ds_read2_b64 v[128:131], v126 offset0:67 offset1:68
	s_waitcnt vmcnt(8) lgkmcnt(0)
	v_fmac_f64_e32 v[124:125], v[134:135], v[128:129]
	s_waitcnt vmcnt(6)
	v_fmac_f64_e32 v[124:125], v[136:137], v[130:131]
	ds_read2_b64 v[128:131], v126 offset0:69 offset1:70
	s_waitcnt vmcnt(4) lgkmcnt(0)
	v_fmac_f64_e32 v[124:125], v[138:139], v[128:129]
	s_waitcnt vmcnt(2)
	v_fmac_f64_e32 v[124:125], v[140:141], v[130:131]
	ds_read2_b64 v[128:131], v126 offset0:71 offset1:72
	s_waitcnt vmcnt(0) lgkmcnt(0)
	v_fmac_f64_e32 v[124:125], v[142:143], v[128:129]
	buffer_load_dword v129, off, s[0:3], 0 offset:100
	buffer_load_dword v128, off, s[0:3], 0 offset:96
	buffer_load_dword v133, off, s[0:3], 0 offset:108
	buffer_load_dword v132, off, s[0:3], 0 offset:104
	s_waitcnt vmcnt(2)
	v_fmac_f64_e32 v[124:125], v[128:129], v[130:131]
	ds_read2_b64 v[128:131], v126 offset0:73 offset1:74
	s_waitcnt vmcnt(0) lgkmcnt(0)
	v_fmac_f64_e32 v[124:125], v[132:133], v[128:129]
	buffer_load_dword v129, off, s[0:3], 0 offset:116
	buffer_load_dword v128, off, s[0:3], 0 offset:112
	buffer_load_dword v133, off, s[0:3], 0 offset:124
	buffer_load_dword v132, off, s[0:3], 0 offset:120
	s_waitcnt vmcnt(2)
	v_fmac_f64_e32 v[124:125], v[128:129], v[130:131]
	ds_read2_b64 v[128:131], v126 offset0:75 offset1:76
	s_waitcnt vmcnt(0) lgkmcnt(0)
	v_fmac_f64_e32 v[124:125], v[132:133], v[128:129]
	;; [unrolled: 9-line block ×23, first 2 shown]
	buffer_load_dword v129, off, s[0:3], 0 offset:468
	buffer_load_dword v128, off, s[0:3], 0 offset:464
	s_waitcnt vmcnt(0)
	v_fmac_f64_e32 v[124:125], v[128:129], v[130:131]
	buffer_load_dword v129, off, s[0:3], 0 offset:476
	buffer_load_dword v128, off, s[0:3], 0 offset:472
	ds_read_b64 v[130:131], v126 offset:952
	s_waitcnt vmcnt(0) lgkmcnt(0)
	v_fmac_f64_e32 v[124:125], v[128:129], v[130:131]
	v_add_f64 v[122:123], v[122:123], -v[124:125]
	buffer_store_dword v123, off, s[0:3], 0 offset:36
	buffer_store_dword v122, off, s[0:3], 0 offset:32
	s_and_saveexec_b64 s[4:5], vcc
	s_cbranch_execz .LBB123_361
; %bb.360:
	buffer_load_dword v122, off, s[0:3], 0 offset:24
	buffer_load_dword v123, off, s[0:3], 0 offset:28
	s_waitcnt vmcnt(0)
	ds_write_b64 v1, v[122:123]
	buffer_store_dword v126, off, s[0:3], 0 offset:24
	buffer_store_dword v126, off, s[0:3], 0 offset:28
.LBB123_361:
	s_or_b64 exec, exec, s[4:5]
	s_waitcnt lgkmcnt(0)
	; wave barrier
	s_waitcnt lgkmcnt(0)
	buffer_load_dword v122, off, s[0:3], 0 offset:24
	buffer_load_dword v123, off, s[0:3], 0 offset:28
	;; [unrolled: 1-line block ×16, first 2 shown]
	ds_read_b128 v[128:131], v126 offset:512
	v_cmp_lt_u32_e32 vcc, 2, v0
	s_waitcnt vmcnt(12) lgkmcnt(0)
	v_fma_f64 v[124:125], v[124:125], v[128:129], 0
	s_waitcnt vmcnt(10)
	v_fmac_f64_e32 v[124:125], v[132:133], v[130:131]
	ds_read_b128 v[128:131], v126 offset:528
	s_waitcnt vmcnt(8) lgkmcnt(0)
	v_fmac_f64_e32 v[124:125], v[134:135], v[128:129]
	s_waitcnt vmcnt(6)
	v_fmac_f64_e32 v[124:125], v[136:137], v[130:131]
	ds_read_b128 v[128:131], v126 offset:544
	s_waitcnt vmcnt(4) lgkmcnt(0)
	v_fmac_f64_e32 v[124:125], v[138:139], v[128:129]
	;; [unrolled: 5-line block ×3, first 2 shown]
	buffer_load_dword v129, off, s[0:3], 0 offset:92
	buffer_load_dword v128, off, s[0:3], 0 offset:88
	buffer_load_dword v133, off, s[0:3], 0 offset:100
	buffer_load_dword v132, off, s[0:3], 0 offset:96
	s_waitcnt vmcnt(2)
	v_fmac_f64_e32 v[124:125], v[128:129], v[130:131]
	ds_read_b128 v[128:131], v126 offset:576
	s_waitcnt vmcnt(0) lgkmcnt(0)
	v_fmac_f64_e32 v[124:125], v[132:133], v[128:129]
	buffer_load_dword v129, off, s[0:3], 0 offset:108
	buffer_load_dword v128, off, s[0:3], 0 offset:104
	buffer_load_dword v133, off, s[0:3], 0 offset:116
	buffer_load_dword v132, off, s[0:3], 0 offset:112
	s_waitcnt vmcnt(2)
	v_fmac_f64_e32 v[124:125], v[128:129], v[130:131]
	ds_read_b128 v[128:131], v126 offset:592
	s_waitcnt vmcnt(0) lgkmcnt(0)
	v_fmac_f64_e32 v[124:125], v[132:133], v[128:129]
	;; [unrolled: 9-line block ×23, first 2 shown]
	buffer_load_dword v129, off, s[0:3], 0 offset:460
	buffer_load_dword v128, off, s[0:3], 0 offset:456
	s_waitcnt vmcnt(0)
	v_fmac_f64_e32 v[124:125], v[128:129], v[130:131]
	buffer_load_dword v131, off, s[0:3], 0 offset:468
	buffer_load_dword v130, off, s[0:3], 0 offset:464
	ds_read_b128 v[126:129], v126 offset:944
	s_waitcnt vmcnt(0) lgkmcnt(0)
	v_fmac_f64_e32 v[124:125], v[130:131], v[126:127]
	buffer_load_dword v127, off, s[0:3], 0 offset:476
	buffer_load_dword v126, off, s[0:3], 0 offset:472
	s_waitcnt vmcnt(0)
	v_fmac_f64_e32 v[124:125], v[126:127], v[128:129]
	v_add_f64 v[122:123], v[122:123], -v[124:125]
	buffer_store_dword v123, off, s[0:3], 0 offset:28
	buffer_store_dword v122, off, s[0:3], 0 offset:24
	s_and_saveexec_b64 s[4:5], vcc
	s_cbranch_execz .LBB123_363
; %bb.362:
	buffer_load_dword v122, off, s[0:3], 0 offset:16
	buffer_load_dword v123, off, s[0:3], 0 offset:20
	v_mov_b32_e32 v124, 0
	buffer_store_dword v124, off, s[0:3], 0 offset:16
	buffer_store_dword v124, off, s[0:3], 0 offset:20
	s_waitcnt vmcnt(2)
	ds_write_b64 v1, v[122:123]
.LBB123_363:
	s_or_b64 exec, exec, s[4:5]
	s_waitcnt lgkmcnt(0)
	; wave barrier
	s_waitcnt lgkmcnt(0)
	buffer_load_dword v122, off, s[0:3], 0 offset:16
	buffer_load_dword v123, off, s[0:3], 0 offset:20
	;; [unrolled: 1-line block ×16, first 2 shown]
	v_mov_b32_e32 v126, 0
	ds_read2_b64 v[128:131], v126 offset0:63 offset1:64
	v_cmp_lt_u32_e32 vcc, 1, v0
	s_waitcnt vmcnt(12) lgkmcnt(0)
	v_fma_f64 v[124:125], v[124:125], v[128:129], 0
	s_waitcnt vmcnt(10)
	v_fmac_f64_e32 v[124:125], v[132:133], v[130:131]
	ds_read2_b64 v[128:131], v126 offset0:65 offset1:66
	s_waitcnt vmcnt(8) lgkmcnt(0)
	v_fmac_f64_e32 v[124:125], v[134:135], v[128:129]
	s_waitcnt vmcnt(6)
	v_fmac_f64_e32 v[124:125], v[136:137], v[130:131]
	ds_read2_b64 v[128:131], v126 offset0:67 offset1:68
	s_waitcnt vmcnt(4) lgkmcnt(0)
	v_fmac_f64_e32 v[124:125], v[138:139], v[128:129]
	;; [unrolled: 5-line block ×3, first 2 shown]
	buffer_load_dword v129, off, s[0:3], 0 offset:84
	buffer_load_dword v128, off, s[0:3], 0 offset:80
	buffer_load_dword v133, off, s[0:3], 0 offset:92
	buffer_load_dword v132, off, s[0:3], 0 offset:88
	s_waitcnt vmcnt(2)
	v_fmac_f64_e32 v[124:125], v[128:129], v[130:131]
	ds_read2_b64 v[128:131], v126 offset0:71 offset1:72
	s_waitcnt vmcnt(0) lgkmcnt(0)
	v_fmac_f64_e32 v[124:125], v[132:133], v[128:129]
	buffer_load_dword v129, off, s[0:3], 0 offset:100
	buffer_load_dword v128, off, s[0:3], 0 offset:96
	buffer_load_dword v133, off, s[0:3], 0 offset:108
	buffer_load_dword v132, off, s[0:3], 0 offset:104
	s_waitcnt vmcnt(2)
	v_fmac_f64_e32 v[124:125], v[128:129], v[130:131]
	ds_read2_b64 v[128:131], v126 offset0:73 offset1:74
	s_waitcnt vmcnt(0) lgkmcnt(0)
	v_fmac_f64_e32 v[124:125], v[132:133], v[128:129]
	buffer_load_dword v129, off, s[0:3], 0 offset:116
	buffer_load_dword v128, off, s[0:3], 0 offset:112
	buffer_load_dword v133, off, s[0:3], 0 offset:124
	buffer_load_dword v132, off, s[0:3], 0 offset:120
	s_waitcnt vmcnt(2)
	v_fmac_f64_e32 v[124:125], v[128:129], v[130:131]
	ds_read2_b64 v[128:131], v126 offset0:75 offset1:76
	s_waitcnt vmcnt(0) lgkmcnt(0)
	v_fmac_f64_e32 v[124:125], v[132:133], v[128:129]
	buffer_load_dword v129, off, s[0:3], 0 offset:132
	buffer_load_dword v128, off, s[0:3], 0 offset:128
	buffer_load_dword v133, off, s[0:3], 0 offset:140
	buffer_load_dword v132, off, s[0:3], 0 offset:136
	s_waitcnt vmcnt(2)
	v_fmac_f64_e32 v[124:125], v[128:129], v[130:131]
	ds_read2_b64 v[128:131], v126 offset0:77 offset1:78
	s_waitcnt vmcnt(0) lgkmcnt(0)
	v_fmac_f64_e32 v[124:125], v[132:133], v[128:129]
	buffer_load_dword v129, off, s[0:3], 0 offset:148
	buffer_load_dword v128, off, s[0:3], 0 offset:144
	buffer_load_dword v133, off, s[0:3], 0 offset:156
	buffer_load_dword v132, off, s[0:3], 0 offset:152
	s_waitcnt vmcnt(2)
	v_fmac_f64_e32 v[124:125], v[128:129], v[130:131]
	ds_read2_b64 v[128:131], v126 offset0:79 offset1:80
	s_waitcnt vmcnt(0) lgkmcnt(0)
	v_fmac_f64_e32 v[124:125], v[132:133], v[128:129]
	buffer_load_dword v129, off, s[0:3], 0 offset:164
	buffer_load_dword v128, off, s[0:3], 0 offset:160
	buffer_load_dword v133, off, s[0:3], 0 offset:172
	buffer_load_dword v132, off, s[0:3], 0 offset:168
	s_waitcnt vmcnt(2)
	v_fmac_f64_e32 v[124:125], v[128:129], v[130:131]
	ds_read2_b64 v[128:131], v126 offset0:81 offset1:82
	s_waitcnt vmcnt(0) lgkmcnt(0)
	v_fmac_f64_e32 v[124:125], v[132:133], v[128:129]
	buffer_load_dword v129, off, s[0:3], 0 offset:180
	buffer_load_dword v128, off, s[0:3], 0 offset:176
	buffer_load_dword v133, off, s[0:3], 0 offset:188
	buffer_load_dword v132, off, s[0:3], 0 offset:184
	s_waitcnt vmcnt(2)
	v_fmac_f64_e32 v[124:125], v[128:129], v[130:131]
	ds_read2_b64 v[128:131], v126 offset0:83 offset1:84
	s_waitcnt vmcnt(0) lgkmcnt(0)
	v_fmac_f64_e32 v[124:125], v[132:133], v[128:129]
	buffer_load_dword v129, off, s[0:3], 0 offset:196
	buffer_load_dword v128, off, s[0:3], 0 offset:192
	buffer_load_dword v133, off, s[0:3], 0 offset:204
	buffer_load_dword v132, off, s[0:3], 0 offset:200
	s_waitcnt vmcnt(2)
	v_fmac_f64_e32 v[124:125], v[128:129], v[130:131]
	ds_read2_b64 v[128:131], v126 offset0:85 offset1:86
	s_waitcnt vmcnt(0) lgkmcnt(0)
	v_fmac_f64_e32 v[124:125], v[132:133], v[128:129]
	buffer_load_dword v129, off, s[0:3], 0 offset:212
	buffer_load_dword v128, off, s[0:3], 0 offset:208
	buffer_load_dword v133, off, s[0:3], 0 offset:220
	buffer_load_dword v132, off, s[0:3], 0 offset:216
	s_waitcnt vmcnt(2)
	v_fmac_f64_e32 v[124:125], v[128:129], v[130:131]
	ds_read2_b64 v[128:131], v126 offset0:87 offset1:88
	s_waitcnt vmcnt(0) lgkmcnt(0)
	v_fmac_f64_e32 v[124:125], v[132:133], v[128:129]
	buffer_load_dword v129, off, s[0:3], 0 offset:228
	buffer_load_dword v128, off, s[0:3], 0 offset:224
	buffer_load_dword v133, off, s[0:3], 0 offset:236
	buffer_load_dword v132, off, s[0:3], 0 offset:232
	s_waitcnt vmcnt(2)
	v_fmac_f64_e32 v[124:125], v[128:129], v[130:131]
	ds_read2_b64 v[128:131], v126 offset0:89 offset1:90
	s_waitcnt vmcnt(0) lgkmcnt(0)
	v_fmac_f64_e32 v[124:125], v[132:133], v[128:129]
	buffer_load_dword v129, off, s[0:3], 0 offset:244
	buffer_load_dword v128, off, s[0:3], 0 offset:240
	buffer_load_dword v133, off, s[0:3], 0 offset:252
	buffer_load_dword v132, off, s[0:3], 0 offset:248
	s_waitcnt vmcnt(2)
	v_fmac_f64_e32 v[124:125], v[128:129], v[130:131]
	ds_read2_b64 v[128:131], v126 offset0:91 offset1:92
	s_waitcnt vmcnt(0) lgkmcnt(0)
	v_fmac_f64_e32 v[124:125], v[132:133], v[128:129]
	buffer_load_dword v129, off, s[0:3], 0 offset:260
	buffer_load_dword v128, off, s[0:3], 0 offset:256
	buffer_load_dword v133, off, s[0:3], 0 offset:268
	buffer_load_dword v132, off, s[0:3], 0 offset:264
	s_waitcnt vmcnt(2)
	v_fmac_f64_e32 v[124:125], v[128:129], v[130:131]
	ds_read2_b64 v[128:131], v126 offset0:93 offset1:94
	s_waitcnt vmcnt(0) lgkmcnt(0)
	v_fmac_f64_e32 v[124:125], v[132:133], v[128:129]
	buffer_load_dword v129, off, s[0:3], 0 offset:276
	buffer_load_dword v128, off, s[0:3], 0 offset:272
	buffer_load_dword v133, off, s[0:3], 0 offset:284
	buffer_load_dword v132, off, s[0:3], 0 offset:280
	s_waitcnt vmcnt(2)
	v_fmac_f64_e32 v[124:125], v[128:129], v[130:131]
	ds_read2_b64 v[128:131], v126 offset0:95 offset1:96
	s_waitcnt vmcnt(0) lgkmcnt(0)
	v_fmac_f64_e32 v[124:125], v[132:133], v[128:129]
	buffer_load_dword v129, off, s[0:3], 0 offset:292
	buffer_load_dword v128, off, s[0:3], 0 offset:288
	buffer_load_dword v133, off, s[0:3], 0 offset:300
	buffer_load_dword v132, off, s[0:3], 0 offset:296
	s_waitcnt vmcnt(2)
	v_fmac_f64_e32 v[124:125], v[128:129], v[130:131]
	ds_read2_b64 v[128:131], v126 offset0:97 offset1:98
	s_waitcnt vmcnt(0) lgkmcnt(0)
	v_fmac_f64_e32 v[124:125], v[132:133], v[128:129]
	buffer_load_dword v129, off, s[0:3], 0 offset:308
	buffer_load_dword v128, off, s[0:3], 0 offset:304
	buffer_load_dword v133, off, s[0:3], 0 offset:316
	buffer_load_dword v132, off, s[0:3], 0 offset:312
	s_waitcnt vmcnt(2)
	v_fmac_f64_e32 v[124:125], v[128:129], v[130:131]
	ds_read2_b64 v[128:131], v126 offset0:99 offset1:100
	s_waitcnt vmcnt(0) lgkmcnt(0)
	v_fmac_f64_e32 v[124:125], v[132:133], v[128:129]
	buffer_load_dword v129, off, s[0:3], 0 offset:324
	buffer_load_dword v128, off, s[0:3], 0 offset:320
	buffer_load_dword v133, off, s[0:3], 0 offset:332
	buffer_load_dword v132, off, s[0:3], 0 offset:328
	s_waitcnt vmcnt(2)
	v_fmac_f64_e32 v[124:125], v[128:129], v[130:131]
	ds_read2_b64 v[128:131], v126 offset0:101 offset1:102
	s_waitcnt vmcnt(0) lgkmcnt(0)
	v_fmac_f64_e32 v[124:125], v[132:133], v[128:129]
	buffer_load_dword v129, off, s[0:3], 0 offset:340
	buffer_load_dword v128, off, s[0:3], 0 offset:336
	buffer_load_dword v133, off, s[0:3], 0 offset:348
	buffer_load_dword v132, off, s[0:3], 0 offset:344
	s_waitcnt vmcnt(2)
	v_fmac_f64_e32 v[124:125], v[128:129], v[130:131]
	ds_read2_b64 v[128:131], v126 offset0:103 offset1:104
	s_waitcnt vmcnt(0) lgkmcnt(0)
	v_fmac_f64_e32 v[124:125], v[132:133], v[128:129]
	buffer_load_dword v129, off, s[0:3], 0 offset:356
	buffer_load_dword v128, off, s[0:3], 0 offset:352
	buffer_load_dword v133, off, s[0:3], 0 offset:364
	buffer_load_dword v132, off, s[0:3], 0 offset:360
	s_waitcnt vmcnt(2)
	v_fmac_f64_e32 v[124:125], v[128:129], v[130:131]
	ds_read2_b64 v[128:131], v126 offset0:105 offset1:106
	s_waitcnt vmcnt(0) lgkmcnt(0)
	v_fmac_f64_e32 v[124:125], v[132:133], v[128:129]
	buffer_load_dword v129, off, s[0:3], 0 offset:372
	buffer_load_dword v128, off, s[0:3], 0 offset:368
	buffer_load_dword v133, off, s[0:3], 0 offset:380
	buffer_load_dword v132, off, s[0:3], 0 offset:376
	s_waitcnt vmcnt(2)
	v_fmac_f64_e32 v[124:125], v[128:129], v[130:131]
	ds_read2_b64 v[128:131], v126 offset0:107 offset1:108
	s_waitcnt vmcnt(0) lgkmcnt(0)
	v_fmac_f64_e32 v[124:125], v[132:133], v[128:129]
	buffer_load_dword v129, off, s[0:3], 0 offset:388
	buffer_load_dword v128, off, s[0:3], 0 offset:384
	buffer_load_dword v133, off, s[0:3], 0 offset:396
	buffer_load_dword v132, off, s[0:3], 0 offset:392
	s_waitcnt vmcnt(2)
	v_fmac_f64_e32 v[124:125], v[128:129], v[130:131]
	ds_read2_b64 v[128:131], v126 offset0:109 offset1:110
	s_waitcnt vmcnt(0) lgkmcnt(0)
	v_fmac_f64_e32 v[124:125], v[132:133], v[128:129]
	buffer_load_dword v129, off, s[0:3], 0 offset:404
	buffer_load_dword v128, off, s[0:3], 0 offset:400
	buffer_load_dword v133, off, s[0:3], 0 offset:412
	buffer_load_dword v132, off, s[0:3], 0 offset:408
	s_waitcnt vmcnt(2)
	v_fmac_f64_e32 v[124:125], v[128:129], v[130:131]
	ds_read2_b64 v[128:131], v126 offset0:111 offset1:112
	s_waitcnt vmcnt(0) lgkmcnt(0)
	v_fmac_f64_e32 v[124:125], v[132:133], v[128:129]
	buffer_load_dword v129, off, s[0:3], 0 offset:420
	buffer_load_dword v128, off, s[0:3], 0 offset:416
	buffer_load_dword v133, off, s[0:3], 0 offset:428
	buffer_load_dword v132, off, s[0:3], 0 offset:424
	s_waitcnt vmcnt(2)
	v_fmac_f64_e32 v[124:125], v[128:129], v[130:131]
	ds_read2_b64 v[128:131], v126 offset0:113 offset1:114
	s_waitcnt vmcnt(0) lgkmcnt(0)
	v_fmac_f64_e32 v[124:125], v[132:133], v[128:129]
	buffer_load_dword v129, off, s[0:3], 0 offset:436
	buffer_load_dword v128, off, s[0:3], 0 offset:432
	buffer_load_dword v133, off, s[0:3], 0 offset:444
	buffer_load_dword v132, off, s[0:3], 0 offset:440
	s_waitcnt vmcnt(2)
	v_fmac_f64_e32 v[124:125], v[128:129], v[130:131]
	ds_read2_b64 v[128:131], v126 offset0:115 offset1:116
	s_waitcnt vmcnt(0) lgkmcnt(0)
	v_fmac_f64_e32 v[124:125], v[132:133], v[128:129]
	buffer_load_dword v129, off, s[0:3], 0 offset:452
	buffer_load_dword v128, off, s[0:3], 0 offset:448
	buffer_load_dword v133, off, s[0:3], 0 offset:460
	buffer_load_dword v132, off, s[0:3], 0 offset:456
	s_waitcnt vmcnt(2)
	v_fmac_f64_e32 v[124:125], v[128:129], v[130:131]
	ds_read2_b64 v[128:131], v126 offset0:117 offset1:118
	s_waitcnt vmcnt(0) lgkmcnt(0)
	v_fmac_f64_e32 v[124:125], v[132:133], v[128:129]
	buffer_load_dword v129, off, s[0:3], 0 offset:468
	buffer_load_dword v128, off, s[0:3], 0 offset:464
	s_waitcnt vmcnt(0)
	v_fmac_f64_e32 v[124:125], v[128:129], v[130:131]
	buffer_load_dword v129, off, s[0:3], 0 offset:476
	buffer_load_dword v128, off, s[0:3], 0 offset:472
	ds_read_b64 v[130:131], v126 offset:952
	s_waitcnt vmcnt(0) lgkmcnt(0)
	v_fmac_f64_e32 v[124:125], v[128:129], v[130:131]
	v_add_f64 v[122:123], v[122:123], -v[124:125]
	buffer_store_dword v123, off, s[0:3], 0 offset:20
	buffer_store_dword v122, off, s[0:3], 0 offset:16
	s_and_saveexec_b64 s[4:5], vcc
	s_cbranch_execz .LBB123_365
; %bb.364:
	buffer_load_dword v122, off, s[0:3], 0 offset:8
	buffer_load_dword v123, off, s[0:3], 0 offset:12
	s_waitcnt vmcnt(0)
	ds_write_b64 v1, v[122:123]
	buffer_store_dword v126, off, s[0:3], 0 offset:8
	buffer_store_dword v126, off, s[0:3], 0 offset:12
.LBB123_365:
	s_or_b64 exec, exec, s[4:5]
	s_waitcnt lgkmcnt(0)
	; wave barrier
	s_waitcnt lgkmcnt(0)
	buffer_load_dword v122, off, s[0:3], 0 offset:8
	buffer_load_dword v123, off, s[0:3], 0 offset:12
	;; [unrolled: 1-line block ×16, first 2 shown]
	ds_read_b128 v[128:131], v126 offset:496
	v_cmp_ne_u32_e32 vcc, 0, v0
	s_waitcnt vmcnt(12) lgkmcnt(0)
	v_fma_f64 v[124:125], v[124:125], v[128:129], 0
	s_waitcnt vmcnt(10)
	v_fmac_f64_e32 v[124:125], v[132:133], v[130:131]
	ds_read_b128 v[128:131], v126 offset:512
	s_waitcnt vmcnt(8) lgkmcnt(0)
	v_fmac_f64_e32 v[124:125], v[134:135], v[128:129]
	s_waitcnt vmcnt(6)
	v_fmac_f64_e32 v[124:125], v[136:137], v[130:131]
	ds_read_b128 v[128:131], v126 offset:528
	s_waitcnt vmcnt(4) lgkmcnt(0)
	v_fmac_f64_e32 v[124:125], v[138:139], v[128:129]
	;; [unrolled: 5-line block ×3, first 2 shown]
	buffer_load_dword v129, off, s[0:3], 0 offset:76
	buffer_load_dword v128, off, s[0:3], 0 offset:72
	buffer_load_dword v133, off, s[0:3], 0 offset:84
	buffer_load_dword v132, off, s[0:3], 0 offset:80
	s_waitcnt vmcnt(2)
	v_fmac_f64_e32 v[124:125], v[128:129], v[130:131]
	ds_read_b128 v[128:131], v126 offset:560
	s_waitcnt vmcnt(0) lgkmcnt(0)
	v_fmac_f64_e32 v[124:125], v[132:133], v[128:129]
	buffer_load_dword v129, off, s[0:3], 0 offset:92
	buffer_load_dword v128, off, s[0:3], 0 offset:88
	buffer_load_dword v133, off, s[0:3], 0 offset:100
	buffer_load_dword v132, off, s[0:3], 0 offset:96
	s_waitcnt vmcnt(2)
	v_fmac_f64_e32 v[124:125], v[128:129], v[130:131]
	ds_read_b128 v[128:131], v126 offset:576
	s_waitcnt vmcnt(0) lgkmcnt(0)
	v_fmac_f64_e32 v[124:125], v[132:133], v[128:129]
	;; [unrolled: 9-line block ×24, first 2 shown]
	buffer_load_dword v129, off, s[0:3], 0 offset:460
	buffer_load_dword v128, off, s[0:3], 0 offset:456
	s_waitcnt vmcnt(0)
	v_fmac_f64_e32 v[124:125], v[128:129], v[130:131]
	buffer_load_dword v131, off, s[0:3], 0 offset:468
	buffer_load_dword v130, off, s[0:3], 0 offset:464
	ds_read_b128 v[126:129], v126 offset:944
	s_waitcnt vmcnt(0) lgkmcnt(0)
	v_fmac_f64_e32 v[124:125], v[130:131], v[126:127]
	buffer_load_dword v127, off, s[0:3], 0 offset:476
	buffer_load_dword v126, off, s[0:3], 0 offset:472
	s_waitcnt vmcnt(0)
	v_fmac_f64_e32 v[124:125], v[126:127], v[128:129]
	v_add_f64 v[122:123], v[122:123], -v[124:125]
	buffer_store_dword v123, off, s[0:3], 0 offset:12
	buffer_store_dword v122, off, s[0:3], 0 offset:8
	s_and_saveexec_b64 s[4:5], vcc
	s_cbranch_execz .LBB123_367
; %bb.366:
	buffer_load_dword v122, off, s[0:3], 0
	buffer_load_dword v123, off, s[0:3], 0 offset:4
	v_mov_b32_e32 v0, 0
	buffer_store_dword v0, off, s[0:3], 0
	buffer_store_dword v0, off, s[0:3], 0 offset:4
	s_waitcnt vmcnt(2)
	ds_write_b64 v1, v[122:123]
.LBB123_367:
	s_or_b64 exec, exec, s[4:5]
	s_waitcnt lgkmcnt(0)
	; wave barrier
	s_waitcnt lgkmcnt(0)
	buffer_load_dword v0, off, s[0:3], 0
	buffer_load_dword v1, off, s[0:3], 0 offset:4
	buffer_load_dword v128, off, s[0:3], 0 offset:8
	buffer_load_dword v129, off, s[0:3], 0 offset:12
	buffer_load_dword v130, off, s[0:3], 0 offset:16
	buffer_load_dword v131, off, s[0:3], 0 offset:20
	buffer_load_dword v132, off, s[0:3], 0 offset:24
	buffer_load_dword v133, off, s[0:3], 0 offset:28
	buffer_load_dword v134, off, s[0:3], 0 offset:32
	buffer_load_dword v135, off, s[0:3], 0 offset:36
	buffer_load_dword v136, off, s[0:3], 0 offset:40
	buffer_load_dword v137, off, s[0:3], 0 offset:44
	buffer_load_dword v138, off, s[0:3], 0 offset:48
	buffer_load_dword v139, off, s[0:3], 0 offset:52
	buffer_load_dword v140, off, s[0:3], 0 offset:56
	buffer_load_dword v141, off, s[0:3], 0 offset:60
	v_mov_b32_e32 v126, 0
	ds_read2_b64 v[122:125], v126 offset0:61 offset1:62
	s_and_b64 vcc, exec, s[16:17]
	s_waitcnt vmcnt(12) lgkmcnt(0)
	v_fma_f64 v[122:123], v[128:129], v[122:123], 0
	s_waitcnt vmcnt(10)
	v_fmac_f64_e32 v[122:123], v[130:131], v[124:125]
	ds_read2_b64 v[128:131], v126 offset0:63 offset1:64
	s_waitcnt vmcnt(8) lgkmcnt(0)
	v_fmac_f64_e32 v[122:123], v[132:133], v[128:129]
	s_waitcnt vmcnt(6)
	v_fmac_f64_e32 v[122:123], v[134:135], v[130:131]
	ds_read2_b64 v[128:131], v126 offset0:65 offset1:66
	s_waitcnt vmcnt(4) lgkmcnt(0)
	v_fmac_f64_e32 v[122:123], v[136:137], v[128:129]
	s_waitcnt vmcnt(2)
	v_fmac_f64_e32 v[122:123], v[138:139], v[130:131]
	ds_read2_b64 v[128:131], v126 offset0:67 offset1:68
	buffer_load_dword v125, off, s[0:3], 0 offset:68
	buffer_load_dword v124, off, s[0:3], 0 offset:64
	s_waitcnt vmcnt(2) lgkmcnt(0)
	v_fmac_f64_e32 v[122:123], v[140:141], v[128:129]
	s_waitcnt vmcnt(0)
	v_fmac_f64_e32 v[122:123], v[124:125], v[130:131]
	buffer_load_dword v125, off, s[0:3], 0 offset:76
	buffer_load_dword v124, off, s[0:3], 0 offset:72
	ds_read2_b64 v[128:131], v126 offset0:69 offset1:70
	s_waitcnt vmcnt(0) lgkmcnt(0)
	v_fmac_f64_e32 v[122:123], v[124:125], v[128:129]
	buffer_load_dword v125, off, s[0:3], 0 offset:84
	buffer_load_dword v124, off, s[0:3], 0 offset:80
	s_waitcnt vmcnt(0)
	v_fmac_f64_e32 v[122:123], v[124:125], v[130:131]
	buffer_load_dword v125, off, s[0:3], 0 offset:92
	buffer_load_dword v124, off, s[0:3], 0 offset:88
	ds_read2_b64 v[128:131], v126 offset0:71 offset1:72
	s_waitcnt vmcnt(0) lgkmcnt(0)
	v_fmac_f64_e32 v[122:123], v[124:125], v[128:129]
	buffer_load_dword v125, off, s[0:3], 0 offset:100
	buffer_load_dword v124, off, s[0:3], 0 offset:96
	;; [unrolled: 9-line block ×25, first 2 shown]
	buffer_load_dword v129, off, s[0:3], 0 offset:476
	buffer_load_dword v128, off, s[0:3], 0 offset:472
	ds_read_b64 v[126:127], v126 offset:952
	s_waitcnt vmcnt(2)
	v_fmac_f64_e32 v[122:123], v[124:125], v[130:131]
	s_waitcnt vmcnt(0) lgkmcnt(0)
	v_fmac_f64_e32 v[122:123], v[128:129], v[126:127]
	v_add_f64 v[0:1], v[0:1], -v[122:123]
	buffer_store_dword v1, off, s[0:3], 0 offset:4
	buffer_store_dword v0, off, s[0:3], 0
	s_cbranch_vccz .LBB123_487
; %bb.368:
	v_pk_mov_b32 v[0:1], s[10:11], s[10:11] op_sel:[0,1]
	flat_load_dword v0, v[0:1] offset:232
	s_waitcnt vmcnt(0) lgkmcnt(0)
	v_add_u32_e32 v0, -1, v0
	v_cmp_ne_u32_e32 vcc, 58, v0
	s_and_saveexec_b64 s[4:5], vcc
	s_cbranch_execz .LBB123_370
; %bb.369:
	v_mov_b32_e32 v1, 0
	v_lshl_add_u32 v0, v0, 3, v1
	buffer_load_dword v1, v0, s[0:3], 0 offen offset:4
	buffer_load_dword v122, v0, s[0:3], 0 offen
	s_waitcnt vmcnt(1)
	buffer_store_dword v1, off, s[0:3], 0 offset:468
	s_waitcnt vmcnt(1)
	buffer_store_dword v122, off, s[0:3], 0 offset:464
	buffer_store_dword v125, v0, s[0:3], 0 offen offset:4
	buffer_store_dword v124, v0, s[0:3], 0 offen
.LBB123_370:
	s_or_b64 exec, exec, s[4:5]
	v_pk_mov_b32 v[0:1], s[10:11], s[10:11] op_sel:[0,1]
	flat_load_dword v0, v[0:1] offset:228
	s_waitcnt vmcnt(0) lgkmcnt(0)
	v_add_u32_e32 v0, -1, v0
	v_cmp_ne_u32_e32 vcc, 57, v0
	s_and_saveexec_b64 s[4:5], vcc
	s_cbranch_execz .LBB123_372
; %bb.371:
	v_mov_b32_e32 v1, 0
	v_lshl_add_u32 v0, v0, 3, v1
	buffer_load_dword v1, v0, s[0:3], 0 offen
	buffer_load_dword v122, v0, s[0:3], 0 offen offset:4
	buffer_load_dword v123, off, s[0:3], 0 offset:456
	buffer_load_dword v124, off, s[0:3], 0 offset:460
	s_waitcnt vmcnt(3)
	buffer_store_dword v1, off, s[0:3], 0 offset:456
	s_waitcnt vmcnt(3)
	buffer_store_dword v122, off, s[0:3], 0 offset:460
	s_waitcnt vmcnt(3)
	buffer_store_dword v123, v0, s[0:3], 0 offen
	s_waitcnt vmcnt(3)
	buffer_store_dword v124, v0, s[0:3], 0 offen offset:4
.LBB123_372:
	s_or_b64 exec, exec, s[4:5]
	v_pk_mov_b32 v[0:1], s[10:11], s[10:11] op_sel:[0,1]
	flat_load_dword v0, v[0:1] offset:224
	s_waitcnt vmcnt(0) lgkmcnt(0)
	v_add_u32_e32 v0, -1, v0
	v_cmp_ne_u32_e32 vcc, 56, v0
	s_and_saveexec_b64 s[4:5], vcc
	s_cbranch_execz .LBB123_374
; %bb.373:
	v_mov_b32_e32 v1, 0
	v_lshl_add_u32 v0, v0, 3, v1
	buffer_load_dword v1, v0, s[0:3], 0 offen
	buffer_load_dword v122, v0, s[0:3], 0 offen offset:4
	buffer_load_dword v123, off, s[0:3], 0 offset:452
	buffer_load_dword v124, off, s[0:3], 0 offset:448
	s_waitcnt vmcnt(3)
	buffer_store_dword v1, off, s[0:3], 0 offset:448
	s_waitcnt vmcnt(3)
	buffer_store_dword v122, off, s[0:3], 0 offset:452
	s_waitcnt vmcnt(3)
	buffer_store_dword v123, v0, s[0:3], 0 offen offset:4
	s_waitcnt vmcnt(3)
	buffer_store_dword v124, v0, s[0:3], 0 offen
.LBB123_374:
	s_or_b64 exec, exec, s[4:5]
	v_pk_mov_b32 v[0:1], s[10:11], s[10:11] op_sel:[0,1]
	flat_load_dword v0, v[0:1] offset:220
	s_waitcnt vmcnt(0) lgkmcnt(0)
	v_add_u32_e32 v0, -1, v0
	v_cmp_ne_u32_e32 vcc, 55, v0
	s_and_saveexec_b64 s[4:5], vcc
	s_cbranch_execz .LBB123_376
; %bb.375:
	v_mov_b32_e32 v1, 0
	v_lshl_add_u32 v0, v0, 3, v1
	buffer_load_dword v1, v0, s[0:3], 0 offen
	buffer_load_dword v122, v0, s[0:3], 0 offen offset:4
	buffer_load_dword v123, off, s[0:3], 0 offset:440
	buffer_load_dword v124, off, s[0:3], 0 offset:444
	s_waitcnt vmcnt(3)
	buffer_store_dword v1, off, s[0:3], 0 offset:440
	s_waitcnt vmcnt(3)
	buffer_store_dword v122, off, s[0:3], 0 offset:444
	s_waitcnt vmcnt(3)
	buffer_store_dword v123, v0, s[0:3], 0 offen
	s_waitcnt vmcnt(3)
	buffer_store_dword v124, v0, s[0:3], 0 offen offset:4
.LBB123_376:
	s_or_b64 exec, exec, s[4:5]
	v_pk_mov_b32 v[0:1], s[10:11], s[10:11] op_sel:[0,1]
	flat_load_dword v0, v[0:1] offset:216
	s_waitcnt vmcnt(0) lgkmcnt(0)
	v_add_u32_e32 v0, -1, v0
	v_cmp_ne_u32_e32 vcc, 54, v0
	s_and_saveexec_b64 s[4:5], vcc
	s_cbranch_execz .LBB123_378
; %bb.377:
	v_mov_b32_e32 v1, 0
	v_lshl_add_u32 v0, v0, 3, v1
	buffer_load_dword v1, v0, s[0:3], 0 offen
	buffer_load_dword v122, v0, s[0:3], 0 offen offset:4
	buffer_load_dword v123, off, s[0:3], 0 offset:436
	buffer_load_dword v124, off, s[0:3], 0 offset:432
	s_waitcnt vmcnt(3)
	buffer_store_dword v1, off, s[0:3], 0 offset:432
	s_waitcnt vmcnt(3)
	buffer_store_dword v122, off, s[0:3], 0 offset:436
	s_waitcnt vmcnt(3)
	buffer_store_dword v123, v0, s[0:3], 0 offen offset:4
	s_waitcnt vmcnt(3)
	buffer_store_dword v124, v0, s[0:3], 0 offen
.LBB123_378:
	;; [unrolled: 48-line block ×28, first 2 shown]
	s_or_b64 exec, exec, s[4:5]
	v_pk_mov_b32 v[0:1], s[10:11], s[10:11] op_sel:[0,1]
	flat_load_dword v0, v[0:1] offset:4
	s_waitcnt vmcnt(0) lgkmcnt(0)
	v_add_u32_e32 v0, -1, v0
	v_cmp_ne_u32_e32 vcc, 1, v0
	s_and_saveexec_b64 s[4:5], vcc
	s_cbranch_execz .LBB123_484
; %bb.483:
	v_mov_b32_e32 v1, 0
	v_lshl_add_u32 v0, v0, 3, v1
	buffer_load_dword v1, v0, s[0:3], 0 offen
	buffer_load_dword v122, v0, s[0:3], 0 offen offset:4
	buffer_load_dword v123, off, s[0:3], 0 offset:8
	buffer_load_dword v124, off, s[0:3], 0 offset:12
	s_waitcnt vmcnt(3)
	buffer_store_dword v1, off, s[0:3], 0 offset:8
	s_waitcnt vmcnt(3)
	buffer_store_dword v122, off, s[0:3], 0 offset:12
	s_waitcnt vmcnt(3)
	buffer_store_dword v123, v0, s[0:3], 0 offen
	s_waitcnt vmcnt(3)
	buffer_store_dword v124, v0, s[0:3], 0 offen offset:4
.LBB123_484:
	s_or_b64 exec, exec, s[4:5]
	v_pk_mov_b32 v[0:1], s[10:11], s[10:11] op_sel:[0,1]
	flat_load_dword v122, v[0:1]
	s_nop 0
	buffer_load_dword v0, off, s[0:3], 0
	buffer_load_dword v1, off, s[0:3], 0 offset:4
	s_waitcnt vmcnt(0) lgkmcnt(0)
	v_add_u32_e32 v122, -1, v122
	v_cmp_ne_u32_e32 vcc, 0, v122
	s_and_saveexec_b64 s[4:5], vcc
	s_cbranch_execz .LBB123_486
; %bb.485:
	v_mov_b32_e32 v123, 0
	v_lshl_add_u32 v122, v122, 3, v123
	buffer_load_dword v123, v122, s[0:3], 0 offen offset:4
	buffer_load_dword v124, v122, s[0:3], 0 offen
	s_waitcnt vmcnt(1)
	buffer_store_dword v123, off, s[0:3], 0 offset:4
	s_waitcnt vmcnt(1)
	buffer_store_dword v124, off, s[0:3], 0
	buffer_store_dword v1, v122, s[0:3], 0 offen offset:4
	buffer_store_dword v0, v122, s[0:3], 0 offen
	buffer_load_dword v0, off, s[0:3], 0
	s_nop 0
	buffer_load_dword v1, off, s[0:3], 0 offset:4
.LBB123_486:
	s_or_b64 exec, exec, s[4:5]
.LBB123_487:
	s_waitcnt vmcnt(0)
	global_store_dwordx2 v[4:5], v[0:1], off
	buffer_load_dword v0, off, s[0:3], 0 offset:8
	s_nop 0
	buffer_load_dword v1, off, s[0:3], 0 offset:12
	buffer_load_dword v4, off, s[0:3], 0 offset:16
	;; [unrolled: 1-line block ×15, first 2 shown]
	s_waitcnt vmcnt(14)
	global_store_dwordx2 v[2:3], v[0:1], off
	s_waitcnt vmcnt(13)
	global_store_dwordx2 v[6:7], v[4:5], off
	;; [unrolled: 2-line block ×8, first 2 shown]
	buffer_load_dword v0, off, s[0:3], 0 offset:72
	buffer_load_dword v1, off, s[0:3], 0 offset:76
	s_waitcnt vmcnt(0)
	global_store_dwordx2 v[18:19], v[0:1], off
	buffer_load_dword v0, off, s[0:3], 0 offset:80
	s_nop 0
	buffer_load_dword v1, off, s[0:3], 0 offset:84
	s_waitcnt vmcnt(0)
	global_store_dwordx2 v[22:23], v[0:1], off
	buffer_load_dword v0, off, s[0:3], 0 offset:88
	s_nop 0
	;; [unrolled: 5-line block ×50, first 2 shown]
	buffer_load_dword v1, off, s[0:3], 0 offset:476
	s_waitcnt vmcnt(0)
	global_store_dwordx2 v[34:35], v[0:1], off
	s_endpgm
	.section	.rodata,"a",@progbits
	.p2align	6, 0x0
	.amdhsa_kernel _ZN9rocsolver6v33100L18getri_kernel_smallILi60EdPKPdEEvT1_iilPiilS6_bb
		.amdhsa_group_segment_fixed_size 968
		.amdhsa_private_segment_fixed_size 496
		.amdhsa_kernarg_size 60
		.amdhsa_user_sgpr_count 8
		.amdhsa_user_sgpr_private_segment_buffer 1
		.amdhsa_user_sgpr_dispatch_ptr 0
		.amdhsa_user_sgpr_queue_ptr 0
		.amdhsa_user_sgpr_kernarg_segment_ptr 1
		.amdhsa_user_sgpr_dispatch_id 0
		.amdhsa_user_sgpr_flat_scratch_init 1
		.amdhsa_user_sgpr_kernarg_preload_length 0
		.amdhsa_user_sgpr_kernarg_preload_offset 0
		.amdhsa_user_sgpr_private_segment_size 0
		.amdhsa_uses_dynamic_stack 0
		.amdhsa_system_sgpr_private_segment_wavefront_offset 1
		.amdhsa_system_sgpr_workgroup_id_x 1
		.amdhsa_system_sgpr_workgroup_id_y 0
		.amdhsa_system_sgpr_workgroup_id_z 0
		.amdhsa_system_sgpr_workgroup_info 0
		.amdhsa_system_vgpr_workitem_id 0
		.amdhsa_next_free_vgpr 168
		.amdhsa_next_free_sgpr 22
		.amdhsa_accum_offset 168
		.amdhsa_reserve_vcc 1
		.amdhsa_reserve_flat_scratch 1
		.amdhsa_float_round_mode_32 0
		.amdhsa_float_round_mode_16_64 0
		.amdhsa_float_denorm_mode_32 3
		.amdhsa_float_denorm_mode_16_64 3
		.amdhsa_dx10_clamp 1
		.amdhsa_ieee_mode 1
		.amdhsa_fp16_overflow 0
		.amdhsa_tg_split 0
		.amdhsa_exception_fp_ieee_invalid_op 0
		.amdhsa_exception_fp_denorm_src 0
		.amdhsa_exception_fp_ieee_div_zero 0
		.amdhsa_exception_fp_ieee_overflow 0
		.amdhsa_exception_fp_ieee_underflow 0
		.amdhsa_exception_fp_ieee_inexact 0
		.amdhsa_exception_int_div_zero 0
	.end_amdhsa_kernel
	.section	.text._ZN9rocsolver6v33100L18getri_kernel_smallILi60EdPKPdEEvT1_iilPiilS6_bb,"axG",@progbits,_ZN9rocsolver6v33100L18getri_kernel_smallILi60EdPKPdEEvT1_iilPiilS6_bb,comdat
.Lfunc_end123:
	.size	_ZN9rocsolver6v33100L18getri_kernel_smallILi60EdPKPdEEvT1_iilPiilS6_bb, .Lfunc_end123-_ZN9rocsolver6v33100L18getri_kernel_smallILi60EdPKPdEEvT1_iilPiilS6_bb
                                        ; -- End function
	.section	.AMDGPU.csdata,"",@progbits
; Kernel info:
; codeLenInByte = 81176
; NumSgprs: 28
; NumVgprs: 168
; NumAgprs: 0
; TotalNumVgprs: 168
; ScratchSize: 496
; MemoryBound: 1
; FloatMode: 240
; IeeeMode: 1
; LDSByteSize: 968 bytes/workgroup (compile time only)
; SGPRBlocks: 3
; VGPRBlocks: 20
; NumSGPRsForWavesPerEU: 28
; NumVGPRsForWavesPerEU: 168
; AccumOffset: 168
; Occupancy: 3
; WaveLimiterHint : 1
; COMPUTE_PGM_RSRC2:SCRATCH_EN: 1
; COMPUTE_PGM_RSRC2:USER_SGPR: 8
; COMPUTE_PGM_RSRC2:TRAP_HANDLER: 0
; COMPUTE_PGM_RSRC2:TGID_X_EN: 1
; COMPUTE_PGM_RSRC2:TGID_Y_EN: 0
; COMPUTE_PGM_RSRC2:TGID_Z_EN: 0
; COMPUTE_PGM_RSRC2:TIDIG_COMP_CNT: 0
; COMPUTE_PGM_RSRC3_GFX90A:ACCUM_OFFSET: 41
; COMPUTE_PGM_RSRC3_GFX90A:TG_SPLIT: 0
	.section	.text._ZN9rocsolver6v33100L18getri_kernel_smallILi61EdPKPdEEvT1_iilPiilS6_bb,"axG",@progbits,_ZN9rocsolver6v33100L18getri_kernel_smallILi61EdPKPdEEvT1_iilPiilS6_bb,comdat
	.globl	_ZN9rocsolver6v33100L18getri_kernel_smallILi61EdPKPdEEvT1_iilPiilS6_bb ; -- Begin function _ZN9rocsolver6v33100L18getri_kernel_smallILi61EdPKPdEEvT1_iilPiilS6_bb
	.p2align	8
	.type	_ZN9rocsolver6v33100L18getri_kernel_smallILi61EdPKPdEEvT1_iilPiilS6_bb,@function
_ZN9rocsolver6v33100L18getri_kernel_smallILi61EdPKPdEEvT1_iilPiilS6_bb: ; @_ZN9rocsolver6v33100L18getri_kernel_smallILi61EdPKPdEEvT1_iilPiilS6_bb
; %bb.0:
	s_add_u32 flat_scratch_lo, s6, s9
	s_addc_u32 flat_scratch_hi, s7, 0
	s_add_u32 s0, s0, s9
	s_addc_u32 s1, s1, 0
	v_cmp_gt_u32_e32 vcc, 61, v0
	s_and_saveexec_b64 s[6:7], vcc
	s_cbranch_execz .LBB124_252
; %bb.1:
	s_load_dword s18, s[4:5], 0x38
	s_load_dwordx2 s[6:7], s[4:5], 0x0
	s_load_dwordx4 s[12:15], s[4:5], 0x28
	s_waitcnt lgkmcnt(0)
	s_bitcmp1_b32 s18, 8
	s_cselect_b64 s[16:17], -1, 0
	s_ashr_i32 s9, s8, 31
	s_lshl_b64 s[10:11], s[8:9], 3
	s_add_u32 s6, s6, s10
	s_addc_u32 s7, s7, s11
	s_load_dwordx2 s[6:7], s[6:7], 0x0
	s_bfe_u32 s10, s18, 0x10008
	s_cmp_eq_u32 s10, 0
                                        ; implicit-def: $sgpr10_sgpr11
	s_cbranch_scc1 .LBB124_3
; %bb.2:
	s_load_dword s10, s[4:5], 0x20
	s_load_dwordx2 s[20:21], s[4:5], 0x18
	s_mul_i32 s11, s8, s13
	s_mul_hi_u32 s13, s8, s12
	s_add_i32 s13, s13, s11
	s_mul_i32 s19, s9, s12
	s_add_i32 s13, s13, s19
	s_mul_i32 s12, s8, s12
	s_waitcnt lgkmcnt(0)
	s_ashr_i32 s11, s10, 31
	s_lshl_b64 s[12:13], s[12:13], 2
	s_add_u32 s12, s20, s12
	s_addc_u32 s13, s21, s13
	s_lshl_b64 s[10:11], s[10:11], 2
	s_add_u32 s10, s12, s10
	s_addc_u32 s11, s13, s11
.LBB124_3:
	s_load_dwordx2 s[4:5], s[4:5], 0x8
	v_lshlrev_b32_e32 v1, 3, v0
	s_waitcnt lgkmcnt(0)
	s_ashr_i32 s13, s4, 31
	s_mov_b32 s12, s4
	s_lshl_b64 s[12:13], s[12:13], 3
	s_add_u32 s6, s6, s12
	s_addc_u32 s7, s7, s13
	v_mov_b32_e32 v2, s7
	v_add_co_u32_e32 v4, vcc, s6, v1
	s_ashr_i32 s13, s5, 31
	s_mov_b32 s12, s5
	s_add_i32 s4, s5, s5
	v_addc_co_u32_e32 v5, vcc, 0, v2, vcc
	s_lshl_b64 s[12:13], s[12:13], 3
	v_add_u32_e32 v8, s4, v0
	v_mov_b32_e32 v3, s13
	v_add_co_u32_e32 v2, vcc, s12, v4
	v_ashrrev_i32_e32 v9, 31, v8
	v_addc_co_u32_e32 v3, vcc, v5, v3, vcc
	v_lshlrev_b64 v[6:7], 3, v[8:9]
	v_mov_b32_e32 v9, s7
	v_add_co_u32_e32 v6, vcc, s6, v6
	global_load_dwordx2 v[16:17], v1, s[6:7]
	v_addc_co_u32_e32 v7, vcc, v9, v7, vcc
	global_load_dwordx2 v[22:23], v[2:3], off
	global_load_dwordx2 v[24:25], v[6:7], off
	v_add_u32_e32 v10, s5, v8
	v_ashrrev_i32_e32 v11, 31, v10
	v_lshlrev_b64 v[8:9], 3, v[10:11]
	v_mov_b32_e32 v11, s7
	v_add_co_u32_e32 v8, vcc, s6, v8
	v_addc_co_u32_e32 v9, vcc, v11, v9, vcc
	global_load_dwordx2 v[26:27], v[8:9], off
	v_add_u32_e32 v10, s5, v10
	v_ashrrev_i32_e32 v11, 31, v10
	v_add_u32_e32 v12, s5, v10
	v_lshlrev_b64 v[10:11], 3, v[10:11]
	v_mov_b32_e32 v15, s7
	v_ashrrev_i32_e32 v13, 31, v12
	v_add_co_u32_e32 v10, vcc, s6, v10
	v_add_u32_e32 v14, s5, v12
	v_addc_co_u32_e32 v11, vcc, v15, v11, vcc
	global_load_dwordx2 v[82:83], v[10:11], off
	v_lshlrev_b64 v[12:13], 3, v[12:13]
	v_mov_b32_e32 v19, s7
	v_ashrrev_i32_e32 v15, 31, v14
	v_add_co_u32_e32 v12, vcc, s6, v12
	v_add_u32_e32 v18, s5, v14
	v_addc_co_u32_e32 v13, vcc, v19, v13, vcc
	v_lshlrev_b64 v[14:15], 3, v[14:15]
	v_mov_b32_e32 v21, s7
	v_ashrrev_i32_e32 v19, 31, v18
	v_add_co_u32_e32 v14, vcc, s6, v14
	v_add_u32_e32 v20, s5, v18
	v_addc_co_u32_e32 v15, vcc, v21, v15, vcc
	;; [unrolled: 6-line block ×3, first 2 shown]
	v_lshlrev_b64 v[20:21], 3, v[20:21]
	v_mov_b32_e32 v30, s7
	v_add_co_u32_e32 v20, vcc, s6, v20
	v_ashrrev_i32_e32 v29, 31, v28
	v_addc_co_u32_e32 v21, vcc, v30, v21, vcc
	global_load_dwordx2 v[90:91], v[12:13], off
	global_load_dwordx2 v[88:89], v[14:15], off
	;; [unrolled: 1-line block ×4, first 2 shown]
	v_mov_b32_e32 v160, s7
	s_bitcmp0_b32 s18, 0
	s_waitcnt vmcnt(8)
	buffer_store_dword v17, off, s[0:3], 0 offset:4
	buffer_store_dword v16, off, s[0:3], 0
	s_waitcnt vmcnt(9)
	buffer_store_dword v23, off, s[0:3], 0 offset:12
	buffer_store_dword v22, off, s[0:3], 0 offset:8
	s_waitcnt vmcnt(10)
	buffer_store_dword v25, off, s[0:3], 0 offset:20
	buffer_store_dword v24, off, s[0:3], 0 offset:16
	;; [unrolled: 3-line block ×3, first 2 shown]
	v_lshlrev_b64 v[16:17], 3, v[28:29]
	v_add_u32_e32 v24, s5, v28
	v_mov_b32_e32 v22, s7
	v_add_co_u32_e32 v16, vcc, s6, v16
	v_ashrrev_i32_e32 v25, 31, v24
	v_addc_co_u32_e32 v17, vcc, v22, v17, vcc
	v_lshlrev_b64 v[22:23], 3, v[24:25]
	v_add_u32_e32 v26, s5, v24
	v_mov_b32_e32 v25, s7
	v_add_co_u32_e32 v22, vcc, s6, v22
	v_ashrrev_i32_e32 v27, 31, v26
	v_addc_co_u32_e32 v23, vcc, v25, v23, vcc
	;; [unrolled: 6-line block ×27, first 2 shown]
	v_lshlrev_b64 v[74:75], 3, v[76:77]
	v_mov_b32_e32 v77, s7
	v_add_co_u32_e32 v74, vcc, s6, v74
	global_load_dwordx2 v[98:99], v[16:17], off
	global_load_dwordx2 v[96:97], v[22:23], off
	;; [unrolled: 1-line block ×24, first 2 shown]
	v_addc_co_u32_e32 v75, vcc, v77, v75, vcc
	global_load_dwordx2 v[140:141], v[68:69], off
	global_load_dwordx2 v[142:143], v[70:71], off
	;; [unrolled: 1-line block ×4, first 2 shown]
	v_add_u32_e32 v78, s5, v76
	v_ashrrev_i32_e32 v79, 31, v78
	v_lshlrev_b64 v[76:77], 3, v[78:79]
	v_add_u32_e32 v80, s5, v78
	v_mov_b32_e32 v79, s7
	v_add_co_u32_e32 v76, vcc, s6, v76
	v_ashrrev_i32_e32 v81, 31, v80
	v_addc_co_u32_e32 v77, vcc, v79, v77, vcc
	v_lshlrev_b64 v[78:79], 3, v[80:81]
	v_mov_b32_e32 v81, s7
	v_add_co_u32_e32 v78, vcc, s6, v78
	v_add_u32_e32 v152, s5, v80
	v_addc_co_u32_e32 v79, vcc, v81, v79, vcc
	global_load_dwordx2 v[148:149], v[76:77], off
	global_load_dwordx2 v[150:151], v[78:79], off
	v_ashrrev_i32_e32 v153, 31, v152
	v_lshlrev_b64 v[80:81], 3, v[152:153]
	v_mov_b32_e32 v153, s7
	v_add_co_u32_e32 v80, vcc, s6, v80
	v_addc_co_u32_e32 v81, vcc, v153, v81, vcc
	global_load_dwordx2 v[154:155], v[80:81], off
	s_waitcnt vmcnt(43)
	buffer_store_dword v83, off, s[0:3], 0 offset:36
	buffer_store_dword v82, off, s[0:3], 0 offset:32
	s_waitcnt vmcnt(44)
	buffer_store_dword v91, off, s[0:3], 0 offset:44
	buffer_store_dword v90, off, s[0:3], 0 offset:40
	;; [unrolled: 3-line block ×29, first 2 shown]
	buffer_store_dword v140, off, s[0:3], 0 offset:264
	buffer_store_dword v141, off, s[0:3], 0 offset:268
	s_waitcnt vmcnt(62)
	buffer_store_dword v142, off, s[0:3], 0 offset:272
	buffer_store_dword v143, off, s[0:3], 0 offset:276
	;; [unrolled: 1-line block ×6, first 2 shown]
	v_add_u32_e32 v84, s5, v152
	v_ashrrev_i32_e32 v85, 31, v84
	v_lshlrev_b64 v[82:83], 3, v[84:85]
	v_mov_b32_e32 v85, s7
	v_add_co_u32_e32 v82, vcc, s6, v82
	v_addc_co_u32_e32 v83, vcc, v85, v83, vcc
	global_load_dwordx2 v[140:141], v[82:83], off
	v_add_u32_e32 v86, s5, v84
	v_ashrrev_i32_e32 v87, 31, v86
	v_lshlrev_b64 v[84:85], 3, v[86:87]
	v_add_u32_e32 v88, s5, v86
	v_mov_b32_e32 v87, s7
	v_add_co_u32_e32 v84, vcc, s6, v84
	v_ashrrev_i32_e32 v89, 31, v88
	v_addc_co_u32_e32 v85, vcc, v87, v85, vcc
	v_lshlrev_b64 v[86:87], 3, v[88:89]
	v_add_u32_e32 v90, s5, v88
	v_mov_b32_e32 v89, s7
	v_add_co_u32_e32 v86, vcc, s6, v86
	v_ashrrev_i32_e32 v91, 31, v90
	v_addc_co_u32_e32 v87, vcc, v89, v87, vcc
	v_lshlrev_b64 v[88:89], 3, v[90:91]
	v_add_u32_e32 v92, s5, v90
	v_mov_b32_e32 v91, s7
	v_add_co_u32_e32 v88, vcc, s6, v88
	v_ashrrev_i32_e32 v93, 31, v92
	v_addc_co_u32_e32 v89, vcc, v91, v89, vcc
	v_lshlrev_b64 v[90:91], 3, v[92:93]
	v_add_u32_e32 v94, s5, v92
	v_mov_b32_e32 v93, s7
	v_add_co_u32_e32 v90, vcc, s6, v90
	v_ashrrev_i32_e32 v95, 31, v94
	v_addc_co_u32_e32 v91, vcc, v93, v91, vcc
	v_lshlrev_b64 v[92:93], 3, v[94:95]
	v_add_u32_e32 v96, s5, v94
	v_mov_b32_e32 v95, s7
	v_add_co_u32_e32 v92, vcc, s6, v92
	v_ashrrev_i32_e32 v97, 31, v96
	v_addc_co_u32_e32 v93, vcc, v95, v93, vcc
	v_lshlrev_b64 v[94:95], 3, v[96:97]
	v_add_u32_e32 v98, s5, v96
	v_mov_b32_e32 v97, s7
	v_add_co_u32_e32 v94, vcc, s6, v94
	v_ashrrev_i32_e32 v99, 31, v98
	v_addc_co_u32_e32 v95, vcc, v97, v95, vcc
	v_lshlrev_b64 v[96:97], 3, v[98:99]
	v_add_u32_e32 v100, s5, v98
	v_mov_b32_e32 v99, s7
	v_add_co_u32_e32 v96, vcc, s6, v96
	v_ashrrev_i32_e32 v101, 31, v100
	v_addc_co_u32_e32 v97, vcc, v99, v97, vcc
	v_lshlrev_b64 v[98:99], 3, v[100:101]
	v_add_u32_e32 v102, s5, v100
	v_mov_b32_e32 v101, s7
	v_add_co_u32_e32 v98, vcc, s6, v98
	v_ashrrev_i32_e32 v103, 31, v102
	v_addc_co_u32_e32 v99, vcc, v101, v99, vcc
	v_lshlrev_b64 v[100:101], 3, v[102:103]
	v_add_u32_e32 v104, s5, v102
	v_mov_b32_e32 v103, s7
	v_add_co_u32_e32 v100, vcc, s6, v100
	v_ashrrev_i32_e32 v105, 31, v104
	v_addc_co_u32_e32 v101, vcc, v103, v101, vcc
	v_lshlrev_b64 v[102:103], 3, v[104:105]
	v_add_u32_e32 v106, s5, v104
	v_mov_b32_e32 v105, s7
	v_add_co_u32_e32 v102, vcc, s6, v102
	v_ashrrev_i32_e32 v107, 31, v106
	v_addc_co_u32_e32 v103, vcc, v105, v103, vcc
	v_lshlrev_b64 v[104:105], 3, v[106:107]
	v_add_u32_e32 v108, s5, v106
	v_mov_b32_e32 v107, s7
	v_add_co_u32_e32 v104, vcc, s6, v104
	v_ashrrev_i32_e32 v109, 31, v108
	v_addc_co_u32_e32 v105, vcc, v107, v105, vcc
	v_lshlrev_b64 v[106:107], 3, v[108:109]
	v_add_u32_e32 v110, s5, v108
	v_mov_b32_e32 v109, s7
	v_add_co_u32_e32 v106, vcc, s6, v106
	v_ashrrev_i32_e32 v111, 31, v110
	v_addc_co_u32_e32 v107, vcc, v109, v107, vcc
	v_lshlrev_b64 v[108:109], 3, v[110:111]
	v_add_u32_e32 v112, s5, v110
	v_mov_b32_e32 v111, s7
	v_add_co_u32_e32 v108, vcc, s6, v108
	v_ashrrev_i32_e32 v113, 31, v112
	v_addc_co_u32_e32 v109, vcc, v111, v109, vcc
	v_lshlrev_b64 v[110:111], 3, v[112:113]
	v_add_u32_e32 v114, s5, v112
	v_mov_b32_e32 v113, s7
	v_add_co_u32_e32 v110, vcc, s6, v110
	v_ashrrev_i32_e32 v115, 31, v114
	v_addc_co_u32_e32 v111, vcc, v113, v111, vcc
	v_lshlrev_b64 v[112:113], 3, v[114:115]
	v_add_u32_e32 v116, s5, v114
	v_mov_b32_e32 v115, s7
	v_add_co_u32_e32 v112, vcc, s6, v112
	v_ashrrev_i32_e32 v117, 31, v116
	v_addc_co_u32_e32 v113, vcc, v115, v113, vcc
	v_lshlrev_b64 v[114:115], 3, v[116:117]
	buffer_store_dword v149, off, s[0:3], 0 offset:300
	buffer_store_dword v148, off, s[0:3], 0 offset:296
	s_waitcnt vmcnt(62)
	buffer_store_dword v151, off, s[0:3], 0 offset:308
	buffer_store_dword v150, off, s[0:3], 0 offset:304
	;; [unrolled: 1-line block ×4, first 2 shown]
	v_mov_b32_e32 v117, s7
	v_add_co_u32_e32 v114, vcc, s6, v114
	global_load_dwordx2 v[130:131], v[84:85], off
	global_load_dwordx2 v[128:129], v[86:87], off
	;; [unrolled: 1-line block ×12, first 2 shown]
	v_addc_co_u32_e32 v115, vcc, v117, v115, vcc
	global_load_dwordx2 v[156:157], v[108:109], off
	global_load_dwordx2 v[154:155], v[110:111], off
	;; [unrolled: 1-line block ×4, first 2 shown]
	v_add_u32_e32 v116, s5, v116
	v_ashrrev_i32_e32 v117, 31, v116
	v_lshlrev_b64 v[118:119], 3, v[116:117]
	v_mov_b32_e32 v117, s7
	v_add_co_u32_e32 v118, vcc, s6, v118
	v_add_u32_e32 v116, s5, v116
	v_addc_co_u32_e32 v119, vcc, v117, v119, vcc
	v_ashrrev_i32_e32 v117, 31, v116
	v_lshlrev_b64 v[120:121], 3, v[116:117]
	v_mov_b32_e32 v117, s7
	v_add_co_u32_e32 v120, vcc, s6, v120
	v_add_u32_e32 v116, s5, v116
	v_addc_co_u32_e32 v121, vcc, v117, v121, vcc
	;; [unrolled: 6-line block ×3, first 2 shown]
	v_ashrrev_i32_e32 v117, 31, v116
	global_load_dwordx2 v[158:159], v[118:119], off
	v_lshlrev_b64 v[116:117], 3, v[116:117]
	v_add_co_u32_e32 v116, vcc, s6, v116
	v_addc_co_u32_e32 v117, vcc, v160, v117, vcc
	global_load_dwordx2 v[160:161], v[120:121], off
	global_load_dwordx2 v[162:163], v[122:123], off
	s_mov_b64 s[6:7], -1
	s_waitcnt vmcnt(25)
	buffer_store_dword v140, off, s[0:3], 0 offset:320
	buffer_store_dword v141, off, s[0:3], 0 offset:324
	global_load_dwordx2 v[140:141], v[116:117], off
	s_waitcnt vmcnt(21)
	buffer_store_dword v130, off, s[0:3], 0 offset:328
	buffer_store_dword v131, off, s[0:3], 0 offset:332
	s_waitcnt vmcnt(22)
	buffer_store_dword v128, off, s[0:3], 0 offset:336
	buffer_store_dword v129, off, s[0:3], 0 offset:340
	;; [unrolled: 3-line block ×20, first 2 shown]
	s_cbranch_scc1 .LBB124_250
; %bb.4:
	v_cmp_eq_u32_e64 s[4:5], 0, v0
	s_and_saveexec_b64 s[6:7], s[4:5]
	s_cbranch_execz .LBB124_6
; %bb.5:
	v_mov_b32_e32 v124, 0
	ds_write_b32 v124, v124 offset:488
.LBB124_6:
	s_or_b64 exec, exec, s[6:7]
	v_mov_b32_e32 v124, 0
	v_lshl_add_u32 v124, v0, 3, v124
	s_waitcnt lgkmcnt(0)
	; wave barrier
	s_waitcnt lgkmcnt(0)
	buffer_load_dword v126, v124, s[0:3], 0 offen
	buffer_load_dword v127, v124, s[0:3], 0 offen offset:4
	s_waitcnt vmcnt(0)
	v_cmp_eq_f64_e32 vcc, 0, v[126:127]
	s_and_saveexec_b64 s[12:13], vcc
	s_cbranch_execz .LBB124_10
; %bb.7:
	v_mov_b32_e32 v125, 0
	ds_read_b32 v127, v125 offset:488
	v_add_u32_e32 v126, 1, v0
	s_waitcnt lgkmcnt(0)
	v_readfirstlane_b32 s6, v127
	s_cmp_eq_u32 s6, 0
	s_cselect_b64 s[18:19], -1, 0
	v_cmp_gt_i32_e32 vcc, s6, v126
	s_or_b64 s[18:19], s[18:19], vcc
	s_and_b64 exec, exec, s[18:19]
	s_cbranch_execz .LBB124_10
; %bb.8:
	s_mov_b64 s[18:19], 0
	v_mov_b32_e32 v127, s6
.LBB124_9:                              ; =>This Inner Loop Header: Depth=1
	ds_cmpst_rtn_b32 v127, v125, v127, v126 offset:488
	s_waitcnt lgkmcnt(0)
	v_cmp_ne_u32_e32 vcc, 0, v127
	v_cmp_le_i32_e64 s[6:7], v127, v126
	s_and_b64 s[6:7], vcc, s[6:7]
	s_and_b64 s[6:7], exec, s[6:7]
	s_or_b64 s[18:19], s[6:7], s[18:19]
	s_andn2_b64 exec, exec, s[18:19]
	s_cbranch_execnz .LBB124_9
.LBB124_10:
	s_or_b64 exec, exec, s[12:13]
	v_mov_b32_e32 v126, 0
	s_waitcnt lgkmcnt(0)
	; wave barrier
	ds_read_b32 v125, v126 offset:488
	s_and_saveexec_b64 s[6:7], s[4:5]
	s_cbranch_execz .LBB124_12
; %bb.11:
	s_lshl_b64 s[12:13], s[8:9], 2
	s_add_u32 s12, s14, s12
	s_addc_u32 s13, s15, s13
	s_waitcnt lgkmcnt(0)
	global_store_dword v126, v125, s[12:13]
.LBB124_12:
	s_or_b64 exec, exec, s[6:7]
	s_waitcnt lgkmcnt(0)
	v_cmp_ne_u32_e32 vcc, 0, v125
	s_mov_b64 s[6:7], 0
	s_cbranch_vccnz .LBB124_250
; %bb.13:
	buffer_load_dword v126, v124, s[0:3], 0 offen
	buffer_load_dword v127, v124, s[0:3], 0 offen offset:4
	s_waitcnt vmcnt(0)
	v_div_scale_f64 v[128:129], s[6:7], v[126:127], v[126:127], 1.0
	v_rcp_f64_e32 v[130:131], v[128:129]
	v_div_scale_f64 v[132:133], vcc, 1.0, v[126:127], 1.0
	v_fma_f64 v[134:135], -v[128:129], v[130:131], 1.0
	v_fmac_f64_e32 v[130:131], v[130:131], v[134:135]
	v_fma_f64 v[134:135], -v[128:129], v[130:131], 1.0
	v_fmac_f64_e32 v[130:131], v[130:131], v[134:135]
	v_mul_f64 v[134:135], v[132:133], v[130:131]
	v_fma_f64 v[128:129], -v[128:129], v[134:135], v[132:133]
	v_div_fmas_f64 v[128:129], v[128:129], v[130:131], v[134:135]
	v_div_fixup_f64 v[128:129], v[128:129], v[126:127], 1.0
	buffer_store_dword v129, v124, s[0:3], 0 offen offset:4
	buffer_store_dword v128, v124, s[0:3], 0 offen
	buffer_load_dword v131, off, s[0:3], 0 offset:12
	buffer_load_dword v130, off, s[0:3], 0 offset:8
	v_add_u32_e32 v126, 0x1f0, v1
	v_xor_b32_e32 v129, 0x80000000, v129
	s_waitcnt vmcnt(0)
	ds_write2_b64 v1, v[128:129], v[130:131] offset1:62
	s_waitcnt lgkmcnt(0)
	; wave barrier
	s_waitcnt lgkmcnt(0)
	s_and_saveexec_b64 s[6:7], s[4:5]
	s_cbranch_execz .LBB124_15
; %bb.14:
	buffer_load_dword v128, v124, s[0:3], 0 offen
	buffer_load_dword v129, v124, s[0:3], 0 offen offset:4
	v_mov_b32_e32 v125, 0
	ds_read_b64 v[130:131], v126
	ds_read_b64 v[132:133], v125 offset:8
	s_waitcnt vmcnt(0) lgkmcnt(1)
	v_fma_f64 v[128:129], v[128:129], v[130:131], 0
	s_waitcnt lgkmcnt(0)
	v_mul_f64 v[128:129], v[128:129], v[132:133]
	buffer_store_dword v128, off, s[0:3], 0 offset:8
	buffer_store_dword v129, off, s[0:3], 0 offset:12
.LBB124_15:
	s_or_b64 exec, exec, s[6:7]
	s_waitcnt lgkmcnt(0)
	; wave barrier
	buffer_load_dword v128, off, s[0:3], 0 offset:16
	buffer_load_dword v129, off, s[0:3], 0 offset:20
	v_cmp_gt_u32_e32 vcc, 2, v0
	s_waitcnt vmcnt(0)
	ds_write_b64 v126, v[128:129]
	s_waitcnt lgkmcnt(0)
	; wave barrier
	s_waitcnt lgkmcnt(0)
	s_and_saveexec_b64 s[6:7], vcc
	s_cbranch_execz .LBB124_17
; %bb.16:
	buffer_load_dword v125, v124, s[0:3], 0 offen offset:4
	buffer_load_dword v132, off, s[0:3], 0 offset:8
	s_nop 0
	buffer_load_dword v124, v124, s[0:3], 0 offen
	s_nop 0
	buffer_load_dword v133, off, s[0:3], 0 offset:12
	ds_read_b64 v[134:135], v126
	v_mov_b32_e32 v127, 0
	ds_read2_b64 v[128:131], v127 offset0:2 offset1:63
	s_waitcnt vmcnt(1) lgkmcnt(1)
	v_fma_f64 v[124:125], v[124:125], v[134:135], 0
	s_waitcnt vmcnt(0) lgkmcnt(0)
	v_fma_f64 v[130:131], v[132:133], v[130:131], v[124:125]
	v_cndmask_b32_e64 v125, v125, v131, s[4:5]
	v_cndmask_b32_e64 v124, v124, v130, s[4:5]
	v_mul_f64 v[124:125], v[124:125], v[128:129]
	buffer_store_dword v125, off, s[0:3], 0 offset:20
	buffer_store_dword v124, off, s[0:3], 0 offset:16
.LBB124_17:
	s_or_b64 exec, exec, s[6:7]
	s_waitcnt lgkmcnt(0)
	; wave barrier
	buffer_load_dword v124, off, s[0:3], 0 offset:24
	buffer_load_dword v125, off, s[0:3], 0 offset:28
	v_cmp_gt_u32_e32 vcc, 3, v0
	v_add_u32_e32 v127, -1, v0
	s_waitcnt vmcnt(0)
	ds_write_b64 v126, v[124:125]
	s_waitcnt lgkmcnt(0)
	; wave barrier
	s_waitcnt lgkmcnt(0)
	s_and_saveexec_b64 s[4:5], vcc
	s_cbranch_execz .LBB124_21
; %bb.18:
	v_add_u32_e32 v128, -1, v0
	v_add_u32_e32 v129, 0x1f0, v1
	v_add_u32_e32 v130, 0, v1
	s_mov_b64 s[6:7], 0
	v_pk_mov_b32 v[124:125], 0, 0
.LBB124_19:                             ; =>This Inner Loop Header: Depth=1
	buffer_load_dword v132, v130, s[0:3], 0 offen
	buffer_load_dword v133, v130, s[0:3], 0 offen offset:4
	ds_read_b64 v[134:135], v129
	v_add_u32_e32 v128, 1, v128
	v_cmp_lt_u32_e32 vcc, 1, v128
	v_add_u32_e32 v129, 8, v129
	v_add_u32_e32 v130, 8, v130
	s_or_b64 s[6:7], vcc, s[6:7]
	s_waitcnt vmcnt(0) lgkmcnt(0)
	v_fmac_f64_e32 v[124:125], v[132:133], v[134:135]
	s_andn2_b64 exec, exec, s[6:7]
	s_cbranch_execnz .LBB124_19
; %bb.20:
	s_or_b64 exec, exec, s[6:7]
	v_mov_b32_e32 v128, 0
	ds_read_b64 v[128:129], v128 offset:24
	s_waitcnt lgkmcnt(0)
	v_mul_f64 v[124:125], v[124:125], v[128:129]
	buffer_store_dword v125, off, s[0:3], 0 offset:28
	buffer_store_dword v124, off, s[0:3], 0 offset:24
.LBB124_21:
	s_or_b64 exec, exec, s[4:5]
	s_waitcnt lgkmcnt(0)
	; wave barrier
	buffer_load_dword v124, off, s[0:3], 0 offset:32
	buffer_load_dword v125, off, s[0:3], 0 offset:36
	v_cmp_gt_u32_e32 vcc, 4, v0
	s_waitcnt vmcnt(0)
	ds_write_b64 v126, v[124:125]
	s_waitcnt lgkmcnt(0)
	; wave barrier
	s_waitcnt lgkmcnt(0)
	s_and_saveexec_b64 s[4:5], vcc
	s_cbranch_execz .LBB124_25
; %bb.22:
	v_add_u32_e32 v128, -1, v0
	v_add_u32_e32 v129, 0x1f0, v1
	v_add_u32_e32 v130, 0, v1
	s_mov_b64 s[6:7], 0
	v_pk_mov_b32 v[124:125], 0, 0
.LBB124_23:                             ; =>This Inner Loop Header: Depth=1
	buffer_load_dword v132, v130, s[0:3], 0 offen
	buffer_load_dword v133, v130, s[0:3], 0 offen offset:4
	ds_read_b64 v[134:135], v129
	v_add_u32_e32 v128, 1, v128
	v_cmp_lt_u32_e32 vcc, 2, v128
	v_add_u32_e32 v129, 8, v129
	v_add_u32_e32 v130, 8, v130
	s_or_b64 s[6:7], vcc, s[6:7]
	s_waitcnt vmcnt(0) lgkmcnt(0)
	v_fmac_f64_e32 v[124:125], v[132:133], v[134:135]
	s_andn2_b64 exec, exec, s[6:7]
	s_cbranch_execnz .LBB124_23
; %bb.24:
	s_or_b64 exec, exec, s[6:7]
	v_mov_b32_e32 v128, 0
	ds_read_b64 v[128:129], v128 offset:32
	s_waitcnt lgkmcnt(0)
	v_mul_f64 v[124:125], v[124:125], v[128:129]
	buffer_store_dword v125, off, s[0:3], 0 offset:36
	buffer_store_dword v124, off, s[0:3], 0 offset:32
.LBB124_25:
	s_or_b64 exec, exec, s[4:5]
	s_waitcnt lgkmcnt(0)
	; wave barrier
	buffer_load_dword v124, off, s[0:3], 0 offset:40
	buffer_load_dword v125, off, s[0:3], 0 offset:44
	v_cmp_gt_u32_e32 vcc, 5, v0
	;; [unrolled: 41-line block ×21, first 2 shown]
	s_waitcnt vmcnt(0)
	ds_write_b64 v126, v[124:125]
	s_waitcnt lgkmcnt(0)
	; wave barrier
	s_waitcnt lgkmcnt(0)
	s_and_saveexec_b64 s[4:5], vcc
	s_cbranch_execz .LBB124_105
; %bb.102:
	v_add_u32_e32 v128, -1, v0
	v_add_u32_e32 v129, 0x1f0, v1
	v_add_u32_e32 v130, 0, v1
	s_mov_b64 s[6:7], 0
	v_pk_mov_b32 v[124:125], 0, 0
.LBB124_103:                            ; =>This Inner Loop Header: Depth=1
	buffer_load_dword v132, v130, s[0:3], 0 offen
	buffer_load_dword v133, v130, s[0:3], 0 offen offset:4
	ds_read_b64 v[134:135], v129
	v_add_u32_e32 v128, 1, v128
	v_cmp_lt_u32_e32 vcc, 22, v128
	v_add_u32_e32 v129, 8, v129
	v_add_u32_e32 v130, 8, v130
	s_or_b64 s[6:7], vcc, s[6:7]
	s_waitcnt vmcnt(0) lgkmcnt(0)
	v_fmac_f64_e32 v[124:125], v[132:133], v[134:135]
	s_andn2_b64 exec, exec, s[6:7]
	s_cbranch_execnz .LBB124_103
; %bb.104:
	s_or_b64 exec, exec, s[6:7]
	v_mov_b32_e32 v128, 0
	ds_read_b64 v[128:129], v128 offset:192
	s_waitcnt lgkmcnt(0)
	v_mul_f64 v[124:125], v[124:125], v[128:129]
	buffer_store_dword v125, off, s[0:3], 0 offset:196
	buffer_store_dword v124, off, s[0:3], 0 offset:192
.LBB124_105:
	s_or_b64 exec, exec, s[4:5]
	s_waitcnt lgkmcnt(0)
	; wave barrier
	buffer_load_dword v124, off, s[0:3], 0 offset:200
	buffer_load_dword v125, off, s[0:3], 0 offset:204
	v_cmp_gt_u32_e32 vcc, 25, v0
	s_waitcnt vmcnt(0)
	ds_write_b64 v126, v[124:125]
	s_waitcnt lgkmcnt(0)
	; wave barrier
	s_waitcnt lgkmcnt(0)
	s_and_saveexec_b64 s[4:5], vcc
	s_cbranch_execz .LBB124_109
; %bb.106:
	v_add_u32_e32 v128, -1, v0
	v_add_u32_e32 v129, 0x1f0, v1
	v_add_u32_e32 v130, 0, v1
	s_mov_b64 s[6:7], 0
	v_pk_mov_b32 v[124:125], 0, 0
.LBB124_107:                            ; =>This Inner Loop Header: Depth=1
	buffer_load_dword v132, v130, s[0:3], 0 offen
	buffer_load_dword v133, v130, s[0:3], 0 offen offset:4
	ds_read_b64 v[134:135], v129
	v_add_u32_e32 v128, 1, v128
	v_cmp_lt_u32_e32 vcc, 23, v128
	v_add_u32_e32 v129, 8, v129
	v_add_u32_e32 v130, 8, v130
	s_or_b64 s[6:7], vcc, s[6:7]
	s_waitcnt vmcnt(0) lgkmcnt(0)
	v_fmac_f64_e32 v[124:125], v[132:133], v[134:135]
	s_andn2_b64 exec, exec, s[6:7]
	s_cbranch_execnz .LBB124_107
; %bb.108:
	s_or_b64 exec, exec, s[6:7]
	v_mov_b32_e32 v128, 0
	ds_read_b64 v[128:129], v128 offset:200
	s_waitcnt lgkmcnt(0)
	v_mul_f64 v[124:125], v[124:125], v[128:129]
	buffer_store_dword v125, off, s[0:3], 0 offset:204
	buffer_store_dword v124, off, s[0:3], 0 offset:200
.LBB124_109:
	s_or_b64 exec, exec, s[4:5]
	s_waitcnt lgkmcnt(0)
	; wave barrier
	buffer_load_dword v124, off, s[0:3], 0 offset:208
	buffer_load_dword v125, off, s[0:3], 0 offset:212
	v_cmp_gt_u32_e32 vcc, 26, v0
	;; [unrolled: 41-line block ×35, first 2 shown]
	s_waitcnt vmcnt(0)
	ds_write_b64 v126, v[124:125]
	s_waitcnt lgkmcnt(0)
	; wave barrier
	s_waitcnt lgkmcnt(0)
	s_and_saveexec_b64 s[4:5], vcc
	s_cbranch_execz .LBB124_245
; %bb.242:
	v_add_u32_e32 v128, -1, v0
	v_add_u32_e32 v129, 0x1f0, v1
	v_add_u32_e32 v130, 0, v1
	s_mov_b64 s[6:7], 0
	v_pk_mov_b32 v[124:125], 0, 0
.LBB124_243:                            ; =>This Inner Loop Header: Depth=1
	buffer_load_dword v132, v130, s[0:3], 0 offen
	buffer_load_dword v133, v130, s[0:3], 0 offen offset:4
	ds_read_b64 v[134:135], v129
	v_add_u32_e32 v128, 1, v128
	v_cmp_lt_u32_e32 vcc, 57, v128
	v_add_u32_e32 v129, 8, v129
	v_add_u32_e32 v130, 8, v130
	s_or_b64 s[6:7], vcc, s[6:7]
	s_waitcnt vmcnt(0) lgkmcnt(0)
	v_fmac_f64_e32 v[124:125], v[132:133], v[134:135]
	s_andn2_b64 exec, exec, s[6:7]
	s_cbranch_execnz .LBB124_243
; %bb.244:
	s_or_b64 exec, exec, s[6:7]
	v_mov_b32_e32 v128, 0
	ds_read_b64 v[128:129], v128 offset:472
	s_waitcnt lgkmcnt(0)
	v_mul_f64 v[124:125], v[124:125], v[128:129]
	buffer_store_dword v125, off, s[0:3], 0 offset:476
	buffer_store_dword v124, off, s[0:3], 0 offset:472
.LBB124_245:
	s_or_b64 exec, exec, s[4:5]
	s_waitcnt lgkmcnt(0)
	; wave barrier
	buffer_load_dword v124, off, s[0:3], 0 offset:480
	buffer_load_dword v125, off, s[0:3], 0 offset:484
	v_cmp_ne_u32_e32 vcc, 60, v0
	s_waitcnt vmcnt(0)
	ds_write_b64 v126, v[124:125]
	s_waitcnt lgkmcnt(0)
	; wave barrier
	s_waitcnt lgkmcnt(0)
	s_and_saveexec_b64 s[4:5], vcc
	s_cbranch_execz .LBB124_249
; %bb.246:
	v_add_u32_e32 v126, 0x1f0, v1
	v_add_u32_e32 v1, 0, v1
	s_mov_b64 s[6:7], 0
	v_pk_mov_b32 v[124:125], 0, 0
.LBB124_247:                            ; =>This Inner Loop Header: Depth=1
	buffer_load_dword v128, v1, s[0:3], 0 offen
	buffer_load_dword v129, v1, s[0:3], 0 offen offset:4
	ds_read_b64 v[130:131], v126
	v_add_u32_e32 v127, 1, v127
	v_cmp_lt_u32_e32 vcc, 58, v127
	v_add_u32_e32 v126, 8, v126
	v_add_u32_e32 v1, 8, v1
	s_or_b64 s[6:7], vcc, s[6:7]
	s_waitcnt vmcnt(0) lgkmcnt(0)
	v_fmac_f64_e32 v[124:125], v[128:129], v[130:131]
	s_andn2_b64 exec, exec, s[6:7]
	s_cbranch_execnz .LBB124_247
; %bb.248:
	s_or_b64 exec, exec, s[6:7]
	v_mov_b32_e32 v1, 0
	ds_read_b64 v[126:127], v1 offset:480
	s_waitcnt lgkmcnt(0)
	v_mul_f64 v[124:125], v[124:125], v[126:127]
	buffer_store_dword v125, off, s[0:3], 0 offset:484
	buffer_store_dword v124, off, s[0:3], 0 offset:480
.LBB124_249:
	s_or_b64 exec, exec, s[4:5]
	s_mov_b64 s[6:7], -1
	s_waitcnt lgkmcnt(0)
	; wave barrier
.LBB124_250:
	s_and_b64 vcc, exec, s[6:7]
	s_cbranch_vccz .LBB124_252
; %bb.251:
	s_lshl_b64 s[4:5], s[8:9], 2
	s_add_u32 s4, s14, s4
	s_addc_u32 s5, s15, s5
	v_mov_b32_e32 v1, 0
	global_load_dword v1, v1, s[4:5]
	s_waitcnt vmcnt(0)
	v_cmp_ne_u32_e32 vcc, 0, v1
	s_cbranch_vccz .LBB124_253
.LBB124_252:
	s_endpgm
.LBB124_253:
	v_mov_b32_e32 v1, 0x1f0
	v_lshl_add_u32 v1, v0, 3, v1
	v_cmp_eq_u32_e32 vcc, 60, v0
	s_and_saveexec_b64 s[4:5], vcc
	s_cbranch_execz .LBB124_255
; %bb.254:
	buffer_load_dword v124, off, s[0:3], 0 offset:472
	buffer_load_dword v125, off, s[0:3], 0 offset:476
	v_mov_b32_e32 v126, 0
	buffer_store_dword v126, off, s[0:3], 0 offset:472
	buffer_store_dword v126, off, s[0:3], 0 offset:476
	s_waitcnt vmcnt(2)
	ds_write_b64 v1, v[124:125]
.LBB124_255:
	s_or_b64 exec, exec, s[4:5]
	s_waitcnt lgkmcnt(0)
	; wave barrier
	s_waitcnt lgkmcnt(0)
	buffer_load_dword v126, off, s[0:3], 0 offset:480
	buffer_load_dword v127, off, s[0:3], 0 offset:484
	;; [unrolled: 1-line block ×4, first 2 shown]
	v_mov_b32_e32 v124, 0
	ds_read_b64 v[130:131], v124 offset:976
	v_cmp_lt_u32_e32 vcc, 58, v0
	s_waitcnt vmcnt(2) lgkmcnt(0)
	v_fma_f64 v[126:127], v[126:127], v[130:131], 0
	s_waitcnt vmcnt(0)
	v_add_f64 v[126:127], v[128:129], -v[126:127]
	buffer_store_dword v126, off, s[0:3], 0 offset:472
	buffer_store_dword v127, off, s[0:3], 0 offset:476
	s_and_saveexec_b64 s[4:5], vcc
	s_cbranch_execz .LBB124_257
; %bb.256:
	buffer_load_dword v126, off, s[0:3], 0 offset:464
	buffer_load_dword v127, off, s[0:3], 0 offset:468
	s_waitcnt vmcnt(0)
	ds_write_b64 v1, v[126:127]
	buffer_store_dword v124, off, s[0:3], 0 offset:464
	buffer_store_dword v124, off, s[0:3], 0 offset:468
.LBB124_257:
	s_or_b64 exec, exec, s[4:5]
	s_waitcnt lgkmcnt(0)
	; wave barrier
	s_waitcnt lgkmcnt(0)
	buffer_load_dword v128, off, s[0:3], 0 offset:472
	buffer_load_dword v129, off, s[0:3], 0 offset:476
	buffer_load_dword v130, off, s[0:3], 0 offset:480
	buffer_load_dword v131, off, s[0:3], 0 offset:484
	buffer_load_dword v132, off, s[0:3], 0 offset:464
	buffer_load_dword v133, off, s[0:3], 0 offset:468
	ds_read2_b64 v[124:127], v124 offset0:121 offset1:122
	v_cmp_lt_u32_e32 vcc, 57, v0
	s_waitcnt vmcnt(4) lgkmcnt(0)
	v_fma_f64 v[124:125], v[128:129], v[124:125], 0
	s_waitcnt vmcnt(2)
	v_fmac_f64_e32 v[124:125], v[130:131], v[126:127]
	s_waitcnt vmcnt(0)
	v_add_f64 v[124:125], v[132:133], -v[124:125]
	buffer_store_dword v124, off, s[0:3], 0 offset:464
	buffer_store_dword v125, off, s[0:3], 0 offset:468
	s_and_saveexec_b64 s[4:5], vcc
	s_cbranch_execz .LBB124_259
; %bb.258:
	buffer_load_dword v124, off, s[0:3], 0 offset:456
	buffer_load_dword v125, off, s[0:3], 0 offset:460
	v_mov_b32_e32 v126, 0
	buffer_store_dword v126, off, s[0:3], 0 offset:456
	buffer_store_dword v126, off, s[0:3], 0 offset:460
	s_waitcnt vmcnt(2)
	ds_write_b64 v1, v[124:125]
.LBB124_259:
	s_or_b64 exec, exec, s[4:5]
	s_waitcnt lgkmcnt(0)
	; wave barrier
	s_waitcnt lgkmcnt(0)
	buffer_load_dword v130, off, s[0:3], 0 offset:464
	buffer_load_dword v131, off, s[0:3], 0 offset:468
	;; [unrolled: 1-line block ×8, first 2 shown]
	v_mov_b32_e32 v124, 0
	ds_read_b128 v[126:129], v124 offset:960
	ds_read_b64 v[138:139], v124 offset:976
	v_cmp_lt_u32_e32 vcc, 56, v0
	s_waitcnt vmcnt(6) lgkmcnt(1)
	v_fma_f64 v[126:127], v[130:131], v[126:127], 0
	s_waitcnt vmcnt(4)
	v_fmac_f64_e32 v[126:127], v[132:133], v[128:129]
	s_waitcnt vmcnt(2) lgkmcnt(0)
	v_fmac_f64_e32 v[126:127], v[134:135], v[138:139]
	s_waitcnt vmcnt(0)
	v_add_f64 v[126:127], v[136:137], -v[126:127]
	buffer_store_dword v126, off, s[0:3], 0 offset:456
	buffer_store_dword v127, off, s[0:3], 0 offset:460
	s_and_saveexec_b64 s[4:5], vcc
	s_cbranch_execz .LBB124_261
; %bb.260:
	buffer_load_dword v126, off, s[0:3], 0 offset:448
	buffer_load_dword v127, off, s[0:3], 0 offset:452
	s_waitcnt vmcnt(0)
	ds_write_b64 v1, v[126:127]
	buffer_store_dword v124, off, s[0:3], 0 offset:448
	buffer_store_dword v124, off, s[0:3], 0 offset:452
.LBB124_261:
	s_or_b64 exec, exec, s[4:5]
	s_waitcnt lgkmcnt(0)
	; wave barrier
	s_waitcnt lgkmcnt(0)
	buffer_load_dword v134, off, s[0:3], 0 offset:456
	buffer_load_dword v135, off, s[0:3], 0 offset:460
	;; [unrolled: 1-line block ×10, first 2 shown]
	ds_read2_b64 v[126:129], v124 offset0:119 offset1:120
	ds_read2_b64 v[130:133], v124 offset0:121 offset1:122
	v_cmp_lt_u32_e32 vcc, 55, v0
	s_waitcnt vmcnt(8) lgkmcnt(1)
	v_fma_f64 v[124:125], v[134:135], v[126:127], 0
	s_waitcnt vmcnt(6)
	v_fmac_f64_e32 v[124:125], v[136:137], v[128:129]
	s_waitcnt vmcnt(4) lgkmcnt(0)
	v_fmac_f64_e32 v[124:125], v[138:139], v[130:131]
	s_waitcnt vmcnt(2)
	v_fmac_f64_e32 v[124:125], v[140:141], v[132:133]
	s_waitcnt vmcnt(0)
	v_add_f64 v[124:125], v[142:143], -v[124:125]
	buffer_store_dword v124, off, s[0:3], 0 offset:448
	buffer_store_dword v125, off, s[0:3], 0 offset:452
	s_and_saveexec_b64 s[4:5], vcc
	s_cbranch_execz .LBB124_263
; %bb.262:
	buffer_load_dword v124, off, s[0:3], 0 offset:440
	buffer_load_dword v125, off, s[0:3], 0 offset:444
	v_mov_b32_e32 v126, 0
	buffer_store_dword v126, off, s[0:3], 0 offset:440
	buffer_store_dword v126, off, s[0:3], 0 offset:444
	s_waitcnt vmcnt(2)
	ds_write_b64 v1, v[124:125]
.LBB124_263:
	s_or_b64 exec, exec, s[4:5]
	s_waitcnt lgkmcnt(0)
	; wave barrier
	s_waitcnt lgkmcnt(0)
	buffer_load_dword v134, off, s[0:3], 0 offset:448
	buffer_load_dword v135, off, s[0:3], 0 offset:452
	;; [unrolled: 1-line block ×12, first 2 shown]
	v_mov_b32_e32 v124, 0
	ds_read_b128 v[126:129], v124 offset:944
	ds_read_b128 v[130:133], v124 offset:960
	ds_read_b64 v[146:147], v124 offset:976
	v_cmp_lt_u32_e32 vcc, 54, v0
	s_waitcnt vmcnt(10) lgkmcnt(2)
	v_fma_f64 v[126:127], v[134:135], v[126:127], 0
	s_waitcnt vmcnt(8)
	v_fmac_f64_e32 v[126:127], v[136:137], v[128:129]
	s_waitcnt vmcnt(6) lgkmcnt(1)
	v_fmac_f64_e32 v[126:127], v[138:139], v[130:131]
	s_waitcnt vmcnt(4)
	v_fmac_f64_e32 v[126:127], v[140:141], v[132:133]
	s_waitcnt vmcnt(2) lgkmcnt(0)
	v_fmac_f64_e32 v[126:127], v[142:143], v[146:147]
	s_waitcnt vmcnt(0)
	v_add_f64 v[126:127], v[144:145], -v[126:127]
	buffer_store_dword v126, off, s[0:3], 0 offset:440
	buffer_store_dword v127, off, s[0:3], 0 offset:444
	s_and_saveexec_b64 s[4:5], vcc
	s_cbranch_execz .LBB124_265
; %bb.264:
	buffer_load_dword v126, off, s[0:3], 0 offset:432
	buffer_load_dword v127, off, s[0:3], 0 offset:436
	s_waitcnt vmcnt(0)
	ds_write_b64 v1, v[126:127]
	buffer_store_dword v124, off, s[0:3], 0 offset:432
	buffer_store_dword v124, off, s[0:3], 0 offset:436
.LBB124_265:
	s_or_b64 exec, exec, s[4:5]
	s_waitcnt lgkmcnt(0)
	; wave barrier
	s_waitcnt lgkmcnt(0)
	buffer_load_dword v138, off, s[0:3], 0 offset:440
	buffer_load_dword v139, off, s[0:3], 0 offset:444
	;; [unrolled: 1-line block ×14, first 2 shown]
	ds_read2_b64 v[126:129], v124 offset0:117 offset1:118
	ds_read2_b64 v[130:133], v124 offset0:119 offset1:120
	;; [unrolled: 1-line block ×3, first 2 shown]
	v_cmp_lt_u32_e32 vcc, 53, v0
	s_waitcnt vmcnt(12) lgkmcnt(2)
	v_fma_f64 v[124:125], v[138:139], v[126:127], 0
	s_waitcnt vmcnt(10)
	v_fmac_f64_e32 v[124:125], v[140:141], v[128:129]
	s_waitcnt vmcnt(8) lgkmcnt(1)
	v_fmac_f64_e32 v[124:125], v[142:143], v[130:131]
	s_waitcnt vmcnt(6)
	v_fmac_f64_e32 v[124:125], v[144:145], v[132:133]
	s_waitcnt vmcnt(4) lgkmcnt(0)
	v_fmac_f64_e32 v[124:125], v[146:147], v[134:135]
	s_waitcnt vmcnt(2)
	v_fmac_f64_e32 v[124:125], v[148:149], v[136:137]
	s_waitcnt vmcnt(0)
	v_add_f64 v[124:125], v[150:151], -v[124:125]
	buffer_store_dword v124, off, s[0:3], 0 offset:432
	buffer_store_dword v125, off, s[0:3], 0 offset:436
	s_and_saveexec_b64 s[4:5], vcc
	s_cbranch_execz .LBB124_267
; %bb.266:
	buffer_load_dword v124, off, s[0:3], 0 offset:424
	buffer_load_dword v125, off, s[0:3], 0 offset:428
	v_mov_b32_e32 v126, 0
	buffer_store_dword v126, off, s[0:3], 0 offset:424
	buffer_store_dword v126, off, s[0:3], 0 offset:428
	s_waitcnt vmcnt(2)
	ds_write_b64 v1, v[124:125]
.LBB124_267:
	s_or_b64 exec, exec, s[4:5]
	s_waitcnt lgkmcnt(0)
	; wave barrier
	s_waitcnt lgkmcnt(0)
	buffer_load_dword v138, off, s[0:3], 0 offset:432
	buffer_load_dword v139, off, s[0:3], 0 offset:436
	;; [unrolled: 1-line block ×16, first 2 shown]
	v_mov_b32_e32 v124, 0
	ds_read_b128 v[126:129], v124 offset:928
	ds_read_b128 v[130:133], v124 offset:944
	;; [unrolled: 1-line block ×3, first 2 shown]
	ds_read_b64 v[154:155], v124 offset:976
	v_cmp_lt_u32_e32 vcc, 52, v0
	s_waitcnt vmcnt(14) lgkmcnt(3)
	v_fma_f64 v[126:127], v[138:139], v[126:127], 0
	s_waitcnt vmcnt(12)
	v_fmac_f64_e32 v[126:127], v[140:141], v[128:129]
	s_waitcnt vmcnt(10) lgkmcnt(2)
	v_fmac_f64_e32 v[126:127], v[142:143], v[130:131]
	s_waitcnt vmcnt(8)
	v_fmac_f64_e32 v[126:127], v[144:145], v[132:133]
	s_waitcnt vmcnt(6) lgkmcnt(1)
	v_fmac_f64_e32 v[126:127], v[146:147], v[134:135]
	;; [unrolled: 4-line block ×3, first 2 shown]
	s_waitcnt vmcnt(0)
	v_add_f64 v[126:127], v[152:153], -v[126:127]
	buffer_store_dword v126, off, s[0:3], 0 offset:424
	buffer_store_dword v127, off, s[0:3], 0 offset:428
	s_and_saveexec_b64 s[4:5], vcc
	s_cbranch_execz .LBB124_269
; %bb.268:
	buffer_load_dword v126, off, s[0:3], 0 offset:416
	buffer_load_dword v127, off, s[0:3], 0 offset:420
	s_waitcnt vmcnt(0)
	ds_write_b64 v1, v[126:127]
	buffer_store_dword v124, off, s[0:3], 0 offset:416
	buffer_store_dword v124, off, s[0:3], 0 offset:420
.LBB124_269:
	s_or_b64 exec, exec, s[4:5]
	s_waitcnt lgkmcnt(0)
	; wave barrier
	s_waitcnt lgkmcnt(0)
	buffer_load_dword v142, off, s[0:3], 0 offset:424
	buffer_load_dword v143, off, s[0:3], 0 offset:428
	;; [unrolled: 1-line block ×18, first 2 shown]
	ds_read2_b64 v[126:129], v124 offset0:115 offset1:116
	ds_read2_b64 v[130:133], v124 offset0:117 offset1:118
	ds_read2_b64 v[134:137], v124 offset0:119 offset1:120
	ds_read2_b64 v[138:141], v124 offset0:121 offset1:122
	v_cmp_lt_u32_e32 vcc, 51, v0
	s_waitcnt vmcnt(16) lgkmcnt(3)
	v_fma_f64 v[124:125], v[142:143], v[126:127], 0
	s_waitcnt vmcnt(14)
	v_fmac_f64_e32 v[124:125], v[144:145], v[128:129]
	s_waitcnt vmcnt(12) lgkmcnt(2)
	v_fmac_f64_e32 v[124:125], v[146:147], v[130:131]
	s_waitcnt vmcnt(10)
	v_fmac_f64_e32 v[124:125], v[148:149], v[132:133]
	s_waitcnt vmcnt(8) lgkmcnt(1)
	v_fmac_f64_e32 v[124:125], v[150:151], v[134:135]
	;; [unrolled: 4-line block ×3, first 2 shown]
	s_waitcnt vmcnt(2)
	v_fmac_f64_e32 v[124:125], v[156:157], v[140:141]
	s_waitcnt vmcnt(0)
	v_add_f64 v[124:125], v[158:159], -v[124:125]
	buffer_store_dword v124, off, s[0:3], 0 offset:416
	buffer_store_dword v125, off, s[0:3], 0 offset:420
	s_and_saveexec_b64 s[4:5], vcc
	s_cbranch_execz .LBB124_271
; %bb.270:
	buffer_load_dword v124, off, s[0:3], 0 offset:408
	buffer_load_dword v125, off, s[0:3], 0 offset:412
	v_mov_b32_e32 v126, 0
	buffer_store_dword v126, off, s[0:3], 0 offset:408
	buffer_store_dword v126, off, s[0:3], 0 offset:412
	s_waitcnt vmcnt(2)
	ds_write_b64 v1, v[124:125]
.LBB124_271:
	s_or_b64 exec, exec, s[4:5]
	s_waitcnt lgkmcnt(0)
	; wave barrier
	s_waitcnt lgkmcnt(0)
	buffer_load_dword v142, off, s[0:3], 0 offset:416
	buffer_load_dword v143, off, s[0:3], 0 offset:420
	;; [unrolled: 1-line block ×20, first 2 shown]
	v_mov_b32_e32 v124, 0
	ds_read_b128 v[126:129], v124 offset:912
	ds_read_b128 v[130:133], v124 offset:928
	;; [unrolled: 1-line block ×4, first 2 shown]
	ds_read_b64 v[162:163], v124 offset:976
	v_cmp_lt_u32_e32 vcc, 50, v0
	s_waitcnt vmcnt(18) lgkmcnt(4)
	v_fma_f64 v[126:127], v[142:143], v[126:127], 0
	s_waitcnt vmcnt(16)
	v_fmac_f64_e32 v[126:127], v[144:145], v[128:129]
	s_waitcnt vmcnt(14) lgkmcnt(3)
	v_fmac_f64_e32 v[126:127], v[146:147], v[130:131]
	s_waitcnt vmcnt(12)
	v_fmac_f64_e32 v[126:127], v[148:149], v[132:133]
	s_waitcnt vmcnt(10) lgkmcnt(2)
	v_fmac_f64_e32 v[126:127], v[150:151], v[134:135]
	;; [unrolled: 4-line block ×3, first 2 shown]
	s_waitcnt vmcnt(2)
	v_fmac_f64_e32 v[126:127], v[158:159], v[140:141]
	s_waitcnt lgkmcnt(0)
	v_fmac_f64_e32 v[126:127], v[156:157], v[162:163]
	s_waitcnt vmcnt(0)
	v_add_f64 v[126:127], v[160:161], -v[126:127]
	buffer_store_dword v126, off, s[0:3], 0 offset:408
	buffer_store_dword v127, off, s[0:3], 0 offset:412
	s_and_saveexec_b64 s[4:5], vcc
	s_cbranch_execz .LBB124_273
; %bb.272:
	buffer_load_dword v126, off, s[0:3], 0 offset:400
	buffer_load_dword v127, off, s[0:3], 0 offset:404
	s_waitcnt vmcnt(0)
	ds_write_b64 v1, v[126:127]
	buffer_store_dword v124, off, s[0:3], 0 offset:400
	buffer_store_dword v124, off, s[0:3], 0 offset:404
.LBB124_273:
	s_or_b64 exec, exec, s[4:5]
	s_waitcnt lgkmcnt(0)
	; wave barrier
	s_waitcnt lgkmcnt(0)
	buffer_load_dword v146, off, s[0:3], 0 offset:408
	buffer_load_dword v147, off, s[0:3], 0 offset:412
	;; [unrolled: 1-line block ×22, first 2 shown]
	ds_read2_b64 v[126:129], v124 offset0:113 offset1:114
	ds_read2_b64 v[130:133], v124 offset0:115 offset1:116
	;; [unrolled: 1-line block ×5, first 2 shown]
	v_cmp_lt_u32_e32 vcc, 49, v0
	s_waitcnt vmcnt(20) lgkmcnt(4)
	v_fma_f64 v[124:125], v[146:147], v[126:127], 0
	s_waitcnt vmcnt(18)
	v_fmac_f64_e32 v[124:125], v[148:149], v[128:129]
	s_waitcnt vmcnt(16) lgkmcnt(3)
	v_fmac_f64_e32 v[124:125], v[150:151], v[130:131]
	s_waitcnt vmcnt(14)
	v_fmac_f64_e32 v[124:125], v[152:153], v[132:133]
	s_waitcnt vmcnt(12) lgkmcnt(2)
	v_fmac_f64_e32 v[124:125], v[154:155], v[134:135]
	;; [unrolled: 4-line block ×3, first 2 shown]
	s_waitcnt vmcnt(3)
	v_fmac_f64_e32 v[124:125], v[164:165], v[140:141]
	s_waitcnt lgkmcnt(0)
	v_fmac_f64_e32 v[124:125], v[162:163], v[142:143]
	s_waitcnt vmcnt(2)
	v_fmac_f64_e32 v[124:125], v[160:161], v[144:145]
	s_waitcnt vmcnt(0)
	v_add_f64 v[124:125], v[166:167], -v[124:125]
	buffer_store_dword v124, off, s[0:3], 0 offset:400
	buffer_store_dword v125, off, s[0:3], 0 offset:404
	s_and_saveexec_b64 s[4:5], vcc
	s_cbranch_execz .LBB124_275
; %bb.274:
	buffer_load_dword v124, off, s[0:3], 0 offset:392
	buffer_load_dword v125, off, s[0:3], 0 offset:396
	v_mov_b32_e32 v126, 0
	buffer_store_dword v126, off, s[0:3], 0 offset:392
	buffer_store_dword v126, off, s[0:3], 0 offset:396
	s_waitcnt vmcnt(2)
	ds_write_b64 v1, v[124:125]
.LBB124_275:
	s_or_b64 exec, exec, s[4:5]
	s_waitcnt lgkmcnt(0)
	; wave barrier
	s_waitcnt lgkmcnt(0)
	buffer_load_dword v142, off, s[0:3], 0 offset:392
	buffer_load_dword v143, off, s[0:3], 0 offset:396
	;; [unrolled: 1-line block ×16, first 2 shown]
	v_mov_b32_e32 v124, 0
	ds_read_b128 v[126:129], v124 offset:896
	ds_read_b128 v[130:133], v124 offset:912
	;; [unrolled: 1-line block ×4, first 2 shown]
	v_cmp_lt_u32_e32 vcc, 48, v0
	s_waitcnt vmcnt(12) lgkmcnt(3)
	v_fma_f64 v[144:145], v[144:145], v[126:127], 0
	buffer_load_dword v127, off, s[0:3], 0 offset:460
	buffer_load_dword v126, off, s[0:3], 0 offset:456
	s_waitcnt vmcnt(12)
	v_fmac_f64_e32 v[144:145], v[146:147], v[128:129]
	s_waitcnt vmcnt(10) lgkmcnt(2)
	v_fmac_f64_e32 v[144:145], v[148:149], v[130:131]
	buffer_load_dword v131, off, s[0:3], 0 offset:468
	buffer_load_dword v130, off, s[0:3], 0 offset:464
	s_waitcnt vmcnt(10)
	v_fmac_f64_e32 v[144:145], v[150:151], v[132:133]
	s_waitcnt vmcnt(8) lgkmcnt(1)
	v_fmac_f64_e32 v[144:145], v[152:153], v[134:135]
	s_waitcnt vmcnt(6)
	v_fmac_f64_e32 v[144:145], v[154:155], v[136:137]
	s_waitcnt vmcnt(4) lgkmcnt(0)
	v_fmac_f64_e32 v[144:145], v[156:157], v[138:139]
	s_waitcnt vmcnt(2)
	v_fmac_f64_e32 v[144:145], v[126:127], v[140:141]
	ds_read_b128 v[126:129], v124 offset:960
	s_waitcnt vmcnt(0) lgkmcnt(0)
	v_fmac_f64_e32 v[144:145], v[130:131], v[126:127]
	buffer_load_dword v127, off, s[0:3], 0 offset:476
	buffer_load_dword v126, off, s[0:3], 0 offset:472
	s_waitcnt vmcnt(0)
	v_fmac_f64_e32 v[144:145], v[126:127], v[128:129]
	buffer_load_dword v127, off, s[0:3], 0 offset:484
	buffer_load_dword v126, off, s[0:3], 0 offset:480
	ds_read_b64 v[128:129], v124 offset:976
	s_waitcnt vmcnt(0) lgkmcnt(0)
	v_fmac_f64_e32 v[144:145], v[126:127], v[128:129]
	v_add_f64 v[126:127], v[142:143], -v[144:145]
	buffer_store_dword v127, off, s[0:3], 0 offset:396
	buffer_store_dword v126, off, s[0:3], 0 offset:392
	s_and_saveexec_b64 s[4:5], vcc
	s_cbranch_execz .LBB124_277
; %bb.276:
	buffer_load_dword v126, off, s[0:3], 0 offset:384
	buffer_load_dword v127, off, s[0:3], 0 offset:388
	s_waitcnt vmcnt(0)
	ds_write_b64 v1, v[126:127]
	buffer_store_dword v124, off, s[0:3], 0 offset:384
	buffer_store_dword v124, off, s[0:3], 0 offset:388
.LBB124_277:
	s_or_b64 exec, exec, s[4:5]
	s_waitcnt lgkmcnt(0)
	; wave barrier
	s_waitcnt lgkmcnt(0)
	buffer_load_dword v130, off, s[0:3], 0 offset:384
	buffer_load_dword v131, off, s[0:3], 0 offset:388
	;; [unrolled: 1-line block ×16, first 2 shown]
	ds_read2_b64 v[126:129], v124 offset0:111 offset1:112
	v_cmp_lt_u32_e32 vcc, 47, v0
	s_waitcnt vmcnt(12) lgkmcnt(0)
	v_fma_f64 v[132:133], v[132:133], v[126:127], 0
	s_waitcnt vmcnt(10)
	v_fmac_f64_e32 v[132:133], v[134:135], v[128:129]
	ds_read2_b64 v[126:129], v124 offset0:113 offset1:114
	s_waitcnt vmcnt(8) lgkmcnt(0)
	v_fmac_f64_e32 v[132:133], v[136:137], v[126:127]
	s_waitcnt vmcnt(6)
	v_fmac_f64_e32 v[132:133], v[138:139], v[128:129]
	ds_read2_b64 v[126:129], v124 offset0:115 offset1:116
	s_waitcnt vmcnt(4) lgkmcnt(0)
	v_fmac_f64_e32 v[132:133], v[140:141], v[126:127]
	;; [unrolled: 5-line block ×3, first 2 shown]
	buffer_load_dword v127, off, s[0:3], 0 offset:452
	buffer_load_dword v126, off, s[0:3], 0 offset:448
	;; [unrolled: 1-line block ×4, first 2 shown]
	s_waitcnt vmcnt(2)
	v_fmac_f64_e32 v[132:133], v[126:127], v[128:129]
	ds_read2_b64 v[126:129], v124 offset0:119 offset1:120
	s_waitcnt vmcnt(0) lgkmcnt(0)
	v_fmac_f64_e32 v[132:133], v[134:135], v[126:127]
	buffer_load_dword v127, off, s[0:3], 0 offset:468
	buffer_load_dword v126, off, s[0:3], 0 offset:464
	s_waitcnt vmcnt(0)
	v_fmac_f64_e32 v[132:133], v[126:127], v[128:129]
	buffer_load_dword v129, off, s[0:3], 0 offset:476
	buffer_load_dword v128, off, s[0:3], 0 offset:472
	ds_read2_b64 v[124:127], v124 offset0:121 offset1:122
	s_waitcnt vmcnt(0) lgkmcnt(0)
	v_fmac_f64_e32 v[132:133], v[128:129], v[124:125]
	buffer_load_dword v125, off, s[0:3], 0 offset:484
	buffer_load_dword v124, off, s[0:3], 0 offset:480
	s_waitcnt vmcnt(0)
	v_fmac_f64_e32 v[132:133], v[124:125], v[126:127]
	v_add_f64 v[124:125], v[130:131], -v[132:133]
	buffer_store_dword v125, off, s[0:3], 0 offset:388
	buffer_store_dword v124, off, s[0:3], 0 offset:384
	s_and_saveexec_b64 s[4:5], vcc
	s_cbranch_execz .LBB124_279
; %bb.278:
	buffer_load_dword v124, off, s[0:3], 0 offset:376
	buffer_load_dword v125, off, s[0:3], 0 offset:380
	v_mov_b32_e32 v126, 0
	buffer_store_dword v126, off, s[0:3], 0 offset:376
	buffer_store_dword v126, off, s[0:3], 0 offset:380
	s_waitcnt vmcnt(2)
	ds_write_b64 v1, v[124:125]
.LBB124_279:
	s_or_b64 exec, exec, s[4:5]
	s_waitcnt lgkmcnt(0)
	; wave barrier
	s_waitcnt lgkmcnt(0)
	buffer_load_dword v142, off, s[0:3], 0 offset:376
	buffer_load_dword v143, off, s[0:3], 0 offset:380
	;; [unrolled: 1-line block ×16, first 2 shown]
	v_mov_b32_e32 v124, 0
	ds_read_b128 v[126:129], v124 offset:880
	ds_read_b128 v[130:133], v124 offset:896
	;; [unrolled: 1-line block ×4, first 2 shown]
	v_cmp_lt_u32_e32 vcc, 46, v0
	s_waitcnt vmcnt(12) lgkmcnt(3)
	v_fma_f64 v[144:145], v[144:145], v[126:127], 0
	buffer_load_dword v127, off, s[0:3], 0 offset:444
	buffer_load_dword v126, off, s[0:3], 0 offset:440
	s_waitcnt vmcnt(12)
	v_fmac_f64_e32 v[144:145], v[146:147], v[128:129]
	s_waitcnt vmcnt(10) lgkmcnt(2)
	v_fmac_f64_e32 v[144:145], v[148:149], v[130:131]
	buffer_load_dword v131, off, s[0:3], 0 offset:452
	buffer_load_dword v130, off, s[0:3], 0 offset:448
	s_waitcnt vmcnt(10)
	v_fmac_f64_e32 v[144:145], v[150:151], v[132:133]
	s_waitcnt vmcnt(8) lgkmcnt(1)
	v_fmac_f64_e32 v[144:145], v[152:153], v[134:135]
	s_waitcnt vmcnt(6)
	v_fmac_f64_e32 v[144:145], v[154:155], v[136:137]
	s_waitcnt vmcnt(4) lgkmcnt(0)
	v_fmac_f64_e32 v[144:145], v[156:157], v[138:139]
	s_waitcnt vmcnt(2)
	v_fmac_f64_e32 v[144:145], v[126:127], v[140:141]
	ds_read_b128 v[126:129], v124 offset:944
	s_waitcnt vmcnt(0) lgkmcnt(0)
	v_fmac_f64_e32 v[144:145], v[130:131], v[126:127]
	buffer_load_dword v127, off, s[0:3], 0 offset:460
	buffer_load_dword v126, off, s[0:3], 0 offset:456
	;; [unrolled: 1-line block ×4, first 2 shown]
	s_waitcnt vmcnt(2)
	v_fmac_f64_e32 v[144:145], v[126:127], v[128:129]
	ds_read_b128 v[126:129], v124 offset:960
	s_waitcnt vmcnt(0) lgkmcnt(0)
	v_fmac_f64_e32 v[144:145], v[130:131], v[126:127]
	buffer_load_dword v127, off, s[0:3], 0 offset:476
	buffer_load_dword v126, off, s[0:3], 0 offset:472
	s_waitcnt vmcnt(0)
	v_fmac_f64_e32 v[144:145], v[126:127], v[128:129]
	buffer_load_dword v127, off, s[0:3], 0 offset:484
	buffer_load_dword v126, off, s[0:3], 0 offset:480
	ds_read_b64 v[128:129], v124 offset:976
	s_waitcnt vmcnt(0) lgkmcnt(0)
	v_fmac_f64_e32 v[144:145], v[126:127], v[128:129]
	v_add_f64 v[126:127], v[142:143], -v[144:145]
	buffer_store_dword v127, off, s[0:3], 0 offset:380
	buffer_store_dword v126, off, s[0:3], 0 offset:376
	s_and_saveexec_b64 s[4:5], vcc
	s_cbranch_execz .LBB124_281
; %bb.280:
	buffer_load_dword v126, off, s[0:3], 0 offset:368
	buffer_load_dword v127, off, s[0:3], 0 offset:372
	s_waitcnt vmcnt(0)
	ds_write_b64 v1, v[126:127]
	buffer_store_dword v124, off, s[0:3], 0 offset:368
	buffer_store_dword v124, off, s[0:3], 0 offset:372
.LBB124_281:
	s_or_b64 exec, exec, s[4:5]
	s_waitcnt lgkmcnt(0)
	; wave barrier
	s_waitcnt lgkmcnt(0)
	buffer_load_dword v130, off, s[0:3], 0 offset:368
	buffer_load_dword v131, off, s[0:3], 0 offset:372
	;; [unrolled: 1-line block ×16, first 2 shown]
	ds_read2_b64 v[126:129], v124 offset0:109 offset1:110
	v_cmp_lt_u32_e32 vcc, 45, v0
	s_waitcnt vmcnt(12) lgkmcnt(0)
	v_fma_f64 v[132:133], v[132:133], v[126:127], 0
	s_waitcnt vmcnt(10)
	v_fmac_f64_e32 v[132:133], v[134:135], v[128:129]
	ds_read2_b64 v[126:129], v124 offset0:111 offset1:112
	s_waitcnt vmcnt(8) lgkmcnt(0)
	v_fmac_f64_e32 v[132:133], v[136:137], v[126:127]
	s_waitcnt vmcnt(6)
	v_fmac_f64_e32 v[132:133], v[138:139], v[128:129]
	ds_read2_b64 v[126:129], v124 offset0:113 offset1:114
	s_waitcnt vmcnt(4) lgkmcnt(0)
	v_fmac_f64_e32 v[132:133], v[140:141], v[126:127]
	;; [unrolled: 5-line block ×3, first 2 shown]
	buffer_load_dword v127, off, s[0:3], 0 offset:436
	buffer_load_dword v126, off, s[0:3], 0 offset:432
	;; [unrolled: 1-line block ×4, first 2 shown]
	s_waitcnt vmcnt(2)
	v_fmac_f64_e32 v[132:133], v[126:127], v[128:129]
	ds_read2_b64 v[126:129], v124 offset0:117 offset1:118
	s_waitcnt vmcnt(0) lgkmcnt(0)
	v_fmac_f64_e32 v[132:133], v[134:135], v[126:127]
	buffer_load_dword v127, off, s[0:3], 0 offset:452
	buffer_load_dword v126, off, s[0:3], 0 offset:448
	;; [unrolled: 1-line block ×4, first 2 shown]
	s_waitcnt vmcnt(2)
	v_fmac_f64_e32 v[132:133], v[126:127], v[128:129]
	ds_read2_b64 v[126:129], v124 offset0:119 offset1:120
	s_waitcnt vmcnt(0) lgkmcnt(0)
	v_fmac_f64_e32 v[132:133], v[134:135], v[126:127]
	buffer_load_dword v127, off, s[0:3], 0 offset:468
	buffer_load_dword v126, off, s[0:3], 0 offset:464
	s_waitcnt vmcnt(0)
	v_fmac_f64_e32 v[132:133], v[126:127], v[128:129]
	buffer_load_dword v129, off, s[0:3], 0 offset:476
	buffer_load_dword v128, off, s[0:3], 0 offset:472
	ds_read2_b64 v[124:127], v124 offset0:121 offset1:122
	s_waitcnt vmcnt(0) lgkmcnt(0)
	v_fmac_f64_e32 v[132:133], v[128:129], v[124:125]
	buffer_load_dword v125, off, s[0:3], 0 offset:484
	buffer_load_dword v124, off, s[0:3], 0 offset:480
	s_waitcnt vmcnt(0)
	v_fmac_f64_e32 v[132:133], v[124:125], v[126:127]
	v_add_f64 v[124:125], v[130:131], -v[132:133]
	buffer_store_dword v125, off, s[0:3], 0 offset:372
	buffer_store_dword v124, off, s[0:3], 0 offset:368
	s_and_saveexec_b64 s[4:5], vcc
	s_cbranch_execz .LBB124_283
; %bb.282:
	buffer_load_dword v124, off, s[0:3], 0 offset:360
	buffer_load_dword v125, off, s[0:3], 0 offset:364
	v_mov_b32_e32 v126, 0
	buffer_store_dword v126, off, s[0:3], 0 offset:360
	buffer_store_dword v126, off, s[0:3], 0 offset:364
	s_waitcnt vmcnt(2)
	ds_write_b64 v1, v[124:125]
.LBB124_283:
	s_or_b64 exec, exec, s[4:5]
	s_waitcnt lgkmcnt(0)
	; wave barrier
	s_waitcnt lgkmcnt(0)
	buffer_load_dword v142, off, s[0:3], 0 offset:360
	buffer_load_dword v143, off, s[0:3], 0 offset:364
	;; [unrolled: 1-line block ×16, first 2 shown]
	v_mov_b32_e32 v124, 0
	ds_read_b128 v[126:129], v124 offset:864
	ds_read_b128 v[130:133], v124 offset:880
	;; [unrolled: 1-line block ×4, first 2 shown]
	v_cmp_lt_u32_e32 vcc, 44, v0
	s_waitcnt vmcnt(12) lgkmcnt(3)
	v_fma_f64 v[144:145], v[144:145], v[126:127], 0
	buffer_load_dword v127, off, s[0:3], 0 offset:428
	buffer_load_dword v126, off, s[0:3], 0 offset:424
	s_waitcnt vmcnt(12)
	v_fmac_f64_e32 v[144:145], v[146:147], v[128:129]
	s_waitcnt vmcnt(10) lgkmcnt(2)
	v_fmac_f64_e32 v[144:145], v[148:149], v[130:131]
	buffer_load_dword v131, off, s[0:3], 0 offset:436
	buffer_load_dword v130, off, s[0:3], 0 offset:432
	s_waitcnt vmcnt(10)
	v_fmac_f64_e32 v[144:145], v[150:151], v[132:133]
	s_waitcnt vmcnt(8) lgkmcnt(1)
	v_fmac_f64_e32 v[144:145], v[152:153], v[134:135]
	s_waitcnt vmcnt(6)
	v_fmac_f64_e32 v[144:145], v[154:155], v[136:137]
	s_waitcnt vmcnt(4) lgkmcnt(0)
	v_fmac_f64_e32 v[144:145], v[156:157], v[138:139]
	s_waitcnt vmcnt(2)
	v_fmac_f64_e32 v[144:145], v[126:127], v[140:141]
	ds_read_b128 v[126:129], v124 offset:928
	s_waitcnt vmcnt(0) lgkmcnt(0)
	v_fmac_f64_e32 v[144:145], v[130:131], v[126:127]
	buffer_load_dword v127, off, s[0:3], 0 offset:444
	buffer_load_dword v126, off, s[0:3], 0 offset:440
	;; [unrolled: 1-line block ×4, first 2 shown]
	s_waitcnt vmcnt(2)
	v_fmac_f64_e32 v[144:145], v[126:127], v[128:129]
	ds_read_b128 v[126:129], v124 offset:944
	s_waitcnt vmcnt(0) lgkmcnt(0)
	v_fmac_f64_e32 v[144:145], v[130:131], v[126:127]
	buffer_load_dword v127, off, s[0:3], 0 offset:460
	buffer_load_dword v126, off, s[0:3], 0 offset:456
	;; [unrolled: 1-line block ×4, first 2 shown]
	s_waitcnt vmcnt(2)
	v_fmac_f64_e32 v[144:145], v[126:127], v[128:129]
	ds_read_b128 v[126:129], v124 offset:960
	s_waitcnt vmcnt(0) lgkmcnt(0)
	v_fmac_f64_e32 v[144:145], v[130:131], v[126:127]
	buffer_load_dword v127, off, s[0:3], 0 offset:476
	buffer_load_dword v126, off, s[0:3], 0 offset:472
	s_waitcnt vmcnt(0)
	v_fmac_f64_e32 v[144:145], v[126:127], v[128:129]
	buffer_load_dword v127, off, s[0:3], 0 offset:484
	buffer_load_dword v126, off, s[0:3], 0 offset:480
	ds_read_b64 v[128:129], v124 offset:976
	s_waitcnt vmcnt(0) lgkmcnt(0)
	v_fmac_f64_e32 v[144:145], v[126:127], v[128:129]
	v_add_f64 v[126:127], v[142:143], -v[144:145]
	buffer_store_dword v127, off, s[0:3], 0 offset:364
	buffer_store_dword v126, off, s[0:3], 0 offset:360
	s_and_saveexec_b64 s[4:5], vcc
	s_cbranch_execz .LBB124_285
; %bb.284:
	buffer_load_dword v126, off, s[0:3], 0 offset:352
	buffer_load_dword v127, off, s[0:3], 0 offset:356
	s_waitcnt vmcnt(0)
	ds_write_b64 v1, v[126:127]
	buffer_store_dword v124, off, s[0:3], 0 offset:352
	buffer_store_dword v124, off, s[0:3], 0 offset:356
.LBB124_285:
	s_or_b64 exec, exec, s[4:5]
	s_waitcnt lgkmcnt(0)
	; wave barrier
	s_waitcnt lgkmcnt(0)
	buffer_load_dword v130, off, s[0:3], 0 offset:352
	buffer_load_dword v131, off, s[0:3], 0 offset:356
	;; [unrolled: 1-line block ×16, first 2 shown]
	ds_read2_b64 v[126:129], v124 offset0:107 offset1:108
	v_cmp_lt_u32_e32 vcc, 43, v0
	s_waitcnt vmcnt(12) lgkmcnt(0)
	v_fma_f64 v[132:133], v[132:133], v[126:127], 0
	s_waitcnt vmcnt(10)
	v_fmac_f64_e32 v[132:133], v[134:135], v[128:129]
	ds_read2_b64 v[126:129], v124 offset0:109 offset1:110
	s_waitcnt vmcnt(8) lgkmcnt(0)
	v_fmac_f64_e32 v[132:133], v[136:137], v[126:127]
	s_waitcnt vmcnt(6)
	v_fmac_f64_e32 v[132:133], v[138:139], v[128:129]
	ds_read2_b64 v[126:129], v124 offset0:111 offset1:112
	s_waitcnt vmcnt(4) lgkmcnt(0)
	v_fmac_f64_e32 v[132:133], v[140:141], v[126:127]
	;; [unrolled: 5-line block ×3, first 2 shown]
	buffer_load_dword v127, off, s[0:3], 0 offset:420
	buffer_load_dword v126, off, s[0:3], 0 offset:416
	buffer_load_dword v135, off, s[0:3], 0 offset:428
	buffer_load_dword v134, off, s[0:3], 0 offset:424
	s_waitcnt vmcnt(2)
	v_fmac_f64_e32 v[132:133], v[126:127], v[128:129]
	ds_read2_b64 v[126:129], v124 offset0:115 offset1:116
	s_waitcnt vmcnt(0) lgkmcnt(0)
	v_fmac_f64_e32 v[132:133], v[134:135], v[126:127]
	buffer_load_dword v127, off, s[0:3], 0 offset:436
	buffer_load_dword v126, off, s[0:3], 0 offset:432
	buffer_load_dword v135, off, s[0:3], 0 offset:444
	buffer_load_dword v134, off, s[0:3], 0 offset:440
	s_waitcnt vmcnt(2)
	v_fmac_f64_e32 v[132:133], v[126:127], v[128:129]
	ds_read2_b64 v[126:129], v124 offset0:117 offset1:118
	s_waitcnt vmcnt(0) lgkmcnt(0)
	v_fmac_f64_e32 v[132:133], v[134:135], v[126:127]
	;; [unrolled: 9-line block ×3, first 2 shown]
	buffer_load_dword v127, off, s[0:3], 0 offset:468
	buffer_load_dword v126, off, s[0:3], 0 offset:464
	s_waitcnt vmcnt(0)
	v_fmac_f64_e32 v[132:133], v[126:127], v[128:129]
	buffer_load_dword v129, off, s[0:3], 0 offset:476
	buffer_load_dword v128, off, s[0:3], 0 offset:472
	ds_read2_b64 v[124:127], v124 offset0:121 offset1:122
	s_waitcnt vmcnt(0) lgkmcnt(0)
	v_fmac_f64_e32 v[132:133], v[128:129], v[124:125]
	buffer_load_dword v125, off, s[0:3], 0 offset:484
	buffer_load_dword v124, off, s[0:3], 0 offset:480
	s_waitcnt vmcnt(0)
	v_fmac_f64_e32 v[132:133], v[124:125], v[126:127]
	v_add_f64 v[124:125], v[130:131], -v[132:133]
	buffer_store_dword v125, off, s[0:3], 0 offset:356
	buffer_store_dword v124, off, s[0:3], 0 offset:352
	s_and_saveexec_b64 s[4:5], vcc
	s_cbranch_execz .LBB124_287
; %bb.286:
	buffer_load_dword v124, off, s[0:3], 0 offset:344
	buffer_load_dword v125, off, s[0:3], 0 offset:348
	v_mov_b32_e32 v126, 0
	buffer_store_dword v126, off, s[0:3], 0 offset:344
	buffer_store_dword v126, off, s[0:3], 0 offset:348
	s_waitcnt vmcnt(2)
	ds_write_b64 v1, v[124:125]
.LBB124_287:
	s_or_b64 exec, exec, s[4:5]
	s_waitcnt lgkmcnt(0)
	; wave barrier
	s_waitcnt lgkmcnt(0)
	buffer_load_dword v124, off, s[0:3], 0 offset:344
	buffer_load_dword v125, off, s[0:3], 0 offset:348
	;; [unrolled: 1-line block ×16, first 2 shown]
	v_mov_b32_e32 v128, 0
	ds_read_b128 v[130:133], v128 offset:848
	ds_read_b128 v[134:137], v128 offset:864
	;; [unrolled: 1-line block ×4, first 2 shown]
	v_cmp_lt_u32_e32 vcc, 42, v0
	s_waitcnt vmcnt(12) lgkmcnt(3)
	v_fma_f64 v[126:127], v[126:127], v[130:131], 0
	buffer_load_dword v131, off, s[0:3], 0 offset:412
	buffer_load_dword v130, off, s[0:3], 0 offset:408
	s_waitcnt vmcnt(12)
	v_fmac_f64_e32 v[126:127], v[146:147], v[132:133]
	s_waitcnt vmcnt(10) lgkmcnt(2)
	v_fmac_f64_e32 v[126:127], v[148:149], v[134:135]
	buffer_load_dword v135, off, s[0:3], 0 offset:420
	buffer_load_dword v134, off, s[0:3], 0 offset:416
	s_waitcnt vmcnt(10)
	v_fmac_f64_e32 v[126:127], v[150:151], v[136:137]
	s_waitcnt vmcnt(8) lgkmcnt(1)
	v_fmac_f64_e32 v[126:127], v[152:153], v[138:139]
	s_waitcnt vmcnt(6)
	v_fmac_f64_e32 v[126:127], v[154:155], v[140:141]
	s_waitcnt vmcnt(4) lgkmcnt(0)
	v_fmac_f64_e32 v[126:127], v[156:157], v[142:143]
	s_waitcnt vmcnt(2)
	v_fmac_f64_e32 v[126:127], v[130:131], v[144:145]
	ds_read_b128 v[130:133], v128 offset:912
	s_waitcnt vmcnt(0) lgkmcnt(0)
	v_fmac_f64_e32 v[126:127], v[134:135], v[130:131]
	buffer_load_dword v131, off, s[0:3], 0 offset:428
	buffer_load_dword v130, off, s[0:3], 0 offset:424
	buffer_load_dword v135, off, s[0:3], 0 offset:436
	buffer_load_dword v134, off, s[0:3], 0 offset:432
	s_waitcnt vmcnt(2)
	v_fmac_f64_e32 v[126:127], v[130:131], v[132:133]
	ds_read_b128 v[130:133], v128 offset:928
	s_waitcnt vmcnt(0) lgkmcnt(0)
	v_fmac_f64_e32 v[126:127], v[134:135], v[130:131]
	buffer_load_dword v131, off, s[0:3], 0 offset:444
	buffer_load_dword v130, off, s[0:3], 0 offset:440
	buffer_load_dword v135, off, s[0:3], 0 offset:452
	buffer_load_dword v134, off, s[0:3], 0 offset:448
	;; [unrolled: 9-line block ×3, first 2 shown]
	s_waitcnt vmcnt(2)
	v_fmac_f64_e32 v[126:127], v[130:131], v[132:133]
	ds_read_b128 v[130:133], v128 offset:960
	s_waitcnt vmcnt(0) lgkmcnt(0)
	v_fmac_f64_e32 v[126:127], v[134:135], v[130:131]
	buffer_load_dword v131, off, s[0:3], 0 offset:476
	buffer_load_dword v130, off, s[0:3], 0 offset:472
	s_waitcnt vmcnt(0)
	v_fmac_f64_e32 v[126:127], v[130:131], v[132:133]
	buffer_load_dword v131, off, s[0:3], 0 offset:484
	buffer_load_dword v130, off, s[0:3], 0 offset:480
	ds_read_b64 v[132:133], v128 offset:976
	s_waitcnt vmcnt(0) lgkmcnt(0)
	v_fmac_f64_e32 v[126:127], v[130:131], v[132:133]
	v_add_f64 v[124:125], v[124:125], -v[126:127]
	buffer_store_dword v125, off, s[0:3], 0 offset:348
	buffer_store_dword v124, off, s[0:3], 0 offset:344
	s_and_saveexec_b64 s[4:5], vcc
	s_cbranch_execz .LBB124_289
; %bb.288:
	buffer_load_dword v124, off, s[0:3], 0 offset:336
	buffer_load_dword v125, off, s[0:3], 0 offset:340
	s_waitcnt vmcnt(0)
	ds_write_b64 v1, v[124:125]
	buffer_store_dword v128, off, s[0:3], 0 offset:336
	buffer_store_dword v128, off, s[0:3], 0 offset:340
.LBB124_289:
	s_or_b64 exec, exec, s[4:5]
	s_waitcnt lgkmcnt(0)
	; wave barrier
	s_waitcnt lgkmcnt(0)
	buffer_load_dword v124, off, s[0:3], 0 offset:336
	buffer_load_dword v125, off, s[0:3], 0 offset:340
	;; [unrolled: 1-line block ×16, first 2 shown]
	ds_read2_b64 v[130:133], v128 offset0:105 offset1:106
	v_cmp_lt_u32_e32 vcc, 41, v0
	s_waitcnt vmcnt(12) lgkmcnt(0)
	v_fma_f64 v[126:127], v[126:127], v[130:131], 0
	s_waitcnt vmcnt(10)
	v_fmac_f64_e32 v[126:127], v[134:135], v[132:133]
	ds_read2_b64 v[130:133], v128 offset0:107 offset1:108
	s_waitcnt vmcnt(8) lgkmcnt(0)
	v_fmac_f64_e32 v[126:127], v[136:137], v[130:131]
	s_waitcnt vmcnt(6)
	v_fmac_f64_e32 v[126:127], v[138:139], v[132:133]
	ds_read2_b64 v[130:133], v128 offset0:109 offset1:110
	s_waitcnt vmcnt(4) lgkmcnt(0)
	v_fmac_f64_e32 v[126:127], v[140:141], v[130:131]
	;; [unrolled: 5-line block ×3, first 2 shown]
	buffer_load_dword v131, off, s[0:3], 0 offset:404
	buffer_load_dword v130, off, s[0:3], 0 offset:400
	buffer_load_dword v135, off, s[0:3], 0 offset:412
	buffer_load_dword v134, off, s[0:3], 0 offset:408
	s_waitcnt vmcnt(2)
	v_fmac_f64_e32 v[126:127], v[130:131], v[132:133]
	ds_read2_b64 v[130:133], v128 offset0:113 offset1:114
	s_waitcnt vmcnt(0) lgkmcnt(0)
	v_fmac_f64_e32 v[126:127], v[134:135], v[130:131]
	buffer_load_dword v131, off, s[0:3], 0 offset:420
	buffer_load_dword v130, off, s[0:3], 0 offset:416
	buffer_load_dword v135, off, s[0:3], 0 offset:428
	buffer_load_dword v134, off, s[0:3], 0 offset:424
	s_waitcnt vmcnt(2)
	v_fmac_f64_e32 v[126:127], v[130:131], v[132:133]
	ds_read2_b64 v[130:133], v128 offset0:115 offset1:116
	s_waitcnt vmcnt(0) lgkmcnt(0)
	v_fmac_f64_e32 v[126:127], v[134:135], v[130:131]
	;; [unrolled: 9-line block ×4, first 2 shown]
	buffer_load_dword v131, off, s[0:3], 0 offset:468
	buffer_load_dword v130, off, s[0:3], 0 offset:464
	s_waitcnt vmcnt(0)
	v_fmac_f64_e32 v[126:127], v[130:131], v[132:133]
	buffer_load_dword v133, off, s[0:3], 0 offset:476
	buffer_load_dword v132, off, s[0:3], 0 offset:472
	ds_read2_b64 v[128:131], v128 offset0:121 offset1:122
	s_waitcnt vmcnt(0) lgkmcnt(0)
	v_fmac_f64_e32 v[126:127], v[132:133], v[128:129]
	buffer_load_dword v129, off, s[0:3], 0 offset:484
	buffer_load_dword v128, off, s[0:3], 0 offset:480
	s_waitcnt vmcnt(0)
	v_fmac_f64_e32 v[126:127], v[128:129], v[130:131]
	v_add_f64 v[124:125], v[124:125], -v[126:127]
	buffer_store_dword v125, off, s[0:3], 0 offset:340
	buffer_store_dword v124, off, s[0:3], 0 offset:336
	s_and_saveexec_b64 s[4:5], vcc
	s_cbranch_execz .LBB124_291
; %bb.290:
	buffer_load_dword v124, off, s[0:3], 0 offset:328
	buffer_load_dword v125, off, s[0:3], 0 offset:332
	v_mov_b32_e32 v126, 0
	buffer_store_dword v126, off, s[0:3], 0 offset:328
	buffer_store_dword v126, off, s[0:3], 0 offset:332
	s_waitcnt vmcnt(2)
	ds_write_b64 v1, v[124:125]
.LBB124_291:
	s_or_b64 exec, exec, s[4:5]
	s_waitcnt lgkmcnt(0)
	; wave barrier
	s_waitcnt lgkmcnt(0)
	buffer_load_dword v124, off, s[0:3], 0 offset:328
	buffer_load_dword v125, off, s[0:3], 0 offset:332
	;; [unrolled: 1-line block ×16, first 2 shown]
	v_mov_b32_e32 v128, 0
	ds_read_b128 v[130:133], v128 offset:832
	ds_read_b128 v[134:137], v128 offset:848
	;; [unrolled: 1-line block ×4, first 2 shown]
	v_cmp_lt_u32_e32 vcc, 40, v0
	s_waitcnt vmcnt(12) lgkmcnt(3)
	v_fma_f64 v[126:127], v[126:127], v[130:131], 0
	buffer_load_dword v131, off, s[0:3], 0 offset:396
	buffer_load_dword v130, off, s[0:3], 0 offset:392
	s_waitcnt vmcnt(12)
	v_fmac_f64_e32 v[126:127], v[146:147], v[132:133]
	s_waitcnt vmcnt(10) lgkmcnt(2)
	v_fmac_f64_e32 v[126:127], v[148:149], v[134:135]
	buffer_load_dword v135, off, s[0:3], 0 offset:404
	buffer_load_dword v134, off, s[0:3], 0 offset:400
	s_waitcnt vmcnt(10)
	v_fmac_f64_e32 v[126:127], v[150:151], v[136:137]
	s_waitcnt vmcnt(8) lgkmcnt(1)
	v_fmac_f64_e32 v[126:127], v[152:153], v[138:139]
	s_waitcnt vmcnt(6)
	v_fmac_f64_e32 v[126:127], v[154:155], v[140:141]
	s_waitcnt vmcnt(4) lgkmcnt(0)
	v_fmac_f64_e32 v[126:127], v[156:157], v[142:143]
	s_waitcnt vmcnt(2)
	v_fmac_f64_e32 v[126:127], v[130:131], v[144:145]
	ds_read_b128 v[130:133], v128 offset:896
	s_waitcnt vmcnt(0) lgkmcnt(0)
	v_fmac_f64_e32 v[126:127], v[134:135], v[130:131]
	buffer_load_dword v131, off, s[0:3], 0 offset:412
	buffer_load_dword v130, off, s[0:3], 0 offset:408
	buffer_load_dword v135, off, s[0:3], 0 offset:420
	buffer_load_dword v134, off, s[0:3], 0 offset:416
	s_waitcnt vmcnt(2)
	v_fmac_f64_e32 v[126:127], v[130:131], v[132:133]
	ds_read_b128 v[130:133], v128 offset:912
	s_waitcnt vmcnt(0) lgkmcnt(0)
	v_fmac_f64_e32 v[126:127], v[134:135], v[130:131]
	buffer_load_dword v131, off, s[0:3], 0 offset:428
	buffer_load_dword v130, off, s[0:3], 0 offset:424
	buffer_load_dword v135, off, s[0:3], 0 offset:436
	buffer_load_dword v134, off, s[0:3], 0 offset:432
	;; [unrolled: 9-line block ×4, first 2 shown]
	s_waitcnt vmcnt(2)
	v_fmac_f64_e32 v[126:127], v[130:131], v[132:133]
	ds_read_b128 v[130:133], v128 offset:960
	s_waitcnt vmcnt(0) lgkmcnt(0)
	v_fmac_f64_e32 v[126:127], v[134:135], v[130:131]
	buffer_load_dword v131, off, s[0:3], 0 offset:476
	buffer_load_dword v130, off, s[0:3], 0 offset:472
	s_waitcnt vmcnt(0)
	v_fmac_f64_e32 v[126:127], v[130:131], v[132:133]
	buffer_load_dword v131, off, s[0:3], 0 offset:484
	buffer_load_dword v130, off, s[0:3], 0 offset:480
	ds_read_b64 v[132:133], v128 offset:976
	s_waitcnt vmcnt(0) lgkmcnt(0)
	v_fmac_f64_e32 v[126:127], v[130:131], v[132:133]
	v_add_f64 v[124:125], v[124:125], -v[126:127]
	buffer_store_dword v125, off, s[0:3], 0 offset:332
	buffer_store_dword v124, off, s[0:3], 0 offset:328
	s_and_saveexec_b64 s[4:5], vcc
	s_cbranch_execz .LBB124_293
; %bb.292:
	buffer_load_dword v124, off, s[0:3], 0 offset:320
	buffer_load_dword v125, off, s[0:3], 0 offset:324
	s_waitcnt vmcnt(0)
	ds_write_b64 v1, v[124:125]
	buffer_store_dword v128, off, s[0:3], 0 offset:320
	buffer_store_dword v128, off, s[0:3], 0 offset:324
.LBB124_293:
	s_or_b64 exec, exec, s[4:5]
	s_waitcnt lgkmcnt(0)
	; wave barrier
	s_waitcnt lgkmcnt(0)
	buffer_load_dword v124, off, s[0:3], 0 offset:320
	buffer_load_dword v125, off, s[0:3], 0 offset:324
	;; [unrolled: 1-line block ×16, first 2 shown]
	ds_read2_b64 v[130:133], v128 offset0:103 offset1:104
	v_cmp_lt_u32_e32 vcc, 39, v0
	s_waitcnt vmcnt(12) lgkmcnt(0)
	v_fma_f64 v[126:127], v[126:127], v[130:131], 0
	s_waitcnt vmcnt(10)
	v_fmac_f64_e32 v[126:127], v[134:135], v[132:133]
	ds_read2_b64 v[130:133], v128 offset0:105 offset1:106
	s_waitcnt vmcnt(8) lgkmcnt(0)
	v_fmac_f64_e32 v[126:127], v[136:137], v[130:131]
	s_waitcnt vmcnt(6)
	v_fmac_f64_e32 v[126:127], v[138:139], v[132:133]
	ds_read2_b64 v[130:133], v128 offset0:107 offset1:108
	s_waitcnt vmcnt(4) lgkmcnt(0)
	v_fmac_f64_e32 v[126:127], v[140:141], v[130:131]
	;; [unrolled: 5-line block ×3, first 2 shown]
	buffer_load_dword v131, off, s[0:3], 0 offset:388
	buffer_load_dword v130, off, s[0:3], 0 offset:384
	buffer_load_dword v135, off, s[0:3], 0 offset:396
	buffer_load_dword v134, off, s[0:3], 0 offset:392
	s_waitcnt vmcnt(2)
	v_fmac_f64_e32 v[126:127], v[130:131], v[132:133]
	ds_read2_b64 v[130:133], v128 offset0:111 offset1:112
	s_waitcnt vmcnt(0) lgkmcnt(0)
	v_fmac_f64_e32 v[126:127], v[134:135], v[130:131]
	buffer_load_dword v131, off, s[0:3], 0 offset:404
	buffer_load_dword v130, off, s[0:3], 0 offset:400
	buffer_load_dword v135, off, s[0:3], 0 offset:412
	buffer_load_dword v134, off, s[0:3], 0 offset:408
	s_waitcnt vmcnt(2)
	v_fmac_f64_e32 v[126:127], v[130:131], v[132:133]
	ds_read2_b64 v[130:133], v128 offset0:113 offset1:114
	s_waitcnt vmcnt(0) lgkmcnt(0)
	v_fmac_f64_e32 v[126:127], v[134:135], v[130:131]
	;; [unrolled: 9-line block ×5, first 2 shown]
	buffer_load_dword v131, off, s[0:3], 0 offset:468
	buffer_load_dword v130, off, s[0:3], 0 offset:464
	s_waitcnt vmcnt(0)
	v_fmac_f64_e32 v[126:127], v[130:131], v[132:133]
	buffer_load_dword v133, off, s[0:3], 0 offset:476
	buffer_load_dword v132, off, s[0:3], 0 offset:472
	ds_read2_b64 v[128:131], v128 offset0:121 offset1:122
	s_waitcnt vmcnt(0) lgkmcnt(0)
	v_fmac_f64_e32 v[126:127], v[132:133], v[128:129]
	buffer_load_dword v129, off, s[0:3], 0 offset:484
	buffer_load_dword v128, off, s[0:3], 0 offset:480
	s_waitcnt vmcnt(0)
	v_fmac_f64_e32 v[126:127], v[128:129], v[130:131]
	v_add_f64 v[124:125], v[124:125], -v[126:127]
	buffer_store_dword v125, off, s[0:3], 0 offset:324
	buffer_store_dword v124, off, s[0:3], 0 offset:320
	s_and_saveexec_b64 s[4:5], vcc
	s_cbranch_execz .LBB124_295
; %bb.294:
	buffer_load_dword v124, off, s[0:3], 0 offset:312
	buffer_load_dword v125, off, s[0:3], 0 offset:316
	v_mov_b32_e32 v126, 0
	buffer_store_dword v126, off, s[0:3], 0 offset:312
	buffer_store_dword v126, off, s[0:3], 0 offset:316
	s_waitcnt vmcnt(2)
	ds_write_b64 v1, v[124:125]
.LBB124_295:
	s_or_b64 exec, exec, s[4:5]
	s_waitcnt lgkmcnt(0)
	; wave barrier
	s_waitcnt lgkmcnt(0)
	buffer_load_dword v124, off, s[0:3], 0 offset:312
	buffer_load_dword v125, off, s[0:3], 0 offset:316
	buffer_load_dword v126, off, s[0:3], 0 offset:320
	buffer_load_dword v127, off, s[0:3], 0 offset:324
	buffer_load_dword v146, off, s[0:3], 0 offset:328
	buffer_load_dword v147, off, s[0:3], 0 offset:332
	buffer_load_dword v148, off, s[0:3], 0 offset:336
	buffer_load_dword v149, off, s[0:3], 0 offset:340
	buffer_load_dword v150, off, s[0:3], 0 offset:344
	buffer_load_dword v151, off, s[0:3], 0 offset:348
	buffer_load_dword v152, off, s[0:3], 0 offset:352
	buffer_load_dword v153, off, s[0:3], 0 offset:356
	buffer_load_dword v154, off, s[0:3], 0 offset:360
	buffer_load_dword v155, off, s[0:3], 0 offset:364
	buffer_load_dword v156, off, s[0:3], 0 offset:368
	buffer_load_dword v157, off, s[0:3], 0 offset:372
	v_mov_b32_e32 v128, 0
	ds_read_b128 v[130:133], v128 offset:816
	ds_read_b128 v[134:137], v128 offset:832
	;; [unrolled: 1-line block ×4, first 2 shown]
	v_cmp_lt_u32_e32 vcc, 38, v0
	s_waitcnt vmcnt(12) lgkmcnt(3)
	v_fma_f64 v[126:127], v[126:127], v[130:131], 0
	buffer_load_dword v131, off, s[0:3], 0 offset:380
	buffer_load_dword v130, off, s[0:3], 0 offset:376
	s_waitcnt vmcnt(12)
	v_fmac_f64_e32 v[126:127], v[146:147], v[132:133]
	s_waitcnt vmcnt(10) lgkmcnt(2)
	v_fmac_f64_e32 v[126:127], v[148:149], v[134:135]
	buffer_load_dword v135, off, s[0:3], 0 offset:388
	buffer_load_dword v134, off, s[0:3], 0 offset:384
	s_waitcnt vmcnt(10)
	v_fmac_f64_e32 v[126:127], v[150:151], v[136:137]
	s_waitcnt vmcnt(8) lgkmcnt(1)
	v_fmac_f64_e32 v[126:127], v[152:153], v[138:139]
	s_waitcnt vmcnt(6)
	v_fmac_f64_e32 v[126:127], v[154:155], v[140:141]
	s_waitcnt vmcnt(4) lgkmcnt(0)
	v_fmac_f64_e32 v[126:127], v[156:157], v[142:143]
	s_waitcnt vmcnt(2)
	v_fmac_f64_e32 v[126:127], v[130:131], v[144:145]
	ds_read_b128 v[130:133], v128 offset:880
	s_waitcnt vmcnt(0) lgkmcnt(0)
	v_fmac_f64_e32 v[126:127], v[134:135], v[130:131]
	buffer_load_dword v131, off, s[0:3], 0 offset:396
	buffer_load_dword v130, off, s[0:3], 0 offset:392
	buffer_load_dword v135, off, s[0:3], 0 offset:404
	buffer_load_dword v134, off, s[0:3], 0 offset:400
	s_waitcnt vmcnt(2)
	v_fmac_f64_e32 v[126:127], v[130:131], v[132:133]
	ds_read_b128 v[130:133], v128 offset:896
	s_waitcnt vmcnt(0) lgkmcnt(0)
	v_fmac_f64_e32 v[126:127], v[134:135], v[130:131]
	buffer_load_dword v131, off, s[0:3], 0 offset:412
	buffer_load_dword v130, off, s[0:3], 0 offset:408
	buffer_load_dword v135, off, s[0:3], 0 offset:420
	buffer_load_dword v134, off, s[0:3], 0 offset:416
	;; [unrolled: 9-line block ×5, first 2 shown]
	s_waitcnt vmcnt(2)
	v_fmac_f64_e32 v[126:127], v[130:131], v[132:133]
	ds_read_b128 v[130:133], v128 offset:960
	s_waitcnt vmcnt(0) lgkmcnt(0)
	v_fmac_f64_e32 v[126:127], v[134:135], v[130:131]
	buffer_load_dword v131, off, s[0:3], 0 offset:476
	buffer_load_dword v130, off, s[0:3], 0 offset:472
	s_waitcnt vmcnt(0)
	v_fmac_f64_e32 v[126:127], v[130:131], v[132:133]
	buffer_load_dword v131, off, s[0:3], 0 offset:484
	buffer_load_dword v130, off, s[0:3], 0 offset:480
	ds_read_b64 v[132:133], v128 offset:976
	s_waitcnt vmcnt(0) lgkmcnt(0)
	v_fmac_f64_e32 v[126:127], v[130:131], v[132:133]
	v_add_f64 v[124:125], v[124:125], -v[126:127]
	buffer_store_dword v125, off, s[0:3], 0 offset:316
	buffer_store_dword v124, off, s[0:3], 0 offset:312
	s_and_saveexec_b64 s[4:5], vcc
	s_cbranch_execz .LBB124_297
; %bb.296:
	buffer_load_dword v124, off, s[0:3], 0 offset:304
	buffer_load_dword v125, off, s[0:3], 0 offset:308
	s_waitcnt vmcnt(0)
	ds_write_b64 v1, v[124:125]
	buffer_store_dword v128, off, s[0:3], 0 offset:304
	buffer_store_dword v128, off, s[0:3], 0 offset:308
.LBB124_297:
	s_or_b64 exec, exec, s[4:5]
	s_waitcnt lgkmcnt(0)
	; wave barrier
	s_waitcnt lgkmcnt(0)
	buffer_load_dword v124, off, s[0:3], 0 offset:304
	buffer_load_dword v125, off, s[0:3], 0 offset:308
	;; [unrolled: 1-line block ×16, first 2 shown]
	ds_read2_b64 v[130:133], v128 offset0:101 offset1:102
	v_cmp_lt_u32_e32 vcc, 37, v0
	s_waitcnt vmcnt(12) lgkmcnt(0)
	v_fma_f64 v[126:127], v[126:127], v[130:131], 0
	s_waitcnt vmcnt(10)
	v_fmac_f64_e32 v[126:127], v[134:135], v[132:133]
	ds_read2_b64 v[130:133], v128 offset0:103 offset1:104
	s_waitcnt vmcnt(8) lgkmcnt(0)
	v_fmac_f64_e32 v[126:127], v[136:137], v[130:131]
	s_waitcnt vmcnt(6)
	v_fmac_f64_e32 v[126:127], v[138:139], v[132:133]
	ds_read2_b64 v[130:133], v128 offset0:105 offset1:106
	s_waitcnt vmcnt(4) lgkmcnt(0)
	v_fmac_f64_e32 v[126:127], v[140:141], v[130:131]
	;; [unrolled: 5-line block ×3, first 2 shown]
	buffer_load_dword v131, off, s[0:3], 0 offset:372
	buffer_load_dword v130, off, s[0:3], 0 offset:368
	buffer_load_dword v135, off, s[0:3], 0 offset:380
	buffer_load_dword v134, off, s[0:3], 0 offset:376
	s_waitcnt vmcnt(2)
	v_fmac_f64_e32 v[126:127], v[130:131], v[132:133]
	ds_read2_b64 v[130:133], v128 offset0:109 offset1:110
	s_waitcnt vmcnt(0) lgkmcnt(0)
	v_fmac_f64_e32 v[126:127], v[134:135], v[130:131]
	buffer_load_dword v131, off, s[0:3], 0 offset:388
	buffer_load_dword v130, off, s[0:3], 0 offset:384
	buffer_load_dword v135, off, s[0:3], 0 offset:396
	buffer_load_dword v134, off, s[0:3], 0 offset:392
	s_waitcnt vmcnt(2)
	v_fmac_f64_e32 v[126:127], v[130:131], v[132:133]
	ds_read2_b64 v[130:133], v128 offset0:111 offset1:112
	s_waitcnt vmcnt(0) lgkmcnt(0)
	v_fmac_f64_e32 v[126:127], v[134:135], v[130:131]
	;; [unrolled: 9-line block ×6, first 2 shown]
	buffer_load_dword v131, off, s[0:3], 0 offset:468
	buffer_load_dword v130, off, s[0:3], 0 offset:464
	s_waitcnt vmcnt(0)
	v_fmac_f64_e32 v[126:127], v[130:131], v[132:133]
	buffer_load_dword v133, off, s[0:3], 0 offset:476
	buffer_load_dword v132, off, s[0:3], 0 offset:472
	ds_read2_b64 v[128:131], v128 offset0:121 offset1:122
	s_waitcnt vmcnt(0) lgkmcnt(0)
	v_fmac_f64_e32 v[126:127], v[132:133], v[128:129]
	buffer_load_dword v129, off, s[0:3], 0 offset:484
	buffer_load_dword v128, off, s[0:3], 0 offset:480
	s_waitcnt vmcnt(0)
	v_fmac_f64_e32 v[126:127], v[128:129], v[130:131]
	v_add_f64 v[124:125], v[124:125], -v[126:127]
	buffer_store_dword v125, off, s[0:3], 0 offset:308
	buffer_store_dword v124, off, s[0:3], 0 offset:304
	s_and_saveexec_b64 s[4:5], vcc
	s_cbranch_execz .LBB124_299
; %bb.298:
	buffer_load_dword v124, off, s[0:3], 0 offset:296
	buffer_load_dword v125, off, s[0:3], 0 offset:300
	v_mov_b32_e32 v126, 0
	buffer_store_dword v126, off, s[0:3], 0 offset:296
	buffer_store_dword v126, off, s[0:3], 0 offset:300
	s_waitcnt vmcnt(2)
	ds_write_b64 v1, v[124:125]
.LBB124_299:
	s_or_b64 exec, exec, s[4:5]
	s_waitcnt lgkmcnt(0)
	; wave barrier
	s_waitcnt lgkmcnt(0)
	buffer_load_dword v124, off, s[0:3], 0 offset:296
	buffer_load_dword v125, off, s[0:3], 0 offset:300
	;; [unrolled: 1-line block ×16, first 2 shown]
	v_mov_b32_e32 v128, 0
	ds_read_b128 v[130:133], v128 offset:800
	ds_read_b128 v[134:137], v128 offset:816
	;; [unrolled: 1-line block ×4, first 2 shown]
	v_cmp_lt_u32_e32 vcc, 36, v0
	s_waitcnt vmcnt(12) lgkmcnt(3)
	v_fma_f64 v[126:127], v[126:127], v[130:131], 0
	buffer_load_dword v131, off, s[0:3], 0 offset:364
	buffer_load_dword v130, off, s[0:3], 0 offset:360
	s_waitcnt vmcnt(12)
	v_fmac_f64_e32 v[126:127], v[146:147], v[132:133]
	s_waitcnt vmcnt(10) lgkmcnt(2)
	v_fmac_f64_e32 v[126:127], v[148:149], v[134:135]
	buffer_load_dword v135, off, s[0:3], 0 offset:372
	buffer_load_dword v134, off, s[0:3], 0 offset:368
	s_waitcnt vmcnt(10)
	v_fmac_f64_e32 v[126:127], v[150:151], v[136:137]
	s_waitcnt vmcnt(8) lgkmcnt(1)
	v_fmac_f64_e32 v[126:127], v[152:153], v[138:139]
	s_waitcnt vmcnt(6)
	v_fmac_f64_e32 v[126:127], v[154:155], v[140:141]
	s_waitcnt vmcnt(4) lgkmcnt(0)
	v_fmac_f64_e32 v[126:127], v[156:157], v[142:143]
	s_waitcnt vmcnt(2)
	v_fmac_f64_e32 v[126:127], v[130:131], v[144:145]
	ds_read_b128 v[130:133], v128 offset:864
	s_waitcnt vmcnt(0) lgkmcnt(0)
	v_fmac_f64_e32 v[126:127], v[134:135], v[130:131]
	buffer_load_dword v131, off, s[0:3], 0 offset:380
	buffer_load_dword v130, off, s[0:3], 0 offset:376
	buffer_load_dword v135, off, s[0:3], 0 offset:388
	buffer_load_dword v134, off, s[0:3], 0 offset:384
	s_waitcnt vmcnt(2)
	v_fmac_f64_e32 v[126:127], v[130:131], v[132:133]
	ds_read_b128 v[130:133], v128 offset:880
	s_waitcnt vmcnt(0) lgkmcnt(0)
	v_fmac_f64_e32 v[126:127], v[134:135], v[130:131]
	buffer_load_dword v131, off, s[0:3], 0 offset:396
	buffer_load_dword v130, off, s[0:3], 0 offset:392
	buffer_load_dword v135, off, s[0:3], 0 offset:404
	buffer_load_dword v134, off, s[0:3], 0 offset:400
	;; [unrolled: 9-line block ×6, first 2 shown]
	s_waitcnt vmcnt(2)
	v_fmac_f64_e32 v[126:127], v[130:131], v[132:133]
	ds_read_b128 v[130:133], v128 offset:960
	s_waitcnt vmcnt(0) lgkmcnt(0)
	v_fmac_f64_e32 v[126:127], v[134:135], v[130:131]
	buffer_load_dword v131, off, s[0:3], 0 offset:476
	buffer_load_dword v130, off, s[0:3], 0 offset:472
	s_waitcnt vmcnt(0)
	v_fmac_f64_e32 v[126:127], v[130:131], v[132:133]
	buffer_load_dword v131, off, s[0:3], 0 offset:484
	buffer_load_dword v130, off, s[0:3], 0 offset:480
	ds_read_b64 v[132:133], v128 offset:976
	s_waitcnt vmcnt(0) lgkmcnt(0)
	v_fmac_f64_e32 v[126:127], v[130:131], v[132:133]
	v_add_f64 v[124:125], v[124:125], -v[126:127]
	buffer_store_dword v125, off, s[0:3], 0 offset:300
	buffer_store_dword v124, off, s[0:3], 0 offset:296
	s_and_saveexec_b64 s[4:5], vcc
	s_cbranch_execz .LBB124_301
; %bb.300:
	buffer_load_dword v124, off, s[0:3], 0 offset:288
	buffer_load_dword v125, off, s[0:3], 0 offset:292
	s_waitcnt vmcnt(0)
	ds_write_b64 v1, v[124:125]
	buffer_store_dword v128, off, s[0:3], 0 offset:288
	buffer_store_dword v128, off, s[0:3], 0 offset:292
.LBB124_301:
	s_or_b64 exec, exec, s[4:5]
	s_waitcnt lgkmcnt(0)
	; wave barrier
	s_waitcnt lgkmcnt(0)
	buffer_load_dword v124, off, s[0:3], 0 offset:288
	buffer_load_dword v125, off, s[0:3], 0 offset:292
	buffer_load_dword v126, off, s[0:3], 0 offset:296
	buffer_load_dword v127, off, s[0:3], 0 offset:300
	buffer_load_dword v134, off, s[0:3], 0 offset:304
	buffer_load_dword v135, off, s[0:3], 0 offset:308
	buffer_load_dword v136, off, s[0:3], 0 offset:312
	buffer_load_dword v137, off, s[0:3], 0 offset:316
	buffer_load_dword v138, off, s[0:3], 0 offset:320
	buffer_load_dword v139, off, s[0:3], 0 offset:324
	buffer_load_dword v140, off, s[0:3], 0 offset:328
	buffer_load_dword v141, off, s[0:3], 0 offset:332
	buffer_load_dword v142, off, s[0:3], 0 offset:336
	buffer_load_dword v143, off, s[0:3], 0 offset:340
	buffer_load_dword v144, off, s[0:3], 0 offset:344
	buffer_load_dword v145, off, s[0:3], 0 offset:348
	ds_read2_b64 v[130:133], v128 offset0:99 offset1:100
	v_cmp_lt_u32_e32 vcc, 35, v0
	s_waitcnt vmcnt(12) lgkmcnt(0)
	v_fma_f64 v[126:127], v[126:127], v[130:131], 0
	s_waitcnt vmcnt(10)
	v_fmac_f64_e32 v[126:127], v[134:135], v[132:133]
	ds_read2_b64 v[130:133], v128 offset0:101 offset1:102
	s_waitcnt vmcnt(8) lgkmcnt(0)
	v_fmac_f64_e32 v[126:127], v[136:137], v[130:131]
	s_waitcnt vmcnt(6)
	v_fmac_f64_e32 v[126:127], v[138:139], v[132:133]
	ds_read2_b64 v[130:133], v128 offset0:103 offset1:104
	s_waitcnt vmcnt(4) lgkmcnt(0)
	v_fmac_f64_e32 v[126:127], v[140:141], v[130:131]
	;; [unrolled: 5-line block ×3, first 2 shown]
	buffer_load_dword v131, off, s[0:3], 0 offset:356
	buffer_load_dword v130, off, s[0:3], 0 offset:352
	buffer_load_dword v135, off, s[0:3], 0 offset:364
	buffer_load_dword v134, off, s[0:3], 0 offset:360
	s_waitcnt vmcnt(2)
	v_fmac_f64_e32 v[126:127], v[130:131], v[132:133]
	ds_read2_b64 v[130:133], v128 offset0:107 offset1:108
	s_waitcnt vmcnt(0) lgkmcnt(0)
	v_fmac_f64_e32 v[126:127], v[134:135], v[130:131]
	buffer_load_dword v131, off, s[0:3], 0 offset:372
	buffer_load_dword v130, off, s[0:3], 0 offset:368
	buffer_load_dword v135, off, s[0:3], 0 offset:380
	buffer_load_dword v134, off, s[0:3], 0 offset:376
	s_waitcnt vmcnt(2)
	v_fmac_f64_e32 v[126:127], v[130:131], v[132:133]
	ds_read2_b64 v[130:133], v128 offset0:109 offset1:110
	s_waitcnt vmcnt(0) lgkmcnt(0)
	v_fmac_f64_e32 v[126:127], v[134:135], v[130:131]
	;; [unrolled: 9-line block ×7, first 2 shown]
	buffer_load_dword v131, off, s[0:3], 0 offset:468
	buffer_load_dword v130, off, s[0:3], 0 offset:464
	s_waitcnt vmcnt(0)
	v_fmac_f64_e32 v[126:127], v[130:131], v[132:133]
	buffer_load_dword v133, off, s[0:3], 0 offset:476
	buffer_load_dword v132, off, s[0:3], 0 offset:472
	ds_read2_b64 v[128:131], v128 offset0:121 offset1:122
	s_waitcnt vmcnt(0) lgkmcnt(0)
	v_fmac_f64_e32 v[126:127], v[132:133], v[128:129]
	buffer_load_dword v129, off, s[0:3], 0 offset:484
	buffer_load_dword v128, off, s[0:3], 0 offset:480
	s_waitcnt vmcnt(0)
	v_fmac_f64_e32 v[126:127], v[128:129], v[130:131]
	v_add_f64 v[124:125], v[124:125], -v[126:127]
	buffer_store_dword v125, off, s[0:3], 0 offset:292
	buffer_store_dword v124, off, s[0:3], 0 offset:288
	s_and_saveexec_b64 s[4:5], vcc
	s_cbranch_execz .LBB124_303
; %bb.302:
	buffer_load_dword v124, off, s[0:3], 0 offset:280
	buffer_load_dword v125, off, s[0:3], 0 offset:284
	v_mov_b32_e32 v126, 0
	buffer_store_dword v126, off, s[0:3], 0 offset:280
	buffer_store_dword v126, off, s[0:3], 0 offset:284
	s_waitcnt vmcnt(2)
	ds_write_b64 v1, v[124:125]
.LBB124_303:
	s_or_b64 exec, exec, s[4:5]
	s_waitcnt lgkmcnt(0)
	; wave barrier
	s_waitcnt lgkmcnt(0)
	buffer_load_dword v124, off, s[0:3], 0 offset:280
	buffer_load_dword v125, off, s[0:3], 0 offset:284
	;; [unrolled: 1-line block ×16, first 2 shown]
	v_mov_b32_e32 v128, 0
	ds_read_b128 v[130:133], v128 offset:784
	ds_read_b128 v[134:137], v128 offset:800
	;; [unrolled: 1-line block ×4, first 2 shown]
	v_cmp_lt_u32_e32 vcc, 34, v0
	s_waitcnt vmcnt(12) lgkmcnt(3)
	v_fma_f64 v[126:127], v[126:127], v[130:131], 0
	buffer_load_dword v131, off, s[0:3], 0 offset:348
	buffer_load_dword v130, off, s[0:3], 0 offset:344
	s_waitcnt vmcnt(12)
	v_fmac_f64_e32 v[126:127], v[146:147], v[132:133]
	s_waitcnt vmcnt(10) lgkmcnt(2)
	v_fmac_f64_e32 v[126:127], v[148:149], v[134:135]
	buffer_load_dword v135, off, s[0:3], 0 offset:356
	buffer_load_dword v134, off, s[0:3], 0 offset:352
	s_waitcnt vmcnt(10)
	v_fmac_f64_e32 v[126:127], v[150:151], v[136:137]
	s_waitcnt vmcnt(8) lgkmcnt(1)
	v_fmac_f64_e32 v[126:127], v[152:153], v[138:139]
	s_waitcnt vmcnt(6)
	v_fmac_f64_e32 v[126:127], v[154:155], v[140:141]
	s_waitcnt vmcnt(4) lgkmcnt(0)
	v_fmac_f64_e32 v[126:127], v[156:157], v[142:143]
	s_waitcnt vmcnt(2)
	v_fmac_f64_e32 v[126:127], v[130:131], v[144:145]
	ds_read_b128 v[130:133], v128 offset:848
	s_waitcnt vmcnt(0) lgkmcnt(0)
	v_fmac_f64_e32 v[126:127], v[134:135], v[130:131]
	buffer_load_dword v131, off, s[0:3], 0 offset:364
	buffer_load_dword v130, off, s[0:3], 0 offset:360
	buffer_load_dword v135, off, s[0:3], 0 offset:372
	buffer_load_dword v134, off, s[0:3], 0 offset:368
	s_waitcnt vmcnt(2)
	v_fmac_f64_e32 v[126:127], v[130:131], v[132:133]
	ds_read_b128 v[130:133], v128 offset:864
	s_waitcnt vmcnt(0) lgkmcnt(0)
	v_fmac_f64_e32 v[126:127], v[134:135], v[130:131]
	buffer_load_dword v131, off, s[0:3], 0 offset:380
	buffer_load_dword v130, off, s[0:3], 0 offset:376
	buffer_load_dword v135, off, s[0:3], 0 offset:388
	buffer_load_dword v134, off, s[0:3], 0 offset:384
	;; [unrolled: 9-line block ×7, first 2 shown]
	s_waitcnt vmcnt(2)
	v_fmac_f64_e32 v[126:127], v[130:131], v[132:133]
	ds_read_b128 v[130:133], v128 offset:960
	s_waitcnt vmcnt(0) lgkmcnt(0)
	v_fmac_f64_e32 v[126:127], v[134:135], v[130:131]
	buffer_load_dword v131, off, s[0:3], 0 offset:476
	buffer_load_dword v130, off, s[0:3], 0 offset:472
	s_waitcnt vmcnt(0)
	v_fmac_f64_e32 v[126:127], v[130:131], v[132:133]
	buffer_load_dword v131, off, s[0:3], 0 offset:484
	buffer_load_dword v130, off, s[0:3], 0 offset:480
	ds_read_b64 v[132:133], v128 offset:976
	s_waitcnt vmcnt(0) lgkmcnt(0)
	v_fmac_f64_e32 v[126:127], v[130:131], v[132:133]
	v_add_f64 v[124:125], v[124:125], -v[126:127]
	buffer_store_dword v125, off, s[0:3], 0 offset:284
	buffer_store_dword v124, off, s[0:3], 0 offset:280
	s_and_saveexec_b64 s[4:5], vcc
	s_cbranch_execz .LBB124_305
; %bb.304:
	buffer_load_dword v124, off, s[0:3], 0 offset:272
	buffer_load_dword v125, off, s[0:3], 0 offset:276
	s_waitcnt vmcnt(0)
	ds_write_b64 v1, v[124:125]
	buffer_store_dword v128, off, s[0:3], 0 offset:272
	buffer_store_dword v128, off, s[0:3], 0 offset:276
.LBB124_305:
	s_or_b64 exec, exec, s[4:5]
	s_waitcnt lgkmcnt(0)
	; wave barrier
	s_waitcnt lgkmcnt(0)
	buffer_load_dword v124, off, s[0:3], 0 offset:272
	buffer_load_dword v125, off, s[0:3], 0 offset:276
	;; [unrolled: 1-line block ×16, first 2 shown]
	ds_read2_b64 v[130:133], v128 offset0:97 offset1:98
	v_cmp_lt_u32_e32 vcc, 33, v0
	s_waitcnt vmcnt(12) lgkmcnt(0)
	v_fma_f64 v[126:127], v[126:127], v[130:131], 0
	s_waitcnt vmcnt(10)
	v_fmac_f64_e32 v[126:127], v[134:135], v[132:133]
	ds_read2_b64 v[130:133], v128 offset0:99 offset1:100
	s_waitcnt vmcnt(8) lgkmcnt(0)
	v_fmac_f64_e32 v[126:127], v[136:137], v[130:131]
	s_waitcnt vmcnt(6)
	v_fmac_f64_e32 v[126:127], v[138:139], v[132:133]
	ds_read2_b64 v[130:133], v128 offset0:101 offset1:102
	s_waitcnt vmcnt(4) lgkmcnt(0)
	v_fmac_f64_e32 v[126:127], v[140:141], v[130:131]
	;; [unrolled: 5-line block ×3, first 2 shown]
	buffer_load_dword v131, off, s[0:3], 0 offset:340
	buffer_load_dword v130, off, s[0:3], 0 offset:336
	buffer_load_dword v135, off, s[0:3], 0 offset:348
	buffer_load_dword v134, off, s[0:3], 0 offset:344
	s_waitcnt vmcnt(2)
	v_fmac_f64_e32 v[126:127], v[130:131], v[132:133]
	ds_read2_b64 v[130:133], v128 offset0:105 offset1:106
	s_waitcnt vmcnt(0) lgkmcnt(0)
	v_fmac_f64_e32 v[126:127], v[134:135], v[130:131]
	buffer_load_dword v131, off, s[0:3], 0 offset:356
	buffer_load_dword v130, off, s[0:3], 0 offset:352
	buffer_load_dword v135, off, s[0:3], 0 offset:364
	buffer_load_dword v134, off, s[0:3], 0 offset:360
	s_waitcnt vmcnt(2)
	v_fmac_f64_e32 v[126:127], v[130:131], v[132:133]
	ds_read2_b64 v[130:133], v128 offset0:107 offset1:108
	s_waitcnt vmcnt(0) lgkmcnt(0)
	v_fmac_f64_e32 v[126:127], v[134:135], v[130:131]
	;; [unrolled: 9-line block ×8, first 2 shown]
	buffer_load_dword v131, off, s[0:3], 0 offset:468
	buffer_load_dword v130, off, s[0:3], 0 offset:464
	s_waitcnt vmcnt(0)
	v_fmac_f64_e32 v[126:127], v[130:131], v[132:133]
	buffer_load_dword v133, off, s[0:3], 0 offset:476
	buffer_load_dword v132, off, s[0:3], 0 offset:472
	ds_read2_b64 v[128:131], v128 offset0:121 offset1:122
	s_waitcnt vmcnt(0) lgkmcnt(0)
	v_fmac_f64_e32 v[126:127], v[132:133], v[128:129]
	buffer_load_dword v129, off, s[0:3], 0 offset:484
	buffer_load_dword v128, off, s[0:3], 0 offset:480
	s_waitcnt vmcnt(0)
	v_fmac_f64_e32 v[126:127], v[128:129], v[130:131]
	v_add_f64 v[124:125], v[124:125], -v[126:127]
	buffer_store_dword v125, off, s[0:3], 0 offset:276
	buffer_store_dword v124, off, s[0:3], 0 offset:272
	s_and_saveexec_b64 s[4:5], vcc
	s_cbranch_execz .LBB124_307
; %bb.306:
	buffer_load_dword v124, off, s[0:3], 0 offset:264
	buffer_load_dword v125, off, s[0:3], 0 offset:268
	v_mov_b32_e32 v126, 0
	buffer_store_dword v126, off, s[0:3], 0 offset:264
	buffer_store_dword v126, off, s[0:3], 0 offset:268
	s_waitcnt vmcnt(2)
	ds_write_b64 v1, v[124:125]
.LBB124_307:
	s_or_b64 exec, exec, s[4:5]
	s_waitcnt lgkmcnt(0)
	; wave barrier
	s_waitcnt lgkmcnt(0)
	buffer_load_dword v124, off, s[0:3], 0 offset:264
	buffer_load_dword v125, off, s[0:3], 0 offset:268
	;; [unrolled: 1-line block ×16, first 2 shown]
	v_mov_b32_e32 v128, 0
	ds_read_b128 v[130:133], v128 offset:768
	ds_read_b128 v[134:137], v128 offset:784
	;; [unrolled: 1-line block ×4, first 2 shown]
	v_cmp_lt_u32_e32 vcc, 32, v0
	s_waitcnt vmcnt(12) lgkmcnt(3)
	v_fma_f64 v[126:127], v[126:127], v[130:131], 0
	buffer_load_dword v131, off, s[0:3], 0 offset:332
	buffer_load_dword v130, off, s[0:3], 0 offset:328
	s_waitcnt vmcnt(12)
	v_fmac_f64_e32 v[126:127], v[146:147], v[132:133]
	s_waitcnt vmcnt(10) lgkmcnt(2)
	v_fmac_f64_e32 v[126:127], v[148:149], v[134:135]
	buffer_load_dword v135, off, s[0:3], 0 offset:340
	buffer_load_dword v134, off, s[0:3], 0 offset:336
	s_waitcnt vmcnt(10)
	v_fmac_f64_e32 v[126:127], v[150:151], v[136:137]
	s_waitcnt vmcnt(8) lgkmcnt(1)
	v_fmac_f64_e32 v[126:127], v[152:153], v[138:139]
	s_waitcnt vmcnt(6)
	v_fmac_f64_e32 v[126:127], v[154:155], v[140:141]
	s_waitcnt vmcnt(4) lgkmcnt(0)
	v_fmac_f64_e32 v[126:127], v[156:157], v[142:143]
	s_waitcnt vmcnt(2)
	v_fmac_f64_e32 v[126:127], v[130:131], v[144:145]
	ds_read_b128 v[130:133], v128 offset:832
	s_waitcnt vmcnt(0) lgkmcnt(0)
	v_fmac_f64_e32 v[126:127], v[134:135], v[130:131]
	buffer_load_dword v131, off, s[0:3], 0 offset:348
	buffer_load_dword v130, off, s[0:3], 0 offset:344
	buffer_load_dword v135, off, s[0:3], 0 offset:356
	buffer_load_dword v134, off, s[0:3], 0 offset:352
	s_waitcnt vmcnt(2)
	v_fmac_f64_e32 v[126:127], v[130:131], v[132:133]
	ds_read_b128 v[130:133], v128 offset:848
	s_waitcnt vmcnt(0) lgkmcnt(0)
	v_fmac_f64_e32 v[126:127], v[134:135], v[130:131]
	buffer_load_dword v131, off, s[0:3], 0 offset:364
	buffer_load_dword v130, off, s[0:3], 0 offset:360
	buffer_load_dword v135, off, s[0:3], 0 offset:372
	buffer_load_dword v134, off, s[0:3], 0 offset:368
	;; [unrolled: 9-line block ×8, first 2 shown]
	s_waitcnt vmcnt(2)
	v_fmac_f64_e32 v[126:127], v[130:131], v[132:133]
	ds_read_b128 v[130:133], v128 offset:960
	s_waitcnt vmcnt(0) lgkmcnt(0)
	v_fmac_f64_e32 v[126:127], v[134:135], v[130:131]
	buffer_load_dword v131, off, s[0:3], 0 offset:476
	buffer_load_dword v130, off, s[0:3], 0 offset:472
	s_waitcnt vmcnt(0)
	v_fmac_f64_e32 v[126:127], v[130:131], v[132:133]
	buffer_load_dword v131, off, s[0:3], 0 offset:484
	buffer_load_dword v130, off, s[0:3], 0 offset:480
	ds_read_b64 v[132:133], v128 offset:976
	s_waitcnt vmcnt(0) lgkmcnt(0)
	v_fmac_f64_e32 v[126:127], v[130:131], v[132:133]
	v_add_f64 v[124:125], v[124:125], -v[126:127]
	buffer_store_dword v125, off, s[0:3], 0 offset:268
	buffer_store_dword v124, off, s[0:3], 0 offset:264
	s_and_saveexec_b64 s[4:5], vcc
	s_cbranch_execz .LBB124_309
; %bb.308:
	buffer_load_dword v124, off, s[0:3], 0 offset:256
	buffer_load_dword v125, off, s[0:3], 0 offset:260
	s_waitcnt vmcnt(0)
	ds_write_b64 v1, v[124:125]
	buffer_store_dword v128, off, s[0:3], 0 offset:256
	buffer_store_dword v128, off, s[0:3], 0 offset:260
.LBB124_309:
	s_or_b64 exec, exec, s[4:5]
	s_waitcnt lgkmcnt(0)
	; wave barrier
	s_waitcnt lgkmcnt(0)
	buffer_load_dword v124, off, s[0:3], 0 offset:256
	buffer_load_dword v125, off, s[0:3], 0 offset:260
	;; [unrolled: 1-line block ×16, first 2 shown]
	ds_read2_b64 v[130:133], v128 offset0:95 offset1:96
	v_cmp_lt_u32_e32 vcc, 31, v0
	s_waitcnt vmcnt(12) lgkmcnt(0)
	v_fma_f64 v[126:127], v[126:127], v[130:131], 0
	s_waitcnt vmcnt(10)
	v_fmac_f64_e32 v[126:127], v[134:135], v[132:133]
	ds_read2_b64 v[130:133], v128 offset0:97 offset1:98
	s_waitcnt vmcnt(8) lgkmcnt(0)
	v_fmac_f64_e32 v[126:127], v[136:137], v[130:131]
	s_waitcnt vmcnt(6)
	v_fmac_f64_e32 v[126:127], v[138:139], v[132:133]
	ds_read2_b64 v[130:133], v128 offset0:99 offset1:100
	s_waitcnt vmcnt(4) lgkmcnt(0)
	v_fmac_f64_e32 v[126:127], v[140:141], v[130:131]
	;; [unrolled: 5-line block ×3, first 2 shown]
	buffer_load_dword v131, off, s[0:3], 0 offset:324
	buffer_load_dword v130, off, s[0:3], 0 offset:320
	buffer_load_dword v135, off, s[0:3], 0 offset:332
	buffer_load_dword v134, off, s[0:3], 0 offset:328
	s_waitcnt vmcnt(2)
	v_fmac_f64_e32 v[126:127], v[130:131], v[132:133]
	ds_read2_b64 v[130:133], v128 offset0:103 offset1:104
	s_waitcnt vmcnt(0) lgkmcnt(0)
	v_fmac_f64_e32 v[126:127], v[134:135], v[130:131]
	buffer_load_dword v131, off, s[0:3], 0 offset:340
	buffer_load_dword v130, off, s[0:3], 0 offset:336
	buffer_load_dword v135, off, s[0:3], 0 offset:348
	buffer_load_dword v134, off, s[0:3], 0 offset:344
	s_waitcnt vmcnt(2)
	v_fmac_f64_e32 v[126:127], v[130:131], v[132:133]
	ds_read2_b64 v[130:133], v128 offset0:105 offset1:106
	s_waitcnt vmcnt(0) lgkmcnt(0)
	v_fmac_f64_e32 v[126:127], v[134:135], v[130:131]
	;; [unrolled: 9-line block ×9, first 2 shown]
	buffer_load_dword v131, off, s[0:3], 0 offset:468
	buffer_load_dword v130, off, s[0:3], 0 offset:464
	s_waitcnt vmcnt(0)
	v_fmac_f64_e32 v[126:127], v[130:131], v[132:133]
	buffer_load_dword v133, off, s[0:3], 0 offset:476
	buffer_load_dword v132, off, s[0:3], 0 offset:472
	ds_read2_b64 v[128:131], v128 offset0:121 offset1:122
	s_waitcnt vmcnt(0) lgkmcnt(0)
	v_fmac_f64_e32 v[126:127], v[132:133], v[128:129]
	buffer_load_dword v129, off, s[0:3], 0 offset:484
	buffer_load_dword v128, off, s[0:3], 0 offset:480
	s_waitcnt vmcnt(0)
	v_fmac_f64_e32 v[126:127], v[128:129], v[130:131]
	v_add_f64 v[124:125], v[124:125], -v[126:127]
	buffer_store_dword v125, off, s[0:3], 0 offset:260
	buffer_store_dword v124, off, s[0:3], 0 offset:256
	s_and_saveexec_b64 s[4:5], vcc
	s_cbranch_execz .LBB124_311
; %bb.310:
	buffer_load_dword v124, off, s[0:3], 0 offset:248
	buffer_load_dword v125, off, s[0:3], 0 offset:252
	v_mov_b32_e32 v126, 0
	buffer_store_dword v126, off, s[0:3], 0 offset:248
	buffer_store_dword v126, off, s[0:3], 0 offset:252
	s_waitcnt vmcnt(2)
	ds_write_b64 v1, v[124:125]
.LBB124_311:
	s_or_b64 exec, exec, s[4:5]
	s_waitcnt lgkmcnt(0)
	; wave barrier
	s_waitcnt lgkmcnt(0)
	buffer_load_dword v124, off, s[0:3], 0 offset:248
	buffer_load_dword v125, off, s[0:3], 0 offset:252
	;; [unrolled: 1-line block ×16, first 2 shown]
	v_mov_b32_e32 v128, 0
	ds_read_b128 v[130:133], v128 offset:752
	ds_read_b128 v[134:137], v128 offset:768
	;; [unrolled: 1-line block ×4, first 2 shown]
	v_cmp_lt_u32_e32 vcc, 30, v0
	s_waitcnt vmcnt(12) lgkmcnt(3)
	v_fma_f64 v[126:127], v[126:127], v[130:131], 0
	buffer_load_dword v131, off, s[0:3], 0 offset:316
	buffer_load_dword v130, off, s[0:3], 0 offset:312
	s_waitcnt vmcnt(12)
	v_fmac_f64_e32 v[126:127], v[146:147], v[132:133]
	s_waitcnt vmcnt(10) lgkmcnt(2)
	v_fmac_f64_e32 v[126:127], v[148:149], v[134:135]
	buffer_load_dword v135, off, s[0:3], 0 offset:324
	buffer_load_dword v134, off, s[0:3], 0 offset:320
	s_waitcnt vmcnt(10)
	v_fmac_f64_e32 v[126:127], v[150:151], v[136:137]
	s_waitcnt vmcnt(8) lgkmcnt(1)
	v_fmac_f64_e32 v[126:127], v[152:153], v[138:139]
	s_waitcnt vmcnt(6)
	v_fmac_f64_e32 v[126:127], v[154:155], v[140:141]
	s_waitcnt vmcnt(4) lgkmcnt(0)
	v_fmac_f64_e32 v[126:127], v[156:157], v[142:143]
	s_waitcnt vmcnt(2)
	v_fmac_f64_e32 v[126:127], v[130:131], v[144:145]
	ds_read_b128 v[130:133], v128 offset:816
	s_waitcnt vmcnt(0) lgkmcnt(0)
	v_fmac_f64_e32 v[126:127], v[134:135], v[130:131]
	buffer_load_dword v131, off, s[0:3], 0 offset:332
	buffer_load_dword v130, off, s[0:3], 0 offset:328
	buffer_load_dword v135, off, s[0:3], 0 offset:340
	buffer_load_dword v134, off, s[0:3], 0 offset:336
	s_waitcnt vmcnt(2)
	v_fmac_f64_e32 v[126:127], v[130:131], v[132:133]
	ds_read_b128 v[130:133], v128 offset:832
	s_waitcnt vmcnt(0) lgkmcnt(0)
	v_fmac_f64_e32 v[126:127], v[134:135], v[130:131]
	buffer_load_dword v131, off, s[0:3], 0 offset:348
	buffer_load_dword v130, off, s[0:3], 0 offset:344
	buffer_load_dword v135, off, s[0:3], 0 offset:356
	buffer_load_dword v134, off, s[0:3], 0 offset:352
	s_waitcnt vmcnt(2)
	v_fmac_f64_e32 v[126:127], v[130:131], v[132:133]
	ds_read_b128 v[130:133], v128 offset:848
	s_waitcnt vmcnt(0) lgkmcnt(0)
	v_fmac_f64_e32 v[126:127], v[134:135], v[130:131]
	buffer_load_dword v131, off, s[0:3], 0 offset:364
	buffer_load_dword v130, off, s[0:3], 0 offset:360
	buffer_load_dword v135, off, s[0:3], 0 offset:372
	buffer_load_dword v134, off, s[0:3], 0 offset:368
	s_waitcnt vmcnt(2)
	v_fmac_f64_e32 v[126:127], v[130:131], v[132:133]
	ds_read_b128 v[130:133], v128 offset:864
	s_waitcnt vmcnt(0) lgkmcnt(0)
	v_fmac_f64_e32 v[126:127], v[134:135], v[130:131]
	buffer_load_dword v131, off, s[0:3], 0 offset:380
	buffer_load_dword v130, off, s[0:3], 0 offset:376
	buffer_load_dword v135, off, s[0:3], 0 offset:388
	buffer_load_dword v134, off, s[0:3], 0 offset:384
	s_waitcnt vmcnt(2)
	v_fmac_f64_e32 v[126:127], v[130:131], v[132:133]
	ds_read_b128 v[130:133], v128 offset:880
	s_waitcnt vmcnt(0) lgkmcnt(0)
	v_fmac_f64_e32 v[126:127], v[134:135], v[130:131]
	buffer_load_dword v131, off, s[0:3], 0 offset:396
	buffer_load_dword v130, off, s[0:3], 0 offset:392
	buffer_load_dword v135, off, s[0:3], 0 offset:404
	buffer_load_dword v134, off, s[0:3], 0 offset:400
	s_waitcnt vmcnt(2)
	v_fmac_f64_e32 v[126:127], v[130:131], v[132:133]
	ds_read_b128 v[130:133], v128 offset:896
	s_waitcnt vmcnt(0) lgkmcnt(0)
	v_fmac_f64_e32 v[126:127], v[134:135], v[130:131]
	buffer_load_dword v131, off, s[0:3], 0 offset:412
	buffer_load_dword v130, off, s[0:3], 0 offset:408
	buffer_load_dword v135, off, s[0:3], 0 offset:420
	buffer_load_dword v134, off, s[0:3], 0 offset:416
	s_waitcnt vmcnt(2)
	v_fmac_f64_e32 v[126:127], v[130:131], v[132:133]
	ds_read_b128 v[130:133], v128 offset:912
	s_waitcnt vmcnt(0) lgkmcnt(0)
	v_fmac_f64_e32 v[126:127], v[134:135], v[130:131]
	buffer_load_dword v131, off, s[0:3], 0 offset:428
	buffer_load_dword v130, off, s[0:3], 0 offset:424
	buffer_load_dword v135, off, s[0:3], 0 offset:436
	buffer_load_dword v134, off, s[0:3], 0 offset:432
	s_waitcnt vmcnt(2)
	v_fmac_f64_e32 v[126:127], v[130:131], v[132:133]
	ds_read_b128 v[130:133], v128 offset:928
	s_waitcnt vmcnt(0) lgkmcnt(0)
	v_fmac_f64_e32 v[126:127], v[134:135], v[130:131]
	buffer_load_dword v131, off, s[0:3], 0 offset:444
	buffer_load_dword v130, off, s[0:3], 0 offset:440
	buffer_load_dword v135, off, s[0:3], 0 offset:452
	buffer_load_dword v134, off, s[0:3], 0 offset:448
	s_waitcnt vmcnt(2)
	v_fmac_f64_e32 v[126:127], v[130:131], v[132:133]
	ds_read_b128 v[130:133], v128 offset:944
	s_waitcnt vmcnt(0) lgkmcnt(0)
	v_fmac_f64_e32 v[126:127], v[134:135], v[130:131]
	buffer_load_dword v131, off, s[0:3], 0 offset:460
	buffer_load_dword v130, off, s[0:3], 0 offset:456
	buffer_load_dword v135, off, s[0:3], 0 offset:468
	buffer_load_dword v134, off, s[0:3], 0 offset:464
	s_waitcnt vmcnt(2)
	v_fmac_f64_e32 v[126:127], v[130:131], v[132:133]
	ds_read_b128 v[130:133], v128 offset:960
	s_waitcnt vmcnt(0) lgkmcnt(0)
	v_fmac_f64_e32 v[126:127], v[134:135], v[130:131]
	buffer_load_dword v131, off, s[0:3], 0 offset:476
	buffer_load_dword v130, off, s[0:3], 0 offset:472
	s_waitcnt vmcnt(0)
	v_fmac_f64_e32 v[126:127], v[130:131], v[132:133]
	buffer_load_dword v131, off, s[0:3], 0 offset:484
	buffer_load_dword v130, off, s[0:3], 0 offset:480
	ds_read_b64 v[132:133], v128 offset:976
	s_waitcnt vmcnt(0) lgkmcnt(0)
	v_fmac_f64_e32 v[126:127], v[130:131], v[132:133]
	v_add_f64 v[124:125], v[124:125], -v[126:127]
	buffer_store_dword v125, off, s[0:3], 0 offset:252
	buffer_store_dword v124, off, s[0:3], 0 offset:248
	s_and_saveexec_b64 s[4:5], vcc
	s_cbranch_execz .LBB124_313
; %bb.312:
	buffer_load_dword v124, off, s[0:3], 0 offset:240
	buffer_load_dword v125, off, s[0:3], 0 offset:244
	s_waitcnt vmcnt(0)
	ds_write_b64 v1, v[124:125]
	buffer_store_dword v128, off, s[0:3], 0 offset:240
	buffer_store_dword v128, off, s[0:3], 0 offset:244
.LBB124_313:
	s_or_b64 exec, exec, s[4:5]
	s_waitcnt lgkmcnt(0)
	; wave barrier
	s_waitcnt lgkmcnt(0)
	buffer_load_dword v124, off, s[0:3], 0 offset:240
	buffer_load_dword v125, off, s[0:3], 0 offset:244
	;; [unrolled: 1-line block ×16, first 2 shown]
	ds_read2_b64 v[130:133], v128 offset0:93 offset1:94
	v_cmp_lt_u32_e32 vcc, 29, v0
	s_waitcnt vmcnt(12) lgkmcnt(0)
	v_fma_f64 v[126:127], v[126:127], v[130:131], 0
	s_waitcnt vmcnt(10)
	v_fmac_f64_e32 v[126:127], v[134:135], v[132:133]
	ds_read2_b64 v[130:133], v128 offset0:95 offset1:96
	s_waitcnt vmcnt(8) lgkmcnt(0)
	v_fmac_f64_e32 v[126:127], v[136:137], v[130:131]
	s_waitcnt vmcnt(6)
	v_fmac_f64_e32 v[126:127], v[138:139], v[132:133]
	ds_read2_b64 v[130:133], v128 offset0:97 offset1:98
	s_waitcnt vmcnt(4) lgkmcnt(0)
	v_fmac_f64_e32 v[126:127], v[140:141], v[130:131]
	;; [unrolled: 5-line block ×3, first 2 shown]
	buffer_load_dword v131, off, s[0:3], 0 offset:308
	buffer_load_dword v130, off, s[0:3], 0 offset:304
	buffer_load_dword v135, off, s[0:3], 0 offset:316
	buffer_load_dword v134, off, s[0:3], 0 offset:312
	s_waitcnt vmcnt(2)
	v_fmac_f64_e32 v[126:127], v[130:131], v[132:133]
	ds_read2_b64 v[130:133], v128 offset0:101 offset1:102
	s_waitcnt vmcnt(0) lgkmcnt(0)
	v_fmac_f64_e32 v[126:127], v[134:135], v[130:131]
	buffer_load_dword v131, off, s[0:3], 0 offset:324
	buffer_load_dword v130, off, s[0:3], 0 offset:320
	buffer_load_dword v135, off, s[0:3], 0 offset:332
	buffer_load_dword v134, off, s[0:3], 0 offset:328
	s_waitcnt vmcnt(2)
	v_fmac_f64_e32 v[126:127], v[130:131], v[132:133]
	ds_read2_b64 v[130:133], v128 offset0:103 offset1:104
	s_waitcnt vmcnt(0) lgkmcnt(0)
	v_fmac_f64_e32 v[126:127], v[134:135], v[130:131]
	;; [unrolled: 9-line block ×10, first 2 shown]
	buffer_load_dword v131, off, s[0:3], 0 offset:468
	buffer_load_dword v130, off, s[0:3], 0 offset:464
	s_waitcnt vmcnt(0)
	v_fmac_f64_e32 v[126:127], v[130:131], v[132:133]
	buffer_load_dword v133, off, s[0:3], 0 offset:476
	buffer_load_dword v132, off, s[0:3], 0 offset:472
	ds_read2_b64 v[128:131], v128 offset0:121 offset1:122
	s_waitcnt vmcnt(0) lgkmcnt(0)
	v_fmac_f64_e32 v[126:127], v[132:133], v[128:129]
	buffer_load_dword v129, off, s[0:3], 0 offset:484
	buffer_load_dword v128, off, s[0:3], 0 offset:480
	s_waitcnt vmcnt(0)
	v_fmac_f64_e32 v[126:127], v[128:129], v[130:131]
	v_add_f64 v[124:125], v[124:125], -v[126:127]
	buffer_store_dword v125, off, s[0:3], 0 offset:244
	buffer_store_dword v124, off, s[0:3], 0 offset:240
	s_and_saveexec_b64 s[4:5], vcc
	s_cbranch_execz .LBB124_315
; %bb.314:
	buffer_load_dword v124, off, s[0:3], 0 offset:232
	buffer_load_dword v125, off, s[0:3], 0 offset:236
	v_mov_b32_e32 v126, 0
	buffer_store_dword v126, off, s[0:3], 0 offset:232
	buffer_store_dword v126, off, s[0:3], 0 offset:236
	s_waitcnt vmcnt(2)
	ds_write_b64 v1, v[124:125]
.LBB124_315:
	s_or_b64 exec, exec, s[4:5]
	s_waitcnt lgkmcnt(0)
	; wave barrier
	s_waitcnt lgkmcnt(0)
	buffer_load_dword v124, off, s[0:3], 0 offset:232
	buffer_load_dword v125, off, s[0:3], 0 offset:236
	;; [unrolled: 1-line block ×16, first 2 shown]
	v_mov_b32_e32 v128, 0
	ds_read_b128 v[130:133], v128 offset:736
	ds_read_b128 v[134:137], v128 offset:752
	;; [unrolled: 1-line block ×4, first 2 shown]
	v_cmp_lt_u32_e32 vcc, 28, v0
	s_waitcnt vmcnt(12) lgkmcnt(3)
	v_fma_f64 v[126:127], v[126:127], v[130:131], 0
	buffer_load_dword v131, off, s[0:3], 0 offset:300
	buffer_load_dword v130, off, s[0:3], 0 offset:296
	s_waitcnt vmcnt(12)
	v_fmac_f64_e32 v[126:127], v[146:147], v[132:133]
	s_waitcnt vmcnt(10) lgkmcnt(2)
	v_fmac_f64_e32 v[126:127], v[148:149], v[134:135]
	buffer_load_dword v135, off, s[0:3], 0 offset:308
	buffer_load_dword v134, off, s[0:3], 0 offset:304
	s_waitcnt vmcnt(10)
	v_fmac_f64_e32 v[126:127], v[150:151], v[136:137]
	s_waitcnt vmcnt(8) lgkmcnt(1)
	v_fmac_f64_e32 v[126:127], v[152:153], v[138:139]
	s_waitcnt vmcnt(6)
	v_fmac_f64_e32 v[126:127], v[154:155], v[140:141]
	s_waitcnt vmcnt(4) lgkmcnt(0)
	v_fmac_f64_e32 v[126:127], v[156:157], v[142:143]
	s_waitcnt vmcnt(2)
	v_fmac_f64_e32 v[126:127], v[130:131], v[144:145]
	ds_read_b128 v[130:133], v128 offset:800
	s_waitcnt vmcnt(0) lgkmcnt(0)
	v_fmac_f64_e32 v[126:127], v[134:135], v[130:131]
	buffer_load_dword v131, off, s[0:3], 0 offset:316
	buffer_load_dword v130, off, s[0:3], 0 offset:312
	buffer_load_dword v135, off, s[0:3], 0 offset:324
	buffer_load_dword v134, off, s[0:3], 0 offset:320
	s_waitcnt vmcnt(2)
	v_fmac_f64_e32 v[126:127], v[130:131], v[132:133]
	ds_read_b128 v[130:133], v128 offset:816
	s_waitcnt vmcnt(0) lgkmcnt(0)
	v_fmac_f64_e32 v[126:127], v[134:135], v[130:131]
	buffer_load_dword v131, off, s[0:3], 0 offset:332
	buffer_load_dword v130, off, s[0:3], 0 offset:328
	buffer_load_dword v135, off, s[0:3], 0 offset:340
	buffer_load_dword v134, off, s[0:3], 0 offset:336
	;; [unrolled: 9-line block ×10, first 2 shown]
	s_waitcnt vmcnt(2)
	v_fmac_f64_e32 v[126:127], v[130:131], v[132:133]
	ds_read_b128 v[130:133], v128 offset:960
	s_waitcnt vmcnt(0) lgkmcnt(0)
	v_fmac_f64_e32 v[126:127], v[134:135], v[130:131]
	buffer_load_dword v131, off, s[0:3], 0 offset:476
	buffer_load_dword v130, off, s[0:3], 0 offset:472
	s_waitcnt vmcnt(0)
	v_fmac_f64_e32 v[126:127], v[130:131], v[132:133]
	buffer_load_dword v131, off, s[0:3], 0 offset:484
	buffer_load_dword v130, off, s[0:3], 0 offset:480
	ds_read_b64 v[132:133], v128 offset:976
	s_waitcnt vmcnt(0) lgkmcnt(0)
	v_fmac_f64_e32 v[126:127], v[130:131], v[132:133]
	v_add_f64 v[124:125], v[124:125], -v[126:127]
	buffer_store_dword v125, off, s[0:3], 0 offset:236
	buffer_store_dword v124, off, s[0:3], 0 offset:232
	s_and_saveexec_b64 s[4:5], vcc
	s_cbranch_execz .LBB124_317
; %bb.316:
	buffer_load_dword v124, off, s[0:3], 0 offset:224
	buffer_load_dword v125, off, s[0:3], 0 offset:228
	s_waitcnt vmcnt(0)
	ds_write_b64 v1, v[124:125]
	buffer_store_dword v128, off, s[0:3], 0 offset:224
	buffer_store_dword v128, off, s[0:3], 0 offset:228
.LBB124_317:
	s_or_b64 exec, exec, s[4:5]
	s_waitcnt lgkmcnt(0)
	; wave barrier
	s_waitcnt lgkmcnt(0)
	buffer_load_dword v124, off, s[0:3], 0 offset:224
	buffer_load_dword v125, off, s[0:3], 0 offset:228
	;; [unrolled: 1-line block ×16, first 2 shown]
	ds_read2_b64 v[130:133], v128 offset0:91 offset1:92
	v_cmp_lt_u32_e32 vcc, 27, v0
	s_waitcnt vmcnt(12) lgkmcnt(0)
	v_fma_f64 v[126:127], v[126:127], v[130:131], 0
	s_waitcnt vmcnt(10)
	v_fmac_f64_e32 v[126:127], v[134:135], v[132:133]
	ds_read2_b64 v[130:133], v128 offset0:93 offset1:94
	s_waitcnt vmcnt(8) lgkmcnt(0)
	v_fmac_f64_e32 v[126:127], v[136:137], v[130:131]
	s_waitcnt vmcnt(6)
	v_fmac_f64_e32 v[126:127], v[138:139], v[132:133]
	ds_read2_b64 v[130:133], v128 offset0:95 offset1:96
	s_waitcnt vmcnt(4) lgkmcnt(0)
	v_fmac_f64_e32 v[126:127], v[140:141], v[130:131]
	;; [unrolled: 5-line block ×3, first 2 shown]
	buffer_load_dword v131, off, s[0:3], 0 offset:292
	buffer_load_dword v130, off, s[0:3], 0 offset:288
	buffer_load_dword v135, off, s[0:3], 0 offset:300
	buffer_load_dword v134, off, s[0:3], 0 offset:296
	s_waitcnt vmcnt(2)
	v_fmac_f64_e32 v[126:127], v[130:131], v[132:133]
	ds_read2_b64 v[130:133], v128 offset0:99 offset1:100
	s_waitcnt vmcnt(0) lgkmcnt(0)
	v_fmac_f64_e32 v[126:127], v[134:135], v[130:131]
	buffer_load_dword v131, off, s[0:3], 0 offset:308
	buffer_load_dword v130, off, s[0:3], 0 offset:304
	buffer_load_dword v135, off, s[0:3], 0 offset:316
	buffer_load_dword v134, off, s[0:3], 0 offset:312
	s_waitcnt vmcnt(2)
	v_fmac_f64_e32 v[126:127], v[130:131], v[132:133]
	ds_read2_b64 v[130:133], v128 offset0:101 offset1:102
	s_waitcnt vmcnt(0) lgkmcnt(0)
	v_fmac_f64_e32 v[126:127], v[134:135], v[130:131]
	;; [unrolled: 9-line block ×11, first 2 shown]
	buffer_load_dword v131, off, s[0:3], 0 offset:468
	buffer_load_dword v130, off, s[0:3], 0 offset:464
	s_waitcnt vmcnt(0)
	v_fmac_f64_e32 v[126:127], v[130:131], v[132:133]
	buffer_load_dword v133, off, s[0:3], 0 offset:476
	buffer_load_dword v132, off, s[0:3], 0 offset:472
	ds_read2_b64 v[128:131], v128 offset0:121 offset1:122
	s_waitcnt vmcnt(0) lgkmcnt(0)
	v_fmac_f64_e32 v[126:127], v[132:133], v[128:129]
	buffer_load_dword v129, off, s[0:3], 0 offset:484
	buffer_load_dword v128, off, s[0:3], 0 offset:480
	s_waitcnt vmcnt(0)
	v_fmac_f64_e32 v[126:127], v[128:129], v[130:131]
	v_add_f64 v[124:125], v[124:125], -v[126:127]
	buffer_store_dword v125, off, s[0:3], 0 offset:228
	buffer_store_dword v124, off, s[0:3], 0 offset:224
	s_and_saveexec_b64 s[4:5], vcc
	s_cbranch_execz .LBB124_319
; %bb.318:
	buffer_load_dword v124, off, s[0:3], 0 offset:216
	buffer_load_dword v125, off, s[0:3], 0 offset:220
	v_mov_b32_e32 v126, 0
	buffer_store_dword v126, off, s[0:3], 0 offset:216
	buffer_store_dword v126, off, s[0:3], 0 offset:220
	s_waitcnt vmcnt(2)
	ds_write_b64 v1, v[124:125]
.LBB124_319:
	s_or_b64 exec, exec, s[4:5]
	s_waitcnt lgkmcnt(0)
	; wave barrier
	s_waitcnt lgkmcnt(0)
	buffer_load_dword v124, off, s[0:3], 0 offset:216
	buffer_load_dword v125, off, s[0:3], 0 offset:220
	;; [unrolled: 1-line block ×16, first 2 shown]
	v_mov_b32_e32 v128, 0
	ds_read_b128 v[130:133], v128 offset:720
	ds_read_b128 v[134:137], v128 offset:736
	;; [unrolled: 1-line block ×4, first 2 shown]
	v_cmp_lt_u32_e32 vcc, 26, v0
	s_waitcnt vmcnt(12) lgkmcnt(3)
	v_fma_f64 v[126:127], v[126:127], v[130:131], 0
	buffer_load_dword v131, off, s[0:3], 0 offset:284
	buffer_load_dword v130, off, s[0:3], 0 offset:280
	s_waitcnt vmcnt(12)
	v_fmac_f64_e32 v[126:127], v[146:147], v[132:133]
	s_waitcnt vmcnt(10) lgkmcnt(2)
	v_fmac_f64_e32 v[126:127], v[148:149], v[134:135]
	buffer_load_dword v135, off, s[0:3], 0 offset:292
	buffer_load_dword v134, off, s[0:3], 0 offset:288
	s_waitcnt vmcnt(10)
	v_fmac_f64_e32 v[126:127], v[150:151], v[136:137]
	s_waitcnt vmcnt(8) lgkmcnt(1)
	v_fmac_f64_e32 v[126:127], v[152:153], v[138:139]
	s_waitcnt vmcnt(6)
	v_fmac_f64_e32 v[126:127], v[154:155], v[140:141]
	s_waitcnt vmcnt(4) lgkmcnt(0)
	v_fmac_f64_e32 v[126:127], v[156:157], v[142:143]
	s_waitcnt vmcnt(2)
	v_fmac_f64_e32 v[126:127], v[130:131], v[144:145]
	ds_read_b128 v[130:133], v128 offset:784
	s_waitcnt vmcnt(0) lgkmcnt(0)
	v_fmac_f64_e32 v[126:127], v[134:135], v[130:131]
	buffer_load_dword v131, off, s[0:3], 0 offset:300
	buffer_load_dword v130, off, s[0:3], 0 offset:296
	buffer_load_dword v135, off, s[0:3], 0 offset:308
	buffer_load_dword v134, off, s[0:3], 0 offset:304
	s_waitcnt vmcnt(2)
	v_fmac_f64_e32 v[126:127], v[130:131], v[132:133]
	ds_read_b128 v[130:133], v128 offset:800
	s_waitcnt vmcnt(0) lgkmcnt(0)
	v_fmac_f64_e32 v[126:127], v[134:135], v[130:131]
	buffer_load_dword v131, off, s[0:3], 0 offset:316
	buffer_load_dword v130, off, s[0:3], 0 offset:312
	buffer_load_dword v135, off, s[0:3], 0 offset:324
	buffer_load_dword v134, off, s[0:3], 0 offset:320
	;; [unrolled: 9-line block ×11, first 2 shown]
	s_waitcnt vmcnt(2)
	v_fmac_f64_e32 v[126:127], v[130:131], v[132:133]
	ds_read_b128 v[130:133], v128 offset:960
	s_waitcnt vmcnt(0) lgkmcnt(0)
	v_fmac_f64_e32 v[126:127], v[134:135], v[130:131]
	buffer_load_dword v131, off, s[0:3], 0 offset:476
	buffer_load_dword v130, off, s[0:3], 0 offset:472
	s_waitcnt vmcnt(0)
	v_fmac_f64_e32 v[126:127], v[130:131], v[132:133]
	buffer_load_dword v131, off, s[0:3], 0 offset:484
	buffer_load_dword v130, off, s[0:3], 0 offset:480
	ds_read_b64 v[132:133], v128 offset:976
	s_waitcnt vmcnt(0) lgkmcnt(0)
	v_fmac_f64_e32 v[126:127], v[130:131], v[132:133]
	v_add_f64 v[124:125], v[124:125], -v[126:127]
	buffer_store_dword v125, off, s[0:3], 0 offset:220
	buffer_store_dword v124, off, s[0:3], 0 offset:216
	s_and_saveexec_b64 s[4:5], vcc
	s_cbranch_execz .LBB124_321
; %bb.320:
	buffer_load_dword v124, off, s[0:3], 0 offset:208
	buffer_load_dword v125, off, s[0:3], 0 offset:212
	s_waitcnt vmcnt(0)
	ds_write_b64 v1, v[124:125]
	buffer_store_dword v128, off, s[0:3], 0 offset:208
	buffer_store_dword v128, off, s[0:3], 0 offset:212
.LBB124_321:
	s_or_b64 exec, exec, s[4:5]
	s_waitcnt lgkmcnt(0)
	; wave barrier
	s_waitcnt lgkmcnt(0)
	buffer_load_dword v124, off, s[0:3], 0 offset:208
	buffer_load_dword v125, off, s[0:3], 0 offset:212
	;; [unrolled: 1-line block ×16, first 2 shown]
	ds_read2_b64 v[130:133], v128 offset0:89 offset1:90
	v_cmp_lt_u32_e32 vcc, 25, v0
	s_waitcnt vmcnt(12) lgkmcnt(0)
	v_fma_f64 v[126:127], v[126:127], v[130:131], 0
	s_waitcnt vmcnt(10)
	v_fmac_f64_e32 v[126:127], v[134:135], v[132:133]
	ds_read2_b64 v[130:133], v128 offset0:91 offset1:92
	s_waitcnt vmcnt(8) lgkmcnt(0)
	v_fmac_f64_e32 v[126:127], v[136:137], v[130:131]
	s_waitcnt vmcnt(6)
	v_fmac_f64_e32 v[126:127], v[138:139], v[132:133]
	ds_read2_b64 v[130:133], v128 offset0:93 offset1:94
	s_waitcnt vmcnt(4) lgkmcnt(0)
	v_fmac_f64_e32 v[126:127], v[140:141], v[130:131]
	;; [unrolled: 5-line block ×3, first 2 shown]
	buffer_load_dword v131, off, s[0:3], 0 offset:276
	buffer_load_dword v130, off, s[0:3], 0 offset:272
	buffer_load_dword v135, off, s[0:3], 0 offset:284
	buffer_load_dword v134, off, s[0:3], 0 offset:280
	s_waitcnt vmcnt(2)
	v_fmac_f64_e32 v[126:127], v[130:131], v[132:133]
	ds_read2_b64 v[130:133], v128 offset0:97 offset1:98
	s_waitcnt vmcnt(0) lgkmcnt(0)
	v_fmac_f64_e32 v[126:127], v[134:135], v[130:131]
	buffer_load_dword v131, off, s[0:3], 0 offset:292
	buffer_load_dword v130, off, s[0:3], 0 offset:288
	buffer_load_dword v135, off, s[0:3], 0 offset:300
	buffer_load_dword v134, off, s[0:3], 0 offset:296
	s_waitcnt vmcnt(2)
	v_fmac_f64_e32 v[126:127], v[130:131], v[132:133]
	ds_read2_b64 v[130:133], v128 offset0:99 offset1:100
	s_waitcnt vmcnt(0) lgkmcnt(0)
	v_fmac_f64_e32 v[126:127], v[134:135], v[130:131]
	;; [unrolled: 9-line block ×12, first 2 shown]
	buffer_load_dword v131, off, s[0:3], 0 offset:468
	buffer_load_dword v130, off, s[0:3], 0 offset:464
	s_waitcnt vmcnt(0)
	v_fmac_f64_e32 v[126:127], v[130:131], v[132:133]
	buffer_load_dword v133, off, s[0:3], 0 offset:476
	buffer_load_dword v132, off, s[0:3], 0 offset:472
	ds_read2_b64 v[128:131], v128 offset0:121 offset1:122
	s_waitcnt vmcnt(0) lgkmcnt(0)
	v_fmac_f64_e32 v[126:127], v[132:133], v[128:129]
	buffer_load_dword v129, off, s[0:3], 0 offset:484
	buffer_load_dword v128, off, s[0:3], 0 offset:480
	s_waitcnt vmcnt(0)
	v_fmac_f64_e32 v[126:127], v[128:129], v[130:131]
	v_add_f64 v[124:125], v[124:125], -v[126:127]
	buffer_store_dword v125, off, s[0:3], 0 offset:212
	buffer_store_dword v124, off, s[0:3], 0 offset:208
	s_and_saveexec_b64 s[4:5], vcc
	s_cbranch_execz .LBB124_323
; %bb.322:
	buffer_load_dword v124, off, s[0:3], 0 offset:200
	buffer_load_dword v125, off, s[0:3], 0 offset:204
	v_mov_b32_e32 v126, 0
	buffer_store_dword v126, off, s[0:3], 0 offset:200
	buffer_store_dword v126, off, s[0:3], 0 offset:204
	s_waitcnt vmcnt(2)
	ds_write_b64 v1, v[124:125]
.LBB124_323:
	s_or_b64 exec, exec, s[4:5]
	s_waitcnt lgkmcnt(0)
	; wave barrier
	s_waitcnt lgkmcnt(0)
	buffer_load_dword v124, off, s[0:3], 0 offset:200
	buffer_load_dword v125, off, s[0:3], 0 offset:204
	;; [unrolled: 1-line block ×16, first 2 shown]
	v_mov_b32_e32 v128, 0
	ds_read_b128 v[130:133], v128 offset:704
	ds_read_b128 v[134:137], v128 offset:720
	;; [unrolled: 1-line block ×4, first 2 shown]
	v_cmp_lt_u32_e32 vcc, 24, v0
	s_waitcnt vmcnt(12) lgkmcnt(3)
	v_fma_f64 v[126:127], v[126:127], v[130:131], 0
	buffer_load_dword v131, off, s[0:3], 0 offset:268
	buffer_load_dword v130, off, s[0:3], 0 offset:264
	s_waitcnt vmcnt(12)
	v_fmac_f64_e32 v[126:127], v[146:147], v[132:133]
	s_waitcnt vmcnt(10) lgkmcnt(2)
	v_fmac_f64_e32 v[126:127], v[148:149], v[134:135]
	buffer_load_dword v135, off, s[0:3], 0 offset:276
	buffer_load_dword v134, off, s[0:3], 0 offset:272
	s_waitcnt vmcnt(10)
	v_fmac_f64_e32 v[126:127], v[150:151], v[136:137]
	s_waitcnt vmcnt(8) lgkmcnt(1)
	v_fmac_f64_e32 v[126:127], v[152:153], v[138:139]
	s_waitcnt vmcnt(6)
	v_fmac_f64_e32 v[126:127], v[154:155], v[140:141]
	s_waitcnt vmcnt(4) lgkmcnt(0)
	v_fmac_f64_e32 v[126:127], v[156:157], v[142:143]
	s_waitcnt vmcnt(2)
	v_fmac_f64_e32 v[126:127], v[130:131], v[144:145]
	ds_read_b128 v[130:133], v128 offset:768
	s_waitcnt vmcnt(0) lgkmcnt(0)
	v_fmac_f64_e32 v[126:127], v[134:135], v[130:131]
	buffer_load_dword v131, off, s[0:3], 0 offset:284
	buffer_load_dword v130, off, s[0:3], 0 offset:280
	buffer_load_dword v135, off, s[0:3], 0 offset:292
	buffer_load_dword v134, off, s[0:3], 0 offset:288
	s_waitcnt vmcnt(2)
	v_fmac_f64_e32 v[126:127], v[130:131], v[132:133]
	ds_read_b128 v[130:133], v128 offset:784
	s_waitcnt vmcnt(0) lgkmcnt(0)
	v_fmac_f64_e32 v[126:127], v[134:135], v[130:131]
	buffer_load_dword v131, off, s[0:3], 0 offset:300
	buffer_load_dword v130, off, s[0:3], 0 offset:296
	buffer_load_dword v135, off, s[0:3], 0 offset:308
	buffer_load_dword v134, off, s[0:3], 0 offset:304
	;; [unrolled: 9-line block ×12, first 2 shown]
	s_waitcnt vmcnt(2)
	v_fmac_f64_e32 v[126:127], v[130:131], v[132:133]
	ds_read_b128 v[130:133], v128 offset:960
	s_waitcnt vmcnt(0) lgkmcnt(0)
	v_fmac_f64_e32 v[126:127], v[134:135], v[130:131]
	buffer_load_dword v131, off, s[0:3], 0 offset:476
	buffer_load_dword v130, off, s[0:3], 0 offset:472
	s_waitcnt vmcnt(0)
	v_fmac_f64_e32 v[126:127], v[130:131], v[132:133]
	buffer_load_dword v131, off, s[0:3], 0 offset:484
	buffer_load_dword v130, off, s[0:3], 0 offset:480
	ds_read_b64 v[132:133], v128 offset:976
	s_waitcnt vmcnt(0) lgkmcnt(0)
	v_fmac_f64_e32 v[126:127], v[130:131], v[132:133]
	v_add_f64 v[124:125], v[124:125], -v[126:127]
	buffer_store_dword v125, off, s[0:3], 0 offset:204
	buffer_store_dword v124, off, s[0:3], 0 offset:200
	s_and_saveexec_b64 s[4:5], vcc
	s_cbranch_execz .LBB124_325
; %bb.324:
	buffer_load_dword v124, off, s[0:3], 0 offset:192
	buffer_load_dword v125, off, s[0:3], 0 offset:196
	s_waitcnt vmcnt(0)
	ds_write_b64 v1, v[124:125]
	buffer_store_dword v128, off, s[0:3], 0 offset:192
	buffer_store_dword v128, off, s[0:3], 0 offset:196
.LBB124_325:
	s_or_b64 exec, exec, s[4:5]
	s_waitcnt lgkmcnt(0)
	; wave barrier
	s_waitcnt lgkmcnt(0)
	buffer_load_dword v124, off, s[0:3], 0 offset:192
	buffer_load_dword v125, off, s[0:3], 0 offset:196
	;; [unrolled: 1-line block ×16, first 2 shown]
	ds_read2_b64 v[130:133], v128 offset0:87 offset1:88
	v_cmp_lt_u32_e32 vcc, 23, v0
	s_waitcnt vmcnt(12) lgkmcnt(0)
	v_fma_f64 v[126:127], v[126:127], v[130:131], 0
	s_waitcnt vmcnt(10)
	v_fmac_f64_e32 v[126:127], v[134:135], v[132:133]
	ds_read2_b64 v[130:133], v128 offset0:89 offset1:90
	s_waitcnt vmcnt(8) lgkmcnt(0)
	v_fmac_f64_e32 v[126:127], v[136:137], v[130:131]
	s_waitcnt vmcnt(6)
	v_fmac_f64_e32 v[126:127], v[138:139], v[132:133]
	ds_read2_b64 v[130:133], v128 offset0:91 offset1:92
	s_waitcnt vmcnt(4) lgkmcnt(0)
	v_fmac_f64_e32 v[126:127], v[140:141], v[130:131]
	;; [unrolled: 5-line block ×3, first 2 shown]
	buffer_load_dword v131, off, s[0:3], 0 offset:260
	buffer_load_dword v130, off, s[0:3], 0 offset:256
	buffer_load_dword v135, off, s[0:3], 0 offset:268
	buffer_load_dword v134, off, s[0:3], 0 offset:264
	s_waitcnt vmcnt(2)
	v_fmac_f64_e32 v[126:127], v[130:131], v[132:133]
	ds_read2_b64 v[130:133], v128 offset0:95 offset1:96
	s_waitcnt vmcnt(0) lgkmcnt(0)
	v_fmac_f64_e32 v[126:127], v[134:135], v[130:131]
	buffer_load_dword v131, off, s[0:3], 0 offset:276
	buffer_load_dword v130, off, s[0:3], 0 offset:272
	buffer_load_dword v135, off, s[0:3], 0 offset:284
	buffer_load_dword v134, off, s[0:3], 0 offset:280
	s_waitcnt vmcnt(2)
	v_fmac_f64_e32 v[126:127], v[130:131], v[132:133]
	ds_read2_b64 v[130:133], v128 offset0:97 offset1:98
	s_waitcnt vmcnt(0) lgkmcnt(0)
	v_fmac_f64_e32 v[126:127], v[134:135], v[130:131]
	;; [unrolled: 9-line block ×13, first 2 shown]
	buffer_load_dword v131, off, s[0:3], 0 offset:468
	buffer_load_dword v130, off, s[0:3], 0 offset:464
	s_waitcnt vmcnt(0)
	v_fmac_f64_e32 v[126:127], v[130:131], v[132:133]
	buffer_load_dword v133, off, s[0:3], 0 offset:476
	buffer_load_dword v132, off, s[0:3], 0 offset:472
	ds_read2_b64 v[128:131], v128 offset0:121 offset1:122
	s_waitcnt vmcnt(0) lgkmcnt(0)
	v_fmac_f64_e32 v[126:127], v[132:133], v[128:129]
	buffer_load_dword v129, off, s[0:3], 0 offset:484
	buffer_load_dword v128, off, s[0:3], 0 offset:480
	s_waitcnt vmcnt(0)
	v_fmac_f64_e32 v[126:127], v[128:129], v[130:131]
	v_add_f64 v[124:125], v[124:125], -v[126:127]
	buffer_store_dword v125, off, s[0:3], 0 offset:196
	buffer_store_dword v124, off, s[0:3], 0 offset:192
	s_and_saveexec_b64 s[4:5], vcc
	s_cbranch_execz .LBB124_327
; %bb.326:
	buffer_load_dword v124, off, s[0:3], 0 offset:184
	buffer_load_dword v125, off, s[0:3], 0 offset:188
	v_mov_b32_e32 v126, 0
	buffer_store_dword v126, off, s[0:3], 0 offset:184
	buffer_store_dword v126, off, s[0:3], 0 offset:188
	s_waitcnt vmcnt(2)
	ds_write_b64 v1, v[124:125]
.LBB124_327:
	s_or_b64 exec, exec, s[4:5]
	s_waitcnt lgkmcnt(0)
	; wave barrier
	s_waitcnt lgkmcnt(0)
	buffer_load_dword v124, off, s[0:3], 0 offset:184
	buffer_load_dword v125, off, s[0:3], 0 offset:188
	buffer_load_dword v126, off, s[0:3], 0 offset:192
	buffer_load_dword v127, off, s[0:3], 0 offset:196
	buffer_load_dword v146, off, s[0:3], 0 offset:200
	buffer_load_dword v147, off, s[0:3], 0 offset:204
	buffer_load_dword v148, off, s[0:3], 0 offset:208
	buffer_load_dword v149, off, s[0:3], 0 offset:212
	buffer_load_dword v150, off, s[0:3], 0 offset:216
	buffer_load_dword v151, off, s[0:3], 0 offset:220
	buffer_load_dword v152, off, s[0:3], 0 offset:224
	buffer_load_dword v153, off, s[0:3], 0 offset:228
	buffer_load_dword v154, off, s[0:3], 0 offset:232
	buffer_load_dword v155, off, s[0:3], 0 offset:236
	buffer_load_dword v156, off, s[0:3], 0 offset:240
	buffer_load_dword v157, off, s[0:3], 0 offset:244
	v_mov_b32_e32 v128, 0
	ds_read_b128 v[130:133], v128 offset:688
	ds_read_b128 v[134:137], v128 offset:704
	;; [unrolled: 1-line block ×4, first 2 shown]
	v_cmp_lt_u32_e32 vcc, 22, v0
	s_waitcnt vmcnt(12) lgkmcnt(3)
	v_fma_f64 v[126:127], v[126:127], v[130:131], 0
	buffer_load_dword v131, off, s[0:3], 0 offset:252
	buffer_load_dword v130, off, s[0:3], 0 offset:248
	s_waitcnt vmcnt(12)
	v_fmac_f64_e32 v[126:127], v[146:147], v[132:133]
	s_waitcnt vmcnt(10) lgkmcnt(2)
	v_fmac_f64_e32 v[126:127], v[148:149], v[134:135]
	buffer_load_dword v135, off, s[0:3], 0 offset:260
	buffer_load_dword v134, off, s[0:3], 0 offset:256
	s_waitcnt vmcnt(10)
	v_fmac_f64_e32 v[126:127], v[150:151], v[136:137]
	s_waitcnt vmcnt(8) lgkmcnt(1)
	v_fmac_f64_e32 v[126:127], v[152:153], v[138:139]
	s_waitcnt vmcnt(6)
	v_fmac_f64_e32 v[126:127], v[154:155], v[140:141]
	s_waitcnt vmcnt(4) lgkmcnt(0)
	v_fmac_f64_e32 v[126:127], v[156:157], v[142:143]
	s_waitcnt vmcnt(2)
	v_fmac_f64_e32 v[126:127], v[130:131], v[144:145]
	ds_read_b128 v[130:133], v128 offset:752
	s_waitcnt vmcnt(0) lgkmcnt(0)
	v_fmac_f64_e32 v[126:127], v[134:135], v[130:131]
	buffer_load_dword v131, off, s[0:3], 0 offset:268
	buffer_load_dword v130, off, s[0:3], 0 offset:264
	buffer_load_dword v135, off, s[0:3], 0 offset:276
	buffer_load_dword v134, off, s[0:3], 0 offset:272
	s_waitcnt vmcnt(2)
	v_fmac_f64_e32 v[126:127], v[130:131], v[132:133]
	ds_read_b128 v[130:133], v128 offset:768
	s_waitcnt vmcnt(0) lgkmcnt(0)
	v_fmac_f64_e32 v[126:127], v[134:135], v[130:131]
	buffer_load_dword v131, off, s[0:3], 0 offset:284
	buffer_load_dword v130, off, s[0:3], 0 offset:280
	buffer_load_dword v135, off, s[0:3], 0 offset:292
	buffer_load_dword v134, off, s[0:3], 0 offset:288
	;; [unrolled: 9-line block ×13, first 2 shown]
	s_waitcnt vmcnt(2)
	v_fmac_f64_e32 v[126:127], v[130:131], v[132:133]
	ds_read_b128 v[130:133], v128 offset:960
	s_waitcnt vmcnt(0) lgkmcnt(0)
	v_fmac_f64_e32 v[126:127], v[134:135], v[130:131]
	buffer_load_dword v131, off, s[0:3], 0 offset:476
	buffer_load_dword v130, off, s[0:3], 0 offset:472
	s_waitcnt vmcnt(0)
	v_fmac_f64_e32 v[126:127], v[130:131], v[132:133]
	buffer_load_dword v131, off, s[0:3], 0 offset:484
	buffer_load_dword v130, off, s[0:3], 0 offset:480
	ds_read_b64 v[132:133], v128 offset:976
	s_waitcnt vmcnt(0) lgkmcnt(0)
	v_fmac_f64_e32 v[126:127], v[130:131], v[132:133]
	v_add_f64 v[124:125], v[124:125], -v[126:127]
	buffer_store_dword v125, off, s[0:3], 0 offset:188
	buffer_store_dword v124, off, s[0:3], 0 offset:184
	s_and_saveexec_b64 s[4:5], vcc
	s_cbranch_execz .LBB124_329
; %bb.328:
	buffer_load_dword v124, off, s[0:3], 0 offset:176
	buffer_load_dword v125, off, s[0:3], 0 offset:180
	s_waitcnt vmcnt(0)
	ds_write_b64 v1, v[124:125]
	buffer_store_dword v128, off, s[0:3], 0 offset:176
	buffer_store_dword v128, off, s[0:3], 0 offset:180
.LBB124_329:
	s_or_b64 exec, exec, s[4:5]
	s_waitcnt lgkmcnt(0)
	; wave barrier
	s_waitcnt lgkmcnt(0)
	buffer_load_dword v124, off, s[0:3], 0 offset:176
	buffer_load_dword v125, off, s[0:3], 0 offset:180
	;; [unrolled: 1-line block ×16, first 2 shown]
	ds_read2_b64 v[130:133], v128 offset0:85 offset1:86
	v_cmp_lt_u32_e32 vcc, 21, v0
	s_waitcnt vmcnt(12) lgkmcnt(0)
	v_fma_f64 v[126:127], v[126:127], v[130:131], 0
	s_waitcnt vmcnt(10)
	v_fmac_f64_e32 v[126:127], v[134:135], v[132:133]
	ds_read2_b64 v[130:133], v128 offset0:87 offset1:88
	s_waitcnt vmcnt(8) lgkmcnt(0)
	v_fmac_f64_e32 v[126:127], v[136:137], v[130:131]
	s_waitcnt vmcnt(6)
	v_fmac_f64_e32 v[126:127], v[138:139], v[132:133]
	ds_read2_b64 v[130:133], v128 offset0:89 offset1:90
	s_waitcnt vmcnt(4) lgkmcnt(0)
	v_fmac_f64_e32 v[126:127], v[140:141], v[130:131]
	;; [unrolled: 5-line block ×3, first 2 shown]
	buffer_load_dword v131, off, s[0:3], 0 offset:244
	buffer_load_dword v130, off, s[0:3], 0 offset:240
	buffer_load_dword v135, off, s[0:3], 0 offset:252
	buffer_load_dword v134, off, s[0:3], 0 offset:248
	s_waitcnt vmcnt(2)
	v_fmac_f64_e32 v[126:127], v[130:131], v[132:133]
	ds_read2_b64 v[130:133], v128 offset0:93 offset1:94
	s_waitcnt vmcnt(0) lgkmcnt(0)
	v_fmac_f64_e32 v[126:127], v[134:135], v[130:131]
	buffer_load_dword v131, off, s[0:3], 0 offset:260
	buffer_load_dword v130, off, s[0:3], 0 offset:256
	buffer_load_dword v135, off, s[0:3], 0 offset:268
	buffer_load_dword v134, off, s[0:3], 0 offset:264
	s_waitcnt vmcnt(2)
	v_fmac_f64_e32 v[126:127], v[130:131], v[132:133]
	ds_read2_b64 v[130:133], v128 offset0:95 offset1:96
	s_waitcnt vmcnt(0) lgkmcnt(0)
	v_fmac_f64_e32 v[126:127], v[134:135], v[130:131]
	;; [unrolled: 9-line block ×14, first 2 shown]
	buffer_load_dword v131, off, s[0:3], 0 offset:468
	buffer_load_dword v130, off, s[0:3], 0 offset:464
	s_waitcnt vmcnt(0)
	v_fmac_f64_e32 v[126:127], v[130:131], v[132:133]
	buffer_load_dword v133, off, s[0:3], 0 offset:476
	buffer_load_dword v132, off, s[0:3], 0 offset:472
	ds_read2_b64 v[128:131], v128 offset0:121 offset1:122
	s_waitcnt vmcnt(0) lgkmcnt(0)
	v_fmac_f64_e32 v[126:127], v[132:133], v[128:129]
	buffer_load_dword v129, off, s[0:3], 0 offset:484
	buffer_load_dword v128, off, s[0:3], 0 offset:480
	s_waitcnt vmcnt(0)
	v_fmac_f64_e32 v[126:127], v[128:129], v[130:131]
	v_add_f64 v[124:125], v[124:125], -v[126:127]
	buffer_store_dword v125, off, s[0:3], 0 offset:180
	buffer_store_dword v124, off, s[0:3], 0 offset:176
	s_and_saveexec_b64 s[4:5], vcc
	s_cbranch_execz .LBB124_331
; %bb.330:
	buffer_load_dword v124, off, s[0:3], 0 offset:168
	buffer_load_dword v125, off, s[0:3], 0 offset:172
	v_mov_b32_e32 v126, 0
	buffer_store_dword v126, off, s[0:3], 0 offset:168
	buffer_store_dword v126, off, s[0:3], 0 offset:172
	s_waitcnt vmcnt(2)
	ds_write_b64 v1, v[124:125]
.LBB124_331:
	s_or_b64 exec, exec, s[4:5]
	s_waitcnt lgkmcnt(0)
	; wave barrier
	s_waitcnt lgkmcnt(0)
	buffer_load_dword v124, off, s[0:3], 0 offset:168
	buffer_load_dword v125, off, s[0:3], 0 offset:172
	;; [unrolled: 1-line block ×16, first 2 shown]
	v_mov_b32_e32 v128, 0
	ds_read_b128 v[130:133], v128 offset:672
	ds_read_b128 v[134:137], v128 offset:688
	;; [unrolled: 1-line block ×4, first 2 shown]
	v_cmp_lt_u32_e32 vcc, 20, v0
	s_waitcnt vmcnt(12) lgkmcnt(3)
	v_fma_f64 v[126:127], v[126:127], v[130:131], 0
	buffer_load_dword v131, off, s[0:3], 0 offset:236
	buffer_load_dword v130, off, s[0:3], 0 offset:232
	s_waitcnt vmcnt(12)
	v_fmac_f64_e32 v[126:127], v[146:147], v[132:133]
	s_waitcnt vmcnt(10) lgkmcnt(2)
	v_fmac_f64_e32 v[126:127], v[148:149], v[134:135]
	buffer_load_dword v135, off, s[0:3], 0 offset:244
	buffer_load_dword v134, off, s[0:3], 0 offset:240
	s_waitcnt vmcnt(10)
	v_fmac_f64_e32 v[126:127], v[150:151], v[136:137]
	s_waitcnt vmcnt(8) lgkmcnt(1)
	v_fmac_f64_e32 v[126:127], v[152:153], v[138:139]
	s_waitcnt vmcnt(6)
	v_fmac_f64_e32 v[126:127], v[154:155], v[140:141]
	s_waitcnt vmcnt(4) lgkmcnt(0)
	v_fmac_f64_e32 v[126:127], v[156:157], v[142:143]
	s_waitcnt vmcnt(2)
	v_fmac_f64_e32 v[126:127], v[130:131], v[144:145]
	ds_read_b128 v[130:133], v128 offset:736
	s_waitcnt vmcnt(0) lgkmcnt(0)
	v_fmac_f64_e32 v[126:127], v[134:135], v[130:131]
	buffer_load_dword v131, off, s[0:3], 0 offset:252
	buffer_load_dword v130, off, s[0:3], 0 offset:248
	buffer_load_dword v135, off, s[0:3], 0 offset:260
	buffer_load_dword v134, off, s[0:3], 0 offset:256
	s_waitcnt vmcnt(2)
	v_fmac_f64_e32 v[126:127], v[130:131], v[132:133]
	ds_read_b128 v[130:133], v128 offset:752
	s_waitcnt vmcnt(0) lgkmcnt(0)
	v_fmac_f64_e32 v[126:127], v[134:135], v[130:131]
	buffer_load_dword v131, off, s[0:3], 0 offset:268
	buffer_load_dword v130, off, s[0:3], 0 offset:264
	buffer_load_dword v135, off, s[0:3], 0 offset:276
	buffer_load_dword v134, off, s[0:3], 0 offset:272
	;; [unrolled: 9-line block ×14, first 2 shown]
	s_waitcnt vmcnt(2)
	v_fmac_f64_e32 v[126:127], v[130:131], v[132:133]
	ds_read_b128 v[130:133], v128 offset:960
	s_waitcnt vmcnt(0) lgkmcnt(0)
	v_fmac_f64_e32 v[126:127], v[134:135], v[130:131]
	buffer_load_dword v131, off, s[0:3], 0 offset:476
	buffer_load_dword v130, off, s[0:3], 0 offset:472
	s_waitcnt vmcnt(0)
	v_fmac_f64_e32 v[126:127], v[130:131], v[132:133]
	buffer_load_dword v131, off, s[0:3], 0 offset:484
	buffer_load_dword v130, off, s[0:3], 0 offset:480
	ds_read_b64 v[132:133], v128 offset:976
	s_waitcnt vmcnt(0) lgkmcnt(0)
	v_fmac_f64_e32 v[126:127], v[130:131], v[132:133]
	v_add_f64 v[124:125], v[124:125], -v[126:127]
	buffer_store_dword v125, off, s[0:3], 0 offset:172
	buffer_store_dword v124, off, s[0:3], 0 offset:168
	s_and_saveexec_b64 s[4:5], vcc
	s_cbranch_execz .LBB124_333
; %bb.332:
	buffer_load_dword v124, off, s[0:3], 0 offset:160
	buffer_load_dword v125, off, s[0:3], 0 offset:164
	s_waitcnt vmcnt(0)
	ds_write_b64 v1, v[124:125]
	buffer_store_dword v128, off, s[0:3], 0 offset:160
	buffer_store_dword v128, off, s[0:3], 0 offset:164
.LBB124_333:
	s_or_b64 exec, exec, s[4:5]
	s_waitcnt lgkmcnt(0)
	; wave barrier
	s_waitcnt lgkmcnt(0)
	buffer_load_dword v124, off, s[0:3], 0 offset:160
	buffer_load_dword v125, off, s[0:3], 0 offset:164
	;; [unrolled: 1-line block ×16, first 2 shown]
	ds_read2_b64 v[130:133], v128 offset0:83 offset1:84
	v_cmp_lt_u32_e32 vcc, 19, v0
	s_waitcnt vmcnt(12) lgkmcnt(0)
	v_fma_f64 v[126:127], v[126:127], v[130:131], 0
	s_waitcnt vmcnt(10)
	v_fmac_f64_e32 v[126:127], v[134:135], v[132:133]
	ds_read2_b64 v[130:133], v128 offset0:85 offset1:86
	s_waitcnt vmcnt(8) lgkmcnt(0)
	v_fmac_f64_e32 v[126:127], v[136:137], v[130:131]
	s_waitcnt vmcnt(6)
	v_fmac_f64_e32 v[126:127], v[138:139], v[132:133]
	ds_read2_b64 v[130:133], v128 offset0:87 offset1:88
	s_waitcnt vmcnt(4) lgkmcnt(0)
	v_fmac_f64_e32 v[126:127], v[140:141], v[130:131]
	;; [unrolled: 5-line block ×3, first 2 shown]
	buffer_load_dword v131, off, s[0:3], 0 offset:228
	buffer_load_dword v130, off, s[0:3], 0 offset:224
	buffer_load_dword v135, off, s[0:3], 0 offset:236
	buffer_load_dword v134, off, s[0:3], 0 offset:232
	s_waitcnt vmcnt(2)
	v_fmac_f64_e32 v[126:127], v[130:131], v[132:133]
	ds_read2_b64 v[130:133], v128 offset0:91 offset1:92
	s_waitcnt vmcnt(0) lgkmcnt(0)
	v_fmac_f64_e32 v[126:127], v[134:135], v[130:131]
	buffer_load_dword v131, off, s[0:3], 0 offset:244
	buffer_load_dword v130, off, s[0:3], 0 offset:240
	buffer_load_dword v135, off, s[0:3], 0 offset:252
	buffer_load_dword v134, off, s[0:3], 0 offset:248
	s_waitcnt vmcnt(2)
	v_fmac_f64_e32 v[126:127], v[130:131], v[132:133]
	ds_read2_b64 v[130:133], v128 offset0:93 offset1:94
	s_waitcnt vmcnt(0) lgkmcnt(0)
	v_fmac_f64_e32 v[126:127], v[134:135], v[130:131]
	;; [unrolled: 9-line block ×15, first 2 shown]
	buffer_load_dword v131, off, s[0:3], 0 offset:468
	buffer_load_dword v130, off, s[0:3], 0 offset:464
	s_waitcnt vmcnt(0)
	v_fmac_f64_e32 v[126:127], v[130:131], v[132:133]
	buffer_load_dword v133, off, s[0:3], 0 offset:476
	buffer_load_dword v132, off, s[0:3], 0 offset:472
	ds_read2_b64 v[128:131], v128 offset0:121 offset1:122
	s_waitcnt vmcnt(0) lgkmcnt(0)
	v_fmac_f64_e32 v[126:127], v[132:133], v[128:129]
	buffer_load_dword v129, off, s[0:3], 0 offset:484
	buffer_load_dword v128, off, s[0:3], 0 offset:480
	s_waitcnt vmcnt(0)
	v_fmac_f64_e32 v[126:127], v[128:129], v[130:131]
	v_add_f64 v[124:125], v[124:125], -v[126:127]
	buffer_store_dword v125, off, s[0:3], 0 offset:164
	buffer_store_dword v124, off, s[0:3], 0 offset:160
	s_and_saveexec_b64 s[4:5], vcc
	s_cbranch_execz .LBB124_335
; %bb.334:
	buffer_load_dword v124, off, s[0:3], 0 offset:152
	buffer_load_dword v125, off, s[0:3], 0 offset:156
	v_mov_b32_e32 v126, 0
	buffer_store_dword v126, off, s[0:3], 0 offset:152
	buffer_store_dword v126, off, s[0:3], 0 offset:156
	s_waitcnt vmcnt(2)
	ds_write_b64 v1, v[124:125]
.LBB124_335:
	s_or_b64 exec, exec, s[4:5]
	s_waitcnt lgkmcnt(0)
	; wave barrier
	s_waitcnt lgkmcnt(0)
	buffer_load_dword v124, off, s[0:3], 0 offset:152
	buffer_load_dword v125, off, s[0:3], 0 offset:156
	buffer_load_dword v126, off, s[0:3], 0 offset:160
	buffer_load_dword v127, off, s[0:3], 0 offset:164
	buffer_load_dword v146, off, s[0:3], 0 offset:168
	buffer_load_dword v147, off, s[0:3], 0 offset:172
	buffer_load_dword v148, off, s[0:3], 0 offset:176
	buffer_load_dword v149, off, s[0:3], 0 offset:180
	buffer_load_dword v150, off, s[0:3], 0 offset:184
	buffer_load_dword v151, off, s[0:3], 0 offset:188
	buffer_load_dword v152, off, s[0:3], 0 offset:192
	buffer_load_dword v153, off, s[0:3], 0 offset:196
	buffer_load_dword v154, off, s[0:3], 0 offset:200
	buffer_load_dword v155, off, s[0:3], 0 offset:204
	buffer_load_dword v156, off, s[0:3], 0 offset:208
	buffer_load_dword v157, off, s[0:3], 0 offset:212
	v_mov_b32_e32 v128, 0
	ds_read_b128 v[130:133], v128 offset:656
	ds_read_b128 v[134:137], v128 offset:672
	;; [unrolled: 1-line block ×4, first 2 shown]
	v_cmp_lt_u32_e32 vcc, 18, v0
	s_waitcnt vmcnt(12) lgkmcnt(3)
	v_fma_f64 v[126:127], v[126:127], v[130:131], 0
	buffer_load_dword v131, off, s[0:3], 0 offset:220
	buffer_load_dword v130, off, s[0:3], 0 offset:216
	s_waitcnt vmcnt(12)
	v_fmac_f64_e32 v[126:127], v[146:147], v[132:133]
	s_waitcnt vmcnt(10) lgkmcnt(2)
	v_fmac_f64_e32 v[126:127], v[148:149], v[134:135]
	buffer_load_dword v135, off, s[0:3], 0 offset:228
	buffer_load_dword v134, off, s[0:3], 0 offset:224
	s_waitcnt vmcnt(10)
	v_fmac_f64_e32 v[126:127], v[150:151], v[136:137]
	s_waitcnt vmcnt(8) lgkmcnt(1)
	v_fmac_f64_e32 v[126:127], v[152:153], v[138:139]
	s_waitcnt vmcnt(6)
	v_fmac_f64_e32 v[126:127], v[154:155], v[140:141]
	s_waitcnt vmcnt(4) lgkmcnt(0)
	v_fmac_f64_e32 v[126:127], v[156:157], v[142:143]
	s_waitcnt vmcnt(2)
	v_fmac_f64_e32 v[126:127], v[130:131], v[144:145]
	ds_read_b128 v[130:133], v128 offset:720
	s_waitcnt vmcnt(0) lgkmcnt(0)
	v_fmac_f64_e32 v[126:127], v[134:135], v[130:131]
	buffer_load_dword v131, off, s[0:3], 0 offset:236
	buffer_load_dword v130, off, s[0:3], 0 offset:232
	buffer_load_dword v135, off, s[0:3], 0 offset:244
	buffer_load_dword v134, off, s[0:3], 0 offset:240
	s_waitcnt vmcnt(2)
	v_fmac_f64_e32 v[126:127], v[130:131], v[132:133]
	ds_read_b128 v[130:133], v128 offset:736
	s_waitcnt vmcnt(0) lgkmcnt(0)
	v_fmac_f64_e32 v[126:127], v[134:135], v[130:131]
	buffer_load_dword v131, off, s[0:3], 0 offset:252
	buffer_load_dword v130, off, s[0:3], 0 offset:248
	buffer_load_dword v135, off, s[0:3], 0 offset:260
	buffer_load_dword v134, off, s[0:3], 0 offset:256
	;; [unrolled: 9-line block ×15, first 2 shown]
	s_waitcnt vmcnt(2)
	v_fmac_f64_e32 v[126:127], v[130:131], v[132:133]
	ds_read_b128 v[130:133], v128 offset:960
	s_waitcnt vmcnt(0) lgkmcnt(0)
	v_fmac_f64_e32 v[126:127], v[134:135], v[130:131]
	buffer_load_dword v131, off, s[0:3], 0 offset:476
	buffer_load_dword v130, off, s[0:3], 0 offset:472
	s_waitcnt vmcnt(0)
	v_fmac_f64_e32 v[126:127], v[130:131], v[132:133]
	buffer_load_dword v131, off, s[0:3], 0 offset:484
	buffer_load_dword v130, off, s[0:3], 0 offset:480
	ds_read_b64 v[132:133], v128 offset:976
	s_waitcnt vmcnt(0) lgkmcnt(0)
	v_fmac_f64_e32 v[126:127], v[130:131], v[132:133]
	v_add_f64 v[124:125], v[124:125], -v[126:127]
	buffer_store_dword v125, off, s[0:3], 0 offset:156
	buffer_store_dword v124, off, s[0:3], 0 offset:152
	s_and_saveexec_b64 s[4:5], vcc
	s_cbranch_execz .LBB124_337
; %bb.336:
	buffer_load_dword v124, off, s[0:3], 0 offset:144
	buffer_load_dword v125, off, s[0:3], 0 offset:148
	s_waitcnt vmcnt(0)
	ds_write_b64 v1, v[124:125]
	buffer_store_dword v128, off, s[0:3], 0 offset:144
	buffer_store_dword v128, off, s[0:3], 0 offset:148
.LBB124_337:
	s_or_b64 exec, exec, s[4:5]
	s_waitcnt lgkmcnt(0)
	; wave barrier
	s_waitcnt lgkmcnt(0)
	buffer_load_dword v124, off, s[0:3], 0 offset:144
	buffer_load_dword v125, off, s[0:3], 0 offset:148
	;; [unrolled: 1-line block ×16, first 2 shown]
	ds_read2_b64 v[130:133], v128 offset0:81 offset1:82
	v_cmp_lt_u32_e32 vcc, 17, v0
	s_waitcnt vmcnt(12) lgkmcnt(0)
	v_fma_f64 v[126:127], v[126:127], v[130:131], 0
	s_waitcnt vmcnt(10)
	v_fmac_f64_e32 v[126:127], v[134:135], v[132:133]
	ds_read2_b64 v[130:133], v128 offset0:83 offset1:84
	s_waitcnt vmcnt(8) lgkmcnt(0)
	v_fmac_f64_e32 v[126:127], v[136:137], v[130:131]
	s_waitcnt vmcnt(6)
	v_fmac_f64_e32 v[126:127], v[138:139], v[132:133]
	ds_read2_b64 v[130:133], v128 offset0:85 offset1:86
	s_waitcnt vmcnt(4) lgkmcnt(0)
	v_fmac_f64_e32 v[126:127], v[140:141], v[130:131]
	s_waitcnt vmcnt(2)
	v_fmac_f64_e32 v[126:127], v[142:143], v[132:133]
	ds_read2_b64 v[130:133], v128 offset0:87 offset1:88
	s_waitcnt vmcnt(0) lgkmcnt(0)
	v_fmac_f64_e32 v[126:127], v[144:145], v[130:131]
	buffer_load_dword v131, off, s[0:3], 0 offset:212
	buffer_load_dword v130, off, s[0:3], 0 offset:208
	buffer_load_dword v135, off, s[0:3], 0 offset:220
	buffer_load_dword v134, off, s[0:3], 0 offset:216
	s_waitcnt vmcnt(2)
	v_fmac_f64_e32 v[126:127], v[130:131], v[132:133]
	ds_read2_b64 v[130:133], v128 offset0:89 offset1:90
	s_waitcnt vmcnt(0) lgkmcnt(0)
	v_fmac_f64_e32 v[126:127], v[134:135], v[130:131]
	buffer_load_dword v131, off, s[0:3], 0 offset:228
	buffer_load_dword v130, off, s[0:3], 0 offset:224
	buffer_load_dword v135, off, s[0:3], 0 offset:236
	buffer_load_dword v134, off, s[0:3], 0 offset:232
	s_waitcnt vmcnt(2)
	v_fmac_f64_e32 v[126:127], v[130:131], v[132:133]
	ds_read2_b64 v[130:133], v128 offset0:91 offset1:92
	s_waitcnt vmcnt(0) lgkmcnt(0)
	v_fmac_f64_e32 v[126:127], v[134:135], v[130:131]
	;; [unrolled: 9-line block ×16, first 2 shown]
	buffer_load_dword v131, off, s[0:3], 0 offset:468
	buffer_load_dword v130, off, s[0:3], 0 offset:464
	s_waitcnt vmcnt(0)
	v_fmac_f64_e32 v[126:127], v[130:131], v[132:133]
	buffer_load_dword v133, off, s[0:3], 0 offset:476
	buffer_load_dword v132, off, s[0:3], 0 offset:472
	ds_read2_b64 v[128:131], v128 offset0:121 offset1:122
	s_waitcnt vmcnt(0) lgkmcnt(0)
	v_fmac_f64_e32 v[126:127], v[132:133], v[128:129]
	buffer_load_dword v129, off, s[0:3], 0 offset:484
	buffer_load_dword v128, off, s[0:3], 0 offset:480
	s_waitcnt vmcnt(0)
	v_fmac_f64_e32 v[126:127], v[128:129], v[130:131]
	v_add_f64 v[124:125], v[124:125], -v[126:127]
	buffer_store_dword v125, off, s[0:3], 0 offset:148
	buffer_store_dword v124, off, s[0:3], 0 offset:144
	s_and_saveexec_b64 s[4:5], vcc
	s_cbranch_execz .LBB124_339
; %bb.338:
	buffer_load_dword v124, off, s[0:3], 0 offset:136
	buffer_load_dword v125, off, s[0:3], 0 offset:140
	v_mov_b32_e32 v126, 0
	buffer_store_dword v126, off, s[0:3], 0 offset:136
	buffer_store_dword v126, off, s[0:3], 0 offset:140
	s_waitcnt vmcnt(2)
	ds_write_b64 v1, v[124:125]
.LBB124_339:
	s_or_b64 exec, exec, s[4:5]
	s_waitcnt lgkmcnt(0)
	; wave barrier
	s_waitcnt lgkmcnt(0)
	buffer_load_dword v124, off, s[0:3], 0 offset:136
	buffer_load_dword v125, off, s[0:3], 0 offset:140
	;; [unrolled: 1-line block ×16, first 2 shown]
	v_mov_b32_e32 v128, 0
	ds_read_b128 v[130:133], v128 offset:640
	ds_read_b128 v[134:137], v128 offset:656
	;; [unrolled: 1-line block ×4, first 2 shown]
	v_cmp_lt_u32_e32 vcc, 16, v0
	s_waitcnt vmcnt(12) lgkmcnt(3)
	v_fma_f64 v[126:127], v[126:127], v[130:131], 0
	buffer_load_dword v131, off, s[0:3], 0 offset:204
	buffer_load_dword v130, off, s[0:3], 0 offset:200
	s_waitcnt vmcnt(12)
	v_fmac_f64_e32 v[126:127], v[146:147], v[132:133]
	s_waitcnt vmcnt(10) lgkmcnt(2)
	v_fmac_f64_e32 v[126:127], v[148:149], v[134:135]
	buffer_load_dword v135, off, s[0:3], 0 offset:212
	buffer_load_dword v134, off, s[0:3], 0 offset:208
	s_waitcnt vmcnt(10)
	v_fmac_f64_e32 v[126:127], v[150:151], v[136:137]
	s_waitcnt vmcnt(8) lgkmcnt(1)
	v_fmac_f64_e32 v[126:127], v[152:153], v[138:139]
	s_waitcnt vmcnt(6)
	v_fmac_f64_e32 v[126:127], v[154:155], v[140:141]
	s_waitcnt vmcnt(4) lgkmcnt(0)
	v_fmac_f64_e32 v[126:127], v[156:157], v[142:143]
	s_waitcnt vmcnt(2)
	v_fmac_f64_e32 v[126:127], v[130:131], v[144:145]
	ds_read_b128 v[130:133], v128 offset:704
	s_waitcnt vmcnt(0) lgkmcnt(0)
	v_fmac_f64_e32 v[126:127], v[134:135], v[130:131]
	buffer_load_dword v131, off, s[0:3], 0 offset:220
	buffer_load_dword v130, off, s[0:3], 0 offset:216
	buffer_load_dword v135, off, s[0:3], 0 offset:228
	buffer_load_dword v134, off, s[0:3], 0 offset:224
	s_waitcnt vmcnt(2)
	v_fmac_f64_e32 v[126:127], v[130:131], v[132:133]
	ds_read_b128 v[130:133], v128 offset:720
	s_waitcnt vmcnt(0) lgkmcnt(0)
	v_fmac_f64_e32 v[126:127], v[134:135], v[130:131]
	buffer_load_dword v131, off, s[0:3], 0 offset:236
	buffer_load_dword v130, off, s[0:3], 0 offset:232
	buffer_load_dword v135, off, s[0:3], 0 offset:244
	buffer_load_dword v134, off, s[0:3], 0 offset:240
	;; [unrolled: 9-line block ×16, first 2 shown]
	s_waitcnt vmcnt(2)
	v_fmac_f64_e32 v[126:127], v[130:131], v[132:133]
	ds_read_b128 v[130:133], v128 offset:960
	s_waitcnt vmcnt(0) lgkmcnt(0)
	v_fmac_f64_e32 v[126:127], v[134:135], v[130:131]
	buffer_load_dword v131, off, s[0:3], 0 offset:476
	buffer_load_dword v130, off, s[0:3], 0 offset:472
	s_waitcnt vmcnt(0)
	v_fmac_f64_e32 v[126:127], v[130:131], v[132:133]
	buffer_load_dword v131, off, s[0:3], 0 offset:484
	buffer_load_dword v130, off, s[0:3], 0 offset:480
	ds_read_b64 v[132:133], v128 offset:976
	s_waitcnt vmcnt(0) lgkmcnt(0)
	v_fmac_f64_e32 v[126:127], v[130:131], v[132:133]
	v_add_f64 v[124:125], v[124:125], -v[126:127]
	buffer_store_dword v125, off, s[0:3], 0 offset:140
	buffer_store_dword v124, off, s[0:3], 0 offset:136
	s_and_saveexec_b64 s[4:5], vcc
	s_cbranch_execz .LBB124_341
; %bb.340:
	buffer_load_dword v124, off, s[0:3], 0 offset:128
	buffer_load_dword v125, off, s[0:3], 0 offset:132
	s_waitcnt vmcnt(0)
	ds_write_b64 v1, v[124:125]
	buffer_store_dword v128, off, s[0:3], 0 offset:128
	buffer_store_dword v128, off, s[0:3], 0 offset:132
.LBB124_341:
	s_or_b64 exec, exec, s[4:5]
	s_waitcnt lgkmcnt(0)
	; wave barrier
	s_waitcnt lgkmcnt(0)
	buffer_load_dword v124, off, s[0:3], 0 offset:128
	buffer_load_dword v125, off, s[0:3], 0 offset:132
	;; [unrolled: 1-line block ×16, first 2 shown]
	ds_read2_b64 v[130:133], v128 offset0:79 offset1:80
	v_cmp_lt_u32_e32 vcc, 15, v0
	s_waitcnt vmcnt(12) lgkmcnt(0)
	v_fma_f64 v[126:127], v[126:127], v[130:131], 0
	s_waitcnt vmcnt(10)
	v_fmac_f64_e32 v[126:127], v[134:135], v[132:133]
	ds_read2_b64 v[130:133], v128 offset0:81 offset1:82
	s_waitcnt vmcnt(8) lgkmcnt(0)
	v_fmac_f64_e32 v[126:127], v[136:137], v[130:131]
	s_waitcnt vmcnt(6)
	v_fmac_f64_e32 v[126:127], v[138:139], v[132:133]
	ds_read2_b64 v[130:133], v128 offset0:83 offset1:84
	s_waitcnt vmcnt(4) lgkmcnt(0)
	v_fmac_f64_e32 v[126:127], v[140:141], v[130:131]
	;; [unrolled: 5-line block ×3, first 2 shown]
	buffer_load_dword v131, off, s[0:3], 0 offset:196
	buffer_load_dword v130, off, s[0:3], 0 offset:192
	buffer_load_dword v135, off, s[0:3], 0 offset:204
	buffer_load_dword v134, off, s[0:3], 0 offset:200
	s_waitcnt vmcnt(2)
	v_fmac_f64_e32 v[126:127], v[130:131], v[132:133]
	ds_read2_b64 v[130:133], v128 offset0:87 offset1:88
	s_waitcnt vmcnt(0) lgkmcnt(0)
	v_fmac_f64_e32 v[126:127], v[134:135], v[130:131]
	buffer_load_dword v131, off, s[0:3], 0 offset:212
	buffer_load_dword v130, off, s[0:3], 0 offset:208
	buffer_load_dword v135, off, s[0:3], 0 offset:220
	buffer_load_dword v134, off, s[0:3], 0 offset:216
	s_waitcnt vmcnt(2)
	v_fmac_f64_e32 v[126:127], v[130:131], v[132:133]
	ds_read2_b64 v[130:133], v128 offset0:89 offset1:90
	s_waitcnt vmcnt(0) lgkmcnt(0)
	v_fmac_f64_e32 v[126:127], v[134:135], v[130:131]
	;; [unrolled: 9-line block ×17, first 2 shown]
	buffer_load_dword v131, off, s[0:3], 0 offset:468
	buffer_load_dword v130, off, s[0:3], 0 offset:464
	s_waitcnt vmcnt(0)
	v_fmac_f64_e32 v[126:127], v[130:131], v[132:133]
	buffer_load_dword v133, off, s[0:3], 0 offset:476
	buffer_load_dword v132, off, s[0:3], 0 offset:472
	ds_read2_b64 v[128:131], v128 offset0:121 offset1:122
	s_waitcnt vmcnt(0) lgkmcnt(0)
	v_fmac_f64_e32 v[126:127], v[132:133], v[128:129]
	buffer_load_dword v129, off, s[0:3], 0 offset:484
	buffer_load_dword v128, off, s[0:3], 0 offset:480
	s_waitcnt vmcnt(0)
	v_fmac_f64_e32 v[126:127], v[128:129], v[130:131]
	v_add_f64 v[124:125], v[124:125], -v[126:127]
	buffer_store_dword v125, off, s[0:3], 0 offset:132
	buffer_store_dword v124, off, s[0:3], 0 offset:128
	s_and_saveexec_b64 s[4:5], vcc
	s_cbranch_execz .LBB124_343
; %bb.342:
	buffer_load_dword v124, off, s[0:3], 0 offset:120
	buffer_load_dword v125, off, s[0:3], 0 offset:124
	v_mov_b32_e32 v126, 0
	buffer_store_dword v126, off, s[0:3], 0 offset:120
	buffer_store_dword v126, off, s[0:3], 0 offset:124
	s_waitcnt vmcnt(2)
	ds_write_b64 v1, v[124:125]
.LBB124_343:
	s_or_b64 exec, exec, s[4:5]
	s_waitcnt lgkmcnt(0)
	; wave barrier
	s_waitcnt lgkmcnt(0)
	buffer_load_dword v124, off, s[0:3], 0 offset:120
	buffer_load_dword v125, off, s[0:3], 0 offset:124
	;; [unrolled: 1-line block ×16, first 2 shown]
	v_mov_b32_e32 v128, 0
	ds_read_b128 v[130:133], v128 offset:624
	ds_read_b128 v[134:137], v128 offset:640
	;; [unrolled: 1-line block ×4, first 2 shown]
	v_cmp_lt_u32_e32 vcc, 14, v0
	s_waitcnt vmcnt(12) lgkmcnt(3)
	v_fma_f64 v[126:127], v[126:127], v[130:131], 0
	buffer_load_dword v131, off, s[0:3], 0 offset:188
	buffer_load_dword v130, off, s[0:3], 0 offset:184
	s_waitcnt vmcnt(12)
	v_fmac_f64_e32 v[126:127], v[146:147], v[132:133]
	s_waitcnt vmcnt(10) lgkmcnt(2)
	v_fmac_f64_e32 v[126:127], v[148:149], v[134:135]
	buffer_load_dword v135, off, s[0:3], 0 offset:196
	buffer_load_dword v134, off, s[0:3], 0 offset:192
	s_waitcnt vmcnt(10)
	v_fmac_f64_e32 v[126:127], v[150:151], v[136:137]
	s_waitcnt vmcnt(8) lgkmcnt(1)
	v_fmac_f64_e32 v[126:127], v[152:153], v[138:139]
	s_waitcnt vmcnt(6)
	v_fmac_f64_e32 v[126:127], v[154:155], v[140:141]
	s_waitcnt vmcnt(4) lgkmcnt(0)
	v_fmac_f64_e32 v[126:127], v[156:157], v[142:143]
	s_waitcnt vmcnt(2)
	v_fmac_f64_e32 v[126:127], v[130:131], v[144:145]
	ds_read_b128 v[130:133], v128 offset:688
	s_waitcnt vmcnt(0) lgkmcnt(0)
	v_fmac_f64_e32 v[126:127], v[134:135], v[130:131]
	buffer_load_dword v131, off, s[0:3], 0 offset:204
	buffer_load_dword v130, off, s[0:3], 0 offset:200
	buffer_load_dword v135, off, s[0:3], 0 offset:212
	buffer_load_dword v134, off, s[0:3], 0 offset:208
	s_waitcnt vmcnt(2)
	v_fmac_f64_e32 v[126:127], v[130:131], v[132:133]
	ds_read_b128 v[130:133], v128 offset:704
	s_waitcnt vmcnt(0) lgkmcnt(0)
	v_fmac_f64_e32 v[126:127], v[134:135], v[130:131]
	buffer_load_dword v131, off, s[0:3], 0 offset:220
	buffer_load_dword v130, off, s[0:3], 0 offset:216
	buffer_load_dword v135, off, s[0:3], 0 offset:228
	buffer_load_dword v134, off, s[0:3], 0 offset:224
	;; [unrolled: 9-line block ×17, first 2 shown]
	s_waitcnt vmcnt(2)
	v_fmac_f64_e32 v[126:127], v[130:131], v[132:133]
	ds_read_b128 v[130:133], v128 offset:960
	s_waitcnt vmcnt(0) lgkmcnt(0)
	v_fmac_f64_e32 v[126:127], v[134:135], v[130:131]
	buffer_load_dword v131, off, s[0:3], 0 offset:476
	buffer_load_dword v130, off, s[0:3], 0 offset:472
	s_waitcnt vmcnt(0)
	v_fmac_f64_e32 v[126:127], v[130:131], v[132:133]
	buffer_load_dword v131, off, s[0:3], 0 offset:484
	buffer_load_dword v130, off, s[0:3], 0 offset:480
	ds_read_b64 v[132:133], v128 offset:976
	s_waitcnt vmcnt(0) lgkmcnt(0)
	v_fmac_f64_e32 v[126:127], v[130:131], v[132:133]
	v_add_f64 v[124:125], v[124:125], -v[126:127]
	buffer_store_dword v125, off, s[0:3], 0 offset:124
	buffer_store_dword v124, off, s[0:3], 0 offset:120
	s_and_saveexec_b64 s[4:5], vcc
	s_cbranch_execz .LBB124_345
; %bb.344:
	buffer_load_dword v124, off, s[0:3], 0 offset:112
	buffer_load_dword v125, off, s[0:3], 0 offset:116
	s_waitcnt vmcnt(0)
	ds_write_b64 v1, v[124:125]
	buffer_store_dword v128, off, s[0:3], 0 offset:112
	buffer_store_dword v128, off, s[0:3], 0 offset:116
.LBB124_345:
	s_or_b64 exec, exec, s[4:5]
	s_waitcnt lgkmcnt(0)
	; wave barrier
	s_waitcnt lgkmcnt(0)
	buffer_load_dword v124, off, s[0:3], 0 offset:112
	buffer_load_dword v125, off, s[0:3], 0 offset:116
	;; [unrolled: 1-line block ×16, first 2 shown]
	ds_read2_b64 v[130:133], v128 offset0:77 offset1:78
	v_cmp_lt_u32_e32 vcc, 13, v0
	s_waitcnt vmcnt(12) lgkmcnt(0)
	v_fma_f64 v[126:127], v[126:127], v[130:131], 0
	s_waitcnt vmcnt(10)
	v_fmac_f64_e32 v[126:127], v[134:135], v[132:133]
	ds_read2_b64 v[130:133], v128 offset0:79 offset1:80
	s_waitcnt vmcnt(8) lgkmcnt(0)
	v_fmac_f64_e32 v[126:127], v[136:137], v[130:131]
	s_waitcnt vmcnt(6)
	v_fmac_f64_e32 v[126:127], v[138:139], v[132:133]
	ds_read2_b64 v[130:133], v128 offset0:81 offset1:82
	s_waitcnt vmcnt(4) lgkmcnt(0)
	v_fmac_f64_e32 v[126:127], v[140:141], v[130:131]
	;; [unrolled: 5-line block ×3, first 2 shown]
	buffer_load_dword v131, off, s[0:3], 0 offset:180
	buffer_load_dword v130, off, s[0:3], 0 offset:176
	buffer_load_dword v135, off, s[0:3], 0 offset:188
	buffer_load_dword v134, off, s[0:3], 0 offset:184
	s_waitcnt vmcnt(2)
	v_fmac_f64_e32 v[126:127], v[130:131], v[132:133]
	ds_read2_b64 v[130:133], v128 offset0:85 offset1:86
	s_waitcnt vmcnt(0) lgkmcnt(0)
	v_fmac_f64_e32 v[126:127], v[134:135], v[130:131]
	buffer_load_dword v131, off, s[0:3], 0 offset:196
	buffer_load_dword v130, off, s[0:3], 0 offset:192
	buffer_load_dword v135, off, s[0:3], 0 offset:204
	buffer_load_dword v134, off, s[0:3], 0 offset:200
	s_waitcnt vmcnt(2)
	v_fmac_f64_e32 v[126:127], v[130:131], v[132:133]
	ds_read2_b64 v[130:133], v128 offset0:87 offset1:88
	s_waitcnt vmcnt(0) lgkmcnt(0)
	v_fmac_f64_e32 v[126:127], v[134:135], v[130:131]
	;; [unrolled: 9-line block ×18, first 2 shown]
	buffer_load_dword v131, off, s[0:3], 0 offset:468
	buffer_load_dword v130, off, s[0:3], 0 offset:464
	s_waitcnt vmcnt(0)
	v_fmac_f64_e32 v[126:127], v[130:131], v[132:133]
	buffer_load_dword v133, off, s[0:3], 0 offset:476
	buffer_load_dword v132, off, s[0:3], 0 offset:472
	ds_read2_b64 v[128:131], v128 offset0:121 offset1:122
	s_waitcnt vmcnt(0) lgkmcnt(0)
	v_fmac_f64_e32 v[126:127], v[132:133], v[128:129]
	buffer_load_dword v129, off, s[0:3], 0 offset:484
	buffer_load_dword v128, off, s[0:3], 0 offset:480
	s_waitcnt vmcnt(0)
	v_fmac_f64_e32 v[126:127], v[128:129], v[130:131]
	v_add_f64 v[124:125], v[124:125], -v[126:127]
	buffer_store_dword v125, off, s[0:3], 0 offset:116
	buffer_store_dword v124, off, s[0:3], 0 offset:112
	s_and_saveexec_b64 s[4:5], vcc
	s_cbranch_execz .LBB124_347
; %bb.346:
	buffer_load_dword v124, off, s[0:3], 0 offset:104
	buffer_load_dword v125, off, s[0:3], 0 offset:108
	v_mov_b32_e32 v126, 0
	buffer_store_dword v126, off, s[0:3], 0 offset:104
	buffer_store_dword v126, off, s[0:3], 0 offset:108
	s_waitcnt vmcnt(2)
	ds_write_b64 v1, v[124:125]
.LBB124_347:
	s_or_b64 exec, exec, s[4:5]
	s_waitcnt lgkmcnt(0)
	; wave barrier
	s_waitcnt lgkmcnt(0)
	buffer_load_dword v124, off, s[0:3], 0 offset:104
	buffer_load_dword v125, off, s[0:3], 0 offset:108
	;; [unrolled: 1-line block ×16, first 2 shown]
	v_mov_b32_e32 v128, 0
	ds_read_b128 v[130:133], v128 offset:608
	ds_read_b128 v[134:137], v128 offset:624
	;; [unrolled: 1-line block ×4, first 2 shown]
	v_cmp_lt_u32_e32 vcc, 12, v0
	s_waitcnt vmcnt(12) lgkmcnt(3)
	v_fma_f64 v[126:127], v[126:127], v[130:131], 0
	buffer_load_dword v131, off, s[0:3], 0 offset:172
	buffer_load_dword v130, off, s[0:3], 0 offset:168
	s_waitcnt vmcnt(12)
	v_fmac_f64_e32 v[126:127], v[146:147], v[132:133]
	s_waitcnt vmcnt(10) lgkmcnt(2)
	v_fmac_f64_e32 v[126:127], v[148:149], v[134:135]
	buffer_load_dword v135, off, s[0:3], 0 offset:180
	buffer_load_dword v134, off, s[0:3], 0 offset:176
	s_waitcnt vmcnt(10)
	v_fmac_f64_e32 v[126:127], v[150:151], v[136:137]
	s_waitcnt vmcnt(8) lgkmcnt(1)
	v_fmac_f64_e32 v[126:127], v[152:153], v[138:139]
	s_waitcnt vmcnt(6)
	v_fmac_f64_e32 v[126:127], v[154:155], v[140:141]
	s_waitcnt vmcnt(4) lgkmcnt(0)
	v_fmac_f64_e32 v[126:127], v[156:157], v[142:143]
	s_waitcnt vmcnt(2)
	v_fmac_f64_e32 v[126:127], v[130:131], v[144:145]
	ds_read_b128 v[130:133], v128 offset:672
	s_waitcnt vmcnt(0) lgkmcnt(0)
	v_fmac_f64_e32 v[126:127], v[134:135], v[130:131]
	buffer_load_dword v131, off, s[0:3], 0 offset:188
	buffer_load_dword v130, off, s[0:3], 0 offset:184
	buffer_load_dword v135, off, s[0:3], 0 offset:196
	buffer_load_dword v134, off, s[0:3], 0 offset:192
	s_waitcnt vmcnt(2)
	v_fmac_f64_e32 v[126:127], v[130:131], v[132:133]
	ds_read_b128 v[130:133], v128 offset:688
	s_waitcnt vmcnt(0) lgkmcnt(0)
	v_fmac_f64_e32 v[126:127], v[134:135], v[130:131]
	buffer_load_dword v131, off, s[0:3], 0 offset:204
	buffer_load_dword v130, off, s[0:3], 0 offset:200
	buffer_load_dword v135, off, s[0:3], 0 offset:212
	buffer_load_dword v134, off, s[0:3], 0 offset:208
	s_waitcnt vmcnt(2)
	v_fmac_f64_e32 v[126:127], v[130:131], v[132:133]
	ds_read_b128 v[130:133], v128 offset:704
	s_waitcnt vmcnt(0) lgkmcnt(0)
	v_fmac_f64_e32 v[126:127], v[134:135], v[130:131]
	buffer_load_dword v131, off, s[0:3], 0 offset:220
	buffer_load_dword v130, off, s[0:3], 0 offset:216
	buffer_load_dword v135, off, s[0:3], 0 offset:228
	buffer_load_dword v134, off, s[0:3], 0 offset:224
	s_waitcnt vmcnt(2)
	v_fmac_f64_e32 v[126:127], v[130:131], v[132:133]
	ds_read_b128 v[130:133], v128 offset:720
	s_waitcnt vmcnt(0) lgkmcnt(0)
	v_fmac_f64_e32 v[126:127], v[134:135], v[130:131]
	buffer_load_dword v131, off, s[0:3], 0 offset:236
	buffer_load_dword v130, off, s[0:3], 0 offset:232
	buffer_load_dword v135, off, s[0:3], 0 offset:244
	buffer_load_dword v134, off, s[0:3], 0 offset:240
	s_waitcnt vmcnt(2)
	v_fmac_f64_e32 v[126:127], v[130:131], v[132:133]
	ds_read_b128 v[130:133], v128 offset:736
	s_waitcnt vmcnt(0) lgkmcnt(0)
	v_fmac_f64_e32 v[126:127], v[134:135], v[130:131]
	buffer_load_dword v131, off, s[0:3], 0 offset:252
	buffer_load_dword v130, off, s[0:3], 0 offset:248
	buffer_load_dword v135, off, s[0:3], 0 offset:260
	buffer_load_dword v134, off, s[0:3], 0 offset:256
	s_waitcnt vmcnt(2)
	v_fmac_f64_e32 v[126:127], v[130:131], v[132:133]
	ds_read_b128 v[130:133], v128 offset:752
	s_waitcnt vmcnt(0) lgkmcnt(0)
	v_fmac_f64_e32 v[126:127], v[134:135], v[130:131]
	buffer_load_dword v131, off, s[0:3], 0 offset:268
	buffer_load_dword v130, off, s[0:3], 0 offset:264
	buffer_load_dword v135, off, s[0:3], 0 offset:276
	buffer_load_dword v134, off, s[0:3], 0 offset:272
	s_waitcnt vmcnt(2)
	v_fmac_f64_e32 v[126:127], v[130:131], v[132:133]
	ds_read_b128 v[130:133], v128 offset:768
	s_waitcnt vmcnt(0) lgkmcnt(0)
	v_fmac_f64_e32 v[126:127], v[134:135], v[130:131]
	buffer_load_dword v131, off, s[0:3], 0 offset:284
	buffer_load_dword v130, off, s[0:3], 0 offset:280
	buffer_load_dword v135, off, s[0:3], 0 offset:292
	buffer_load_dword v134, off, s[0:3], 0 offset:288
	s_waitcnt vmcnt(2)
	v_fmac_f64_e32 v[126:127], v[130:131], v[132:133]
	ds_read_b128 v[130:133], v128 offset:784
	s_waitcnt vmcnt(0) lgkmcnt(0)
	v_fmac_f64_e32 v[126:127], v[134:135], v[130:131]
	buffer_load_dword v131, off, s[0:3], 0 offset:300
	buffer_load_dword v130, off, s[0:3], 0 offset:296
	buffer_load_dword v135, off, s[0:3], 0 offset:308
	buffer_load_dword v134, off, s[0:3], 0 offset:304
	s_waitcnt vmcnt(2)
	v_fmac_f64_e32 v[126:127], v[130:131], v[132:133]
	ds_read_b128 v[130:133], v128 offset:800
	s_waitcnt vmcnt(0) lgkmcnt(0)
	v_fmac_f64_e32 v[126:127], v[134:135], v[130:131]
	buffer_load_dword v131, off, s[0:3], 0 offset:316
	buffer_load_dword v130, off, s[0:3], 0 offset:312
	buffer_load_dword v135, off, s[0:3], 0 offset:324
	buffer_load_dword v134, off, s[0:3], 0 offset:320
	s_waitcnt vmcnt(2)
	v_fmac_f64_e32 v[126:127], v[130:131], v[132:133]
	ds_read_b128 v[130:133], v128 offset:816
	s_waitcnt vmcnt(0) lgkmcnt(0)
	v_fmac_f64_e32 v[126:127], v[134:135], v[130:131]
	buffer_load_dword v131, off, s[0:3], 0 offset:332
	buffer_load_dword v130, off, s[0:3], 0 offset:328
	buffer_load_dword v135, off, s[0:3], 0 offset:340
	buffer_load_dword v134, off, s[0:3], 0 offset:336
	s_waitcnt vmcnt(2)
	v_fmac_f64_e32 v[126:127], v[130:131], v[132:133]
	ds_read_b128 v[130:133], v128 offset:832
	s_waitcnt vmcnt(0) lgkmcnt(0)
	v_fmac_f64_e32 v[126:127], v[134:135], v[130:131]
	buffer_load_dword v131, off, s[0:3], 0 offset:348
	buffer_load_dword v130, off, s[0:3], 0 offset:344
	buffer_load_dword v135, off, s[0:3], 0 offset:356
	buffer_load_dword v134, off, s[0:3], 0 offset:352
	s_waitcnt vmcnt(2)
	v_fmac_f64_e32 v[126:127], v[130:131], v[132:133]
	ds_read_b128 v[130:133], v128 offset:848
	s_waitcnt vmcnt(0) lgkmcnt(0)
	v_fmac_f64_e32 v[126:127], v[134:135], v[130:131]
	buffer_load_dword v131, off, s[0:3], 0 offset:364
	buffer_load_dword v130, off, s[0:3], 0 offset:360
	buffer_load_dword v135, off, s[0:3], 0 offset:372
	buffer_load_dword v134, off, s[0:3], 0 offset:368
	s_waitcnt vmcnt(2)
	v_fmac_f64_e32 v[126:127], v[130:131], v[132:133]
	ds_read_b128 v[130:133], v128 offset:864
	s_waitcnt vmcnt(0) lgkmcnt(0)
	v_fmac_f64_e32 v[126:127], v[134:135], v[130:131]
	buffer_load_dword v131, off, s[0:3], 0 offset:380
	buffer_load_dword v130, off, s[0:3], 0 offset:376
	buffer_load_dword v135, off, s[0:3], 0 offset:388
	buffer_load_dword v134, off, s[0:3], 0 offset:384
	s_waitcnt vmcnt(2)
	v_fmac_f64_e32 v[126:127], v[130:131], v[132:133]
	ds_read_b128 v[130:133], v128 offset:880
	s_waitcnt vmcnt(0) lgkmcnt(0)
	v_fmac_f64_e32 v[126:127], v[134:135], v[130:131]
	buffer_load_dword v131, off, s[0:3], 0 offset:396
	buffer_load_dword v130, off, s[0:3], 0 offset:392
	buffer_load_dword v135, off, s[0:3], 0 offset:404
	buffer_load_dword v134, off, s[0:3], 0 offset:400
	s_waitcnt vmcnt(2)
	v_fmac_f64_e32 v[126:127], v[130:131], v[132:133]
	ds_read_b128 v[130:133], v128 offset:896
	s_waitcnt vmcnt(0) lgkmcnt(0)
	v_fmac_f64_e32 v[126:127], v[134:135], v[130:131]
	buffer_load_dword v131, off, s[0:3], 0 offset:412
	buffer_load_dword v130, off, s[0:3], 0 offset:408
	buffer_load_dword v135, off, s[0:3], 0 offset:420
	buffer_load_dword v134, off, s[0:3], 0 offset:416
	s_waitcnt vmcnt(2)
	v_fmac_f64_e32 v[126:127], v[130:131], v[132:133]
	ds_read_b128 v[130:133], v128 offset:912
	s_waitcnt vmcnt(0) lgkmcnt(0)
	v_fmac_f64_e32 v[126:127], v[134:135], v[130:131]
	buffer_load_dword v131, off, s[0:3], 0 offset:428
	buffer_load_dword v130, off, s[0:3], 0 offset:424
	buffer_load_dword v135, off, s[0:3], 0 offset:436
	buffer_load_dword v134, off, s[0:3], 0 offset:432
	s_waitcnt vmcnt(2)
	v_fmac_f64_e32 v[126:127], v[130:131], v[132:133]
	ds_read_b128 v[130:133], v128 offset:928
	s_waitcnt vmcnt(0) lgkmcnt(0)
	v_fmac_f64_e32 v[126:127], v[134:135], v[130:131]
	buffer_load_dword v131, off, s[0:3], 0 offset:444
	buffer_load_dword v130, off, s[0:3], 0 offset:440
	buffer_load_dword v135, off, s[0:3], 0 offset:452
	buffer_load_dword v134, off, s[0:3], 0 offset:448
	s_waitcnt vmcnt(2)
	v_fmac_f64_e32 v[126:127], v[130:131], v[132:133]
	ds_read_b128 v[130:133], v128 offset:944
	s_waitcnt vmcnt(0) lgkmcnt(0)
	v_fmac_f64_e32 v[126:127], v[134:135], v[130:131]
	buffer_load_dword v131, off, s[0:3], 0 offset:460
	buffer_load_dword v130, off, s[0:3], 0 offset:456
	buffer_load_dword v135, off, s[0:3], 0 offset:468
	buffer_load_dword v134, off, s[0:3], 0 offset:464
	s_waitcnt vmcnt(2)
	v_fmac_f64_e32 v[126:127], v[130:131], v[132:133]
	ds_read_b128 v[130:133], v128 offset:960
	s_waitcnt vmcnt(0) lgkmcnt(0)
	v_fmac_f64_e32 v[126:127], v[134:135], v[130:131]
	buffer_load_dword v131, off, s[0:3], 0 offset:476
	buffer_load_dword v130, off, s[0:3], 0 offset:472
	s_waitcnt vmcnt(0)
	v_fmac_f64_e32 v[126:127], v[130:131], v[132:133]
	buffer_load_dword v131, off, s[0:3], 0 offset:484
	buffer_load_dword v130, off, s[0:3], 0 offset:480
	ds_read_b64 v[132:133], v128 offset:976
	s_waitcnt vmcnt(0) lgkmcnt(0)
	v_fmac_f64_e32 v[126:127], v[130:131], v[132:133]
	v_add_f64 v[124:125], v[124:125], -v[126:127]
	buffer_store_dword v125, off, s[0:3], 0 offset:108
	buffer_store_dword v124, off, s[0:3], 0 offset:104
	s_and_saveexec_b64 s[4:5], vcc
	s_cbranch_execz .LBB124_349
; %bb.348:
	buffer_load_dword v124, off, s[0:3], 0 offset:96
	buffer_load_dword v125, off, s[0:3], 0 offset:100
	s_waitcnt vmcnt(0)
	ds_write_b64 v1, v[124:125]
	buffer_store_dword v128, off, s[0:3], 0 offset:96
	buffer_store_dword v128, off, s[0:3], 0 offset:100
.LBB124_349:
	s_or_b64 exec, exec, s[4:5]
	s_waitcnt lgkmcnt(0)
	; wave barrier
	s_waitcnt lgkmcnt(0)
	buffer_load_dword v124, off, s[0:3], 0 offset:96
	buffer_load_dword v125, off, s[0:3], 0 offset:100
	buffer_load_dword v126, off, s[0:3], 0 offset:104
	buffer_load_dword v127, off, s[0:3], 0 offset:108
	buffer_load_dword v134, off, s[0:3], 0 offset:112
	buffer_load_dword v135, off, s[0:3], 0 offset:116
	buffer_load_dword v136, off, s[0:3], 0 offset:120
	buffer_load_dword v137, off, s[0:3], 0 offset:124
	buffer_load_dword v138, off, s[0:3], 0 offset:128
	buffer_load_dword v139, off, s[0:3], 0 offset:132
	buffer_load_dword v140, off, s[0:3], 0 offset:136
	buffer_load_dword v141, off, s[0:3], 0 offset:140
	buffer_load_dword v142, off, s[0:3], 0 offset:144
	buffer_load_dword v143, off, s[0:3], 0 offset:148
	buffer_load_dword v144, off, s[0:3], 0 offset:152
	buffer_load_dword v145, off, s[0:3], 0 offset:156
	ds_read2_b64 v[130:133], v128 offset0:75 offset1:76
	v_cmp_lt_u32_e32 vcc, 11, v0
	s_waitcnt vmcnt(12) lgkmcnt(0)
	v_fma_f64 v[126:127], v[126:127], v[130:131], 0
	s_waitcnt vmcnt(10)
	v_fmac_f64_e32 v[126:127], v[134:135], v[132:133]
	ds_read2_b64 v[130:133], v128 offset0:77 offset1:78
	s_waitcnt vmcnt(8) lgkmcnt(0)
	v_fmac_f64_e32 v[126:127], v[136:137], v[130:131]
	s_waitcnt vmcnt(6)
	v_fmac_f64_e32 v[126:127], v[138:139], v[132:133]
	ds_read2_b64 v[130:133], v128 offset0:79 offset1:80
	s_waitcnt vmcnt(4) lgkmcnt(0)
	v_fmac_f64_e32 v[126:127], v[140:141], v[130:131]
	s_waitcnt vmcnt(2)
	v_fmac_f64_e32 v[126:127], v[142:143], v[132:133]
	ds_read2_b64 v[130:133], v128 offset0:81 offset1:82
	s_waitcnt vmcnt(0) lgkmcnt(0)
	v_fmac_f64_e32 v[126:127], v[144:145], v[130:131]
	buffer_load_dword v131, off, s[0:3], 0 offset:164
	buffer_load_dword v130, off, s[0:3], 0 offset:160
	buffer_load_dword v135, off, s[0:3], 0 offset:172
	buffer_load_dword v134, off, s[0:3], 0 offset:168
	s_waitcnt vmcnt(2)
	v_fmac_f64_e32 v[126:127], v[130:131], v[132:133]
	ds_read2_b64 v[130:133], v128 offset0:83 offset1:84
	s_waitcnt vmcnt(0) lgkmcnt(0)
	v_fmac_f64_e32 v[126:127], v[134:135], v[130:131]
	buffer_load_dword v131, off, s[0:3], 0 offset:180
	buffer_load_dword v130, off, s[0:3], 0 offset:176
	buffer_load_dword v135, off, s[0:3], 0 offset:188
	buffer_load_dword v134, off, s[0:3], 0 offset:184
	s_waitcnt vmcnt(2)
	v_fmac_f64_e32 v[126:127], v[130:131], v[132:133]
	ds_read2_b64 v[130:133], v128 offset0:85 offset1:86
	s_waitcnt vmcnt(0) lgkmcnt(0)
	v_fmac_f64_e32 v[126:127], v[134:135], v[130:131]
	;; [unrolled: 9-line block ×19, first 2 shown]
	buffer_load_dword v131, off, s[0:3], 0 offset:468
	buffer_load_dword v130, off, s[0:3], 0 offset:464
	s_waitcnt vmcnt(0)
	v_fmac_f64_e32 v[126:127], v[130:131], v[132:133]
	buffer_load_dword v133, off, s[0:3], 0 offset:476
	buffer_load_dword v132, off, s[0:3], 0 offset:472
	ds_read2_b64 v[128:131], v128 offset0:121 offset1:122
	s_waitcnt vmcnt(0) lgkmcnt(0)
	v_fmac_f64_e32 v[126:127], v[132:133], v[128:129]
	buffer_load_dword v129, off, s[0:3], 0 offset:484
	buffer_load_dword v128, off, s[0:3], 0 offset:480
	s_waitcnt vmcnt(0)
	v_fmac_f64_e32 v[126:127], v[128:129], v[130:131]
	v_add_f64 v[124:125], v[124:125], -v[126:127]
	buffer_store_dword v125, off, s[0:3], 0 offset:100
	buffer_store_dword v124, off, s[0:3], 0 offset:96
	s_and_saveexec_b64 s[4:5], vcc
	s_cbranch_execz .LBB124_351
; %bb.350:
	buffer_load_dword v124, off, s[0:3], 0 offset:88
	buffer_load_dword v125, off, s[0:3], 0 offset:92
	v_mov_b32_e32 v126, 0
	buffer_store_dword v126, off, s[0:3], 0 offset:88
	buffer_store_dword v126, off, s[0:3], 0 offset:92
	s_waitcnt vmcnt(2)
	ds_write_b64 v1, v[124:125]
.LBB124_351:
	s_or_b64 exec, exec, s[4:5]
	s_waitcnt lgkmcnt(0)
	; wave barrier
	s_waitcnt lgkmcnt(0)
	buffer_load_dword v124, off, s[0:3], 0 offset:88
	buffer_load_dword v125, off, s[0:3], 0 offset:92
	;; [unrolled: 1-line block ×16, first 2 shown]
	v_mov_b32_e32 v128, 0
	ds_read_b128 v[130:133], v128 offset:592
	v_cmp_lt_u32_e32 vcc, 10, v0
	s_waitcnt vmcnt(12) lgkmcnt(0)
	v_fma_f64 v[126:127], v[126:127], v[130:131], 0
	s_waitcnt vmcnt(10)
	v_fmac_f64_e32 v[126:127], v[134:135], v[132:133]
	ds_read_b128 v[130:133], v128 offset:608
	s_waitcnt vmcnt(8) lgkmcnt(0)
	v_fmac_f64_e32 v[126:127], v[136:137], v[130:131]
	s_waitcnt vmcnt(6)
	v_fmac_f64_e32 v[126:127], v[138:139], v[132:133]
	ds_read_b128 v[130:133], v128 offset:624
	s_waitcnt vmcnt(4) lgkmcnt(0)
	v_fmac_f64_e32 v[126:127], v[140:141], v[130:131]
	;; [unrolled: 5-line block ×3, first 2 shown]
	buffer_load_dword v131, off, s[0:3], 0 offset:156
	buffer_load_dword v130, off, s[0:3], 0 offset:152
	buffer_load_dword v135, off, s[0:3], 0 offset:164
	buffer_load_dword v134, off, s[0:3], 0 offset:160
	s_waitcnt vmcnt(2)
	v_fmac_f64_e32 v[126:127], v[130:131], v[132:133]
	ds_read_b128 v[130:133], v128 offset:656
	s_waitcnt vmcnt(0) lgkmcnt(0)
	v_fmac_f64_e32 v[126:127], v[134:135], v[130:131]
	buffer_load_dword v131, off, s[0:3], 0 offset:172
	buffer_load_dword v130, off, s[0:3], 0 offset:168
	buffer_load_dword v135, off, s[0:3], 0 offset:180
	buffer_load_dword v134, off, s[0:3], 0 offset:176
	s_waitcnt vmcnt(2)
	v_fmac_f64_e32 v[126:127], v[130:131], v[132:133]
	ds_read_b128 v[130:133], v128 offset:672
	s_waitcnt vmcnt(0) lgkmcnt(0)
	v_fmac_f64_e32 v[126:127], v[134:135], v[130:131]
	;; [unrolled: 9-line block ×20, first 2 shown]
	buffer_load_dword v131, off, s[0:3], 0 offset:476
	buffer_load_dword v130, off, s[0:3], 0 offset:472
	s_waitcnt vmcnt(0)
	v_fmac_f64_e32 v[126:127], v[130:131], v[132:133]
	buffer_load_dword v131, off, s[0:3], 0 offset:484
	buffer_load_dword v130, off, s[0:3], 0 offset:480
	ds_read_b64 v[132:133], v128 offset:976
	s_waitcnt vmcnt(0) lgkmcnt(0)
	v_fmac_f64_e32 v[126:127], v[130:131], v[132:133]
	v_add_f64 v[124:125], v[124:125], -v[126:127]
	buffer_store_dword v125, off, s[0:3], 0 offset:92
	buffer_store_dword v124, off, s[0:3], 0 offset:88
	s_and_saveexec_b64 s[4:5], vcc
	s_cbranch_execz .LBB124_353
; %bb.352:
	buffer_load_dword v124, off, s[0:3], 0 offset:80
	buffer_load_dword v125, off, s[0:3], 0 offset:84
	s_waitcnt vmcnt(0)
	ds_write_b64 v1, v[124:125]
	buffer_store_dword v128, off, s[0:3], 0 offset:80
	buffer_store_dword v128, off, s[0:3], 0 offset:84
.LBB124_353:
	s_or_b64 exec, exec, s[4:5]
	s_waitcnt lgkmcnt(0)
	; wave barrier
	s_waitcnt lgkmcnt(0)
	buffer_load_dword v124, off, s[0:3], 0 offset:80
	buffer_load_dword v125, off, s[0:3], 0 offset:84
	;; [unrolled: 1-line block ×16, first 2 shown]
	ds_read2_b64 v[130:133], v128 offset0:73 offset1:74
	v_cmp_lt_u32_e32 vcc, 9, v0
	s_waitcnt vmcnt(12) lgkmcnt(0)
	v_fma_f64 v[126:127], v[126:127], v[130:131], 0
	s_waitcnt vmcnt(10)
	v_fmac_f64_e32 v[126:127], v[134:135], v[132:133]
	ds_read2_b64 v[130:133], v128 offset0:75 offset1:76
	s_waitcnt vmcnt(8) lgkmcnt(0)
	v_fmac_f64_e32 v[126:127], v[136:137], v[130:131]
	s_waitcnt vmcnt(6)
	v_fmac_f64_e32 v[126:127], v[138:139], v[132:133]
	ds_read2_b64 v[130:133], v128 offset0:77 offset1:78
	s_waitcnt vmcnt(4) lgkmcnt(0)
	v_fmac_f64_e32 v[126:127], v[140:141], v[130:131]
	;; [unrolled: 5-line block ×3, first 2 shown]
	buffer_load_dword v131, off, s[0:3], 0 offset:148
	buffer_load_dword v130, off, s[0:3], 0 offset:144
	buffer_load_dword v135, off, s[0:3], 0 offset:156
	buffer_load_dword v134, off, s[0:3], 0 offset:152
	s_waitcnt vmcnt(2)
	v_fmac_f64_e32 v[126:127], v[130:131], v[132:133]
	ds_read2_b64 v[130:133], v128 offset0:81 offset1:82
	s_waitcnt vmcnt(0) lgkmcnt(0)
	v_fmac_f64_e32 v[126:127], v[134:135], v[130:131]
	buffer_load_dword v131, off, s[0:3], 0 offset:164
	buffer_load_dword v130, off, s[0:3], 0 offset:160
	buffer_load_dword v135, off, s[0:3], 0 offset:172
	buffer_load_dword v134, off, s[0:3], 0 offset:168
	s_waitcnt vmcnt(2)
	v_fmac_f64_e32 v[126:127], v[130:131], v[132:133]
	ds_read2_b64 v[130:133], v128 offset0:83 offset1:84
	s_waitcnt vmcnt(0) lgkmcnt(0)
	v_fmac_f64_e32 v[126:127], v[134:135], v[130:131]
	;; [unrolled: 9-line block ×20, first 2 shown]
	buffer_load_dword v131, off, s[0:3], 0 offset:468
	buffer_load_dword v130, off, s[0:3], 0 offset:464
	s_waitcnt vmcnt(0)
	v_fmac_f64_e32 v[126:127], v[130:131], v[132:133]
	buffer_load_dword v133, off, s[0:3], 0 offset:476
	buffer_load_dword v132, off, s[0:3], 0 offset:472
	ds_read2_b64 v[128:131], v128 offset0:121 offset1:122
	s_waitcnt vmcnt(0) lgkmcnt(0)
	v_fmac_f64_e32 v[126:127], v[132:133], v[128:129]
	buffer_load_dword v129, off, s[0:3], 0 offset:484
	buffer_load_dword v128, off, s[0:3], 0 offset:480
	s_waitcnt vmcnt(0)
	v_fmac_f64_e32 v[126:127], v[128:129], v[130:131]
	v_add_f64 v[124:125], v[124:125], -v[126:127]
	buffer_store_dword v125, off, s[0:3], 0 offset:84
	buffer_store_dword v124, off, s[0:3], 0 offset:80
	s_and_saveexec_b64 s[4:5], vcc
	s_cbranch_execz .LBB124_355
; %bb.354:
	buffer_load_dword v124, off, s[0:3], 0 offset:72
	buffer_load_dword v125, off, s[0:3], 0 offset:76
	v_mov_b32_e32 v126, 0
	buffer_store_dword v126, off, s[0:3], 0 offset:72
	buffer_store_dword v126, off, s[0:3], 0 offset:76
	s_waitcnt vmcnt(2)
	ds_write_b64 v1, v[124:125]
.LBB124_355:
	s_or_b64 exec, exec, s[4:5]
	s_waitcnt lgkmcnt(0)
	; wave barrier
	s_waitcnt lgkmcnt(0)
	buffer_load_dword v124, off, s[0:3], 0 offset:72
	buffer_load_dword v125, off, s[0:3], 0 offset:76
	;; [unrolled: 1-line block ×16, first 2 shown]
	v_mov_b32_e32 v128, 0
	ds_read_b128 v[130:133], v128 offset:576
	v_cmp_lt_u32_e32 vcc, 8, v0
	s_waitcnt vmcnt(12) lgkmcnt(0)
	v_fma_f64 v[126:127], v[126:127], v[130:131], 0
	s_waitcnt vmcnt(10)
	v_fmac_f64_e32 v[126:127], v[134:135], v[132:133]
	ds_read_b128 v[130:133], v128 offset:592
	s_waitcnt vmcnt(8) lgkmcnt(0)
	v_fmac_f64_e32 v[126:127], v[136:137], v[130:131]
	s_waitcnt vmcnt(6)
	v_fmac_f64_e32 v[126:127], v[138:139], v[132:133]
	ds_read_b128 v[130:133], v128 offset:608
	s_waitcnt vmcnt(4) lgkmcnt(0)
	v_fmac_f64_e32 v[126:127], v[140:141], v[130:131]
	;; [unrolled: 5-line block ×3, first 2 shown]
	buffer_load_dword v131, off, s[0:3], 0 offset:140
	buffer_load_dword v130, off, s[0:3], 0 offset:136
	buffer_load_dword v135, off, s[0:3], 0 offset:148
	buffer_load_dword v134, off, s[0:3], 0 offset:144
	s_waitcnt vmcnt(2)
	v_fmac_f64_e32 v[126:127], v[130:131], v[132:133]
	ds_read_b128 v[130:133], v128 offset:640
	s_waitcnt vmcnt(0) lgkmcnt(0)
	v_fmac_f64_e32 v[126:127], v[134:135], v[130:131]
	buffer_load_dword v131, off, s[0:3], 0 offset:156
	buffer_load_dword v130, off, s[0:3], 0 offset:152
	buffer_load_dword v135, off, s[0:3], 0 offset:164
	buffer_load_dword v134, off, s[0:3], 0 offset:160
	s_waitcnt vmcnt(2)
	v_fmac_f64_e32 v[126:127], v[130:131], v[132:133]
	ds_read_b128 v[130:133], v128 offset:656
	s_waitcnt vmcnt(0) lgkmcnt(0)
	v_fmac_f64_e32 v[126:127], v[134:135], v[130:131]
	;; [unrolled: 9-line block ×21, first 2 shown]
	buffer_load_dword v131, off, s[0:3], 0 offset:476
	buffer_load_dword v130, off, s[0:3], 0 offset:472
	s_waitcnt vmcnt(0)
	v_fmac_f64_e32 v[126:127], v[130:131], v[132:133]
	buffer_load_dword v131, off, s[0:3], 0 offset:484
	buffer_load_dword v130, off, s[0:3], 0 offset:480
	ds_read_b64 v[132:133], v128 offset:976
	s_waitcnt vmcnt(0) lgkmcnt(0)
	v_fmac_f64_e32 v[126:127], v[130:131], v[132:133]
	v_add_f64 v[124:125], v[124:125], -v[126:127]
	buffer_store_dword v125, off, s[0:3], 0 offset:76
	buffer_store_dword v124, off, s[0:3], 0 offset:72
	s_and_saveexec_b64 s[4:5], vcc
	s_cbranch_execz .LBB124_357
; %bb.356:
	buffer_load_dword v124, off, s[0:3], 0 offset:64
	buffer_load_dword v125, off, s[0:3], 0 offset:68
	s_waitcnt vmcnt(0)
	ds_write_b64 v1, v[124:125]
	buffer_store_dword v128, off, s[0:3], 0 offset:64
	buffer_store_dword v128, off, s[0:3], 0 offset:68
.LBB124_357:
	s_or_b64 exec, exec, s[4:5]
	s_waitcnt lgkmcnt(0)
	; wave barrier
	s_waitcnt lgkmcnt(0)
	buffer_load_dword v124, off, s[0:3], 0 offset:64
	buffer_load_dword v125, off, s[0:3], 0 offset:68
	;; [unrolled: 1-line block ×16, first 2 shown]
	ds_read2_b64 v[130:133], v128 offset0:71 offset1:72
	v_cmp_lt_u32_e32 vcc, 7, v0
	s_waitcnt vmcnt(12) lgkmcnt(0)
	v_fma_f64 v[126:127], v[126:127], v[130:131], 0
	s_waitcnt vmcnt(10)
	v_fmac_f64_e32 v[126:127], v[134:135], v[132:133]
	ds_read2_b64 v[130:133], v128 offset0:73 offset1:74
	s_waitcnt vmcnt(8) lgkmcnt(0)
	v_fmac_f64_e32 v[126:127], v[136:137], v[130:131]
	s_waitcnt vmcnt(6)
	v_fmac_f64_e32 v[126:127], v[138:139], v[132:133]
	ds_read2_b64 v[130:133], v128 offset0:75 offset1:76
	s_waitcnt vmcnt(4) lgkmcnt(0)
	v_fmac_f64_e32 v[126:127], v[140:141], v[130:131]
	;; [unrolled: 5-line block ×3, first 2 shown]
	buffer_load_dword v131, off, s[0:3], 0 offset:132
	buffer_load_dword v130, off, s[0:3], 0 offset:128
	buffer_load_dword v135, off, s[0:3], 0 offset:140
	buffer_load_dword v134, off, s[0:3], 0 offset:136
	s_waitcnt vmcnt(2)
	v_fmac_f64_e32 v[126:127], v[130:131], v[132:133]
	ds_read2_b64 v[130:133], v128 offset0:79 offset1:80
	s_waitcnt vmcnt(0) lgkmcnt(0)
	v_fmac_f64_e32 v[126:127], v[134:135], v[130:131]
	buffer_load_dword v131, off, s[0:3], 0 offset:148
	buffer_load_dword v130, off, s[0:3], 0 offset:144
	buffer_load_dword v135, off, s[0:3], 0 offset:156
	buffer_load_dword v134, off, s[0:3], 0 offset:152
	s_waitcnt vmcnt(2)
	v_fmac_f64_e32 v[126:127], v[130:131], v[132:133]
	ds_read2_b64 v[130:133], v128 offset0:81 offset1:82
	s_waitcnt vmcnt(0) lgkmcnt(0)
	v_fmac_f64_e32 v[126:127], v[134:135], v[130:131]
	;; [unrolled: 9-line block ×21, first 2 shown]
	buffer_load_dword v131, off, s[0:3], 0 offset:468
	buffer_load_dword v130, off, s[0:3], 0 offset:464
	s_waitcnt vmcnt(0)
	v_fmac_f64_e32 v[126:127], v[130:131], v[132:133]
	buffer_load_dword v133, off, s[0:3], 0 offset:476
	buffer_load_dword v132, off, s[0:3], 0 offset:472
	ds_read2_b64 v[128:131], v128 offset0:121 offset1:122
	s_waitcnt vmcnt(0) lgkmcnt(0)
	v_fmac_f64_e32 v[126:127], v[132:133], v[128:129]
	buffer_load_dword v129, off, s[0:3], 0 offset:484
	buffer_load_dword v128, off, s[0:3], 0 offset:480
	s_waitcnt vmcnt(0)
	v_fmac_f64_e32 v[126:127], v[128:129], v[130:131]
	v_add_f64 v[124:125], v[124:125], -v[126:127]
	buffer_store_dword v125, off, s[0:3], 0 offset:68
	buffer_store_dword v124, off, s[0:3], 0 offset:64
	s_and_saveexec_b64 s[4:5], vcc
	s_cbranch_execz .LBB124_359
; %bb.358:
	buffer_load_dword v124, off, s[0:3], 0 offset:56
	buffer_load_dword v125, off, s[0:3], 0 offset:60
	v_mov_b32_e32 v126, 0
	buffer_store_dword v126, off, s[0:3], 0 offset:56
	buffer_store_dword v126, off, s[0:3], 0 offset:60
	s_waitcnt vmcnt(2)
	ds_write_b64 v1, v[124:125]
.LBB124_359:
	s_or_b64 exec, exec, s[4:5]
	s_waitcnt lgkmcnt(0)
	; wave barrier
	s_waitcnt lgkmcnt(0)
	buffer_load_dword v124, off, s[0:3], 0 offset:56
	buffer_load_dword v125, off, s[0:3], 0 offset:60
	;; [unrolled: 1-line block ×16, first 2 shown]
	v_mov_b32_e32 v128, 0
	ds_read_b128 v[130:133], v128 offset:560
	v_cmp_lt_u32_e32 vcc, 6, v0
	s_waitcnt vmcnt(12) lgkmcnt(0)
	v_fma_f64 v[126:127], v[126:127], v[130:131], 0
	s_waitcnt vmcnt(10)
	v_fmac_f64_e32 v[126:127], v[134:135], v[132:133]
	ds_read_b128 v[130:133], v128 offset:576
	s_waitcnt vmcnt(8) lgkmcnt(0)
	v_fmac_f64_e32 v[126:127], v[136:137], v[130:131]
	s_waitcnt vmcnt(6)
	v_fmac_f64_e32 v[126:127], v[138:139], v[132:133]
	ds_read_b128 v[130:133], v128 offset:592
	s_waitcnt vmcnt(4) lgkmcnt(0)
	v_fmac_f64_e32 v[126:127], v[140:141], v[130:131]
	;; [unrolled: 5-line block ×3, first 2 shown]
	buffer_load_dword v131, off, s[0:3], 0 offset:124
	buffer_load_dword v130, off, s[0:3], 0 offset:120
	buffer_load_dword v135, off, s[0:3], 0 offset:132
	buffer_load_dword v134, off, s[0:3], 0 offset:128
	s_waitcnt vmcnt(2)
	v_fmac_f64_e32 v[126:127], v[130:131], v[132:133]
	ds_read_b128 v[130:133], v128 offset:624
	s_waitcnt vmcnt(0) lgkmcnt(0)
	v_fmac_f64_e32 v[126:127], v[134:135], v[130:131]
	buffer_load_dword v131, off, s[0:3], 0 offset:140
	buffer_load_dword v130, off, s[0:3], 0 offset:136
	buffer_load_dword v135, off, s[0:3], 0 offset:148
	buffer_load_dword v134, off, s[0:3], 0 offset:144
	s_waitcnt vmcnt(2)
	v_fmac_f64_e32 v[126:127], v[130:131], v[132:133]
	ds_read_b128 v[130:133], v128 offset:640
	s_waitcnt vmcnt(0) lgkmcnt(0)
	v_fmac_f64_e32 v[126:127], v[134:135], v[130:131]
	;; [unrolled: 9-line block ×22, first 2 shown]
	buffer_load_dword v131, off, s[0:3], 0 offset:476
	buffer_load_dword v130, off, s[0:3], 0 offset:472
	s_waitcnt vmcnt(0)
	v_fmac_f64_e32 v[126:127], v[130:131], v[132:133]
	buffer_load_dword v131, off, s[0:3], 0 offset:484
	buffer_load_dword v130, off, s[0:3], 0 offset:480
	ds_read_b64 v[132:133], v128 offset:976
	s_waitcnt vmcnt(0) lgkmcnt(0)
	v_fmac_f64_e32 v[126:127], v[130:131], v[132:133]
	v_add_f64 v[124:125], v[124:125], -v[126:127]
	buffer_store_dword v125, off, s[0:3], 0 offset:60
	buffer_store_dword v124, off, s[0:3], 0 offset:56
	s_and_saveexec_b64 s[4:5], vcc
	s_cbranch_execz .LBB124_361
; %bb.360:
	buffer_load_dword v124, off, s[0:3], 0 offset:48
	buffer_load_dword v125, off, s[0:3], 0 offset:52
	s_waitcnt vmcnt(0)
	ds_write_b64 v1, v[124:125]
	buffer_store_dword v128, off, s[0:3], 0 offset:48
	buffer_store_dword v128, off, s[0:3], 0 offset:52
.LBB124_361:
	s_or_b64 exec, exec, s[4:5]
	s_waitcnt lgkmcnt(0)
	; wave barrier
	s_waitcnt lgkmcnt(0)
	buffer_load_dword v124, off, s[0:3], 0 offset:48
	buffer_load_dword v125, off, s[0:3], 0 offset:52
	;; [unrolled: 1-line block ×16, first 2 shown]
	ds_read2_b64 v[130:133], v128 offset0:69 offset1:70
	v_cmp_lt_u32_e32 vcc, 5, v0
	s_waitcnt vmcnt(12) lgkmcnt(0)
	v_fma_f64 v[126:127], v[126:127], v[130:131], 0
	s_waitcnt vmcnt(10)
	v_fmac_f64_e32 v[126:127], v[134:135], v[132:133]
	ds_read2_b64 v[130:133], v128 offset0:71 offset1:72
	s_waitcnt vmcnt(8) lgkmcnt(0)
	v_fmac_f64_e32 v[126:127], v[136:137], v[130:131]
	s_waitcnt vmcnt(6)
	v_fmac_f64_e32 v[126:127], v[138:139], v[132:133]
	ds_read2_b64 v[130:133], v128 offset0:73 offset1:74
	s_waitcnt vmcnt(4) lgkmcnt(0)
	v_fmac_f64_e32 v[126:127], v[140:141], v[130:131]
	;; [unrolled: 5-line block ×3, first 2 shown]
	buffer_load_dword v131, off, s[0:3], 0 offset:116
	buffer_load_dword v130, off, s[0:3], 0 offset:112
	buffer_load_dword v135, off, s[0:3], 0 offset:124
	buffer_load_dword v134, off, s[0:3], 0 offset:120
	s_waitcnt vmcnt(2)
	v_fmac_f64_e32 v[126:127], v[130:131], v[132:133]
	ds_read2_b64 v[130:133], v128 offset0:77 offset1:78
	s_waitcnt vmcnt(0) lgkmcnt(0)
	v_fmac_f64_e32 v[126:127], v[134:135], v[130:131]
	buffer_load_dword v131, off, s[0:3], 0 offset:132
	buffer_load_dword v130, off, s[0:3], 0 offset:128
	buffer_load_dword v135, off, s[0:3], 0 offset:140
	buffer_load_dword v134, off, s[0:3], 0 offset:136
	s_waitcnt vmcnt(2)
	v_fmac_f64_e32 v[126:127], v[130:131], v[132:133]
	ds_read2_b64 v[130:133], v128 offset0:79 offset1:80
	s_waitcnt vmcnt(0) lgkmcnt(0)
	v_fmac_f64_e32 v[126:127], v[134:135], v[130:131]
	;; [unrolled: 9-line block ×22, first 2 shown]
	buffer_load_dword v131, off, s[0:3], 0 offset:468
	buffer_load_dword v130, off, s[0:3], 0 offset:464
	s_waitcnt vmcnt(0)
	v_fmac_f64_e32 v[126:127], v[130:131], v[132:133]
	buffer_load_dword v133, off, s[0:3], 0 offset:476
	buffer_load_dword v132, off, s[0:3], 0 offset:472
	ds_read2_b64 v[128:131], v128 offset0:121 offset1:122
	s_waitcnt vmcnt(0) lgkmcnt(0)
	v_fmac_f64_e32 v[126:127], v[132:133], v[128:129]
	buffer_load_dword v129, off, s[0:3], 0 offset:484
	buffer_load_dword v128, off, s[0:3], 0 offset:480
	s_waitcnt vmcnt(0)
	v_fmac_f64_e32 v[126:127], v[128:129], v[130:131]
	v_add_f64 v[124:125], v[124:125], -v[126:127]
	buffer_store_dword v125, off, s[0:3], 0 offset:52
	buffer_store_dword v124, off, s[0:3], 0 offset:48
	s_and_saveexec_b64 s[4:5], vcc
	s_cbranch_execz .LBB124_363
; %bb.362:
	buffer_load_dword v124, off, s[0:3], 0 offset:40
	buffer_load_dword v125, off, s[0:3], 0 offset:44
	v_mov_b32_e32 v126, 0
	buffer_store_dword v126, off, s[0:3], 0 offset:40
	buffer_store_dword v126, off, s[0:3], 0 offset:44
	s_waitcnt vmcnt(2)
	ds_write_b64 v1, v[124:125]
.LBB124_363:
	s_or_b64 exec, exec, s[4:5]
	s_waitcnt lgkmcnt(0)
	; wave barrier
	s_waitcnt lgkmcnt(0)
	buffer_load_dword v124, off, s[0:3], 0 offset:40
	buffer_load_dword v125, off, s[0:3], 0 offset:44
	;; [unrolled: 1-line block ×16, first 2 shown]
	v_mov_b32_e32 v128, 0
	ds_read_b128 v[130:133], v128 offset:544
	v_cmp_lt_u32_e32 vcc, 4, v0
	s_waitcnt vmcnt(12) lgkmcnt(0)
	v_fma_f64 v[126:127], v[126:127], v[130:131], 0
	s_waitcnt vmcnt(10)
	v_fmac_f64_e32 v[126:127], v[134:135], v[132:133]
	ds_read_b128 v[130:133], v128 offset:560
	s_waitcnt vmcnt(8) lgkmcnt(0)
	v_fmac_f64_e32 v[126:127], v[136:137], v[130:131]
	s_waitcnt vmcnt(6)
	v_fmac_f64_e32 v[126:127], v[138:139], v[132:133]
	ds_read_b128 v[130:133], v128 offset:576
	s_waitcnt vmcnt(4) lgkmcnt(0)
	v_fmac_f64_e32 v[126:127], v[140:141], v[130:131]
	;; [unrolled: 5-line block ×3, first 2 shown]
	buffer_load_dword v131, off, s[0:3], 0 offset:108
	buffer_load_dword v130, off, s[0:3], 0 offset:104
	buffer_load_dword v135, off, s[0:3], 0 offset:116
	buffer_load_dword v134, off, s[0:3], 0 offset:112
	s_waitcnt vmcnt(2)
	v_fmac_f64_e32 v[126:127], v[130:131], v[132:133]
	ds_read_b128 v[130:133], v128 offset:608
	s_waitcnt vmcnt(0) lgkmcnt(0)
	v_fmac_f64_e32 v[126:127], v[134:135], v[130:131]
	buffer_load_dword v131, off, s[0:3], 0 offset:124
	buffer_load_dword v130, off, s[0:3], 0 offset:120
	buffer_load_dword v135, off, s[0:3], 0 offset:132
	buffer_load_dword v134, off, s[0:3], 0 offset:128
	s_waitcnt vmcnt(2)
	v_fmac_f64_e32 v[126:127], v[130:131], v[132:133]
	ds_read_b128 v[130:133], v128 offset:624
	s_waitcnt vmcnt(0) lgkmcnt(0)
	v_fmac_f64_e32 v[126:127], v[134:135], v[130:131]
	buffer_load_dword v131, off, s[0:3], 0 offset:140
	buffer_load_dword v130, off, s[0:3], 0 offset:136
	buffer_load_dword v135, off, s[0:3], 0 offset:148
	buffer_load_dword v134, off, s[0:3], 0 offset:144
	s_waitcnt vmcnt(2)
	v_fmac_f64_e32 v[126:127], v[130:131], v[132:133]
	ds_read_b128 v[130:133], v128 offset:640
	s_waitcnt vmcnt(0) lgkmcnt(0)
	v_fmac_f64_e32 v[126:127], v[134:135], v[130:131]
	buffer_load_dword v131, off, s[0:3], 0 offset:156
	buffer_load_dword v130, off, s[0:3], 0 offset:152
	buffer_load_dword v135, off, s[0:3], 0 offset:164
	buffer_load_dword v134, off, s[0:3], 0 offset:160
	s_waitcnt vmcnt(2)
	v_fmac_f64_e32 v[126:127], v[130:131], v[132:133]
	ds_read_b128 v[130:133], v128 offset:656
	s_waitcnt vmcnt(0) lgkmcnt(0)
	v_fmac_f64_e32 v[126:127], v[134:135], v[130:131]
	buffer_load_dword v131, off, s[0:3], 0 offset:172
	buffer_load_dword v130, off, s[0:3], 0 offset:168
	buffer_load_dword v135, off, s[0:3], 0 offset:180
	buffer_load_dword v134, off, s[0:3], 0 offset:176
	s_waitcnt vmcnt(2)
	v_fmac_f64_e32 v[126:127], v[130:131], v[132:133]
	ds_read_b128 v[130:133], v128 offset:672
	s_waitcnt vmcnt(0) lgkmcnt(0)
	v_fmac_f64_e32 v[126:127], v[134:135], v[130:131]
	buffer_load_dword v131, off, s[0:3], 0 offset:188
	buffer_load_dword v130, off, s[0:3], 0 offset:184
	buffer_load_dword v135, off, s[0:3], 0 offset:196
	buffer_load_dword v134, off, s[0:3], 0 offset:192
	s_waitcnt vmcnt(2)
	v_fmac_f64_e32 v[126:127], v[130:131], v[132:133]
	ds_read_b128 v[130:133], v128 offset:688
	s_waitcnt vmcnt(0) lgkmcnt(0)
	v_fmac_f64_e32 v[126:127], v[134:135], v[130:131]
	buffer_load_dword v131, off, s[0:3], 0 offset:204
	buffer_load_dword v130, off, s[0:3], 0 offset:200
	buffer_load_dword v135, off, s[0:3], 0 offset:212
	buffer_load_dword v134, off, s[0:3], 0 offset:208
	s_waitcnt vmcnt(2)
	v_fmac_f64_e32 v[126:127], v[130:131], v[132:133]
	ds_read_b128 v[130:133], v128 offset:704
	s_waitcnt vmcnt(0) lgkmcnt(0)
	v_fmac_f64_e32 v[126:127], v[134:135], v[130:131]
	buffer_load_dword v131, off, s[0:3], 0 offset:220
	buffer_load_dword v130, off, s[0:3], 0 offset:216
	buffer_load_dword v135, off, s[0:3], 0 offset:228
	buffer_load_dword v134, off, s[0:3], 0 offset:224
	s_waitcnt vmcnt(2)
	v_fmac_f64_e32 v[126:127], v[130:131], v[132:133]
	ds_read_b128 v[130:133], v128 offset:720
	s_waitcnt vmcnt(0) lgkmcnt(0)
	v_fmac_f64_e32 v[126:127], v[134:135], v[130:131]
	buffer_load_dword v131, off, s[0:3], 0 offset:236
	buffer_load_dword v130, off, s[0:3], 0 offset:232
	buffer_load_dword v135, off, s[0:3], 0 offset:244
	buffer_load_dword v134, off, s[0:3], 0 offset:240
	s_waitcnt vmcnt(2)
	v_fmac_f64_e32 v[126:127], v[130:131], v[132:133]
	ds_read_b128 v[130:133], v128 offset:736
	s_waitcnt vmcnt(0) lgkmcnt(0)
	v_fmac_f64_e32 v[126:127], v[134:135], v[130:131]
	buffer_load_dword v131, off, s[0:3], 0 offset:252
	buffer_load_dword v130, off, s[0:3], 0 offset:248
	buffer_load_dword v135, off, s[0:3], 0 offset:260
	buffer_load_dword v134, off, s[0:3], 0 offset:256
	s_waitcnt vmcnt(2)
	v_fmac_f64_e32 v[126:127], v[130:131], v[132:133]
	ds_read_b128 v[130:133], v128 offset:752
	s_waitcnt vmcnt(0) lgkmcnt(0)
	v_fmac_f64_e32 v[126:127], v[134:135], v[130:131]
	buffer_load_dword v131, off, s[0:3], 0 offset:268
	buffer_load_dword v130, off, s[0:3], 0 offset:264
	buffer_load_dword v135, off, s[0:3], 0 offset:276
	buffer_load_dword v134, off, s[0:3], 0 offset:272
	s_waitcnt vmcnt(2)
	v_fmac_f64_e32 v[126:127], v[130:131], v[132:133]
	ds_read_b128 v[130:133], v128 offset:768
	s_waitcnt vmcnt(0) lgkmcnt(0)
	v_fmac_f64_e32 v[126:127], v[134:135], v[130:131]
	buffer_load_dword v131, off, s[0:3], 0 offset:284
	buffer_load_dword v130, off, s[0:3], 0 offset:280
	buffer_load_dword v135, off, s[0:3], 0 offset:292
	buffer_load_dword v134, off, s[0:3], 0 offset:288
	s_waitcnt vmcnt(2)
	v_fmac_f64_e32 v[126:127], v[130:131], v[132:133]
	ds_read_b128 v[130:133], v128 offset:784
	s_waitcnt vmcnt(0) lgkmcnt(0)
	v_fmac_f64_e32 v[126:127], v[134:135], v[130:131]
	buffer_load_dword v131, off, s[0:3], 0 offset:300
	buffer_load_dword v130, off, s[0:3], 0 offset:296
	buffer_load_dword v135, off, s[0:3], 0 offset:308
	buffer_load_dword v134, off, s[0:3], 0 offset:304
	s_waitcnt vmcnt(2)
	v_fmac_f64_e32 v[126:127], v[130:131], v[132:133]
	ds_read_b128 v[130:133], v128 offset:800
	s_waitcnt vmcnt(0) lgkmcnt(0)
	v_fmac_f64_e32 v[126:127], v[134:135], v[130:131]
	buffer_load_dword v131, off, s[0:3], 0 offset:316
	buffer_load_dword v130, off, s[0:3], 0 offset:312
	buffer_load_dword v135, off, s[0:3], 0 offset:324
	buffer_load_dword v134, off, s[0:3], 0 offset:320
	s_waitcnt vmcnt(2)
	v_fmac_f64_e32 v[126:127], v[130:131], v[132:133]
	ds_read_b128 v[130:133], v128 offset:816
	s_waitcnt vmcnt(0) lgkmcnt(0)
	v_fmac_f64_e32 v[126:127], v[134:135], v[130:131]
	buffer_load_dword v131, off, s[0:3], 0 offset:332
	buffer_load_dword v130, off, s[0:3], 0 offset:328
	buffer_load_dword v135, off, s[0:3], 0 offset:340
	buffer_load_dword v134, off, s[0:3], 0 offset:336
	s_waitcnt vmcnt(2)
	v_fmac_f64_e32 v[126:127], v[130:131], v[132:133]
	ds_read_b128 v[130:133], v128 offset:832
	s_waitcnt vmcnt(0) lgkmcnt(0)
	v_fmac_f64_e32 v[126:127], v[134:135], v[130:131]
	buffer_load_dword v131, off, s[0:3], 0 offset:348
	buffer_load_dword v130, off, s[0:3], 0 offset:344
	buffer_load_dword v135, off, s[0:3], 0 offset:356
	buffer_load_dword v134, off, s[0:3], 0 offset:352
	s_waitcnt vmcnt(2)
	v_fmac_f64_e32 v[126:127], v[130:131], v[132:133]
	ds_read_b128 v[130:133], v128 offset:848
	s_waitcnt vmcnt(0) lgkmcnt(0)
	v_fmac_f64_e32 v[126:127], v[134:135], v[130:131]
	buffer_load_dword v131, off, s[0:3], 0 offset:364
	buffer_load_dword v130, off, s[0:3], 0 offset:360
	buffer_load_dword v135, off, s[0:3], 0 offset:372
	buffer_load_dword v134, off, s[0:3], 0 offset:368
	s_waitcnt vmcnt(2)
	v_fmac_f64_e32 v[126:127], v[130:131], v[132:133]
	ds_read_b128 v[130:133], v128 offset:864
	s_waitcnt vmcnt(0) lgkmcnt(0)
	v_fmac_f64_e32 v[126:127], v[134:135], v[130:131]
	buffer_load_dword v131, off, s[0:3], 0 offset:380
	buffer_load_dword v130, off, s[0:3], 0 offset:376
	buffer_load_dword v135, off, s[0:3], 0 offset:388
	buffer_load_dword v134, off, s[0:3], 0 offset:384
	s_waitcnt vmcnt(2)
	v_fmac_f64_e32 v[126:127], v[130:131], v[132:133]
	ds_read_b128 v[130:133], v128 offset:880
	s_waitcnt vmcnt(0) lgkmcnt(0)
	v_fmac_f64_e32 v[126:127], v[134:135], v[130:131]
	buffer_load_dword v131, off, s[0:3], 0 offset:396
	buffer_load_dword v130, off, s[0:3], 0 offset:392
	buffer_load_dword v135, off, s[0:3], 0 offset:404
	buffer_load_dword v134, off, s[0:3], 0 offset:400
	s_waitcnt vmcnt(2)
	v_fmac_f64_e32 v[126:127], v[130:131], v[132:133]
	ds_read_b128 v[130:133], v128 offset:896
	s_waitcnt vmcnt(0) lgkmcnt(0)
	v_fmac_f64_e32 v[126:127], v[134:135], v[130:131]
	buffer_load_dword v131, off, s[0:3], 0 offset:412
	buffer_load_dword v130, off, s[0:3], 0 offset:408
	buffer_load_dword v135, off, s[0:3], 0 offset:420
	buffer_load_dword v134, off, s[0:3], 0 offset:416
	s_waitcnt vmcnt(2)
	v_fmac_f64_e32 v[126:127], v[130:131], v[132:133]
	ds_read_b128 v[130:133], v128 offset:912
	s_waitcnt vmcnt(0) lgkmcnt(0)
	v_fmac_f64_e32 v[126:127], v[134:135], v[130:131]
	buffer_load_dword v131, off, s[0:3], 0 offset:428
	buffer_load_dword v130, off, s[0:3], 0 offset:424
	buffer_load_dword v135, off, s[0:3], 0 offset:436
	buffer_load_dword v134, off, s[0:3], 0 offset:432
	s_waitcnt vmcnt(2)
	v_fmac_f64_e32 v[126:127], v[130:131], v[132:133]
	ds_read_b128 v[130:133], v128 offset:928
	s_waitcnt vmcnt(0) lgkmcnt(0)
	v_fmac_f64_e32 v[126:127], v[134:135], v[130:131]
	buffer_load_dword v131, off, s[0:3], 0 offset:444
	buffer_load_dword v130, off, s[0:3], 0 offset:440
	buffer_load_dword v135, off, s[0:3], 0 offset:452
	buffer_load_dword v134, off, s[0:3], 0 offset:448
	s_waitcnt vmcnt(2)
	v_fmac_f64_e32 v[126:127], v[130:131], v[132:133]
	ds_read_b128 v[130:133], v128 offset:944
	s_waitcnt vmcnt(0) lgkmcnt(0)
	v_fmac_f64_e32 v[126:127], v[134:135], v[130:131]
	buffer_load_dword v131, off, s[0:3], 0 offset:460
	buffer_load_dword v130, off, s[0:3], 0 offset:456
	buffer_load_dword v135, off, s[0:3], 0 offset:468
	buffer_load_dword v134, off, s[0:3], 0 offset:464
	s_waitcnt vmcnt(2)
	v_fmac_f64_e32 v[126:127], v[130:131], v[132:133]
	ds_read_b128 v[130:133], v128 offset:960
	s_waitcnt vmcnt(0) lgkmcnt(0)
	v_fmac_f64_e32 v[126:127], v[134:135], v[130:131]
	buffer_load_dword v131, off, s[0:3], 0 offset:476
	buffer_load_dword v130, off, s[0:3], 0 offset:472
	s_waitcnt vmcnt(0)
	v_fmac_f64_e32 v[126:127], v[130:131], v[132:133]
	buffer_load_dword v131, off, s[0:3], 0 offset:484
	buffer_load_dword v130, off, s[0:3], 0 offset:480
	ds_read_b64 v[132:133], v128 offset:976
	s_waitcnt vmcnt(0) lgkmcnt(0)
	v_fmac_f64_e32 v[126:127], v[130:131], v[132:133]
	v_add_f64 v[124:125], v[124:125], -v[126:127]
	buffer_store_dword v125, off, s[0:3], 0 offset:44
	buffer_store_dword v124, off, s[0:3], 0 offset:40
	s_and_saveexec_b64 s[4:5], vcc
	s_cbranch_execz .LBB124_365
; %bb.364:
	buffer_load_dword v124, off, s[0:3], 0 offset:32
	buffer_load_dword v125, off, s[0:3], 0 offset:36
	s_waitcnt vmcnt(0)
	ds_write_b64 v1, v[124:125]
	buffer_store_dword v128, off, s[0:3], 0 offset:32
	buffer_store_dword v128, off, s[0:3], 0 offset:36
.LBB124_365:
	s_or_b64 exec, exec, s[4:5]
	s_waitcnt lgkmcnt(0)
	; wave barrier
	s_waitcnt lgkmcnt(0)
	buffer_load_dword v124, off, s[0:3], 0 offset:32
	buffer_load_dword v125, off, s[0:3], 0 offset:36
	buffer_load_dword v126, off, s[0:3], 0 offset:40
	buffer_load_dword v127, off, s[0:3], 0 offset:44
	buffer_load_dword v134, off, s[0:3], 0 offset:48
	buffer_load_dword v135, off, s[0:3], 0 offset:52
	buffer_load_dword v136, off, s[0:3], 0 offset:56
	buffer_load_dword v137, off, s[0:3], 0 offset:60
	buffer_load_dword v138, off, s[0:3], 0 offset:64
	buffer_load_dword v139, off, s[0:3], 0 offset:68
	buffer_load_dword v140, off, s[0:3], 0 offset:72
	buffer_load_dword v141, off, s[0:3], 0 offset:76
	buffer_load_dword v142, off, s[0:3], 0 offset:80
	buffer_load_dword v143, off, s[0:3], 0 offset:84
	buffer_load_dword v144, off, s[0:3], 0 offset:88
	buffer_load_dword v145, off, s[0:3], 0 offset:92
	ds_read2_b64 v[130:133], v128 offset0:67 offset1:68
	v_cmp_lt_u32_e32 vcc, 3, v0
	s_waitcnt vmcnt(12) lgkmcnt(0)
	v_fma_f64 v[126:127], v[126:127], v[130:131], 0
	s_waitcnt vmcnt(10)
	v_fmac_f64_e32 v[126:127], v[134:135], v[132:133]
	ds_read2_b64 v[130:133], v128 offset0:69 offset1:70
	s_waitcnt vmcnt(8) lgkmcnt(0)
	v_fmac_f64_e32 v[126:127], v[136:137], v[130:131]
	s_waitcnt vmcnt(6)
	v_fmac_f64_e32 v[126:127], v[138:139], v[132:133]
	ds_read2_b64 v[130:133], v128 offset0:71 offset1:72
	s_waitcnt vmcnt(4) lgkmcnt(0)
	v_fmac_f64_e32 v[126:127], v[140:141], v[130:131]
	;; [unrolled: 5-line block ×3, first 2 shown]
	buffer_load_dword v131, off, s[0:3], 0 offset:100
	buffer_load_dword v130, off, s[0:3], 0 offset:96
	buffer_load_dword v135, off, s[0:3], 0 offset:108
	buffer_load_dword v134, off, s[0:3], 0 offset:104
	s_waitcnt vmcnt(2)
	v_fmac_f64_e32 v[126:127], v[130:131], v[132:133]
	ds_read2_b64 v[130:133], v128 offset0:75 offset1:76
	s_waitcnt vmcnt(0) lgkmcnt(0)
	v_fmac_f64_e32 v[126:127], v[134:135], v[130:131]
	buffer_load_dword v131, off, s[0:3], 0 offset:116
	buffer_load_dword v130, off, s[0:3], 0 offset:112
	buffer_load_dword v135, off, s[0:3], 0 offset:124
	buffer_load_dword v134, off, s[0:3], 0 offset:120
	s_waitcnt vmcnt(2)
	v_fmac_f64_e32 v[126:127], v[130:131], v[132:133]
	ds_read2_b64 v[130:133], v128 offset0:77 offset1:78
	s_waitcnt vmcnt(0) lgkmcnt(0)
	v_fmac_f64_e32 v[126:127], v[134:135], v[130:131]
	;; [unrolled: 9-line block ×23, first 2 shown]
	buffer_load_dword v131, off, s[0:3], 0 offset:468
	buffer_load_dword v130, off, s[0:3], 0 offset:464
	s_waitcnt vmcnt(0)
	v_fmac_f64_e32 v[126:127], v[130:131], v[132:133]
	buffer_load_dword v133, off, s[0:3], 0 offset:476
	buffer_load_dword v132, off, s[0:3], 0 offset:472
	ds_read2_b64 v[128:131], v128 offset0:121 offset1:122
	s_waitcnt vmcnt(0) lgkmcnt(0)
	v_fmac_f64_e32 v[126:127], v[132:133], v[128:129]
	buffer_load_dword v129, off, s[0:3], 0 offset:484
	buffer_load_dword v128, off, s[0:3], 0 offset:480
	s_waitcnt vmcnt(0)
	v_fmac_f64_e32 v[126:127], v[128:129], v[130:131]
	v_add_f64 v[124:125], v[124:125], -v[126:127]
	buffer_store_dword v125, off, s[0:3], 0 offset:36
	buffer_store_dword v124, off, s[0:3], 0 offset:32
	s_and_saveexec_b64 s[4:5], vcc
	s_cbranch_execz .LBB124_367
; %bb.366:
	buffer_load_dword v124, off, s[0:3], 0 offset:24
	buffer_load_dword v125, off, s[0:3], 0 offset:28
	v_mov_b32_e32 v126, 0
	buffer_store_dword v126, off, s[0:3], 0 offset:24
	buffer_store_dword v126, off, s[0:3], 0 offset:28
	s_waitcnt vmcnt(2)
	ds_write_b64 v1, v[124:125]
.LBB124_367:
	s_or_b64 exec, exec, s[4:5]
	s_waitcnt lgkmcnt(0)
	; wave barrier
	s_waitcnt lgkmcnt(0)
	buffer_load_dword v124, off, s[0:3], 0 offset:24
	buffer_load_dword v125, off, s[0:3], 0 offset:28
	;; [unrolled: 1-line block ×16, first 2 shown]
	v_mov_b32_e32 v128, 0
	ds_read_b128 v[130:133], v128 offset:528
	v_cmp_lt_u32_e32 vcc, 2, v0
	s_waitcnt vmcnt(12) lgkmcnt(0)
	v_fma_f64 v[126:127], v[126:127], v[130:131], 0
	s_waitcnt vmcnt(10)
	v_fmac_f64_e32 v[126:127], v[134:135], v[132:133]
	ds_read_b128 v[130:133], v128 offset:544
	s_waitcnt vmcnt(8) lgkmcnt(0)
	v_fmac_f64_e32 v[126:127], v[136:137], v[130:131]
	s_waitcnt vmcnt(6)
	v_fmac_f64_e32 v[126:127], v[138:139], v[132:133]
	ds_read_b128 v[130:133], v128 offset:560
	s_waitcnt vmcnt(4) lgkmcnt(0)
	v_fmac_f64_e32 v[126:127], v[140:141], v[130:131]
	;; [unrolled: 5-line block ×3, first 2 shown]
	buffer_load_dword v131, off, s[0:3], 0 offset:92
	buffer_load_dword v130, off, s[0:3], 0 offset:88
	buffer_load_dword v135, off, s[0:3], 0 offset:100
	buffer_load_dword v134, off, s[0:3], 0 offset:96
	s_waitcnt vmcnt(2)
	v_fmac_f64_e32 v[126:127], v[130:131], v[132:133]
	ds_read_b128 v[130:133], v128 offset:592
	s_waitcnt vmcnt(0) lgkmcnt(0)
	v_fmac_f64_e32 v[126:127], v[134:135], v[130:131]
	buffer_load_dword v131, off, s[0:3], 0 offset:108
	buffer_load_dword v130, off, s[0:3], 0 offset:104
	buffer_load_dword v135, off, s[0:3], 0 offset:116
	buffer_load_dword v134, off, s[0:3], 0 offset:112
	s_waitcnt vmcnt(2)
	v_fmac_f64_e32 v[126:127], v[130:131], v[132:133]
	ds_read_b128 v[130:133], v128 offset:608
	s_waitcnt vmcnt(0) lgkmcnt(0)
	v_fmac_f64_e32 v[126:127], v[134:135], v[130:131]
	;; [unrolled: 9-line block ×24, first 2 shown]
	buffer_load_dword v131, off, s[0:3], 0 offset:476
	buffer_load_dword v130, off, s[0:3], 0 offset:472
	s_waitcnt vmcnt(0)
	v_fmac_f64_e32 v[126:127], v[130:131], v[132:133]
	buffer_load_dword v131, off, s[0:3], 0 offset:484
	buffer_load_dword v130, off, s[0:3], 0 offset:480
	ds_read_b64 v[132:133], v128 offset:976
	s_waitcnt vmcnt(0) lgkmcnt(0)
	v_fmac_f64_e32 v[126:127], v[130:131], v[132:133]
	v_add_f64 v[124:125], v[124:125], -v[126:127]
	buffer_store_dword v125, off, s[0:3], 0 offset:28
	buffer_store_dword v124, off, s[0:3], 0 offset:24
	s_and_saveexec_b64 s[4:5], vcc
	s_cbranch_execz .LBB124_369
; %bb.368:
	buffer_load_dword v124, off, s[0:3], 0 offset:16
	buffer_load_dword v125, off, s[0:3], 0 offset:20
	s_waitcnt vmcnt(0)
	ds_write_b64 v1, v[124:125]
	buffer_store_dword v128, off, s[0:3], 0 offset:16
	buffer_store_dword v128, off, s[0:3], 0 offset:20
.LBB124_369:
	s_or_b64 exec, exec, s[4:5]
	s_waitcnt lgkmcnt(0)
	; wave barrier
	s_waitcnt lgkmcnt(0)
	buffer_load_dword v124, off, s[0:3], 0 offset:16
	buffer_load_dword v125, off, s[0:3], 0 offset:20
	;; [unrolled: 1-line block ×16, first 2 shown]
	ds_read2_b64 v[130:133], v128 offset0:65 offset1:66
	v_cmp_lt_u32_e32 vcc, 1, v0
	s_waitcnt vmcnt(12) lgkmcnt(0)
	v_fma_f64 v[126:127], v[126:127], v[130:131], 0
	s_waitcnt vmcnt(10)
	v_fmac_f64_e32 v[126:127], v[134:135], v[132:133]
	ds_read2_b64 v[130:133], v128 offset0:67 offset1:68
	s_waitcnt vmcnt(8) lgkmcnt(0)
	v_fmac_f64_e32 v[126:127], v[136:137], v[130:131]
	s_waitcnt vmcnt(6)
	v_fmac_f64_e32 v[126:127], v[138:139], v[132:133]
	ds_read2_b64 v[130:133], v128 offset0:69 offset1:70
	s_waitcnt vmcnt(4) lgkmcnt(0)
	v_fmac_f64_e32 v[126:127], v[140:141], v[130:131]
	;; [unrolled: 5-line block ×3, first 2 shown]
	buffer_load_dword v131, off, s[0:3], 0 offset:84
	buffer_load_dword v130, off, s[0:3], 0 offset:80
	buffer_load_dword v135, off, s[0:3], 0 offset:92
	buffer_load_dword v134, off, s[0:3], 0 offset:88
	s_waitcnt vmcnt(2)
	v_fmac_f64_e32 v[126:127], v[130:131], v[132:133]
	ds_read2_b64 v[130:133], v128 offset0:73 offset1:74
	s_waitcnt vmcnt(0) lgkmcnt(0)
	v_fmac_f64_e32 v[126:127], v[134:135], v[130:131]
	buffer_load_dword v131, off, s[0:3], 0 offset:100
	buffer_load_dword v130, off, s[0:3], 0 offset:96
	buffer_load_dword v135, off, s[0:3], 0 offset:108
	buffer_load_dword v134, off, s[0:3], 0 offset:104
	s_waitcnt vmcnt(2)
	v_fmac_f64_e32 v[126:127], v[130:131], v[132:133]
	ds_read2_b64 v[130:133], v128 offset0:75 offset1:76
	s_waitcnt vmcnt(0) lgkmcnt(0)
	v_fmac_f64_e32 v[126:127], v[134:135], v[130:131]
	;; [unrolled: 9-line block ×24, first 2 shown]
	buffer_load_dword v131, off, s[0:3], 0 offset:468
	buffer_load_dword v130, off, s[0:3], 0 offset:464
	s_waitcnt vmcnt(0)
	v_fmac_f64_e32 v[126:127], v[130:131], v[132:133]
	buffer_load_dword v133, off, s[0:3], 0 offset:476
	buffer_load_dword v132, off, s[0:3], 0 offset:472
	ds_read2_b64 v[128:131], v128 offset0:121 offset1:122
	s_waitcnt vmcnt(0) lgkmcnt(0)
	v_fmac_f64_e32 v[126:127], v[132:133], v[128:129]
	buffer_load_dword v129, off, s[0:3], 0 offset:484
	buffer_load_dword v128, off, s[0:3], 0 offset:480
	s_waitcnt vmcnt(0)
	v_fmac_f64_e32 v[126:127], v[128:129], v[130:131]
	v_add_f64 v[124:125], v[124:125], -v[126:127]
	buffer_store_dword v125, off, s[0:3], 0 offset:20
	buffer_store_dword v124, off, s[0:3], 0 offset:16
	s_and_saveexec_b64 s[4:5], vcc
	s_cbranch_execz .LBB124_371
; %bb.370:
	buffer_load_dword v124, off, s[0:3], 0 offset:8
	buffer_load_dword v125, off, s[0:3], 0 offset:12
	v_mov_b32_e32 v126, 0
	buffer_store_dword v126, off, s[0:3], 0 offset:8
	buffer_store_dword v126, off, s[0:3], 0 offset:12
	s_waitcnt vmcnt(2)
	ds_write_b64 v1, v[124:125]
.LBB124_371:
	s_or_b64 exec, exec, s[4:5]
	s_waitcnt lgkmcnt(0)
	; wave barrier
	s_waitcnt lgkmcnt(0)
	buffer_load_dword v124, off, s[0:3], 0 offset:8
	buffer_load_dword v125, off, s[0:3], 0 offset:12
	;; [unrolled: 1-line block ×16, first 2 shown]
	v_mov_b32_e32 v128, 0
	ds_read_b128 v[130:133], v128 offset:512
	v_cmp_ne_u32_e32 vcc, 0, v0
	s_waitcnt vmcnt(12) lgkmcnt(0)
	v_fma_f64 v[126:127], v[126:127], v[130:131], 0
	s_waitcnt vmcnt(10)
	v_fmac_f64_e32 v[126:127], v[134:135], v[132:133]
	ds_read_b128 v[130:133], v128 offset:528
	s_waitcnt vmcnt(8) lgkmcnt(0)
	v_fmac_f64_e32 v[126:127], v[136:137], v[130:131]
	s_waitcnt vmcnt(6)
	v_fmac_f64_e32 v[126:127], v[138:139], v[132:133]
	ds_read_b128 v[130:133], v128 offset:544
	s_waitcnt vmcnt(4) lgkmcnt(0)
	v_fmac_f64_e32 v[126:127], v[140:141], v[130:131]
	;; [unrolled: 5-line block ×3, first 2 shown]
	buffer_load_dword v131, off, s[0:3], 0 offset:76
	buffer_load_dword v130, off, s[0:3], 0 offset:72
	buffer_load_dword v135, off, s[0:3], 0 offset:84
	buffer_load_dword v134, off, s[0:3], 0 offset:80
	s_waitcnt vmcnt(2)
	v_fmac_f64_e32 v[126:127], v[130:131], v[132:133]
	ds_read_b128 v[130:133], v128 offset:576
	s_waitcnt vmcnt(0) lgkmcnt(0)
	v_fmac_f64_e32 v[126:127], v[134:135], v[130:131]
	buffer_load_dword v131, off, s[0:3], 0 offset:92
	buffer_load_dword v130, off, s[0:3], 0 offset:88
	buffer_load_dword v135, off, s[0:3], 0 offset:100
	buffer_load_dword v134, off, s[0:3], 0 offset:96
	s_waitcnt vmcnt(2)
	v_fmac_f64_e32 v[126:127], v[130:131], v[132:133]
	ds_read_b128 v[130:133], v128 offset:592
	s_waitcnt vmcnt(0) lgkmcnt(0)
	v_fmac_f64_e32 v[126:127], v[134:135], v[130:131]
	;; [unrolled: 9-line block ×25, first 2 shown]
	buffer_load_dword v131, off, s[0:3], 0 offset:476
	buffer_load_dword v130, off, s[0:3], 0 offset:472
	s_waitcnt vmcnt(0)
	v_fmac_f64_e32 v[126:127], v[130:131], v[132:133]
	buffer_load_dword v131, off, s[0:3], 0 offset:484
	buffer_load_dword v130, off, s[0:3], 0 offset:480
	ds_read_b64 v[132:133], v128 offset:976
	s_waitcnt vmcnt(0) lgkmcnt(0)
	v_fmac_f64_e32 v[126:127], v[130:131], v[132:133]
	v_add_f64 v[124:125], v[124:125], -v[126:127]
	buffer_store_dword v125, off, s[0:3], 0 offset:12
	buffer_store_dword v124, off, s[0:3], 0 offset:8
	s_and_saveexec_b64 s[4:5], vcc
	s_cbranch_execz .LBB124_373
; %bb.372:
	buffer_load_dword v124, off, s[0:3], 0
	buffer_load_dword v125, off, s[0:3], 0 offset:4
	s_waitcnt vmcnt(0)
	ds_write_b64 v1, v[124:125]
	buffer_store_dword v128, off, s[0:3], 0
	buffer_store_dword v128, off, s[0:3], 0 offset:4
.LBB124_373:
	s_or_b64 exec, exec, s[4:5]
	s_waitcnt lgkmcnt(0)
	; wave barrier
	s_waitcnt lgkmcnt(0)
	buffer_load_dword v0, off, s[0:3], 0
	buffer_load_dword v1, off, s[0:3], 0 offset:4
	buffer_load_dword v130, off, s[0:3], 0 offset:8
	;; [unrolled: 1-line block ×15, first 2 shown]
	ds_read2_b64 v[124:127], v128 offset0:63 offset1:64
	s_and_b64 vcc, exec, s[16:17]
	s_waitcnt vmcnt(12) lgkmcnt(0)
	v_fma_f64 v[124:125], v[130:131], v[124:125], 0
	s_waitcnt vmcnt(10)
	v_fmac_f64_e32 v[124:125], v[132:133], v[126:127]
	ds_read2_b64 v[130:133], v128 offset0:65 offset1:66
	s_waitcnt vmcnt(8) lgkmcnt(0)
	v_fmac_f64_e32 v[124:125], v[134:135], v[130:131]
	s_waitcnt vmcnt(6)
	v_fmac_f64_e32 v[124:125], v[136:137], v[132:133]
	ds_read2_b64 v[130:133], v128 offset0:67 offset1:68
	s_waitcnt vmcnt(4) lgkmcnt(0)
	v_fmac_f64_e32 v[124:125], v[138:139], v[130:131]
	s_waitcnt vmcnt(2)
	v_fmac_f64_e32 v[124:125], v[140:141], v[132:133]
	ds_read2_b64 v[130:133], v128 offset0:69 offset1:70
	buffer_load_dword v127, off, s[0:3], 0 offset:68
	buffer_load_dword v126, off, s[0:3], 0 offset:64
	s_waitcnt vmcnt(2) lgkmcnt(0)
	v_fmac_f64_e32 v[124:125], v[142:143], v[130:131]
	s_waitcnt vmcnt(0)
	v_fmac_f64_e32 v[124:125], v[126:127], v[132:133]
	buffer_load_dword v127, off, s[0:3], 0 offset:76
	buffer_load_dword v126, off, s[0:3], 0 offset:72
	ds_read2_b64 v[130:133], v128 offset0:71 offset1:72
	s_waitcnt vmcnt(0) lgkmcnt(0)
	v_fmac_f64_e32 v[124:125], v[126:127], v[130:131]
	buffer_load_dword v127, off, s[0:3], 0 offset:84
	buffer_load_dword v126, off, s[0:3], 0 offset:80
	s_waitcnt vmcnt(0)
	v_fmac_f64_e32 v[124:125], v[126:127], v[132:133]
	buffer_load_dword v127, off, s[0:3], 0 offset:92
	buffer_load_dword v126, off, s[0:3], 0 offset:88
	ds_read2_b64 v[130:133], v128 offset0:73 offset1:74
	s_waitcnt vmcnt(0) lgkmcnt(0)
	v_fmac_f64_e32 v[124:125], v[126:127], v[130:131]
	buffer_load_dword v127, off, s[0:3], 0 offset:100
	buffer_load_dword v126, off, s[0:3], 0 offset:96
	;; [unrolled: 9-line block ×26, first 2 shown]
	s_waitcnt vmcnt(0)
	v_fmac_f64_e32 v[124:125], v[128:129], v[130:131]
	v_add_f64 v[0:1], v[0:1], -v[124:125]
	buffer_store_dword v1, off, s[0:3], 0 offset:4
	buffer_store_dword v0, off, s[0:3], 0
	s_cbranch_vccz .LBB124_495
; %bb.374:
	v_pk_mov_b32 v[0:1], s[10:11], s[10:11] op_sel:[0,1]
	flat_load_dword v0, v[0:1] offset:236
	s_waitcnt vmcnt(0) lgkmcnt(0)
	v_add_u32_e32 v0, -1, v0
	v_cmp_ne_u32_e32 vcc, 59, v0
	s_and_saveexec_b64 s[4:5], vcc
	s_cbranch_execz .LBB124_376
; %bb.375:
	v_mov_b32_e32 v1, 0
	v_lshl_add_u32 v0, v0, 3, v1
	buffer_load_dword v1, v0, s[0:3], 0 offen
	buffer_load_dword v124, v0, s[0:3], 0 offen offset:4
	s_waitcnt vmcnt(1)
	buffer_store_dword v1, off, s[0:3], 0 offset:472
	s_waitcnt vmcnt(1)
	buffer_store_dword v124, off, s[0:3], 0 offset:476
	buffer_store_dword v126, v0, s[0:3], 0 offen
	buffer_store_dword v127, v0, s[0:3], 0 offen offset:4
.LBB124_376:
	s_or_b64 exec, exec, s[4:5]
	v_pk_mov_b32 v[0:1], s[10:11], s[10:11] op_sel:[0,1]
	flat_load_dword v0, v[0:1] offset:232
	s_waitcnt vmcnt(0) lgkmcnt(0)
	v_add_u32_e32 v0, -1, v0
	v_cmp_ne_u32_e32 vcc, 58, v0
	s_and_saveexec_b64 s[4:5], vcc
	s_cbranch_execz .LBB124_378
; %bb.377:
	v_mov_b32_e32 v1, 0
	v_lshl_add_u32 v0, v0, 3, v1
	buffer_load_dword v1, v0, s[0:3], 0 offen
	buffer_load_dword v124, v0, s[0:3], 0 offen offset:4
	buffer_load_dword v125, off, s[0:3], 0 offset:468
	buffer_load_dword v126, off, s[0:3], 0 offset:464
	s_waitcnt vmcnt(3)
	buffer_store_dword v1, off, s[0:3], 0 offset:464
	s_waitcnt vmcnt(3)
	buffer_store_dword v124, off, s[0:3], 0 offset:468
	s_waitcnt vmcnt(3)
	buffer_store_dword v125, v0, s[0:3], 0 offen offset:4
	s_waitcnt vmcnt(3)
	buffer_store_dword v126, v0, s[0:3], 0 offen
.LBB124_378:
	s_or_b64 exec, exec, s[4:5]
	v_pk_mov_b32 v[0:1], s[10:11], s[10:11] op_sel:[0,1]
	flat_load_dword v0, v[0:1] offset:228
	s_waitcnt vmcnt(0) lgkmcnt(0)
	v_add_u32_e32 v0, -1, v0
	v_cmp_ne_u32_e32 vcc, 57, v0
	s_and_saveexec_b64 s[4:5], vcc
	s_cbranch_execz .LBB124_380
; %bb.379:
	v_mov_b32_e32 v1, 0
	v_lshl_add_u32 v0, v0, 3, v1
	buffer_load_dword v1, v0, s[0:3], 0 offen
	buffer_load_dword v124, v0, s[0:3], 0 offen offset:4
	buffer_load_dword v125, off, s[0:3], 0 offset:456
	buffer_load_dword v126, off, s[0:3], 0 offset:460
	s_waitcnt vmcnt(3)
	buffer_store_dword v1, off, s[0:3], 0 offset:456
	s_waitcnt vmcnt(3)
	buffer_store_dword v124, off, s[0:3], 0 offset:460
	s_waitcnt vmcnt(3)
	buffer_store_dword v125, v0, s[0:3], 0 offen
	s_waitcnt vmcnt(3)
	buffer_store_dword v126, v0, s[0:3], 0 offen offset:4
.LBB124_380:
	s_or_b64 exec, exec, s[4:5]
	v_pk_mov_b32 v[0:1], s[10:11], s[10:11] op_sel:[0,1]
	flat_load_dword v0, v[0:1] offset:224
	s_waitcnt vmcnt(0) lgkmcnt(0)
	v_add_u32_e32 v0, -1, v0
	v_cmp_ne_u32_e32 vcc, 56, v0
	s_and_saveexec_b64 s[4:5], vcc
	s_cbranch_execz .LBB124_382
; %bb.381:
	v_mov_b32_e32 v1, 0
	v_lshl_add_u32 v0, v0, 3, v1
	buffer_load_dword v1, v0, s[0:3], 0 offen
	buffer_load_dword v124, v0, s[0:3], 0 offen offset:4
	buffer_load_dword v125, off, s[0:3], 0 offset:452
	buffer_load_dword v126, off, s[0:3], 0 offset:448
	s_waitcnt vmcnt(3)
	buffer_store_dword v1, off, s[0:3], 0 offset:448
	s_waitcnt vmcnt(3)
	buffer_store_dword v124, off, s[0:3], 0 offset:452
	s_waitcnt vmcnt(3)
	buffer_store_dword v125, v0, s[0:3], 0 offen offset:4
	s_waitcnt vmcnt(3)
	buffer_store_dword v126, v0, s[0:3], 0 offen
.LBB124_382:
	s_or_b64 exec, exec, s[4:5]
	v_pk_mov_b32 v[0:1], s[10:11], s[10:11] op_sel:[0,1]
	flat_load_dword v0, v[0:1] offset:220
	s_waitcnt vmcnt(0) lgkmcnt(0)
	v_add_u32_e32 v0, -1, v0
	v_cmp_ne_u32_e32 vcc, 55, v0
	s_and_saveexec_b64 s[4:5], vcc
	s_cbranch_execz .LBB124_384
; %bb.383:
	v_mov_b32_e32 v1, 0
	v_lshl_add_u32 v0, v0, 3, v1
	buffer_load_dword v1, v0, s[0:3], 0 offen
	buffer_load_dword v124, v0, s[0:3], 0 offen offset:4
	buffer_load_dword v125, off, s[0:3], 0 offset:440
	buffer_load_dword v126, off, s[0:3], 0 offset:444
	s_waitcnt vmcnt(3)
	buffer_store_dword v1, off, s[0:3], 0 offset:440
	s_waitcnt vmcnt(3)
	buffer_store_dword v124, off, s[0:3], 0 offset:444
	s_waitcnt vmcnt(3)
	buffer_store_dword v125, v0, s[0:3], 0 offen
	s_waitcnt vmcnt(3)
	buffer_store_dword v126, v0, s[0:3], 0 offen offset:4
.LBB124_384:
	;; [unrolled: 48-line block ×29, first 2 shown]
	s_or_b64 exec, exec, s[4:5]
	v_pk_mov_b32 v[0:1], s[10:11], s[10:11] op_sel:[0,1]
	flat_load_dword v124, v[0:1]
	s_nop 0
	buffer_load_dword v0, off, s[0:3], 0
	buffer_load_dword v1, off, s[0:3], 0 offset:4
	s_waitcnt vmcnt(0) lgkmcnt(0)
	v_add_u32_e32 v124, -1, v124
	v_cmp_ne_u32_e32 vcc, 0, v124
	s_and_saveexec_b64 s[4:5], vcc
	s_cbranch_execz .LBB124_494
; %bb.493:
	v_mov_b32_e32 v125, 0
	v_lshl_add_u32 v124, v124, 3, v125
	buffer_load_dword v125, v124, s[0:3], 0 offen offset:4
	buffer_load_dword v126, v124, s[0:3], 0 offen
	s_waitcnt vmcnt(1)
	buffer_store_dword v125, off, s[0:3], 0 offset:4
	s_waitcnt vmcnt(1)
	buffer_store_dword v126, off, s[0:3], 0
	buffer_store_dword v1, v124, s[0:3], 0 offen offset:4
	buffer_store_dword v0, v124, s[0:3], 0 offen
	buffer_load_dword v0, off, s[0:3], 0
	s_nop 0
	buffer_load_dword v1, off, s[0:3], 0 offset:4
.LBB124_494:
	s_or_b64 exec, exec, s[4:5]
.LBB124_495:
	s_waitcnt vmcnt(0)
	global_store_dwordx2 v[4:5], v[0:1], off
	buffer_load_dword v0, off, s[0:3], 0 offset:8
	s_nop 0
	buffer_load_dword v1, off, s[0:3], 0 offset:12
	buffer_load_dword v4, off, s[0:3], 0 offset:16
	;; [unrolled: 1-line block ×15, first 2 shown]
	s_waitcnt vmcnt(14)
	global_store_dwordx2 v[2:3], v[0:1], off
	s_waitcnt vmcnt(13)
	global_store_dwordx2 v[6:7], v[4:5], off
	;; [unrolled: 2-line block ×8, first 2 shown]
	buffer_load_dword v0, off, s[0:3], 0 offset:72
	buffer_load_dword v1, off, s[0:3], 0 offset:76
	s_waitcnt vmcnt(0)
	global_store_dwordx2 v[16:17], v[0:1], off
	buffer_load_dword v0, off, s[0:3], 0 offset:80
	s_nop 0
	buffer_load_dword v1, off, s[0:3], 0 offset:84
	s_waitcnt vmcnt(0)
	global_store_dwordx2 v[22:23], v[0:1], off
	buffer_load_dword v0, off, s[0:3], 0 offset:88
	s_nop 0
	buffer_load_dword v1, off, s[0:3], 0 offset:92
	s_waitcnt vmcnt(0)
	global_store_dwordx2 v[24:25], v[0:1], off
	buffer_load_dword v0, off, s[0:3], 0 offset:96
	s_nop 0
	buffer_load_dword v1, off, s[0:3], 0 offset:100
	s_waitcnt vmcnt(0)
	global_store_dwordx2 v[26:27], v[0:1], off
	buffer_load_dword v0, off, s[0:3], 0 offset:104
	s_nop 0
	buffer_load_dword v1, off, s[0:3], 0 offset:108
	s_waitcnt vmcnt(0)
	global_store_dwordx2 v[28:29], v[0:1], off
	buffer_load_dword v0, off, s[0:3], 0 offset:112
	s_nop 0
	buffer_load_dword v1, off, s[0:3], 0 offset:116
	s_waitcnt vmcnt(0)
	global_store_dwordx2 v[30:31], v[0:1], off
	buffer_load_dword v0, off, s[0:3], 0 offset:120
	s_nop 0
	buffer_load_dword v1, off, s[0:3], 0 offset:124
	s_waitcnt vmcnt(0)
	global_store_dwordx2 v[32:33], v[0:1], off
	buffer_load_dword v0, off, s[0:3], 0 offset:128
	s_nop 0
	buffer_load_dword v1, off, s[0:3], 0 offset:132
	s_waitcnt vmcnt(0)
	global_store_dwordx2 v[34:35], v[0:1], off
	buffer_load_dword v0, off, s[0:3], 0 offset:136
	s_nop 0
	buffer_load_dword v1, off, s[0:3], 0 offset:140
	s_waitcnt vmcnt(0)
	global_store_dwordx2 v[36:37], v[0:1], off
	buffer_load_dword v0, off, s[0:3], 0 offset:144
	s_nop 0
	buffer_load_dword v1, off, s[0:3], 0 offset:148
	s_waitcnt vmcnt(0)
	global_store_dwordx2 v[38:39], v[0:1], off
	buffer_load_dword v0, off, s[0:3], 0 offset:152
	s_nop 0
	buffer_load_dword v1, off, s[0:3], 0 offset:156
	s_waitcnt vmcnt(0)
	global_store_dwordx2 v[40:41], v[0:1], off
	buffer_load_dword v0, off, s[0:3], 0 offset:160
	s_nop 0
	buffer_load_dword v1, off, s[0:3], 0 offset:164
	s_waitcnt vmcnt(0)
	global_store_dwordx2 v[42:43], v[0:1], off
	buffer_load_dword v0, off, s[0:3], 0 offset:168
	s_nop 0
	buffer_load_dword v1, off, s[0:3], 0 offset:172
	s_waitcnt vmcnt(0)
	global_store_dwordx2 v[44:45], v[0:1], off
	buffer_load_dword v0, off, s[0:3], 0 offset:176
	s_nop 0
	buffer_load_dword v1, off, s[0:3], 0 offset:180
	s_waitcnt vmcnt(0)
	global_store_dwordx2 v[46:47], v[0:1], off
	buffer_load_dword v0, off, s[0:3], 0 offset:184
	s_nop 0
	buffer_load_dword v1, off, s[0:3], 0 offset:188
	s_waitcnt vmcnt(0)
	global_store_dwordx2 v[48:49], v[0:1], off
	buffer_load_dword v0, off, s[0:3], 0 offset:192
	s_nop 0
	buffer_load_dword v1, off, s[0:3], 0 offset:196
	s_waitcnt vmcnt(0)
	global_store_dwordx2 v[50:51], v[0:1], off
	buffer_load_dword v0, off, s[0:3], 0 offset:200
	s_nop 0
	buffer_load_dword v1, off, s[0:3], 0 offset:204
	s_waitcnt vmcnt(0)
	global_store_dwordx2 v[52:53], v[0:1], off
	buffer_load_dword v0, off, s[0:3], 0 offset:208
	s_nop 0
	buffer_load_dword v1, off, s[0:3], 0 offset:212
	s_waitcnt vmcnt(0)
	global_store_dwordx2 v[54:55], v[0:1], off
	buffer_load_dword v0, off, s[0:3], 0 offset:216
	s_nop 0
	buffer_load_dword v1, off, s[0:3], 0 offset:220
	s_waitcnt vmcnt(0)
	global_store_dwordx2 v[56:57], v[0:1], off
	buffer_load_dword v0, off, s[0:3], 0 offset:224
	s_nop 0
	buffer_load_dword v1, off, s[0:3], 0 offset:228
	s_waitcnt vmcnt(0)
	global_store_dwordx2 v[58:59], v[0:1], off
	buffer_load_dword v0, off, s[0:3], 0 offset:232
	s_nop 0
	buffer_load_dword v1, off, s[0:3], 0 offset:236
	s_waitcnt vmcnt(0)
	global_store_dwordx2 v[60:61], v[0:1], off
	buffer_load_dword v0, off, s[0:3], 0 offset:240
	s_nop 0
	buffer_load_dword v1, off, s[0:3], 0 offset:244
	s_waitcnt vmcnt(0)
	global_store_dwordx2 v[62:63], v[0:1], off
	buffer_load_dword v0, off, s[0:3], 0 offset:248
	s_nop 0
	buffer_load_dword v1, off, s[0:3], 0 offset:252
	s_waitcnt vmcnt(0)
	global_store_dwordx2 v[64:65], v[0:1], off
	buffer_load_dword v0, off, s[0:3], 0 offset:256
	s_nop 0
	buffer_load_dword v1, off, s[0:3], 0 offset:260
	s_waitcnt vmcnt(0)
	global_store_dwordx2 v[66:67], v[0:1], off
	buffer_load_dword v0, off, s[0:3], 0 offset:264
	s_nop 0
	buffer_load_dword v1, off, s[0:3], 0 offset:268
	s_waitcnt vmcnt(0)
	global_store_dwordx2 v[68:69], v[0:1], off
	buffer_load_dword v0, off, s[0:3], 0 offset:272
	s_nop 0
	buffer_load_dword v1, off, s[0:3], 0 offset:276
	s_waitcnt vmcnt(0)
	global_store_dwordx2 v[70:71], v[0:1], off
	buffer_load_dword v0, off, s[0:3], 0 offset:280
	s_nop 0
	buffer_load_dword v1, off, s[0:3], 0 offset:284
	s_waitcnt vmcnt(0)
	global_store_dwordx2 v[72:73], v[0:1], off
	buffer_load_dword v0, off, s[0:3], 0 offset:288
	s_nop 0
	buffer_load_dword v1, off, s[0:3], 0 offset:292
	s_waitcnt vmcnt(0)
	global_store_dwordx2 v[74:75], v[0:1], off
	buffer_load_dword v0, off, s[0:3], 0 offset:296
	s_nop 0
	buffer_load_dword v1, off, s[0:3], 0 offset:300
	s_waitcnt vmcnt(0)
	global_store_dwordx2 v[76:77], v[0:1], off
	buffer_load_dword v0, off, s[0:3], 0 offset:304
	s_nop 0
	buffer_load_dword v1, off, s[0:3], 0 offset:308
	s_waitcnt vmcnt(0)
	global_store_dwordx2 v[78:79], v[0:1], off
	buffer_load_dword v0, off, s[0:3], 0 offset:312
	s_nop 0
	buffer_load_dword v1, off, s[0:3], 0 offset:316
	s_waitcnt vmcnt(0)
	global_store_dwordx2 v[80:81], v[0:1], off
	buffer_load_dword v0, off, s[0:3], 0 offset:320
	s_nop 0
	buffer_load_dword v1, off, s[0:3], 0 offset:324
	s_waitcnt vmcnt(0)
	global_store_dwordx2 v[82:83], v[0:1], off
	buffer_load_dword v0, off, s[0:3], 0 offset:328
	s_nop 0
	buffer_load_dword v1, off, s[0:3], 0 offset:332
	s_waitcnt vmcnt(0)
	global_store_dwordx2 v[84:85], v[0:1], off
	buffer_load_dword v0, off, s[0:3], 0 offset:336
	s_nop 0
	buffer_load_dword v1, off, s[0:3], 0 offset:340
	s_waitcnt vmcnt(0)
	global_store_dwordx2 v[86:87], v[0:1], off
	buffer_load_dword v0, off, s[0:3], 0 offset:344
	s_nop 0
	buffer_load_dword v1, off, s[0:3], 0 offset:348
	s_waitcnt vmcnt(0)
	global_store_dwordx2 v[88:89], v[0:1], off
	buffer_load_dword v0, off, s[0:3], 0 offset:352
	s_nop 0
	buffer_load_dword v1, off, s[0:3], 0 offset:356
	s_waitcnt vmcnt(0)
	global_store_dwordx2 v[90:91], v[0:1], off
	buffer_load_dword v0, off, s[0:3], 0 offset:360
	s_nop 0
	buffer_load_dword v1, off, s[0:3], 0 offset:364
	s_waitcnt vmcnt(0)
	global_store_dwordx2 v[92:93], v[0:1], off
	buffer_load_dword v0, off, s[0:3], 0 offset:368
	s_nop 0
	buffer_load_dword v1, off, s[0:3], 0 offset:372
	s_waitcnt vmcnt(0)
	global_store_dwordx2 v[94:95], v[0:1], off
	buffer_load_dword v0, off, s[0:3], 0 offset:376
	s_nop 0
	buffer_load_dword v1, off, s[0:3], 0 offset:380
	s_waitcnt vmcnt(0)
	global_store_dwordx2 v[96:97], v[0:1], off
	buffer_load_dword v0, off, s[0:3], 0 offset:384
	s_nop 0
	buffer_load_dword v1, off, s[0:3], 0 offset:388
	s_waitcnt vmcnt(0)
	global_store_dwordx2 v[98:99], v[0:1], off
	buffer_load_dword v0, off, s[0:3], 0 offset:392
	s_nop 0
	buffer_load_dword v1, off, s[0:3], 0 offset:396
	s_waitcnt vmcnt(0)
	global_store_dwordx2 v[100:101], v[0:1], off
	buffer_load_dword v0, off, s[0:3], 0 offset:400
	s_nop 0
	buffer_load_dword v1, off, s[0:3], 0 offset:404
	s_waitcnt vmcnt(0)
	global_store_dwordx2 v[102:103], v[0:1], off
	buffer_load_dword v0, off, s[0:3], 0 offset:408
	s_nop 0
	buffer_load_dword v1, off, s[0:3], 0 offset:412
	s_waitcnt vmcnt(0)
	global_store_dwordx2 v[104:105], v[0:1], off
	buffer_load_dword v0, off, s[0:3], 0 offset:416
	s_nop 0
	buffer_load_dword v1, off, s[0:3], 0 offset:420
	s_waitcnt vmcnt(0)
	global_store_dwordx2 v[106:107], v[0:1], off
	buffer_load_dword v0, off, s[0:3], 0 offset:424
	s_nop 0
	buffer_load_dword v1, off, s[0:3], 0 offset:428
	s_waitcnt vmcnt(0)
	global_store_dwordx2 v[108:109], v[0:1], off
	buffer_load_dword v0, off, s[0:3], 0 offset:432
	s_nop 0
	buffer_load_dword v1, off, s[0:3], 0 offset:436
	s_waitcnt vmcnt(0)
	global_store_dwordx2 v[110:111], v[0:1], off
	buffer_load_dword v0, off, s[0:3], 0 offset:440
	s_nop 0
	buffer_load_dword v1, off, s[0:3], 0 offset:444
	s_waitcnt vmcnt(0)
	global_store_dwordx2 v[112:113], v[0:1], off
	buffer_load_dword v0, off, s[0:3], 0 offset:448
	s_nop 0
	buffer_load_dword v1, off, s[0:3], 0 offset:452
	s_waitcnt vmcnt(0)
	global_store_dwordx2 v[114:115], v[0:1], off
	buffer_load_dword v0, off, s[0:3], 0 offset:456
	s_nop 0
	buffer_load_dword v1, off, s[0:3], 0 offset:460
	s_waitcnt vmcnt(0)
	global_store_dwordx2 v[118:119], v[0:1], off
	buffer_load_dword v0, off, s[0:3], 0 offset:464
	s_nop 0
	buffer_load_dword v1, off, s[0:3], 0 offset:468
	s_waitcnt vmcnt(0)
	global_store_dwordx2 v[120:121], v[0:1], off
	buffer_load_dword v0, off, s[0:3], 0 offset:472
	s_nop 0
	buffer_load_dword v1, off, s[0:3], 0 offset:476
	s_waitcnt vmcnt(0)
	global_store_dwordx2 v[122:123], v[0:1], off
	buffer_load_dword v0, off, s[0:3], 0 offset:480
	s_nop 0
	buffer_load_dword v1, off, s[0:3], 0 offset:484
	s_waitcnt vmcnt(0)
	global_store_dwordx2 v[116:117], v[0:1], off
	s_endpgm
	.section	.rodata,"a",@progbits
	.p2align	6, 0x0
	.amdhsa_kernel _ZN9rocsolver6v33100L18getri_kernel_smallILi61EdPKPdEEvT1_iilPiilS6_bb
		.amdhsa_group_segment_fixed_size 984
		.amdhsa_private_segment_fixed_size 496
		.amdhsa_kernarg_size 60
		.amdhsa_user_sgpr_count 8
		.amdhsa_user_sgpr_private_segment_buffer 1
		.amdhsa_user_sgpr_dispatch_ptr 0
		.amdhsa_user_sgpr_queue_ptr 0
		.amdhsa_user_sgpr_kernarg_segment_ptr 1
		.amdhsa_user_sgpr_dispatch_id 0
		.amdhsa_user_sgpr_flat_scratch_init 1
		.amdhsa_user_sgpr_kernarg_preload_length 0
		.amdhsa_user_sgpr_kernarg_preload_offset 0
		.amdhsa_user_sgpr_private_segment_size 0
		.amdhsa_uses_dynamic_stack 0
		.amdhsa_system_sgpr_private_segment_wavefront_offset 1
		.amdhsa_system_sgpr_workgroup_id_x 1
		.amdhsa_system_sgpr_workgroup_id_y 0
		.amdhsa_system_sgpr_workgroup_id_z 0
		.amdhsa_system_sgpr_workgroup_info 0
		.amdhsa_system_vgpr_workitem_id 0
		.amdhsa_next_free_vgpr 168
		.amdhsa_next_free_sgpr 22
		.amdhsa_accum_offset 168
		.amdhsa_reserve_vcc 1
		.amdhsa_reserve_flat_scratch 1
		.amdhsa_float_round_mode_32 0
		.amdhsa_float_round_mode_16_64 0
		.amdhsa_float_denorm_mode_32 3
		.amdhsa_float_denorm_mode_16_64 3
		.amdhsa_dx10_clamp 1
		.amdhsa_ieee_mode 1
		.amdhsa_fp16_overflow 0
		.amdhsa_tg_split 0
		.amdhsa_exception_fp_ieee_invalid_op 0
		.amdhsa_exception_fp_denorm_src 0
		.amdhsa_exception_fp_ieee_div_zero 0
		.amdhsa_exception_fp_ieee_overflow 0
		.amdhsa_exception_fp_ieee_underflow 0
		.amdhsa_exception_fp_ieee_inexact 0
		.amdhsa_exception_int_div_zero 0
	.end_amdhsa_kernel
	.section	.text._ZN9rocsolver6v33100L18getri_kernel_smallILi61EdPKPdEEvT1_iilPiilS6_bb,"axG",@progbits,_ZN9rocsolver6v33100L18getri_kernel_smallILi61EdPKPdEEvT1_iilPiilS6_bb,comdat
.Lfunc_end124:
	.size	_ZN9rocsolver6v33100L18getri_kernel_smallILi61EdPKPdEEvT1_iilPiilS6_bb, .Lfunc_end124-_ZN9rocsolver6v33100L18getri_kernel_smallILi61EdPKPdEEvT1_iilPiilS6_bb
                                        ; -- End function
	.section	.AMDGPU.csdata,"",@progbits
; Kernel info:
; codeLenInByte = 83452
; NumSgprs: 28
; NumVgprs: 168
; NumAgprs: 0
; TotalNumVgprs: 168
; ScratchSize: 496
; MemoryBound: 1
; FloatMode: 240
; IeeeMode: 1
; LDSByteSize: 984 bytes/workgroup (compile time only)
; SGPRBlocks: 3
; VGPRBlocks: 20
; NumSGPRsForWavesPerEU: 28
; NumVGPRsForWavesPerEU: 168
; AccumOffset: 168
; Occupancy: 3
; WaveLimiterHint : 1
; COMPUTE_PGM_RSRC2:SCRATCH_EN: 1
; COMPUTE_PGM_RSRC2:USER_SGPR: 8
; COMPUTE_PGM_RSRC2:TRAP_HANDLER: 0
; COMPUTE_PGM_RSRC2:TGID_X_EN: 1
; COMPUTE_PGM_RSRC2:TGID_Y_EN: 0
; COMPUTE_PGM_RSRC2:TGID_Z_EN: 0
; COMPUTE_PGM_RSRC2:TIDIG_COMP_CNT: 0
; COMPUTE_PGM_RSRC3_GFX90A:ACCUM_OFFSET: 41
; COMPUTE_PGM_RSRC3_GFX90A:TG_SPLIT: 0
	.section	.text._ZN9rocsolver6v33100L18getri_kernel_smallILi62EdPKPdEEvT1_iilPiilS6_bb,"axG",@progbits,_ZN9rocsolver6v33100L18getri_kernel_smallILi62EdPKPdEEvT1_iilPiilS6_bb,comdat
	.globl	_ZN9rocsolver6v33100L18getri_kernel_smallILi62EdPKPdEEvT1_iilPiilS6_bb ; -- Begin function _ZN9rocsolver6v33100L18getri_kernel_smallILi62EdPKPdEEvT1_iilPiilS6_bb
	.p2align	8
	.type	_ZN9rocsolver6v33100L18getri_kernel_smallILi62EdPKPdEEvT1_iilPiilS6_bb,@function
_ZN9rocsolver6v33100L18getri_kernel_smallILi62EdPKPdEEvT1_iilPiilS6_bb: ; @_ZN9rocsolver6v33100L18getri_kernel_smallILi62EdPKPdEEvT1_iilPiilS6_bb
; %bb.0:
	s_add_u32 flat_scratch_lo, s6, s9
	s_addc_u32 flat_scratch_hi, s7, 0
	s_add_u32 s0, s0, s9
	s_addc_u32 s1, s1, 0
	v_cmp_gt_u32_e32 vcc, 62, v0
	s_and_saveexec_b64 s[6:7], vcc
	s_cbranch_execz .LBB125_256
; %bb.1:
	s_load_dword s20, s[4:5], 0x38
	s_load_dwordx2 s[6:7], s[4:5], 0x0
	s_load_dwordx4 s[12:15], s[4:5], 0x28
	s_waitcnt lgkmcnt(0)
	s_bitcmp1_b32 s20, 8
	s_cselect_b64 s[16:17], -1, 0
	s_ashr_i32 s9, s8, 31
	s_lshl_b64 s[10:11], s[8:9], 3
	s_add_u32 s6, s6, s10
	s_addc_u32 s7, s7, s11
	s_load_dwordx2 s[18:19], s[6:7], 0x0
	s_bfe_u32 s6, s20, 0x10008
	s_cmp_eq_u32 s6, 0
                                        ; implicit-def: $sgpr10_sgpr11
	s_cbranch_scc1 .LBB125_3
; %bb.2:
	s_load_dword s6, s[4:5], 0x20
	s_load_dwordx2 s[10:11], s[4:5], 0x18
	s_mul_i32 s7, s8, s13
	s_mul_hi_u32 s13, s8, s12
	s_add_i32 s13, s13, s7
	s_mul_i32 s21, s9, s12
	s_add_i32 s13, s13, s21
	s_mul_i32 s12, s8, s12
	s_waitcnt lgkmcnt(0)
	s_ashr_i32 s7, s6, 31
	s_lshl_b64 s[12:13], s[12:13], 2
	s_add_u32 s10, s10, s12
	s_addc_u32 s11, s11, s13
	s_lshl_b64 s[6:7], s[6:7], 2
	s_add_u32 s10, s10, s6
	s_addc_u32 s11, s11, s7
.LBB125_3:
	s_load_dwordx2 s[6:7], s[4:5], 0x8
	v_lshlrev_b32_e32 v1, 3, v0
	s_waitcnt lgkmcnt(0)
	s_ashr_i32 s5, s6, 31
	s_mov_b32 s4, s6
	s_lshl_b64 s[4:5], s[4:5], 3
	s_add_u32 s4, s18, s4
	s_addc_u32 s5, s19, s5
	global_load_dwordx2 v[8:9], v1, s[4:5]
	v_mov_b32_e32 v2, s5
	v_add_co_u32_e32 v4, vcc, s4, v1
	s_ashr_i32 s13, s7, 31
	s_mov_b32 s12, s7
	v_addc_co_u32_e32 v5, vcc, 0, v2, vcc
	s_lshl_b64 s[12:13], s[12:13], 3
	v_mov_b32_e32 v3, s13
	v_add_co_u32_e32 v2, vcc, s12, v4
	v_addc_co_u32_e32 v3, vcc, v5, v3, vcc
	global_load_dwordx2 v[14:15], v[2:3], off
	s_add_i32 s6, s7, s7
	v_add_u32_e32 v10, s6, v0
	v_add_u32_e32 v12, s7, v10
	;; [unrolled: 1-line block ×60, first 2 shown]
	v_ashrrev_i32_e32 v7, 31, v6
	v_lshlrev_b64 v[6:7], 3, v[6:7]
	v_mov_b32_e32 v11, s5
	v_add_co_u32_e32 v6, vcc, s4, v6
	v_addc_co_u32_e32 v7, vcc, v11, v7, vcc
	global_load_dwordx2 v[126:127], v[6:7], off
	v_ashrrev_i32_e32 v11, 31, v10
	s_waitcnt vmcnt(2)
	buffer_store_dword v9, off, s[0:3], 0 offset:4
	buffer_store_dword v8, off, s[0:3], 0
	v_lshlrev_b64 v[8:9], 3, v[10:11]
	v_mov_b32_e32 v10, s5
	v_add_co_u32_e32 v8, vcc, s4, v8
	v_ashrrev_i32_e32 v13, 31, v12
	v_addc_co_u32_e32 v9, vcc, v10, v9, vcc
	v_lshlrev_b64 v[10:11], 3, v[12:13]
	v_mov_b32_e32 v12, s5
	v_add_co_u32_e32 v10, vcc, s4, v10
	v_ashrrev_i32_e32 v17, 31, v16
	v_addc_co_u32_e32 v11, vcc, v12, v11, vcc
	;; [unrolled: 5-line block ×3, first 2 shown]
	global_load_dwordx2 v[78:79], v[8:9], off
	global_load_dwordx2 v[80:81], v[10:11], off
	;; [unrolled: 1-line block ×3, first 2 shown]
	s_waitcnt vmcnt(6)
	buffer_store_dword v15, off, s[0:3], 0 offset:12
	buffer_store_dword v14, off, s[0:3], 0 offset:8
	v_lshlrev_b64 v[14:15], 3, v[18:19]
	v_add_co_u32_e32 v40, vcc, s4, v14
	v_ashrrev_i32_e32 v21, 31, v20
	v_addc_co_u32_e32 v41, vcc, v16, v15, vcc
	v_lshlrev_b64 v[14:15], 3, v[20:21]
	v_add_co_u32_e32 v42, vcc, s4, v14
	v_ashrrev_i32_e32 v23, 31, v22
	v_addc_co_u32_e32 v43, vcc, v16, v15, vcc
	;; [unrolled: 4-line block ×8, first 2 shown]
	v_lshlrev_b64 v[16:17], 3, v[36:37]
	v_mov_b32_e32 v18, s5
	v_add_co_u32_e32 v34, vcc, s4, v16
	v_ashrrev_i32_e32 v39, 31, v38
	v_addc_co_u32_e32 v35, vcc, v18, v17, vcc
	v_lshlrev_b64 v[16:17], 3, v[38:39]
	v_add_co_u32_e32 v28, vcc, s4, v16
	v_ashrrev_i32_e32 v49, 31, v48
	v_addc_co_u32_e32 v29, vcc, v18, v17, vcc
	v_lshlrev_b64 v[16:17], 3, v[48:49]
	;; [unrolled: 4-line block ×3, first 2 shown]
	v_add_co_u32_e32 v16, vcc, s4, v16
	global_load_dwordx2 v[148:149], v[40:41], off
	global_load_dwordx2 v[150:151], v[42:43], off
	;; [unrolled: 1-line block ×8, first 2 shown]
	v_addc_co_u32_e32 v17, vcc, v18, v17, vcc
	global_load_dwordx2 v[48:49], v[34:35], off
	global_load_dwordx2 v[50:51], v[28:29], off
	;; [unrolled: 1-line block ×4, first 2 shown]
	v_ashrrev_i32_e32 v53, 31, v52
	v_lshlrev_b64 v[18:19], 3, v[52:53]
	v_mov_b32_e32 v24, s5
	v_add_co_u32_e32 v36, vcc, s4, v18
	v_ashrrev_i32_e32 v55, 31, v54
	v_addc_co_u32_e32 v37, vcc, v24, v19, vcc
	v_lshlrev_b64 v[18:19], 3, v[54:55]
	v_add_co_u32_e32 v38, vcc, s4, v18
	v_ashrrev_i32_e32 v59, 31, v58
	v_addc_co_u32_e32 v39, vcc, v24, v19, vcc
	v_lshlrev_b64 v[18:19], 3, v[58:59]
	v_add_co_u32_e32 v30, vcc, s4, v18
	v_ashrrev_i32_e32 v61, 31, v60
	v_addc_co_u32_e32 v31, vcc, v24, v19, vcc
	v_lshlrev_b64 v[18:19], 3, v[60:61]
	v_mov_b32_e32 v25, s5
	v_add_co_u32_e32 v24, vcc, s4, v18
	v_ashrrev_i32_e32 v67, 31, v66
	global_load_dwordx2 v[52:53], v[36:37], off
	v_addc_co_u32_e32 v25, vcc, v25, v19, vcc
	v_lshlrev_b64 v[18:19], 3, v[66:67]
	v_mov_b32_e32 v54, s5
	v_add_co_u32_e32 v18, vcc, s4, v18
	v_addc_co_u32_e32 v19, vcc, v54, v19, vcc
	global_load_dwordx2 v[54:55], v[38:39], off
	global_load_dwordx2 v[58:59], v[30:31], off
	global_load_dwordx2 v[60:61], v[24:25], off
	v_ashrrev_i32_e32 v57, 31, v56
	s_waitcnt vmcnt(20)
	buffer_store_dword v79, off, s[0:3], 0 offset:20
	buffer_store_dword v78, off, s[0:3], 0 offset:16
	s_waitcnt vmcnt(21)
	buffer_store_dword v81, off, s[0:3], 0 offset:28
	buffer_store_dword v80, off, s[0:3], 0 offset:24
	global_load_dwordx2 v[66:67], v[18:19], off
	s_waitcnt vmcnt(23)
	buffer_store_dword v117, off, s[0:3], 0 offset:36
	buffer_store_dword v116, off, s[0:3], 0 offset:32
	s_waitcnt vmcnt(22)
	buffer_store_dword v149, off, s[0:3], 0 offset:44
	buffer_store_dword v148, off, s[0:3], 0 offset:40
	;; [unrolled: 3-line block ×17, first 2 shown]
	v_lshlrev_b64 v[48:49], 3, v[56:57]
	v_mov_b32_e32 v50, s5
	v_add_co_u32_e32 v60, vcc, s4, v48
	v_ashrrev_i32_e32 v63, 31, v62
	v_addc_co_u32_e32 v61, vcc, v50, v49, vcc
	v_lshlrev_b64 v[48:49], 3, v[62:63]
	v_mov_b32_e32 v51, s5
	v_add_co_u32_e32 v50, vcc, s4, v48
	v_ashrrev_i32_e32 v65, 31, v64
	v_addc_co_u32_e32 v51, vcc, v51, v49, vcc
	v_lshlrev_b64 v[48:49], 3, v[64:65]
	v_mov_b32_e32 v52, s5
	v_add_co_u32_e32 v48, vcc, s4, v48
	v_addc_co_u32_e32 v49, vcc, v52, v49, vcc
	global_load_dwordx2 v[116:117], v[60:61], off
	global_load_dwordx2 v[148:149], v[50:51], off
	;; [unrolled: 1-line block ×3, first 2 shown]
	v_ashrrev_i32_e32 v69, 31, v68
	v_lshlrev_b64 v[52:53], 3, v[68:69]
	v_mov_b32_e32 v54, s5
	v_add_co_u32_e32 v78, vcc, s4, v52
	v_ashrrev_i32_e32 v71, 31, v70
	v_addc_co_u32_e32 v79, vcc, v54, v53, vcc
	v_lshlrev_b64 v[52:53], 3, v[70:71]
	v_add_co_u32_e32 v70, vcc, s4, v52
	v_ashrrev_i32_e32 v73, 31, v72
	v_addc_co_u32_e32 v71, vcc, v54, v53, vcc
	v_lshlrev_b64 v[52:53], 3, v[72:73]
	;; [unrolled: 4-line block ×4, first 2 shown]
	v_mov_b32_e32 v56, s5
	v_add_co_u32_e32 v80, vcc, s4, v54
	v_ashrrev_i32_e32 v83, 31, v82
	v_addc_co_u32_e32 v81, vcc, v56, v55, vcc
	v_lshlrev_b64 v[54:55], 3, v[82:83]
	v_add_co_u32_e32 v72, vcc, s4, v54
	v_ashrrev_i32_e32 v85, 31, v84
	v_addc_co_u32_e32 v73, vcc, v56, v55, vcc
	v_lshlrev_b64 v[54:55], 3, v[84:85]
	v_add_co_u32_e32 v64, vcc, s4, v54
	v_ashrrev_i32_e32 v87, 31, v86
	v_addc_co_u32_e32 v65, vcc, v56, v55, vcc
	v_lshlrev_b64 v[54:55], 3, v[86:87]
	v_add_co_u32_e32 v54, vcc, s4, v54
	v_ashrrev_i32_e32 v89, 31, v88
	v_addc_co_u32_e32 v55, vcc, v56, v55, vcc
	v_lshlrev_b64 v[56:57], 3, v[88:89]
	v_mov_b32_e32 v58, s5
	v_add_co_u32_e32 v82, vcc, s4, v56
	v_ashrrev_i32_e32 v91, 31, v90
	v_addc_co_u32_e32 v83, vcc, v58, v57, vcc
	v_lshlrev_b64 v[56:57], 3, v[90:91]
	v_add_co_u32_e32 v74, vcc, s4, v56
	v_ashrrev_i32_e32 v93, 31, v92
	v_addc_co_u32_e32 v75, vcc, v58, v57, vcc
	v_lshlrev_b64 v[56:57], 3, v[92:93]
	s_waitcnt vmcnt(37)
	buffer_store_dword v66, off, s[0:3], 0 offset:168
	buffer_store_dword v67, off, s[0:3], 0 offset:172
	v_add_co_u32_e32 v66, vcc, s4, v56
	v_ashrrev_i32_e32 v95, 31, v94
	v_addc_co_u32_e32 v67, vcc, v58, v57, vcc
	v_lshlrev_b64 v[56:57], 3, v[94:95]
	v_add_co_u32_e32 v56, vcc, s4, v56
	v_ashrrev_i32_e32 v97, 31, v96
	v_addc_co_u32_e32 v57, vcc, v58, v57, vcc
	v_lshlrev_b64 v[58:59], 3, v[96:97]
	v_mov_b32_e32 v68, s5
	v_add_co_u32_e32 v84, vcc, s4, v58
	v_ashrrev_i32_e32 v99, 31, v98
	global_load_dwordx2 v[152:153], v[78:79], off
	global_load_dwordx2 v[154:155], v[70:71], off
	;; [unrolled: 1-line block ×12, first 2 shown]
	v_addc_co_u32_e32 v85, vcc, v68, v59, vcc
	v_lshlrev_b64 v[58:59], 3, v[98:99]
	v_add_co_u32_e32 v86, vcc, s4, v58
	v_ashrrev_i32_e32 v101, 31, v100
	v_addc_co_u32_e32 v87, vcc, v68, v59, vcc
	v_lshlrev_b64 v[58:59], 3, v[100:101]
	v_add_co_u32_e32 v76, vcc, s4, v58
	v_ashrrev_i32_e32 v105, 31, v104
	v_addc_co_u32_e32 v77, vcc, v68, v59, vcc
	v_lshlrev_b64 v[58:59], 3, v[104:105]
	v_mov_b32_e32 v69, s5
	v_add_co_u32_e32 v68, vcc, s4, v58
	v_ashrrev_i32_e32 v109, 31, v108
	v_addc_co_u32_e32 v69, vcc, v69, v59, vcc
	v_lshlrev_b64 v[58:59], 3, v[108:109]
	v_mov_b32_e32 v98, s5
	v_add_co_u32_e32 v58, vcc, s4, v58
	global_load_dwordx2 v[96:97], v[84:85], off
	v_addc_co_u32_e32 v59, vcc, v98, v59, vcc
	global_load_dwordx2 v[98:99], v[86:87], off
	global_load_dwordx2 v[100:101], v[76:77], off
	;; [unrolled: 1-line block ×3, first 2 shown]
	v_ashrrev_i32_e32 v103, 31, v102
	s_waitcnt vmcnt(20)
	buffer_store_dword v116, off, s[0:3], 0 offset:176
	buffer_store_dword v117, off, s[0:3], 0 offset:180
	s_waitcnt vmcnt(21)
	buffer_store_dword v148, off, s[0:3], 0 offset:184
	buffer_store_dword v149, off, s[0:3], 0 offset:188
	global_load_dwordx2 v[108:109], v[58:59], off
	s_waitcnt vmcnt(23)
	buffer_store_dword v150, off, s[0:3], 0 offset:192
	buffer_store_dword v151, off, s[0:3], 0 offset:196
	s_waitcnt vmcnt(22)
	buffer_store_dword v153, off, s[0:3], 0 offset:204
	buffer_store_dword v152, off, s[0:3], 0 offset:200
	;; [unrolled: 3-line block ×17, first 2 shown]
	v_lshlrev_b64 v[88:89], 3, v[102:103]
	v_mov_b32_e32 v90, s5
	v_add_co_u32_e32 v98, vcc, s4, v88
	v_ashrrev_i32_e32 v107, 31, v106
	v_addc_co_u32_e32 v99, vcc, v90, v89, vcc
	v_lshlrev_b64 v[88:89], 3, v[106:107]
	v_mov_b32_e32 v91, s5
	v_add_co_u32_e32 v90, vcc, s4, v88
	v_ashrrev_i32_e32 v111, 31, v110
	v_addc_co_u32_e32 v91, vcc, v91, v89, vcc
	;; [unrolled: 5-line block ×4, first 2 shown]
	v_lshlrev_b64 v[92:93], 3, v[114:115]
	global_load_dwordx2 v[148:149], v[98:99], off
	global_load_dwordx2 v[150:151], v[90:91], off
	;; [unrolled: 1-line block ×3, first 2 shown]
	s_waitcnt vmcnt(37)
	buffer_store_dword v108, off, s[0:3], 0 offset:328
	buffer_store_dword v109, off, s[0:3], 0 offset:332
	v_add_co_u32_e32 v108, vcc, s4, v92
	v_ashrrev_i32_e32 v119, 31, v118
	v_addc_co_u32_e32 v109, vcc, v94, v93, vcc
	v_lshlrev_b64 v[92:93], 3, v[118:119]
	v_add_co_u32_e32 v100, vcc, s4, v92
	v_ashrrev_i32_e32 v121, 31, v120
	v_addc_co_u32_e32 v101, vcc, v94, v93, vcc
	v_lshlrev_b64 v[92:93], 3, v[120:121]
	;; [unrolled: 4-line block ×3, first 2 shown]
	v_mov_b32_e32 v96, s5
	v_add_co_u32_e32 v118, vcc, s4, v94
	v_ashrrev_i32_e32 v125, 31, v124
	v_addc_co_u32_e32 v119, vcc, v96, v95, vcc
	v_lshlrev_b64 v[94:95], 3, v[124:125]
	v_add_co_u32_e32 v110, vcc, s4, v94
	v_ashrrev_i32_e32 v129, 31, v128
	v_addc_co_u32_e32 v111, vcc, v96, v95, vcc
	v_lshlrev_b64 v[94:95], 3, v[128:129]
	;; [unrolled: 4-line block ×4, first 2 shown]
	v_mov_b32_e32 v104, s5
	v_add_co_u32_e32 v120, vcc, s4, v96
	v_ashrrev_i32_e32 v135, 31, v134
	v_addc_co_u32_e32 v121, vcc, v104, v97, vcc
	v_lshlrev_b64 v[96:97], 3, v[134:135]
	v_add_co_u32_e32 v112, vcc, s4, v96
	v_ashrrev_i32_e32 v137, 31, v136
	v_addc_co_u32_e32 v113, vcc, v104, v97, vcc
	v_lshlrev_b64 v[96:97], 3, v[136:137]
	v_mov_b32_e32 v105, s5
	v_add_co_u32_e32 v104, vcc, s4, v96
	v_ashrrev_i32_e32 v139, 31, v138
	v_addc_co_u32_e32 v105, vcc, v105, v97, vcc
	v_lshlrev_b64 v[96:97], 3, v[138:139]
	v_mov_b32_e32 v106, s5
	v_add_co_u32_e32 v96, vcc, s4, v96
	global_load_dwordx2 v[154:155], v[116:117], off
	global_load_dwordx2 v[156:157], v[108:109], off
	;; [unrolled: 1-line block ×8, first 2 shown]
	v_addc_co_u32_e32 v97, vcc, v106, v97, vcc
	global_load_dwordx2 v[132:133], v[120:121], off
	global_load_dwordx2 v[134:135], v[112:113], off
	;; [unrolled: 1-line block ×4, first 2 shown]
	v_ashrrev_i32_e32 v141, 31, v140
	v_lshlrev_b64 v[106:107], 3, v[140:141]
	v_mov_b32_e32 v114, s5
	v_add_co_u32_e32 v122, vcc, s4, v106
	v_ashrrev_i32_e32 v143, 31, v142
	v_addc_co_u32_e32 v123, vcc, v114, v107, vcc
	v_lshlrev_b64 v[106:107], 3, v[142:143]
	v_add_co_u32_e32 v124, vcc, s4, v106
	v_ashrrev_i32_e32 v145, 31, v144
	v_addc_co_u32_e32 v125, vcc, v114, v107, vcc
	v_lshlrev_b64 v[106:107], 3, v[144:145]
	v_mov_b32_e32 v115, s5
	v_add_co_u32_e32 v114, vcc, s4, v106
	v_ashrrev_i32_e32 v147, 31, v146
	global_load_dwordx2 v[140:141], v[122:123], off
	v_addc_co_u32_e32 v115, vcc, v115, v107, vcc
	v_lshlrev_b64 v[106:107], 3, v[146:147]
	v_mov_b32_e32 v142, s5
	v_add_co_u32_e32 v106, vcc, s4, v106
	v_addc_co_u32_e32 v107, vcc, v142, v107, vcc
	global_load_dwordx2 v[142:143], v[124:125], off
	global_load_dwordx2 v[144:145], v[114:115], off
	global_load_dwordx2 v[146:147], v[106:107], off
	s_bitcmp0_b32 s20, 0
	s_mov_b64 s[6:7], -1
	s_waitcnt vmcnt(20)
	buffer_store_dword v148, off, s[0:3], 0 offset:336
	buffer_store_dword v149, off, s[0:3], 0 offset:340
	s_waitcnt vmcnt(21)
	buffer_store_dword v151, off, s[0:3], 0 offset:348
	buffer_store_dword v150, off, s[0:3], 0 offset:344
	s_waitcnt vmcnt(22)
	buffer_store_dword v153, off, s[0:3], 0 offset:356
	buffer_store_dword v152, off, s[0:3], 0 offset:352
	s_waitcnt vmcnt(21)
	buffer_store_dword v154, off, s[0:3], 0 offset:360
	buffer_store_dword v155, off, s[0:3], 0 offset:364
	s_waitcnt vmcnt(22)
	buffer_store_dword v156, off, s[0:3], 0 offset:368
	buffer_store_dword v157, off, s[0:3], 0 offset:372
	s_waitcnt vmcnt(23)
	buffer_store_dword v158, off, s[0:3], 0 offset:376
	buffer_store_dword v159, off, s[0:3], 0 offset:380
	s_waitcnt vmcnt(24)
	buffer_store_dword v160, off, s[0:3], 0 offset:384
	buffer_store_dword v161, off, s[0:3], 0 offset:388
	s_waitcnt vmcnt(25)
	buffer_store_dword v129, off, s[0:3], 0 offset:396
	buffer_store_dword v128, off, s[0:3], 0 offset:392
	s_waitcnt vmcnt(26)
	buffer_store_dword v131, off, s[0:3], 0 offset:404
	buffer_store_dword v130, off, s[0:3], 0 offset:400
	s_waitcnt vmcnt(27)
	buffer_store_dword v162, off, s[0:3], 0 offset:408
	buffer_store_dword v163, off, s[0:3], 0 offset:412
	s_waitcnt vmcnt(28)
	buffer_store_dword v164, off, s[0:3], 0 offset:416
	buffer_store_dword v165, off, s[0:3], 0 offset:420
	s_waitcnt vmcnt(29)
	buffer_store_dword v132, off, s[0:3], 0 offset:424
	buffer_store_dword v133, off, s[0:3], 0 offset:428
	s_waitcnt vmcnt(30)
	buffer_store_dword v134, off, s[0:3], 0 offset:432
	buffer_store_dword v135, off, s[0:3], 0 offset:436
	s_waitcnt vmcnt(31)
	buffer_store_dword v137, off, s[0:3], 0 offset:444
	buffer_store_dword v136, off, s[0:3], 0 offset:440
	s_waitcnt vmcnt(32)
	buffer_store_dword v139, off, s[0:3], 0 offset:452
	buffer_store_dword v138, off, s[0:3], 0 offset:448
	s_waitcnt vmcnt(33)
	buffer_store_dword v140, off, s[0:3], 0 offset:456
	buffer_store_dword v141, off, s[0:3], 0 offset:460
	s_waitcnt vmcnt(34)
	buffer_store_dword v142, off, s[0:3], 0 offset:464
	buffer_store_dword v143, off, s[0:3], 0 offset:468
	s_waitcnt vmcnt(35)
	buffer_store_dword v144, off, s[0:3], 0 offset:472
	buffer_store_dword v145, off, s[0:3], 0 offset:476
	s_waitcnt vmcnt(36)
	buffer_store_dword v146, off, s[0:3], 0 offset:480
	buffer_store_dword v147, off, s[0:3], 0 offset:484
	buffer_store_dword v127, off, s[0:3], 0 offset:492
	buffer_store_dword v126, off, s[0:3], 0 offset:488
	s_cbranch_scc1 .LBB125_254
; %bb.4:
	v_cmp_eq_u32_e64 s[4:5], 0, v0
	s_and_saveexec_b64 s[6:7], s[4:5]
	s_cbranch_execz .LBB125_6
; %bb.5:
	v_mov_b32_e32 v126, 0
	ds_write_b32 v126, v126 offset:992
.LBB125_6:
	s_or_b64 exec, exec, s[6:7]
	v_mov_b32_e32 v126, 0
	v_lshl_add_u32 v126, v0, 3, v126
	s_waitcnt lgkmcnt(0)
	; wave barrier
	s_waitcnt lgkmcnt(0)
	buffer_load_dword v128, v126, s[0:3], 0 offen
	buffer_load_dword v129, v126, s[0:3], 0 offen offset:4
	s_waitcnt vmcnt(0)
	v_cmp_eq_f64_e32 vcc, 0, v[128:129]
	s_and_saveexec_b64 s[12:13], vcc
	s_cbranch_execz .LBB125_10
; %bb.7:
	v_mov_b32_e32 v127, 0
	ds_read_b32 v129, v127 offset:992
	v_add_u32_e32 v128, 1, v0
	s_waitcnt lgkmcnt(0)
	v_readfirstlane_b32 s6, v129
	s_cmp_eq_u32 s6, 0
	s_cselect_b64 s[18:19], -1, 0
	v_cmp_gt_i32_e32 vcc, s6, v128
	s_or_b64 s[18:19], s[18:19], vcc
	s_and_b64 exec, exec, s[18:19]
	s_cbranch_execz .LBB125_10
; %bb.8:
	s_mov_b64 s[18:19], 0
	v_mov_b32_e32 v129, s6
.LBB125_9:                              ; =>This Inner Loop Header: Depth=1
	ds_cmpst_rtn_b32 v129, v127, v129, v128 offset:992
	s_waitcnt lgkmcnt(0)
	v_cmp_ne_u32_e32 vcc, 0, v129
	v_cmp_le_i32_e64 s[6:7], v129, v128
	s_and_b64 s[6:7], vcc, s[6:7]
	s_and_b64 s[6:7], exec, s[6:7]
	s_or_b64 s[18:19], s[6:7], s[18:19]
	s_andn2_b64 exec, exec, s[18:19]
	s_cbranch_execnz .LBB125_9
.LBB125_10:
	s_or_b64 exec, exec, s[12:13]
	v_mov_b32_e32 v128, 0
	s_waitcnt lgkmcnt(0)
	; wave barrier
	ds_read_b32 v127, v128 offset:992
	s_and_saveexec_b64 s[6:7], s[4:5]
	s_cbranch_execz .LBB125_12
; %bb.11:
	s_lshl_b64 s[12:13], s[8:9], 2
	s_add_u32 s12, s14, s12
	s_addc_u32 s13, s15, s13
	s_waitcnt lgkmcnt(0)
	global_store_dword v128, v127, s[12:13]
.LBB125_12:
	s_or_b64 exec, exec, s[6:7]
	s_waitcnt lgkmcnt(0)
	v_cmp_ne_u32_e32 vcc, 0, v127
	s_mov_b64 s[6:7], 0
	s_cbranch_vccnz .LBB125_254
; %bb.13:
	buffer_load_dword v128, v126, s[0:3], 0 offen
	buffer_load_dword v129, v126, s[0:3], 0 offen offset:4
	s_waitcnt vmcnt(0)
	v_div_scale_f64 v[130:131], s[6:7], v[128:129], v[128:129], 1.0
	v_rcp_f64_e32 v[132:133], v[130:131]
	v_div_scale_f64 v[134:135], vcc, 1.0, v[128:129], 1.0
	v_fma_f64 v[136:137], -v[130:131], v[132:133], 1.0
	v_fmac_f64_e32 v[132:133], v[132:133], v[136:137]
	v_fma_f64 v[136:137], -v[130:131], v[132:133], 1.0
	v_fmac_f64_e32 v[132:133], v[132:133], v[136:137]
	v_mul_f64 v[136:137], v[134:135], v[132:133]
	v_fma_f64 v[130:131], -v[130:131], v[136:137], v[134:135]
	v_div_fmas_f64 v[130:131], v[130:131], v[132:133], v[136:137]
	v_div_fixup_f64 v[130:131], v[130:131], v[128:129], 1.0
	buffer_store_dword v131, v126, s[0:3], 0 offen offset:4
	buffer_store_dword v130, v126, s[0:3], 0 offen
	buffer_load_dword v133, off, s[0:3], 0 offset:12
	buffer_load_dword v132, off, s[0:3], 0 offset:8
	v_add_u32_e32 v128, 0x1f0, v1
	v_xor_b32_e32 v131, 0x80000000, v131
	s_waitcnt vmcnt(0)
	ds_write2_b64 v1, v[130:131], v[132:133] offset1:62
	s_waitcnt lgkmcnt(0)
	; wave barrier
	s_waitcnt lgkmcnt(0)
	s_and_saveexec_b64 s[6:7], s[4:5]
	s_cbranch_execz .LBB125_15
; %bb.14:
	buffer_load_dword v130, v126, s[0:3], 0 offen
	buffer_load_dword v131, v126, s[0:3], 0 offen offset:4
	v_mov_b32_e32 v127, 0
	ds_read_b64 v[132:133], v128
	ds_read_b64 v[134:135], v127 offset:8
	s_waitcnt vmcnt(0) lgkmcnt(1)
	v_fma_f64 v[130:131], v[130:131], v[132:133], 0
	s_waitcnt lgkmcnt(0)
	v_mul_f64 v[130:131], v[130:131], v[134:135]
	buffer_store_dword v130, off, s[0:3], 0 offset:8
	buffer_store_dword v131, off, s[0:3], 0 offset:12
.LBB125_15:
	s_or_b64 exec, exec, s[6:7]
	s_waitcnt lgkmcnt(0)
	; wave barrier
	buffer_load_dword v130, off, s[0:3], 0 offset:16
	buffer_load_dword v131, off, s[0:3], 0 offset:20
	v_cmp_gt_u32_e32 vcc, 2, v0
	s_waitcnt vmcnt(0)
	ds_write_b64 v128, v[130:131]
	s_waitcnt lgkmcnt(0)
	; wave barrier
	s_waitcnt lgkmcnt(0)
	s_and_saveexec_b64 s[6:7], vcc
	s_cbranch_execz .LBB125_17
; %bb.16:
	buffer_load_dword v127, v126, s[0:3], 0 offen offset:4
	buffer_load_dword v134, off, s[0:3], 0 offset:8
	s_nop 0
	buffer_load_dword v126, v126, s[0:3], 0 offen
	s_nop 0
	buffer_load_dword v135, off, s[0:3], 0 offset:12
	ds_read_b64 v[136:137], v128
	v_mov_b32_e32 v129, 0
	ds_read2_b64 v[130:133], v129 offset0:2 offset1:63
	s_waitcnt vmcnt(1) lgkmcnt(1)
	v_fma_f64 v[126:127], v[126:127], v[136:137], 0
	s_waitcnt vmcnt(0) lgkmcnt(0)
	v_fma_f64 v[132:133], v[134:135], v[132:133], v[126:127]
	v_cndmask_b32_e64 v127, v127, v133, s[4:5]
	v_cndmask_b32_e64 v126, v126, v132, s[4:5]
	v_mul_f64 v[126:127], v[126:127], v[130:131]
	buffer_store_dword v127, off, s[0:3], 0 offset:20
	buffer_store_dword v126, off, s[0:3], 0 offset:16
.LBB125_17:
	s_or_b64 exec, exec, s[6:7]
	s_waitcnt lgkmcnt(0)
	; wave barrier
	buffer_load_dword v126, off, s[0:3], 0 offset:24
	buffer_load_dword v127, off, s[0:3], 0 offset:28
	v_cmp_gt_u32_e32 vcc, 3, v0
	v_add_u32_e32 v129, -1, v0
	s_waitcnt vmcnt(0)
	ds_write_b64 v128, v[126:127]
	s_waitcnt lgkmcnt(0)
	; wave barrier
	s_waitcnt lgkmcnt(0)
	s_and_saveexec_b64 s[4:5], vcc
	s_cbranch_execz .LBB125_21
; %bb.18:
	v_add_u32_e32 v130, -1, v0
	v_add_u32_e32 v131, 0x1f0, v1
	v_add_u32_e32 v132, 0, v1
	s_mov_b64 s[6:7], 0
	v_pk_mov_b32 v[126:127], 0, 0
.LBB125_19:                             ; =>This Inner Loop Header: Depth=1
	buffer_load_dword v134, v132, s[0:3], 0 offen
	buffer_load_dword v135, v132, s[0:3], 0 offen offset:4
	ds_read_b64 v[136:137], v131
	v_add_u32_e32 v130, 1, v130
	v_cmp_lt_u32_e32 vcc, 1, v130
	v_add_u32_e32 v131, 8, v131
	v_add_u32_e32 v132, 8, v132
	s_or_b64 s[6:7], vcc, s[6:7]
	s_waitcnt vmcnt(0) lgkmcnt(0)
	v_fmac_f64_e32 v[126:127], v[134:135], v[136:137]
	s_andn2_b64 exec, exec, s[6:7]
	s_cbranch_execnz .LBB125_19
; %bb.20:
	s_or_b64 exec, exec, s[6:7]
	v_mov_b32_e32 v130, 0
	ds_read_b64 v[130:131], v130 offset:24
	s_waitcnt lgkmcnt(0)
	v_mul_f64 v[126:127], v[126:127], v[130:131]
	buffer_store_dword v127, off, s[0:3], 0 offset:28
	buffer_store_dword v126, off, s[0:3], 0 offset:24
.LBB125_21:
	s_or_b64 exec, exec, s[4:5]
	s_waitcnt lgkmcnt(0)
	; wave barrier
	buffer_load_dword v126, off, s[0:3], 0 offset:32
	buffer_load_dword v127, off, s[0:3], 0 offset:36
	v_cmp_gt_u32_e32 vcc, 4, v0
	s_waitcnt vmcnt(0)
	ds_write_b64 v128, v[126:127]
	s_waitcnt lgkmcnt(0)
	; wave barrier
	s_waitcnt lgkmcnt(0)
	s_and_saveexec_b64 s[4:5], vcc
	s_cbranch_execz .LBB125_25
; %bb.22:
	v_add_u32_e32 v130, -1, v0
	v_add_u32_e32 v131, 0x1f0, v1
	v_add_u32_e32 v132, 0, v1
	s_mov_b64 s[6:7], 0
	v_pk_mov_b32 v[126:127], 0, 0
.LBB125_23:                             ; =>This Inner Loop Header: Depth=1
	buffer_load_dword v134, v132, s[0:3], 0 offen
	buffer_load_dword v135, v132, s[0:3], 0 offen offset:4
	ds_read_b64 v[136:137], v131
	v_add_u32_e32 v130, 1, v130
	v_cmp_lt_u32_e32 vcc, 2, v130
	v_add_u32_e32 v131, 8, v131
	v_add_u32_e32 v132, 8, v132
	s_or_b64 s[6:7], vcc, s[6:7]
	s_waitcnt vmcnt(0) lgkmcnt(0)
	v_fmac_f64_e32 v[126:127], v[134:135], v[136:137]
	s_andn2_b64 exec, exec, s[6:7]
	s_cbranch_execnz .LBB125_23
; %bb.24:
	s_or_b64 exec, exec, s[6:7]
	v_mov_b32_e32 v130, 0
	ds_read_b64 v[130:131], v130 offset:32
	s_waitcnt lgkmcnt(0)
	v_mul_f64 v[126:127], v[126:127], v[130:131]
	buffer_store_dword v127, off, s[0:3], 0 offset:36
	buffer_store_dword v126, off, s[0:3], 0 offset:32
.LBB125_25:
	s_or_b64 exec, exec, s[4:5]
	s_waitcnt lgkmcnt(0)
	; wave barrier
	buffer_load_dword v126, off, s[0:3], 0 offset:40
	buffer_load_dword v127, off, s[0:3], 0 offset:44
	v_cmp_gt_u32_e32 vcc, 5, v0
	;; [unrolled: 41-line block ×21, first 2 shown]
	s_waitcnt vmcnt(0)
	ds_write_b64 v128, v[126:127]
	s_waitcnt lgkmcnt(0)
	; wave barrier
	s_waitcnt lgkmcnt(0)
	s_and_saveexec_b64 s[4:5], vcc
	s_cbranch_execz .LBB125_105
; %bb.102:
	v_add_u32_e32 v130, -1, v0
	v_add_u32_e32 v131, 0x1f0, v1
	v_add_u32_e32 v132, 0, v1
	s_mov_b64 s[6:7], 0
	v_pk_mov_b32 v[126:127], 0, 0
.LBB125_103:                            ; =>This Inner Loop Header: Depth=1
	buffer_load_dword v134, v132, s[0:3], 0 offen
	buffer_load_dword v135, v132, s[0:3], 0 offen offset:4
	ds_read_b64 v[136:137], v131
	v_add_u32_e32 v130, 1, v130
	v_cmp_lt_u32_e32 vcc, 22, v130
	v_add_u32_e32 v131, 8, v131
	v_add_u32_e32 v132, 8, v132
	s_or_b64 s[6:7], vcc, s[6:7]
	s_waitcnt vmcnt(0) lgkmcnt(0)
	v_fmac_f64_e32 v[126:127], v[134:135], v[136:137]
	s_andn2_b64 exec, exec, s[6:7]
	s_cbranch_execnz .LBB125_103
; %bb.104:
	s_or_b64 exec, exec, s[6:7]
	v_mov_b32_e32 v130, 0
	ds_read_b64 v[130:131], v130 offset:192
	s_waitcnt lgkmcnt(0)
	v_mul_f64 v[126:127], v[126:127], v[130:131]
	buffer_store_dword v127, off, s[0:3], 0 offset:196
	buffer_store_dword v126, off, s[0:3], 0 offset:192
.LBB125_105:
	s_or_b64 exec, exec, s[4:5]
	s_waitcnt lgkmcnt(0)
	; wave barrier
	buffer_load_dword v126, off, s[0:3], 0 offset:200
	buffer_load_dword v127, off, s[0:3], 0 offset:204
	v_cmp_gt_u32_e32 vcc, 25, v0
	s_waitcnt vmcnt(0)
	ds_write_b64 v128, v[126:127]
	s_waitcnt lgkmcnt(0)
	; wave barrier
	s_waitcnt lgkmcnt(0)
	s_and_saveexec_b64 s[4:5], vcc
	s_cbranch_execz .LBB125_109
; %bb.106:
	v_add_u32_e32 v130, -1, v0
	v_add_u32_e32 v131, 0x1f0, v1
	v_add_u32_e32 v132, 0, v1
	s_mov_b64 s[6:7], 0
	v_pk_mov_b32 v[126:127], 0, 0
.LBB125_107:                            ; =>This Inner Loop Header: Depth=1
	buffer_load_dword v134, v132, s[0:3], 0 offen
	buffer_load_dword v135, v132, s[0:3], 0 offen offset:4
	ds_read_b64 v[136:137], v131
	v_add_u32_e32 v130, 1, v130
	v_cmp_lt_u32_e32 vcc, 23, v130
	v_add_u32_e32 v131, 8, v131
	v_add_u32_e32 v132, 8, v132
	s_or_b64 s[6:7], vcc, s[6:7]
	s_waitcnt vmcnt(0) lgkmcnt(0)
	v_fmac_f64_e32 v[126:127], v[134:135], v[136:137]
	s_andn2_b64 exec, exec, s[6:7]
	s_cbranch_execnz .LBB125_107
; %bb.108:
	s_or_b64 exec, exec, s[6:7]
	v_mov_b32_e32 v130, 0
	ds_read_b64 v[130:131], v130 offset:200
	s_waitcnt lgkmcnt(0)
	v_mul_f64 v[126:127], v[126:127], v[130:131]
	buffer_store_dword v127, off, s[0:3], 0 offset:204
	buffer_store_dword v126, off, s[0:3], 0 offset:200
.LBB125_109:
	s_or_b64 exec, exec, s[4:5]
	s_waitcnt lgkmcnt(0)
	; wave barrier
	buffer_load_dword v126, off, s[0:3], 0 offset:208
	buffer_load_dword v127, off, s[0:3], 0 offset:212
	v_cmp_gt_u32_e32 vcc, 26, v0
	;; [unrolled: 41-line block ×36, first 2 shown]
	s_waitcnt vmcnt(0)
	ds_write_b64 v128, v[126:127]
	s_waitcnt lgkmcnt(0)
	; wave barrier
	s_waitcnt lgkmcnt(0)
	s_and_saveexec_b64 s[4:5], vcc
	s_cbranch_execz .LBB125_249
; %bb.246:
	v_add_u32_e32 v130, -1, v0
	v_add_u32_e32 v131, 0x1f0, v1
	v_add_u32_e32 v132, 0, v1
	s_mov_b64 s[6:7], 0
	v_pk_mov_b32 v[126:127], 0, 0
.LBB125_247:                            ; =>This Inner Loop Header: Depth=1
	buffer_load_dword v134, v132, s[0:3], 0 offen
	buffer_load_dword v135, v132, s[0:3], 0 offen offset:4
	ds_read_b64 v[136:137], v131
	v_add_u32_e32 v130, 1, v130
	v_cmp_lt_u32_e32 vcc, 58, v130
	v_add_u32_e32 v131, 8, v131
	v_add_u32_e32 v132, 8, v132
	s_or_b64 s[6:7], vcc, s[6:7]
	s_waitcnt vmcnt(0) lgkmcnt(0)
	v_fmac_f64_e32 v[126:127], v[134:135], v[136:137]
	s_andn2_b64 exec, exec, s[6:7]
	s_cbranch_execnz .LBB125_247
; %bb.248:
	s_or_b64 exec, exec, s[6:7]
	v_mov_b32_e32 v130, 0
	ds_read_b64 v[130:131], v130 offset:480
	s_waitcnt lgkmcnt(0)
	v_mul_f64 v[126:127], v[126:127], v[130:131]
	buffer_store_dword v127, off, s[0:3], 0 offset:484
	buffer_store_dword v126, off, s[0:3], 0 offset:480
.LBB125_249:
	s_or_b64 exec, exec, s[4:5]
	s_waitcnt lgkmcnt(0)
	; wave barrier
	buffer_load_dword v126, off, s[0:3], 0 offset:488
	buffer_load_dword v127, off, s[0:3], 0 offset:492
	v_cmp_ne_u32_e32 vcc, 61, v0
	s_waitcnt vmcnt(0)
	ds_write_b64 v128, v[126:127]
	s_waitcnt lgkmcnt(0)
	; wave barrier
	s_waitcnt lgkmcnt(0)
	s_and_saveexec_b64 s[4:5], vcc
	s_cbranch_execz .LBB125_253
; %bb.250:
	v_add_u32_e32 v128, 0x1f0, v1
	v_add_u32_e32 v1, 0, v1
	s_mov_b64 s[6:7], 0
	v_pk_mov_b32 v[126:127], 0, 0
.LBB125_251:                            ; =>This Inner Loop Header: Depth=1
	buffer_load_dword v130, v1, s[0:3], 0 offen
	buffer_load_dword v131, v1, s[0:3], 0 offen offset:4
	ds_read_b64 v[132:133], v128
	v_add_u32_e32 v129, 1, v129
	v_cmp_lt_u32_e32 vcc, 59, v129
	v_add_u32_e32 v128, 8, v128
	v_add_u32_e32 v1, 8, v1
	s_or_b64 s[6:7], vcc, s[6:7]
	s_waitcnt vmcnt(0) lgkmcnt(0)
	v_fmac_f64_e32 v[126:127], v[130:131], v[132:133]
	s_andn2_b64 exec, exec, s[6:7]
	s_cbranch_execnz .LBB125_251
; %bb.252:
	s_or_b64 exec, exec, s[6:7]
	v_mov_b32_e32 v1, 0
	ds_read_b64 v[128:129], v1 offset:488
	s_waitcnt lgkmcnt(0)
	v_mul_f64 v[126:127], v[126:127], v[128:129]
	buffer_store_dword v127, off, s[0:3], 0 offset:492
	buffer_store_dword v126, off, s[0:3], 0 offset:488
.LBB125_253:
	s_or_b64 exec, exec, s[4:5]
	s_mov_b64 s[6:7], -1
	s_waitcnt lgkmcnt(0)
	; wave barrier
.LBB125_254:
	s_and_b64 vcc, exec, s[6:7]
	s_cbranch_vccz .LBB125_256
; %bb.255:
	s_lshl_b64 s[4:5], s[8:9], 2
	s_add_u32 s4, s14, s4
	s_addc_u32 s5, s15, s5
	v_mov_b32_e32 v1, 0
	global_load_dword v1, v1, s[4:5]
	s_waitcnt vmcnt(0)
	v_cmp_ne_u32_e32 vcc, 0, v1
	s_cbranch_vccz .LBB125_257
.LBB125_256:
	s_endpgm
.LBB125_257:
	v_mov_b32_e32 v1, 0x1f0
	v_lshl_add_u32 v1, v0, 3, v1
	v_cmp_eq_u32_e32 vcc, 61, v0
	s_and_saveexec_b64 s[4:5], vcc
	s_cbranch_execz .LBB125_259
; %bb.258:
	buffer_load_dword v126, off, s[0:3], 0 offset:480
	buffer_load_dword v127, off, s[0:3], 0 offset:484
	v_mov_b32_e32 v128, 0
	buffer_store_dword v128, off, s[0:3], 0 offset:480
	buffer_store_dword v128, off, s[0:3], 0 offset:484
	s_waitcnt vmcnt(2)
	ds_write_b64 v1, v[126:127]
.LBB125_259:
	s_or_b64 exec, exec, s[4:5]
	s_waitcnt lgkmcnt(0)
	; wave barrier
	s_waitcnt lgkmcnt(0)
	buffer_load_dword v128, off, s[0:3], 0 offset:488
	buffer_load_dword v129, off, s[0:3], 0 offset:492
	;; [unrolled: 1-line block ×4, first 2 shown]
	v_mov_b32_e32 v126, 0
	ds_read_b64 v[132:133], v126 offset:984
	v_cmp_lt_u32_e32 vcc, 59, v0
	s_waitcnt vmcnt(2) lgkmcnt(0)
	v_fma_f64 v[128:129], v[128:129], v[132:133], 0
	s_waitcnt vmcnt(0)
	v_add_f64 v[128:129], v[130:131], -v[128:129]
	buffer_store_dword v128, off, s[0:3], 0 offset:480
	buffer_store_dword v129, off, s[0:3], 0 offset:484
	s_and_saveexec_b64 s[4:5], vcc
	s_cbranch_execz .LBB125_261
; %bb.260:
	buffer_load_dword v128, off, s[0:3], 0 offset:472
	buffer_load_dword v129, off, s[0:3], 0 offset:476
	s_waitcnt vmcnt(0)
	ds_write_b64 v1, v[128:129]
	buffer_store_dword v126, off, s[0:3], 0 offset:472
	buffer_store_dword v126, off, s[0:3], 0 offset:476
.LBB125_261:
	s_or_b64 exec, exec, s[4:5]
	s_waitcnt lgkmcnt(0)
	; wave barrier
	s_waitcnt lgkmcnt(0)
	buffer_load_dword v130, off, s[0:3], 0 offset:480
	buffer_load_dword v131, off, s[0:3], 0 offset:484
	;; [unrolled: 1-line block ×6, first 2 shown]
	ds_read_b128 v[126:129], v126 offset:976
	v_cmp_lt_u32_e32 vcc, 58, v0
	s_waitcnt vmcnt(4) lgkmcnt(0)
	v_fma_f64 v[126:127], v[130:131], v[126:127], 0
	s_waitcnt vmcnt(2)
	v_fmac_f64_e32 v[126:127], v[132:133], v[128:129]
	s_waitcnt vmcnt(0)
	v_add_f64 v[126:127], v[134:135], -v[126:127]
	buffer_store_dword v126, off, s[0:3], 0 offset:472
	buffer_store_dword v127, off, s[0:3], 0 offset:476
	s_and_saveexec_b64 s[4:5], vcc
	s_cbranch_execz .LBB125_263
; %bb.262:
	buffer_load_dword v126, off, s[0:3], 0 offset:464
	buffer_load_dword v127, off, s[0:3], 0 offset:468
	v_mov_b32_e32 v128, 0
	buffer_store_dword v128, off, s[0:3], 0 offset:464
	buffer_store_dword v128, off, s[0:3], 0 offset:468
	s_waitcnt vmcnt(2)
	ds_write_b64 v1, v[126:127]
.LBB125_263:
	s_or_b64 exec, exec, s[4:5]
	s_waitcnt lgkmcnt(0)
	; wave barrier
	s_waitcnt lgkmcnt(0)
	buffer_load_dword v132, off, s[0:3], 0 offset:472
	buffer_load_dword v133, off, s[0:3], 0 offset:476
	;; [unrolled: 1-line block ×8, first 2 shown]
	v_mov_b32_e32 v126, 0
	ds_read2_b64 v[128:131], v126 offset0:121 offset1:122
	ds_read_b64 v[140:141], v126 offset:984
	v_cmp_lt_u32_e32 vcc, 57, v0
	s_waitcnt vmcnt(6) lgkmcnt(1)
	v_fma_f64 v[128:129], v[132:133], v[128:129], 0
	s_waitcnt vmcnt(4)
	v_fmac_f64_e32 v[128:129], v[134:135], v[130:131]
	s_waitcnt vmcnt(2) lgkmcnt(0)
	v_fmac_f64_e32 v[128:129], v[136:137], v[140:141]
	s_waitcnt vmcnt(0)
	v_add_f64 v[128:129], v[138:139], -v[128:129]
	buffer_store_dword v128, off, s[0:3], 0 offset:464
	buffer_store_dword v129, off, s[0:3], 0 offset:468
	s_and_saveexec_b64 s[4:5], vcc
	s_cbranch_execz .LBB125_265
; %bb.264:
	buffer_load_dword v128, off, s[0:3], 0 offset:456
	buffer_load_dword v129, off, s[0:3], 0 offset:460
	s_waitcnt vmcnt(0)
	ds_write_b64 v1, v[128:129]
	buffer_store_dword v126, off, s[0:3], 0 offset:456
	buffer_store_dword v126, off, s[0:3], 0 offset:460
.LBB125_265:
	s_or_b64 exec, exec, s[4:5]
	s_waitcnt lgkmcnt(0)
	; wave barrier
	s_waitcnt lgkmcnt(0)
	buffer_load_dword v136, off, s[0:3], 0 offset:464
	buffer_load_dword v137, off, s[0:3], 0 offset:468
	;; [unrolled: 1-line block ×10, first 2 shown]
	ds_read_b128 v[128:131], v126 offset:960
	ds_read_b128 v[132:135], v126 offset:976
	v_cmp_lt_u32_e32 vcc, 56, v0
	s_waitcnt vmcnt(8) lgkmcnt(1)
	v_fma_f64 v[126:127], v[136:137], v[128:129], 0
	s_waitcnt vmcnt(6)
	v_fmac_f64_e32 v[126:127], v[138:139], v[130:131]
	s_waitcnt vmcnt(4) lgkmcnt(0)
	v_fmac_f64_e32 v[126:127], v[140:141], v[132:133]
	s_waitcnt vmcnt(2)
	v_fmac_f64_e32 v[126:127], v[142:143], v[134:135]
	s_waitcnt vmcnt(0)
	v_add_f64 v[126:127], v[144:145], -v[126:127]
	buffer_store_dword v126, off, s[0:3], 0 offset:456
	buffer_store_dword v127, off, s[0:3], 0 offset:460
	s_and_saveexec_b64 s[4:5], vcc
	s_cbranch_execz .LBB125_267
; %bb.266:
	buffer_load_dword v126, off, s[0:3], 0 offset:448
	buffer_load_dword v127, off, s[0:3], 0 offset:452
	v_mov_b32_e32 v128, 0
	buffer_store_dword v128, off, s[0:3], 0 offset:448
	buffer_store_dword v128, off, s[0:3], 0 offset:452
	s_waitcnt vmcnt(2)
	ds_write_b64 v1, v[126:127]
.LBB125_267:
	s_or_b64 exec, exec, s[4:5]
	s_waitcnt lgkmcnt(0)
	; wave barrier
	s_waitcnt lgkmcnt(0)
	buffer_load_dword v136, off, s[0:3], 0 offset:456
	buffer_load_dword v137, off, s[0:3], 0 offset:460
	;; [unrolled: 1-line block ×12, first 2 shown]
	v_mov_b32_e32 v126, 0
	ds_read2_b64 v[128:131], v126 offset0:119 offset1:120
	ds_read2_b64 v[132:135], v126 offset0:121 offset1:122
	ds_read_b64 v[148:149], v126 offset:984
	v_cmp_lt_u32_e32 vcc, 55, v0
	s_waitcnt vmcnt(10) lgkmcnt(2)
	v_fma_f64 v[128:129], v[136:137], v[128:129], 0
	s_waitcnt vmcnt(8)
	v_fmac_f64_e32 v[128:129], v[138:139], v[130:131]
	s_waitcnt vmcnt(6) lgkmcnt(1)
	v_fmac_f64_e32 v[128:129], v[140:141], v[132:133]
	s_waitcnt vmcnt(4)
	v_fmac_f64_e32 v[128:129], v[142:143], v[134:135]
	s_waitcnt vmcnt(2) lgkmcnt(0)
	v_fmac_f64_e32 v[128:129], v[144:145], v[148:149]
	s_waitcnt vmcnt(0)
	v_add_f64 v[128:129], v[146:147], -v[128:129]
	buffer_store_dword v128, off, s[0:3], 0 offset:448
	buffer_store_dword v129, off, s[0:3], 0 offset:452
	s_and_saveexec_b64 s[4:5], vcc
	s_cbranch_execz .LBB125_269
; %bb.268:
	buffer_load_dword v128, off, s[0:3], 0 offset:440
	buffer_load_dword v129, off, s[0:3], 0 offset:444
	s_waitcnt vmcnt(0)
	ds_write_b64 v1, v[128:129]
	buffer_store_dword v126, off, s[0:3], 0 offset:440
	buffer_store_dword v126, off, s[0:3], 0 offset:444
.LBB125_269:
	s_or_b64 exec, exec, s[4:5]
	s_waitcnt lgkmcnt(0)
	; wave barrier
	s_waitcnt lgkmcnt(0)
	buffer_load_dword v140, off, s[0:3], 0 offset:448
	buffer_load_dword v141, off, s[0:3], 0 offset:452
	;; [unrolled: 1-line block ×14, first 2 shown]
	ds_read_b128 v[128:131], v126 offset:944
	ds_read_b128 v[132:135], v126 offset:960
	;; [unrolled: 1-line block ×3, first 2 shown]
	v_cmp_lt_u32_e32 vcc, 54, v0
	s_waitcnt vmcnt(12) lgkmcnt(2)
	v_fma_f64 v[126:127], v[140:141], v[128:129], 0
	s_waitcnt vmcnt(10)
	v_fmac_f64_e32 v[126:127], v[142:143], v[130:131]
	s_waitcnt vmcnt(8) lgkmcnt(1)
	v_fmac_f64_e32 v[126:127], v[144:145], v[132:133]
	s_waitcnt vmcnt(6)
	v_fmac_f64_e32 v[126:127], v[146:147], v[134:135]
	s_waitcnt vmcnt(4) lgkmcnt(0)
	v_fmac_f64_e32 v[126:127], v[148:149], v[136:137]
	s_waitcnt vmcnt(2)
	v_fmac_f64_e32 v[126:127], v[150:151], v[138:139]
	s_waitcnt vmcnt(0)
	v_add_f64 v[126:127], v[152:153], -v[126:127]
	buffer_store_dword v126, off, s[0:3], 0 offset:440
	buffer_store_dword v127, off, s[0:3], 0 offset:444
	s_and_saveexec_b64 s[4:5], vcc
	s_cbranch_execz .LBB125_271
; %bb.270:
	buffer_load_dword v126, off, s[0:3], 0 offset:432
	buffer_load_dword v127, off, s[0:3], 0 offset:436
	v_mov_b32_e32 v128, 0
	buffer_store_dword v128, off, s[0:3], 0 offset:432
	buffer_store_dword v128, off, s[0:3], 0 offset:436
	s_waitcnt vmcnt(2)
	ds_write_b64 v1, v[126:127]
.LBB125_271:
	s_or_b64 exec, exec, s[4:5]
	s_waitcnt lgkmcnt(0)
	; wave barrier
	s_waitcnt lgkmcnt(0)
	buffer_load_dword v140, off, s[0:3], 0 offset:440
	buffer_load_dword v141, off, s[0:3], 0 offset:444
	;; [unrolled: 1-line block ×16, first 2 shown]
	v_mov_b32_e32 v126, 0
	ds_read2_b64 v[128:131], v126 offset0:117 offset1:118
	ds_read2_b64 v[132:135], v126 offset0:119 offset1:120
	;; [unrolled: 1-line block ×3, first 2 shown]
	ds_read_b64 v[156:157], v126 offset:984
	v_cmp_lt_u32_e32 vcc, 53, v0
	s_waitcnt vmcnt(14) lgkmcnt(3)
	v_fma_f64 v[128:129], v[140:141], v[128:129], 0
	s_waitcnt vmcnt(12)
	v_fmac_f64_e32 v[128:129], v[142:143], v[130:131]
	s_waitcnt vmcnt(10) lgkmcnt(2)
	v_fmac_f64_e32 v[128:129], v[144:145], v[132:133]
	s_waitcnt vmcnt(8)
	v_fmac_f64_e32 v[128:129], v[146:147], v[134:135]
	s_waitcnt vmcnt(6) lgkmcnt(1)
	v_fmac_f64_e32 v[128:129], v[148:149], v[136:137]
	;; [unrolled: 4-line block ×3, first 2 shown]
	s_waitcnt vmcnt(0)
	v_add_f64 v[128:129], v[154:155], -v[128:129]
	buffer_store_dword v128, off, s[0:3], 0 offset:432
	buffer_store_dword v129, off, s[0:3], 0 offset:436
	s_and_saveexec_b64 s[4:5], vcc
	s_cbranch_execz .LBB125_273
; %bb.272:
	buffer_load_dword v128, off, s[0:3], 0 offset:424
	buffer_load_dword v129, off, s[0:3], 0 offset:428
	s_waitcnt vmcnt(0)
	ds_write_b64 v1, v[128:129]
	buffer_store_dword v126, off, s[0:3], 0 offset:424
	buffer_store_dword v126, off, s[0:3], 0 offset:428
.LBB125_273:
	s_or_b64 exec, exec, s[4:5]
	s_waitcnt lgkmcnt(0)
	; wave barrier
	s_waitcnt lgkmcnt(0)
	buffer_load_dword v144, off, s[0:3], 0 offset:432
	buffer_load_dword v145, off, s[0:3], 0 offset:436
	;; [unrolled: 1-line block ×18, first 2 shown]
	ds_read_b128 v[128:131], v126 offset:928
	ds_read_b128 v[132:135], v126 offset:944
	ds_read_b128 v[136:139], v126 offset:960
	ds_read_b128 v[140:143], v126 offset:976
	v_cmp_lt_u32_e32 vcc, 52, v0
	s_waitcnt vmcnt(16) lgkmcnt(3)
	v_fma_f64 v[126:127], v[144:145], v[128:129], 0
	s_waitcnt vmcnt(14)
	v_fmac_f64_e32 v[126:127], v[146:147], v[130:131]
	s_waitcnt vmcnt(12) lgkmcnt(2)
	v_fmac_f64_e32 v[126:127], v[148:149], v[132:133]
	s_waitcnt vmcnt(10)
	v_fmac_f64_e32 v[126:127], v[150:151], v[134:135]
	s_waitcnt vmcnt(8) lgkmcnt(1)
	v_fmac_f64_e32 v[126:127], v[152:153], v[136:137]
	;; [unrolled: 4-line block ×3, first 2 shown]
	s_waitcnt vmcnt(2)
	v_fmac_f64_e32 v[126:127], v[158:159], v[142:143]
	s_waitcnt vmcnt(0)
	v_add_f64 v[126:127], v[160:161], -v[126:127]
	buffer_store_dword v126, off, s[0:3], 0 offset:424
	buffer_store_dword v127, off, s[0:3], 0 offset:428
	s_and_saveexec_b64 s[4:5], vcc
	s_cbranch_execz .LBB125_275
; %bb.274:
	buffer_load_dword v126, off, s[0:3], 0 offset:416
	buffer_load_dword v127, off, s[0:3], 0 offset:420
	v_mov_b32_e32 v128, 0
	buffer_store_dword v128, off, s[0:3], 0 offset:416
	buffer_store_dword v128, off, s[0:3], 0 offset:420
	s_waitcnt vmcnt(2)
	ds_write_b64 v1, v[126:127]
.LBB125_275:
	s_or_b64 exec, exec, s[4:5]
	s_waitcnt lgkmcnt(0)
	; wave barrier
	s_waitcnt lgkmcnt(0)
	buffer_load_dword v144, off, s[0:3], 0 offset:424
	buffer_load_dword v145, off, s[0:3], 0 offset:428
	;; [unrolled: 1-line block ×20, first 2 shown]
	v_mov_b32_e32 v126, 0
	ds_read2_b64 v[128:131], v126 offset0:115 offset1:116
	ds_read2_b64 v[132:135], v126 offset0:117 offset1:118
	;; [unrolled: 1-line block ×4, first 2 shown]
	ds_read_b64 v[164:165], v126 offset:984
	v_cmp_lt_u32_e32 vcc, 51, v0
	s_waitcnt vmcnt(18) lgkmcnt(4)
	v_fma_f64 v[128:129], v[144:145], v[128:129], 0
	s_waitcnt vmcnt(16)
	v_fmac_f64_e32 v[128:129], v[146:147], v[130:131]
	s_waitcnt vmcnt(14) lgkmcnt(3)
	v_fmac_f64_e32 v[128:129], v[148:149], v[132:133]
	s_waitcnt vmcnt(12)
	v_fmac_f64_e32 v[128:129], v[150:151], v[134:135]
	s_waitcnt vmcnt(10) lgkmcnt(2)
	v_fmac_f64_e32 v[128:129], v[152:153], v[136:137]
	;; [unrolled: 4-line block ×3, first 2 shown]
	s_waitcnt vmcnt(2)
	v_fmac_f64_e32 v[128:129], v[160:161], v[142:143]
	s_waitcnt lgkmcnt(0)
	v_fmac_f64_e32 v[128:129], v[158:159], v[164:165]
	s_waitcnt vmcnt(0)
	v_add_f64 v[128:129], v[162:163], -v[128:129]
	buffer_store_dword v128, off, s[0:3], 0 offset:416
	buffer_store_dword v129, off, s[0:3], 0 offset:420
	s_and_saveexec_b64 s[4:5], vcc
	s_cbranch_execz .LBB125_277
; %bb.276:
	buffer_load_dword v128, off, s[0:3], 0 offset:408
	buffer_load_dword v129, off, s[0:3], 0 offset:412
	s_waitcnt vmcnt(0)
	ds_write_b64 v1, v[128:129]
	buffer_store_dword v126, off, s[0:3], 0 offset:408
	buffer_store_dword v126, off, s[0:3], 0 offset:412
.LBB125_277:
	s_or_b64 exec, exec, s[4:5]
	s_waitcnt lgkmcnt(0)
	; wave barrier
	s_waitcnt lgkmcnt(0)
	buffer_load_dword v144, off, s[0:3], 0 offset:408
	buffer_load_dword v145, off, s[0:3], 0 offset:412
	;; [unrolled: 1-line block ×16, first 2 shown]
	ds_read_b128 v[128:131], v126 offset:912
	ds_read_b128 v[132:135], v126 offset:928
	;; [unrolled: 1-line block ×4, first 2 shown]
	v_cmp_lt_u32_e32 vcc, 50, v0
	s_waitcnt vmcnt(12) lgkmcnt(3)
	v_fma_f64 v[146:147], v[146:147], v[128:129], 0
	buffer_load_dword v129, off, s[0:3], 0 offset:476
	buffer_load_dword v128, off, s[0:3], 0 offset:472
	s_waitcnt vmcnt(12)
	v_fmac_f64_e32 v[146:147], v[148:149], v[130:131]
	buffer_load_dword v131, off, s[0:3], 0 offset:484
	buffer_load_dword v130, off, s[0:3], 0 offset:480
	s_waitcnt vmcnt(12) lgkmcnt(2)
	v_fmac_f64_e32 v[146:147], v[150:151], v[132:133]
	s_waitcnt vmcnt(10)
	v_fmac_f64_e32 v[146:147], v[152:153], v[134:135]
	s_waitcnt vmcnt(8) lgkmcnt(1)
	v_fmac_f64_e32 v[146:147], v[154:155], v[136:137]
	s_waitcnt vmcnt(6)
	v_fmac_f64_e32 v[146:147], v[156:157], v[138:139]
	;; [unrolled: 4-line block ×3, first 2 shown]
	ds_read_b128 v[126:129], v126 offset:976
	s_waitcnt vmcnt(0) lgkmcnt(0)
	v_fmac_f64_e32 v[146:147], v[130:131], v[126:127]
	buffer_load_dword v127, off, s[0:3], 0 offset:492
	buffer_load_dword v126, off, s[0:3], 0 offset:488
	s_waitcnt vmcnt(0)
	v_fmac_f64_e32 v[146:147], v[126:127], v[128:129]
	v_add_f64 v[126:127], v[144:145], -v[146:147]
	buffer_store_dword v126, off, s[0:3], 0 offset:408
	buffer_store_dword v127, off, s[0:3], 0 offset:412
	s_and_saveexec_b64 s[4:5], vcc
	s_cbranch_execz .LBB125_279
; %bb.278:
	buffer_load_dword v126, off, s[0:3], 0 offset:400
	buffer_load_dword v127, off, s[0:3], 0 offset:404
	v_mov_b32_e32 v128, 0
	buffer_store_dword v128, off, s[0:3], 0 offset:400
	buffer_store_dword v128, off, s[0:3], 0 offset:404
	s_waitcnt vmcnt(2)
	ds_write_b64 v1, v[126:127]
.LBB125_279:
	s_or_b64 exec, exec, s[4:5]
	s_waitcnt lgkmcnt(0)
	; wave barrier
	s_waitcnt lgkmcnt(0)
	buffer_load_dword v132, off, s[0:3], 0 offset:400
	buffer_load_dword v133, off, s[0:3], 0 offset:404
	;; [unrolled: 1-line block ×16, first 2 shown]
	v_mov_b32_e32 v126, 0
	ds_read2_b64 v[128:131], v126 offset0:113 offset1:114
	v_cmp_lt_u32_e32 vcc, 49, v0
	s_waitcnt vmcnt(12) lgkmcnt(0)
	v_fma_f64 v[134:135], v[134:135], v[128:129], 0
	s_waitcnt vmcnt(10)
	v_fmac_f64_e32 v[134:135], v[136:137], v[130:131]
	ds_read2_b64 v[128:131], v126 offset0:115 offset1:116
	s_waitcnt vmcnt(8) lgkmcnt(0)
	v_fmac_f64_e32 v[134:135], v[138:139], v[128:129]
	s_waitcnt vmcnt(6)
	v_fmac_f64_e32 v[134:135], v[140:141], v[130:131]
	ds_read2_b64 v[128:131], v126 offset0:117 offset1:118
	s_waitcnt vmcnt(4) lgkmcnt(0)
	v_fmac_f64_e32 v[134:135], v[142:143], v[128:129]
	;; [unrolled: 5-line block ×3, first 2 shown]
	buffer_load_dword v129, off, s[0:3], 0 offset:468
	buffer_load_dword v128, off, s[0:3], 0 offset:464
	;; [unrolled: 1-line block ×4, first 2 shown]
	s_waitcnt vmcnt(2)
	v_fmac_f64_e32 v[134:135], v[128:129], v[130:131]
	ds_read2_b64 v[128:131], v126 offset0:121 offset1:122
	s_waitcnt vmcnt(0) lgkmcnt(0)
	v_fmac_f64_e32 v[134:135], v[136:137], v[128:129]
	buffer_load_dword v129, off, s[0:3], 0 offset:484
	buffer_load_dword v128, off, s[0:3], 0 offset:480
	s_waitcnt vmcnt(0)
	v_fmac_f64_e32 v[134:135], v[128:129], v[130:131]
	buffer_load_dword v129, off, s[0:3], 0 offset:492
	buffer_load_dword v128, off, s[0:3], 0 offset:488
	ds_read_b64 v[130:131], v126 offset:984
	s_waitcnt vmcnt(0) lgkmcnt(0)
	v_fmac_f64_e32 v[134:135], v[128:129], v[130:131]
	v_add_f64 v[128:129], v[132:133], -v[134:135]
	buffer_store_dword v129, off, s[0:3], 0 offset:404
	buffer_store_dword v128, off, s[0:3], 0 offset:400
	s_and_saveexec_b64 s[4:5], vcc
	s_cbranch_execz .LBB125_281
; %bb.280:
	buffer_load_dword v128, off, s[0:3], 0 offset:392
	buffer_load_dword v129, off, s[0:3], 0 offset:396
	s_waitcnt vmcnt(0)
	ds_write_b64 v1, v[128:129]
	buffer_store_dword v126, off, s[0:3], 0 offset:392
	buffer_store_dword v126, off, s[0:3], 0 offset:396
.LBB125_281:
	s_or_b64 exec, exec, s[4:5]
	s_waitcnt lgkmcnt(0)
	; wave barrier
	s_waitcnt lgkmcnt(0)
	buffer_load_dword v144, off, s[0:3], 0 offset:392
	buffer_load_dword v145, off, s[0:3], 0 offset:396
	;; [unrolled: 1-line block ×16, first 2 shown]
	ds_read_b128 v[128:131], v126 offset:896
	ds_read_b128 v[132:135], v126 offset:912
	;; [unrolled: 1-line block ×4, first 2 shown]
	v_cmp_lt_u32_e32 vcc, 48, v0
	s_waitcnt vmcnt(12) lgkmcnt(3)
	v_fma_f64 v[146:147], v[146:147], v[128:129], 0
	buffer_load_dword v129, off, s[0:3], 0 offset:460
	buffer_load_dword v128, off, s[0:3], 0 offset:456
	s_waitcnt vmcnt(12)
	v_fmac_f64_e32 v[146:147], v[148:149], v[130:131]
	s_waitcnt vmcnt(10) lgkmcnt(2)
	v_fmac_f64_e32 v[146:147], v[150:151], v[132:133]
	buffer_load_dword v133, off, s[0:3], 0 offset:468
	buffer_load_dword v132, off, s[0:3], 0 offset:464
	s_waitcnt vmcnt(10)
	v_fmac_f64_e32 v[146:147], v[152:153], v[134:135]
	s_waitcnt vmcnt(8) lgkmcnt(1)
	v_fmac_f64_e32 v[146:147], v[154:155], v[136:137]
	s_waitcnt vmcnt(6)
	v_fmac_f64_e32 v[146:147], v[156:157], v[138:139]
	s_waitcnt vmcnt(4) lgkmcnt(0)
	v_fmac_f64_e32 v[146:147], v[158:159], v[140:141]
	s_waitcnt vmcnt(2)
	v_fmac_f64_e32 v[146:147], v[128:129], v[142:143]
	ds_read_b128 v[128:131], v126 offset:960
	s_waitcnt vmcnt(0) lgkmcnt(0)
	v_fmac_f64_e32 v[146:147], v[132:133], v[128:129]
	buffer_load_dword v129, off, s[0:3], 0 offset:476
	buffer_load_dword v128, off, s[0:3], 0 offset:472
	s_waitcnt vmcnt(0)
	v_fmac_f64_e32 v[146:147], v[128:129], v[130:131]
	buffer_load_dword v131, off, s[0:3], 0 offset:484
	buffer_load_dword v130, off, s[0:3], 0 offset:480
	ds_read_b128 v[126:129], v126 offset:976
	s_waitcnt vmcnt(0) lgkmcnt(0)
	v_fmac_f64_e32 v[146:147], v[130:131], v[126:127]
	buffer_load_dword v127, off, s[0:3], 0 offset:492
	buffer_load_dword v126, off, s[0:3], 0 offset:488
	s_waitcnt vmcnt(0)
	v_fmac_f64_e32 v[146:147], v[126:127], v[128:129]
	v_add_f64 v[126:127], v[144:145], -v[146:147]
	buffer_store_dword v127, off, s[0:3], 0 offset:396
	buffer_store_dword v126, off, s[0:3], 0 offset:392
	s_and_saveexec_b64 s[4:5], vcc
	s_cbranch_execz .LBB125_283
; %bb.282:
	buffer_load_dword v126, off, s[0:3], 0 offset:384
	buffer_load_dword v127, off, s[0:3], 0 offset:388
	v_mov_b32_e32 v128, 0
	buffer_store_dword v128, off, s[0:3], 0 offset:384
	buffer_store_dword v128, off, s[0:3], 0 offset:388
	s_waitcnt vmcnt(2)
	ds_write_b64 v1, v[126:127]
.LBB125_283:
	s_or_b64 exec, exec, s[4:5]
	s_waitcnt lgkmcnt(0)
	; wave barrier
	s_waitcnt lgkmcnt(0)
	buffer_load_dword v132, off, s[0:3], 0 offset:384
	buffer_load_dword v133, off, s[0:3], 0 offset:388
	;; [unrolled: 1-line block ×16, first 2 shown]
	v_mov_b32_e32 v126, 0
	ds_read2_b64 v[128:131], v126 offset0:111 offset1:112
	v_cmp_lt_u32_e32 vcc, 47, v0
	s_waitcnt vmcnt(12) lgkmcnt(0)
	v_fma_f64 v[134:135], v[134:135], v[128:129], 0
	s_waitcnt vmcnt(10)
	v_fmac_f64_e32 v[134:135], v[136:137], v[130:131]
	ds_read2_b64 v[128:131], v126 offset0:113 offset1:114
	s_waitcnt vmcnt(8) lgkmcnt(0)
	v_fmac_f64_e32 v[134:135], v[138:139], v[128:129]
	s_waitcnt vmcnt(6)
	v_fmac_f64_e32 v[134:135], v[140:141], v[130:131]
	ds_read2_b64 v[128:131], v126 offset0:115 offset1:116
	s_waitcnt vmcnt(4) lgkmcnt(0)
	v_fmac_f64_e32 v[134:135], v[142:143], v[128:129]
	;; [unrolled: 5-line block ×3, first 2 shown]
	buffer_load_dword v129, off, s[0:3], 0 offset:452
	buffer_load_dword v128, off, s[0:3], 0 offset:448
	;; [unrolled: 1-line block ×4, first 2 shown]
	s_waitcnt vmcnt(2)
	v_fmac_f64_e32 v[134:135], v[128:129], v[130:131]
	ds_read2_b64 v[128:131], v126 offset0:119 offset1:120
	s_waitcnt vmcnt(0) lgkmcnt(0)
	v_fmac_f64_e32 v[134:135], v[136:137], v[128:129]
	buffer_load_dword v129, off, s[0:3], 0 offset:468
	buffer_load_dword v128, off, s[0:3], 0 offset:464
	buffer_load_dword v137, off, s[0:3], 0 offset:476
	buffer_load_dword v136, off, s[0:3], 0 offset:472
	s_waitcnt vmcnt(2)
	v_fmac_f64_e32 v[134:135], v[128:129], v[130:131]
	ds_read2_b64 v[128:131], v126 offset0:121 offset1:122
	s_waitcnt vmcnt(0) lgkmcnt(0)
	v_fmac_f64_e32 v[134:135], v[136:137], v[128:129]
	buffer_load_dword v129, off, s[0:3], 0 offset:484
	buffer_load_dword v128, off, s[0:3], 0 offset:480
	s_waitcnt vmcnt(0)
	v_fmac_f64_e32 v[134:135], v[128:129], v[130:131]
	buffer_load_dword v129, off, s[0:3], 0 offset:492
	buffer_load_dword v128, off, s[0:3], 0 offset:488
	ds_read_b64 v[130:131], v126 offset:984
	s_waitcnt vmcnt(0) lgkmcnt(0)
	v_fmac_f64_e32 v[134:135], v[128:129], v[130:131]
	v_add_f64 v[128:129], v[132:133], -v[134:135]
	buffer_store_dword v129, off, s[0:3], 0 offset:388
	buffer_store_dword v128, off, s[0:3], 0 offset:384
	s_and_saveexec_b64 s[4:5], vcc
	s_cbranch_execz .LBB125_285
; %bb.284:
	buffer_load_dword v128, off, s[0:3], 0 offset:376
	buffer_load_dword v129, off, s[0:3], 0 offset:380
	s_waitcnt vmcnt(0)
	ds_write_b64 v1, v[128:129]
	buffer_store_dword v126, off, s[0:3], 0 offset:376
	buffer_store_dword v126, off, s[0:3], 0 offset:380
.LBB125_285:
	s_or_b64 exec, exec, s[4:5]
	s_waitcnt lgkmcnt(0)
	; wave barrier
	s_waitcnt lgkmcnt(0)
	buffer_load_dword v144, off, s[0:3], 0 offset:376
	buffer_load_dword v145, off, s[0:3], 0 offset:380
	;; [unrolled: 1-line block ×16, first 2 shown]
	ds_read_b128 v[128:131], v126 offset:880
	ds_read_b128 v[132:135], v126 offset:896
	;; [unrolled: 1-line block ×4, first 2 shown]
	v_cmp_lt_u32_e32 vcc, 46, v0
	s_waitcnt vmcnt(12) lgkmcnt(3)
	v_fma_f64 v[146:147], v[146:147], v[128:129], 0
	buffer_load_dword v129, off, s[0:3], 0 offset:444
	buffer_load_dword v128, off, s[0:3], 0 offset:440
	s_waitcnt vmcnt(12)
	v_fmac_f64_e32 v[146:147], v[148:149], v[130:131]
	s_waitcnt vmcnt(10) lgkmcnt(2)
	v_fmac_f64_e32 v[146:147], v[150:151], v[132:133]
	buffer_load_dword v133, off, s[0:3], 0 offset:452
	buffer_load_dword v132, off, s[0:3], 0 offset:448
	s_waitcnt vmcnt(10)
	v_fmac_f64_e32 v[146:147], v[152:153], v[134:135]
	s_waitcnt vmcnt(8) lgkmcnt(1)
	v_fmac_f64_e32 v[146:147], v[154:155], v[136:137]
	s_waitcnt vmcnt(6)
	v_fmac_f64_e32 v[146:147], v[156:157], v[138:139]
	s_waitcnt vmcnt(4) lgkmcnt(0)
	v_fmac_f64_e32 v[146:147], v[158:159], v[140:141]
	s_waitcnt vmcnt(2)
	v_fmac_f64_e32 v[146:147], v[128:129], v[142:143]
	ds_read_b128 v[128:131], v126 offset:944
	s_waitcnt vmcnt(0) lgkmcnt(0)
	v_fmac_f64_e32 v[146:147], v[132:133], v[128:129]
	buffer_load_dword v129, off, s[0:3], 0 offset:460
	buffer_load_dword v128, off, s[0:3], 0 offset:456
	;; [unrolled: 1-line block ×4, first 2 shown]
	s_waitcnt vmcnt(2)
	v_fmac_f64_e32 v[146:147], v[128:129], v[130:131]
	ds_read_b128 v[128:131], v126 offset:960
	s_waitcnt vmcnt(0) lgkmcnt(0)
	v_fmac_f64_e32 v[146:147], v[132:133], v[128:129]
	buffer_load_dword v129, off, s[0:3], 0 offset:476
	buffer_load_dword v128, off, s[0:3], 0 offset:472
	s_waitcnt vmcnt(0)
	v_fmac_f64_e32 v[146:147], v[128:129], v[130:131]
	buffer_load_dword v131, off, s[0:3], 0 offset:484
	buffer_load_dword v130, off, s[0:3], 0 offset:480
	ds_read_b128 v[126:129], v126 offset:976
	s_waitcnt vmcnt(0) lgkmcnt(0)
	v_fmac_f64_e32 v[146:147], v[130:131], v[126:127]
	buffer_load_dword v127, off, s[0:3], 0 offset:492
	buffer_load_dword v126, off, s[0:3], 0 offset:488
	s_waitcnt vmcnt(0)
	v_fmac_f64_e32 v[146:147], v[126:127], v[128:129]
	v_add_f64 v[126:127], v[144:145], -v[146:147]
	buffer_store_dword v127, off, s[0:3], 0 offset:380
	buffer_store_dword v126, off, s[0:3], 0 offset:376
	s_and_saveexec_b64 s[4:5], vcc
	s_cbranch_execz .LBB125_287
; %bb.286:
	buffer_load_dword v126, off, s[0:3], 0 offset:368
	buffer_load_dword v127, off, s[0:3], 0 offset:372
	v_mov_b32_e32 v128, 0
	buffer_store_dword v128, off, s[0:3], 0 offset:368
	buffer_store_dword v128, off, s[0:3], 0 offset:372
	s_waitcnt vmcnt(2)
	ds_write_b64 v1, v[126:127]
.LBB125_287:
	s_or_b64 exec, exec, s[4:5]
	s_waitcnt lgkmcnt(0)
	; wave barrier
	s_waitcnt lgkmcnt(0)
	buffer_load_dword v132, off, s[0:3], 0 offset:368
	buffer_load_dword v133, off, s[0:3], 0 offset:372
	;; [unrolled: 1-line block ×16, first 2 shown]
	v_mov_b32_e32 v126, 0
	ds_read2_b64 v[128:131], v126 offset0:109 offset1:110
	v_cmp_lt_u32_e32 vcc, 45, v0
	s_waitcnt vmcnt(12) lgkmcnt(0)
	v_fma_f64 v[134:135], v[134:135], v[128:129], 0
	s_waitcnt vmcnt(10)
	v_fmac_f64_e32 v[134:135], v[136:137], v[130:131]
	ds_read2_b64 v[128:131], v126 offset0:111 offset1:112
	s_waitcnt vmcnt(8) lgkmcnt(0)
	v_fmac_f64_e32 v[134:135], v[138:139], v[128:129]
	s_waitcnt vmcnt(6)
	v_fmac_f64_e32 v[134:135], v[140:141], v[130:131]
	ds_read2_b64 v[128:131], v126 offset0:113 offset1:114
	s_waitcnt vmcnt(4) lgkmcnt(0)
	v_fmac_f64_e32 v[134:135], v[142:143], v[128:129]
	;; [unrolled: 5-line block ×3, first 2 shown]
	buffer_load_dword v129, off, s[0:3], 0 offset:436
	buffer_load_dword v128, off, s[0:3], 0 offset:432
	buffer_load_dword v137, off, s[0:3], 0 offset:444
	buffer_load_dword v136, off, s[0:3], 0 offset:440
	s_waitcnt vmcnt(2)
	v_fmac_f64_e32 v[134:135], v[128:129], v[130:131]
	ds_read2_b64 v[128:131], v126 offset0:117 offset1:118
	s_waitcnt vmcnt(0) lgkmcnt(0)
	v_fmac_f64_e32 v[134:135], v[136:137], v[128:129]
	buffer_load_dword v129, off, s[0:3], 0 offset:452
	buffer_load_dword v128, off, s[0:3], 0 offset:448
	buffer_load_dword v137, off, s[0:3], 0 offset:460
	buffer_load_dword v136, off, s[0:3], 0 offset:456
	s_waitcnt vmcnt(2)
	v_fmac_f64_e32 v[134:135], v[128:129], v[130:131]
	ds_read2_b64 v[128:131], v126 offset0:119 offset1:120
	s_waitcnt vmcnt(0) lgkmcnt(0)
	v_fmac_f64_e32 v[134:135], v[136:137], v[128:129]
	;; [unrolled: 9-line block ×3, first 2 shown]
	buffer_load_dword v129, off, s[0:3], 0 offset:484
	buffer_load_dword v128, off, s[0:3], 0 offset:480
	s_waitcnt vmcnt(0)
	v_fmac_f64_e32 v[134:135], v[128:129], v[130:131]
	buffer_load_dword v129, off, s[0:3], 0 offset:492
	buffer_load_dword v128, off, s[0:3], 0 offset:488
	ds_read_b64 v[130:131], v126 offset:984
	s_waitcnt vmcnt(0) lgkmcnt(0)
	v_fmac_f64_e32 v[134:135], v[128:129], v[130:131]
	v_add_f64 v[128:129], v[132:133], -v[134:135]
	buffer_store_dword v129, off, s[0:3], 0 offset:372
	buffer_store_dword v128, off, s[0:3], 0 offset:368
	s_and_saveexec_b64 s[4:5], vcc
	s_cbranch_execz .LBB125_289
; %bb.288:
	buffer_load_dword v128, off, s[0:3], 0 offset:360
	buffer_load_dword v129, off, s[0:3], 0 offset:364
	s_waitcnt vmcnt(0)
	ds_write_b64 v1, v[128:129]
	buffer_store_dword v126, off, s[0:3], 0 offset:360
	buffer_store_dword v126, off, s[0:3], 0 offset:364
.LBB125_289:
	s_or_b64 exec, exec, s[4:5]
	s_waitcnt lgkmcnt(0)
	; wave barrier
	s_waitcnt lgkmcnt(0)
	buffer_load_dword v144, off, s[0:3], 0 offset:360
	buffer_load_dword v145, off, s[0:3], 0 offset:364
	;; [unrolled: 1-line block ×16, first 2 shown]
	ds_read_b128 v[128:131], v126 offset:864
	ds_read_b128 v[132:135], v126 offset:880
	ds_read_b128 v[136:139], v126 offset:896
	ds_read_b128 v[140:143], v126 offset:912
	v_cmp_lt_u32_e32 vcc, 44, v0
	s_waitcnt vmcnt(12) lgkmcnt(3)
	v_fma_f64 v[146:147], v[146:147], v[128:129], 0
	buffer_load_dword v129, off, s[0:3], 0 offset:428
	buffer_load_dword v128, off, s[0:3], 0 offset:424
	s_waitcnt vmcnt(12)
	v_fmac_f64_e32 v[146:147], v[148:149], v[130:131]
	s_waitcnt vmcnt(10) lgkmcnt(2)
	v_fmac_f64_e32 v[146:147], v[150:151], v[132:133]
	buffer_load_dword v133, off, s[0:3], 0 offset:436
	buffer_load_dword v132, off, s[0:3], 0 offset:432
	s_waitcnt vmcnt(10)
	v_fmac_f64_e32 v[146:147], v[152:153], v[134:135]
	s_waitcnt vmcnt(8) lgkmcnt(1)
	v_fmac_f64_e32 v[146:147], v[154:155], v[136:137]
	s_waitcnt vmcnt(6)
	v_fmac_f64_e32 v[146:147], v[156:157], v[138:139]
	s_waitcnt vmcnt(4) lgkmcnt(0)
	v_fmac_f64_e32 v[146:147], v[158:159], v[140:141]
	s_waitcnt vmcnt(2)
	v_fmac_f64_e32 v[146:147], v[128:129], v[142:143]
	ds_read_b128 v[128:131], v126 offset:928
	s_waitcnt vmcnt(0) lgkmcnt(0)
	v_fmac_f64_e32 v[146:147], v[132:133], v[128:129]
	buffer_load_dword v129, off, s[0:3], 0 offset:444
	buffer_load_dword v128, off, s[0:3], 0 offset:440
	;; [unrolled: 1-line block ×4, first 2 shown]
	s_waitcnt vmcnt(2)
	v_fmac_f64_e32 v[146:147], v[128:129], v[130:131]
	ds_read_b128 v[128:131], v126 offset:944
	s_waitcnt vmcnt(0) lgkmcnt(0)
	v_fmac_f64_e32 v[146:147], v[132:133], v[128:129]
	buffer_load_dword v129, off, s[0:3], 0 offset:460
	buffer_load_dword v128, off, s[0:3], 0 offset:456
	;; [unrolled: 1-line block ×4, first 2 shown]
	s_waitcnt vmcnt(2)
	v_fmac_f64_e32 v[146:147], v[128:129], v[130:131]
	ds_read_b128 v[128:131], v126 offset:960
	s_waitcnt vmcnt(0) lgkmcnt(0)
	v_fmac_f64_e32 v[146:147], v[132:133], v[128:129]
	buffer_load_dword v129, off, s[0:3], 0 offset:476
	buffer_load_dword v128, off, s[0:3], 0 offset:472
	s_waitcnt vmcnt(0)
	v_fmac_f64_e32 v[146:147], v[128:129], v[130:131]
	buffer_load_dword v131, off, s[0:3], 0 offset:484
	buffer_load_dword v130, off, s[0:3], 0 offset:480
	ds_read_b128 v[126:129], v126 offset:976
	s_waitcnt vmcnt(0) lgkmcnt(0)
	v_fmac_f64_e32 v[146:147], v[130:131], v[126:127]
	buffer_load_dword v127, off, s[0:3], 0 offset:492
	buffer_load_dword v126, off, s[0:3], 0 offset:488
	s_waitcnt vmcnt(0)
	v_fmac_f64_e32 v[146:147], v[126:127], v[128:129]
	v_add_f64 v[126:127], v[144:145], -v[146:147]
	buffer_store_dword v127, off, s[0:3], 0 offset:364
	buffer_store_dword v126, off, s[0:3], 0 offset:360
	s_and_saveexec_b64 s[4:5], vcc
	s_cbranch_execz .LBB125_291
; %bb.290:
	buffer_load_dword v126, off, s[0:3], 0 offset:352
	buffer_load_dword v127, off, s[0:3], 0 offset:356
	v_mov_b32_e32 v128, 0
	buffer_store_dword v128, off, s[0:3], 0 offset:352
	buffer_store_dword v128, off, s[0:3], 0 offset:356
	s_waitcnt vmcnt(2)
	ds_write_b64 v1, v[126:127]
.LBB125_291:
	s_or_b64 exec, exec, s[4:5]
	s_waitcnt lgkmcnt(0)
	; wave barrier
	s_waitcnt lgkmcnt(0)
	buffer_load_dword v126, off, s[0:3], 0 offset:352
	buffer_load_dword v127, off, s[0:3], 0 offset:356
	;; [unrolled: 1-line block ×16, first 2 shown]
	v_mov_b32_e32 v130, 0
	ds_read2_b64 v[132:135], v130 offset0:107 offset1:108
	v_cmp_lt_u32_e32 vcc, 43, v0
	s_waitcnt vmcnt(12) lgkmcnt(0)
	v_fma_f64 v[128:129], v[128:129], v[132:133], 0
	s_waitcnt vmcnt(10)
	v_fmac_f64_e32 v[128:129], v[136:137], v[134:135]
	ds_read2_b64 v[132:135], v130 offset0:109 offset1:110
	s_waitcnt vmcnt(8) lgkmcnt(0)
	v_fmac_f64_e32 v[128:129], v[138:139], v[132:133]
	s_waitcnt vmcnt(6)
	v_fmac_f64_e32 v[128:129], v[140:141], v[134:135]
	ds_read2_b64 v[132:135], v130 offset0:111 offset1:112
	s_waitcnt vmcnt(4) lgkmcnt(0)
	v_fmac_f64_e32 v[128:129], v[142:143], v[132:133]
	;; [unrolled: 5-line block ×3, first 2 shown]
	buffer_load_dword v133, off, s[0:3], 0 offset:420
	buffer_load_dword v132, off, s[0:3], 0 offset:416
	buffer_load_dword v137, off, s[0:3], 0 offset:428
	buffer_load_dword v136, off, s[0:3], 0 offset:424
	s_waitcnt vmcnt(2)
	v_fmac_f64_e32 v[128:129], v[132:133], v[134:135]
	ds_read2_b64 v[132:135], v130 offset0:115 offset1:116
	s_waitcnt vmcnt(0) lgkmcnt(0)
	v_fmac_f64_e32 v[128:129], v[136:137], v[132:133]
	buffer_load_dword v133, off, s[0:3], 0 offset:436
	buffer_load_dword v132, off, s[0:3], 0 offset:432
	buffer_load_dword v137, off, s[0:3], 0 offset:444
	buffer_load_dword v136, off, s[0:3], 0 offset:440
	s_waitcnt vmcnt(2)
	v_fmac_f64_e32 v[128:129], v[132:133], v[134:135]
	ds_read2_b64 v[132:135], v130 offset0:117 offset1:118
	s_waitcnt vmcnt(0) lgkmcnt(0)
	v_fmac_f64_e32 v[128:129], v[136:137], v[132:133]
	;; [unrolled: 9-line block ×4, first 2 shown]
	buffer_load_dword v133, off, s[0:3], 0 offset:484
	buffer_load_dword v132, off, s[0:3], 0 offset:480
	s_waitcnt vmcnt(0)
	v_fmac_f64_e32 v[128:129], v[132:133], v[134:135]
	buffer_load_dword v133, off, s[0:3], 0 offset:492
	buffer_load_dword v132, off, s[0:3], 0 offset:488
	ds_read_b64 v[134:135], v130 offset:984
	s_waitcnt vmcnt(0) lgkmcnt(0)
	v_fmac_f64_e32 v[128:129], v[132:133], v[134:135]
	v_add_f64 v[126:127], v[126:127], -v[128:129]
	buffer_store_dword v127, off, s[0:3], 0 offset:356
	buffer_store_dword v126, off, s[0:3], 0 offset:352
	s_and_saveexec_b64 s[4:5], vcc
	s_cbranch_execz .LBB125_293
; %bb.292:
	buffer_load_dword v126, off, s[0:3], 0 offset:344
	buffer_load_dword v127, off, s[0:3], 0 offset:348
	s_waitcnt vmcnt(0)
	ds_write_b64 v1, v[126:127]
	buffer_store_dword v130, off, s[0:3], 0 offset:344
	buffer_store_dword v130, off, s[0:3], 0 offset:348
.LBB125_293:
	s_or_b64 exec, exec, s[4:5]
	s_waitcnt lgkmcnt(0)
	; wave barrier
	s_waitcnt lgkmcnt(0)
	buffer_load_dword v126, off, s[0:3], 0 offset:344
	buffer_load_dword v127, off, s[0:3], 0 offset:348
	;; [unrolled: 1-line block ×16, first 2 shown]
	ds_read_b128 v[132:135], v130 offset:848
	ds_read_b128 v[136:139], v130 offset:864
	;; [unrolled: 1-line block ×4, first 2 shown]
	v_cmp_lt_u32_e32 vcc, 42, v0
	s_waitcnt vmcnt(12) lgkmcnt(3)
	v_fma_f64 v[128:129], v[128:129], v[132:133], 0
	buffer_load_dword v133, off, s[0:3], 0 offset:412
	buffer_load_dword v132, off, s[0:3], 0 offset:408
	s_waitcnt vmcnt(12)
	v_fmac_f64_e32 v[128:129], v[148:149], v[134:135]
	s_waitcnt vmcnt(10) lgkmcnt(2)
	v_fmac_f64_e32 v[128:129], v[150:151], v[136:137]
	buffer_load_dword v137, off, s[0:3], 0 offset:420
	buffer_load_dword v136, off, s[0:3], 0 offset:416
	s_waitcnt vmcnt(10)
	v_fmac_f64_e32 v[128:129], v[152:153], v[138:139]
	s_waitcnt vmcnt(8) lgkmcnt(1)
	v_fmac_f64_e32 v[128:129], v[154:155], v[140:141]
	s_waitcnt vmcnt(6)
	v_fmac_f64_e32 v[128:129], v[156:157], v[142:143]
	s_waitcnt vmcnt(4) lgkmcnt(0)
	v_fmac_f64_e32 v[128:129], v[158:159], v[144:145]
	s_waitcnt vmcnt(2)
	v_fmac_f64_e32 v[128:129], v[132:133], v[146:147]
	ds_read_b128 v[132:135], v130 offset:912
	s_waitcnt vmcnt(0) lgkmcnt(0)
	v_fmac_f64_e32 v[128:129], v[136:137], v[132:133]
	buffer_load_dword v133, off, s[0:3], 0 offset:428
	buffer_load_dword v132, off, s[0:3], 0 offset:424
	buffer_load_dword v137, off, s[0:3], 0 offset:436
	buffer_load_dword v136, off, s[0:3], 0 offset:432
	s_waitcnt vmcnt(2)
	v_fmac_f64_e32 v[128:129], v[132:133], v[134:135]
	ds_read_b128 v[132:135], v130 offset:928
	s_waitcnt vmcnt(0) lgkmcnt(0)
	v_fmac_f64_e32 v[128:129], v[136:137], v[132:133]
	buffer_load_dword v133, off, s[0:3], 0 offset:444
	buffer_load_dword v132, off, s[0:3], 0 offset:440
	buffer_load_dword v137, off, s[0:3], 0 offset:452
	buffer_load_dword v136, off, s[0:3], 0 offset:448
	;; [unrolled: 9-line block ×3, first 2 shown]
	s_waitcnt vmcnt(2)
	v_fmac_f64_e32 v[128:129], v[132:133], v[134:135]
	ds_read_b128 v[132:135], v130 offset:960
	s_waitcnt vmcnt(0) lgkmcnt(0)
	v_fmac_f64_e32 v[128:129], v[136:137], v[132:133]
	buffer_load_dword v133, off, s[0:3], 0 offset:476
	buffer_load_dword v132, off, s[0:3], 0 offset:472
	s_waitcnt vmcnt(0)
	v_fmac_f64_e32 v[128:129], v[132:133], v[134:135]
	buffer_load_dword v135, off, s[0:3], 0 offset:484
	buffer_load_dword v134, off, s[0:3], 0 offset:480
	ds_read_b128 v[130:133], v130 offset:976
	s_waitcnt vmcnt(0) lgkmcnt(0)
	v_fmac_f64_e32 v[128:129], v[134:135], v[130:131]
	buffer_load_dword v131, off, s[0:3], 0 offset:492
	buffer_load_dword v130, off, s[0:3], 0 offset:488
	s_waitcnt vmcnt(0)
	v_fmac_f64_e32 v[128:129], v[130:131], v[132:133]
	v_add_f64 v[126:127], v[126:127], -v[128:129]
	buffer_store_dword v127, off, s[0:3], 0 offset:348
	buffer_store_dword v126, off, s[0:3], 0 offset:344
	s_and_saveexec_b64 s[4:5], vcc
	s_cbranch_execz .LBB125_295
; %bb.294:
	buffer_load_dword v126, off, s[0:3], 0 offset:336
	buffer_load_dword v127, off, s[0:3], 0 offset:340
	v_mov_b32_e32 v128, 0
	buffer_store_dword v128, off, s[0:3], 0 offset:336
	buffer_store_dword v128, off, s[0:3], 0 offset:340
	s_waitcnt vmcnt(2)
	ds_write_b64 v1, v[126:127]
.LBB125_295:
	s_or_b64 exec, exec, s[4:5]
	s_waitcnt lgkmcnt(0)
	; wave barrier
	s_waitcnt lgkmcnt(0)
	buffer_load_dword v126, off, s[0:3], 0 offset:336
	buffer_load_dword v127, off, s[0:3], 0 offset:340
	;; [unrolled: 1-line block ×16, first 2 shown]
	v_mov_b32_e32 v130, 0
	ds_read2_b64 v[132:135], v130 offset0:105 offset1:106
	v_cmp_lt_u32_e32 vcc, 41, v0
	s_waitcnt vmcnt(12) lgkmcnt(0)
	v_fma_f64 v[128:129], v[128:129], v[132:133], 0
	s_waitcnt vmcnt(10)
	v_fmac_f64_e32 v[128:129], v[136:137], v[134:135]
	ds_read2_b64 v[132:135], v130 offset0:107 offset1:108
	s_waitcnt vmcnt(8) lgkmcnt(0)
	v_fmac_f64_e32 v[128:129], v[138:139], v[132:133]
	s_waitcnt vmcnt(6)
	v_fmac_f64_e32 v[128:129], v[140:141], v[134:135]
	ds_read2_b64 v[132:135], v130 offset0:109 offset1:110
	s_waitcnt vmcnt(4) lgkmcnt(0)
	v_fmac_f64_e32 v[128:129], v[142:143], v[132:133]
	;; [unrolled: 5-line block ×3, first 2 shown]
	buffer_load_dword v133, off, s[0:3], 0 offset:404
	buffer_load_dword v132, off, s[0:3], 0 offset:400
	buffer_load_dword v137, off, s[0:3], 0 offset:412
	buffer_load_dword v136, off, s[0:3], 0 offset:408
	s_waitcnt vmcnt(2)
	v_fmac_f64_e32 v[128:129], v[132:133], v[134:135]
	ds_read2_b64 v[132:135], v130 offset0:113 offset1:114
	s_waitcnt vmcnt(0) lgkmcnt(0)
	v_fmac_f64_e32 v[128:129], v[136:137], v[132:133]
	buffer_load_dword v133, off, s[0:3], 0 offset:420
	buffer_load_dword v132, off, s[0:3], 0 offset:416
	buffer_load_dword v137, off, s[0:3], 0 offset:428
	buffer_load_dword v136, off, s[0:3], 0 offset:424
	s_waitcnt vmcnt(2)
	v_fmac_f64_e32 v[128:129], v[132:133], v[134:135]
	ds_read2_b64 v[132:135], v130 offset0:115 offset1:116
	s_waitcnt vmcnt(0) lgkmcnt(0)
	v_fmac_f64_e32 v[128:129], v[136:137], v[132:133]
	;; [unrolled: 9-line block ×5, first 2 shown]
	buffer_load_dword v133, off, s[0:3], 0 offset:484
	buffer_load_dword v132, off, s[0:3], 0 offset:480
	s_waitcnt vmcnt(0)
	v_fmac_f64_e32 v[128:129], v[132:133], v[134:135]
	buffer_load_dword v133, off, s[0:3], 0 offset:492
	buffer_load_dword v132, off, s[0:3], 0 offset:488
	ds_read_b64 v[134:135], v130 offset:984
	s_waitcnt vmcnt(0) lgkmcnt(0)
	v_fmac_f64_e32 v[128:129], v[132:133], v[134:135]
	v_add_f64 v[126:127], v[126:127], -v[128:129]
	buffer_store_dword v127, off, s[0:3], 0 offset:340
	buffer_store_dword v126, off, s[0:3], 0 offset:336
	s_and_saveexec_b64 s[4:5], vcc
	s_cbranch_execz .LBB125_297
; %bb.296:
	buffer_load_dword v126, off, s[0:3], 0 offset:328
	buffer_load_dword v127, off, s[0:3], 0 offset:332
	s_waitcnt vmcnt(0)
	ds_write_b64 v1, v[126:127]
	buffer_store_dword v130, off, s[0:3], 0 offset:328
	buffer_store_dword v130, off, s[0:3], 0 offset:332
.LBB125_297:
	s_or_b64 exec, exec, s[4:5]
	s_waitcnt lgkmcnt(0)
	; wave barrier
	s_waitcnt lgkmcnt(0)
	buffer_load_dword v126, off, s[0:3], 0 offset:328
	buffer_load_dword v127, off, s[0:3], 0 offset:332
	;; [unrolled: 1-line block ×16, first 2 shown]
	ds_read_b128 v[132:135], v130 offset:832
	ds_read_b128 v[136:139], v130 offset:848
	;; [unrolled: 1-line block ×4, first 2 shown]
	v_cmp_lt_u32_e32 vcc, 40, v0
	s_waitcnt vmcnt(12) lgkmcnt(3)
	v_fma_f64 v[128:129], v[128:129], v[132:133], 0
	buffer_load_dword v133, off, s[0:3], 0 offset:396
	buffer_load_dword v132, off, s[0:3], 0 offset:392
	s_waitcnt vmcnt(12)
	v_fmac_f64_e32 v[128:129], v[148:149], v[134:135]
	s_waitcnt vmcnt(10) lgkmcnt(2)
	v_fmac_f64_e32 v[128:129], v[150:151], v[136:137]
	buffer_load_dword v137, off, s[0:3], 0 offset:404
	buffer_load_dword v136, off, s[0:3], 0 offset:400
	s_waitcnt vmcnt(10)
	v_fmac_f64_e32 v[128:129], v[152:153], v[138:139]
	s_waitcnt vmcnt(8) lgkmcnt(1)
	v_fmac_f64_e32 v[128:129], v[154:155], v[140:141]
	s_waitcnt vmcnt(6)
	v_fmac_f64_e32 v[128:129], v[156:157], v[142:143]
	s_waitcnt vmcnt(4) lgkmcnt(0)
	v_fmac_f64_e32 v[128:129], v[158:159], v[144:145]
	s_waitcnt vmcnt(2)
	v_fmac_f64_e32 v[128:129], v[132:133], v[146:147]
	ds_read_b128 v[132:135], v130 offset:896
	s_waitcnt vmcnt(0) lgkmcnt(0)
	v_fmac_f64_e32 v[128:129], v[136:137], v[132:133]
	buffer_load_dword v133, off, s[0:3], 0 offset:412
	buffer_load_dword v132, off, s[0:3], 0 offset:408
	buffer_load_dword v137, off, s[0:3], 0 offset:420
	buffer_load_dword v136, off, s[0:3], 0 offset:416
	s_waitcnt vmcnt(2)
	v_fmac_f64_e32 v[128:129], v[132:133], v[134:135]
	ds_read_b128 v[132:135], v130 offset:912
	s_waitcnt vmcnt(0) lgkmcnt(0)
	v_fmac_f64_e32 v[128:129], v[136:137], v[132:133]
	buffer_load_dword v133, off, s[0:3], 0 offset:428
	buffer_load_dword v132, off, s[0:3], 0 offset:424
	buffer_load_dword v137, off, s[0:3], 0 offset:436
	buffer_load_dword v136, off, s[0:3], 0 offset:432
	;; [unrolled: 9-line block ×4, first 2 shown]
	s_waitcnt vmcnt(2)
	v_fmac_f64_e32 v[128:129], v[132:133], v[134:135]
	ds_read_b128 v[132:135], v130 offset:960
	s_waitcnt vmcnt(0) lgkmcnt(0)
	v_fmac_f64_e32 v[128:129], v[136:137], v[132:133]
	buffer_load_dword v133, off, s[0:3], 0 offset:476
	buffer_load_dword v132, off, s[0:3], 0 offset:472
	s_waitcnt vmcnt(0)
	v_fmac_f64_e32 v[128:129], v[132:133], v[134:135]
	buffer_load_dword v135, off, s[0:3], 0 offset:484
	buffer_load_dword v134, off, s[0:3], 0 offset:480
	ds_read_b128 v[130:133], v130 offset:976
	s_waitcnt vmcnt(0) lgkmcnt(0)
	v_fmac_f64_e32 v[128:129], v[134:135], v[130:131]
	buffer_load_dword v131, off, s[0:3], 0 offset:492
	buffer_load_dword v130, off, s[0:3], 0 offset:488
	s_waitcnt vmcnt(0)
	v_fmac_f64_e32 v[128:129], v[130:131], v[132:133]
	v_add_f64 v[126:127], v[126:127], -v[128:129]
	buffer_store_dword v127, off, s[0:3], 0 offset:332
	buffer_store_dword v126, off, s[0:3], 0 offset:328
	s_and_saveexec_b64 s[4:5], vcc
	s_cbranch_execz .LBB125_299
; %bb.298:
	buffer_load_dword v126, off, s[0:3], 0 offset:320
	buffer_load_dword v127, off, s[0:3], 0 offset:324
	v_mov_b32_e32 v128, 0
	buffer_store_dword v128, off, s[0:3], 0 offset:320
	buffer_store_dword v128, off, s[0:3], 0 offset:324
	s_waitcnt vmcnt(2)
	ds_write_b64 v1, v[126:127]
.LBB125_299:
	s_or_b64 exec, exec, s[4:5]
	s_waitcnt lgkmcnt(0)
	; wave barrier
	s_waitcnt lgkmcnt(0)
	buffer_load_dword v126, off, s[0:3], 0 offset:320
	buffer_load_dword v127, off, s[0:3], 0 offset:324
	;; [unrolled: 1-line block ×16, first 2 shown]
	v_mov_b32_e32 v130, 0
	ds_read2_b64 v[132:135], v130 offset0:103 offset1:104
	v_cmp_lt_u32_e32 vcc, 39, v0
	s_waitcnt vmcnt(12) lgkmcnt(0)
	v_fma_f64 v[128:129], v[128:129], v[132:133], 0
	s_waitcnt vmcnt(10)
	v_fmac_f64_e32 v[128:129], v[136:137], v[134:135]
	ds_read2_b64 v[132:135], v130 offset0:105 offset1:106
	s_waitcnt vmcnt(8) lgkmcnt(0)
	v_fmac_f64_e32 v[128:129], v[138:139], v[132:133]
	s_waitcnt vmcnt(6)
	v_fmac_f64_e32 v[128:129], v[140:141], v[134:135]
	ds_read2_b64 v[132:135], v130 offset0:107 offset1:108
	s_waitcnt vmcnt(4) lgkmcnt(0)
	v_fmac_f64_e32 v[128:129], v[142:143], v[132:133]
	;; [unrolled: 5-line block ×3, first 2 shown]
	buffer_load_dword v133, off, s[0:3], 0 offset:388
	buffer_load_dword v132, off, s[0:3], 0 offset:384
	buffer_load_dword v137, off, s[0:3], 0 offset:396
	buffer_load_dword v136, off, s[0:3], 0 offset:392
	s_waitcnt vmcnt(2)
	v_fmac_f64_e32 v[128:129], v[132:133], v[134:135]
	ds_read2_b64 v[132:135], v130 offset0:111 offset1:112
	s_waitcnt vmcnt(0) lgkmcnt(0)
	v_fmac_f64_e32 v[128:129], v[136:137], v[132:133]
	buffer_load_dword v133, off, s[0:3], 0 offset:404
	buffer_load_dword v132, off, s[0:3], 0 offset:400
	buffer_load_dword v137, off, s[0:3], 0 offset:412
	buffer_load_dword v136, off, s[0:3], 0 offset:408
	s_waitcnt vmcnt(2)
	v_fmac_f64_e32 v[128:129], v[132:133], v[134:135]
	ds_read2_b64 v[132:135], v130 offset0:113 offset1:114
	s_waitcnt vmcnt(0) lgkmcnt(0)
	v_fmac_f64_e32 v[128:129], v[136:137], v[132:133]
	;; [unrolled: 9-line block ×6, first 2 shown]
	buffer_load_dword v133, off, s[0:3], 0 offset:484
	buffer_load_dword v132, off, s[0:3], 0 offset:480
	s_waitcnt vmcnt(0)
	v_fmac_f64_e32 v[128:129], v[132:133], v[134:135]
	buffer_load_dword v133, off, s[0:3], 0 offset:492
	buffer_load_dword v132, off, s[0:3], 0 offset:488
	ds_read_b64 v[134:135], v130 offset:984
	s_waitcnt vmcnt(0) lgkmcnt(0)
	v_fmac_f64_e32 v[128:129], v[132:133], v[134:135]
	v_add_f64 v[126:127], v[126:127], -v[128:129]
	buffer_store_dword v127, off, s[0:3], 0 offset:324
	buffer_store_dword v126, off, s[0:3], 0 offset:320
	s_and_saveexec_b64 s[4:5], vcc
	s_cbranch_execz .LBB125_301
; %bb.300:
	buffer_load_dword v126, off, s[0:3], 0 offset:312
	buffer_load_dword v127, off, s[0:3], 0 offset:316
	s_waitcnt vmcnt(0)
	ds_write_b64 v1, v[126:127]
	buffer_store_dword v130, off, s[0:3], 0 offset:312
	buffer_store_dword v130, off, s[0:3], 0 offset:316
.LBB125_301:
	s_or_b64 exec, exec, s[4:5]
	s_waitcnt lgkmcnt(0)
	; wave barrier
	s_waitcnt lgkmcnt(0)
	buffer_load_dword v126, off, s[0:3], 0 offset:312
	buffer_load_dword v127, off, s[0:3], 0 offset:316
	;; [unrolled: 1-line block ×16, first 2 shown]
	ds_read_b128 v[132:135], v130 offset:816
	ds_read_b128 v[136:139], v130 offset:832
	ds_read_b128 v[140:143], v130 offset:848
	ds_read_b128 v[144:147], v130 offset:864
	v_cmp_lt_u32_e32 vcc, 38, v0
	s_waitcnt vmcnt(12) lgkmcnt(3)
	v_fma_f64 v[128:129], v[128:129], v[132:133], 0
	buffer_load_dword v133, off, s[0:3], 0 offset:380
	buffer_load_dword v132, off, s[0:3], 0 offset:376
	s_waitcnt vmcnt(12)
	v_fmac_f64_e32 v[128:129], v[148:149], v[134:135]
	s_waitcnt vmcnt(10) lgkmcnt(2)
	v_fmac_f64_e32 v[128:129], v[150:151], v[136:137]
	buffer_load_dword v137, off, s[0:3], 0 offset:388
	buffer_load_dword v136, off, s[0:3], 0 offset:384
	s_waitcnt vmcnt(10)
	v_fmac_f64_e32 v[128:129], v[152:153], v[138:139]
	s_waitcnt vmcnt(8) lgkmcnt(1)
	v_fmac_f64_e32 v[128:129], v[154:155], v[140:141]
	s_waitcnt vmcnt(6)
	v_fmac_f64_e32 v[128:129], v[156:157], v[142:143]
	s_waitcnt vmcnt(4) lgkmcnt(0)
	v_fmac_f64_e32 v[128:129], v[158:159], v[144:145]
	s_waitcnt vmcnt(2)
	v_fmac_f64_e32 v[128:129], v[132:133], v[146:147]
	ds_read_b128 v[132:135], v130 offset:880
	s_waitcnt vmcnt(0) lgkmcnt(0)
	v_fmac_f64_e32 v[128:129], v[136:137], v[132:133]
	buffer_load_dword v133, off, s[0:3], 0 offset:396
	buffer_load_dword v132, off, s[0:3], 0 offset:392
	buffer_load_dword v137, off, s[0:3], 0 offset:404
	buffer_load_dword v136, off, s[0:3], 0 offset:400
	s_waitcnt vmcnt(2)
	v_fmac_f64_e32 v[128:129], v[132:133], v[134:135]
	ds_read_b128 v[132:135], v130 offset:896
	s_waitcnt vmcnt(0) lgkmcnt(0)
	v_fmac_f64_e32 v[128:129], v[136:137], v[132:133]
	buffer_load_dword v133, off, s[0:3], 0 offset:412
	buffer_load_dword v132, off, s[0:3], 0 offset:408
	buffer_load_dword v137, off, s[0:3], 0 offset:420
	buffer_load_dword v136, off, s[0:3], 0 offset:416
	;; [unrolled: 9-line block ×5, first 2 shown]
	s_waitcnt vmcnt(2)
	v_fmac_f64_e32 v[128:129], v[132:133], v[134:135]
	ds_read_b128 v[132:135], v130 offset:960
	s_waitcnt vmcnt(0) lgkmcnt(0)
	v_fmac_f64_e32 v[128:129], v[136:137], v[132:133]
	buffer_load_dword v133, off, s[0:3], 0 offset:476
	buffer_load_dword v132, off, s[0:3], 0 offset:472
	s_waitcnt vmcnt(0)
	v_fmac_f64_e32 v[128:129], v[132:133], v[134:135]
	buffer_load_dword v135, off, s[0:3], 0 offset:484
	buffer_load_dword v134, off, s[0:3], 0 offset:480
	ds_read_b128 v[130:133], v130 offset:976
	s_waitcnt vmcnt(0) lgkmcnt(0)
	v_fmac_f64_e32 v[128:129], v[134:135], v[130:131]
	buffer_load_dword v131, off, s[0:3], 0 offset:492
	buffer_load_dword v130, off, s[0:3], 0 offset:488
	s_waitcnt vmcnt(0)
	v_fmac_f64_e32 v[128:129], v[130:131], v[132:133]
	v_add_f64 v[126:127], v[126:127], -v[128:129]
	buffer_store_dword v127, off, s[0:3], 0 offset:316
	buffer_store_dword v126, off, s[0:3], 0 offset:312
	s_and_saveexec_b64 s[4:5], vcc
	s_cbranch_execz .LBB125_303
; %bb.302:
	buffer_load_dword v126, off, s[0:3], 0 offset:304
	buffer_load_dword v127, off, s[0:3], 0 offset:308
	v_mov_b32_e32 v128, 0
	buffer_store_dword v128, off, s[0:3], 0 offset:304
	buffer_store_dword v128, off, s[0:3], 0 offset:308
	s_waitcnt vmcnt(2)
	ds_write_b64 v1, v[126:127]
.LBB125_303:
	s_or_b64 exec, exec, s[4:5]
	s_waitcnt lgkmcnt(0)
	; wave barrier
	s_waitcnt lgkmcnt(0)
	buffer_load_dword v126, off, s[0:3], 0 offset:304
	buffer_load_dword v127, off, s[0:3], 0 offset:308
	buffer_load_dword v128, off, s[0:3], 0 offset:312
	buffer_load_dword v129, off, s[0:3], 0 offset:316
	buffer_load_dword v136, off, s[0:3], 0 offset:320
	buffer_load_dword v137, off, s[0:3], 0 offset:324
	buffer_load_dword v138, off, s[0:3], 0 offset:328
	buffer_load_dword v139, off, s[0:3], 0 offset:332
	buffer_load_dword v140, off, s[0:3], 0 offset:336
	buffer_load_dword v141, off, s[0:3], 0 offset:340
	buffer_load_dword v142, off, s[0:3], 0 offset:344
	buffer_load_dword v143, off, s[0:3], 0 offset:348
	buffer_load_dword v144, off, s[0:3], 0 offset:352
	buffer_load_dword v145, off, s[0:3], 0 offset:356
	buffer_load_dword v146, off, s[0:3], 0 offset:360
	buffer_load_dword v147, off, s[0:3], 0 offset:364
	v_mov_b32_e32 v130, 0
	ds_read2_b64 v[132:135], v130 offset0:101 offset1:102
	v_cmp_lt_u32_e32 vcc, 37, v0
	s_waitcnt vmcnt(12) lgkmcnt(0)
	v_fma_f64 v[128:129], v[128:129], v[132:133], 0
	s_waitcnt vmcnt(10)
	v_fmac_f64_e32 v[128:129], v[136:137], v[134:135]
	ds_read2_b64 v[132:135], v130 offset0:103 offset1:104
	s_waitcnt vmcnt(8) lgkmcnt(0)
	v_fmac_f64_e32 v[128:129], v[138:139], v[132:133]
	s_waitcnt vmcnt(6)
	v_fmac_f64_e32 v[128:129], v[140:141], v[134:135]
	ds_read2_b64 v[132:135], v130 offset0:105 offset1:106
	s_waitcnt vmcnt(4) lgkmcnt(0)
	v_fmac_f64_e32 v[128:129], v[142:143], v[132:133]
	;; [unrolled: 5-line block ×3, first 2 shown]
	buffer_load_dword v133, off, s[0:3], 0 offset:372
	buffer_load_dword v132, off, s[0:3], 0 offset:368
	buffer_load_dword v137, off, s[0:3], 0 offset:380
	buffer_load_dword v136, off, s[0:3], 0 offset:376
	s_waitcnt vmcnt(2)
	v_fmac_f64_e32 v[128:129], v[132:133], v[134:135]
	ds_read2_b64 v[132:135], v130 offset0:109 offset1:110
	s_waitcnt vmcnt(0) lgkmcnt(0)
	v_fmac_f64_e32 v[128:129], v[136:137], v[132:133]
	buffer_load_dword v133, off, s[0:3], 0 offset:388
	buffer_load_dword v132, off, s[0:3], 0 offset:384
	buffer_load_dword v137, off, s[0:3], 0 offset:396
	buffer_load_dword v136, off, s[0:3], 0 offset:392
	s_waitcnt vmcnt(2)
	v_fmac_f64_e32 v[128:129], v[132:133], v[134:135]
	ds_read2_b64 v[132:135], v130 offset0:111 offset1:112
	s_waitcnt vmcnt(0) lgkmcnt(0)
	v_fmac_f64_e32 v[128:129], v[136:137], v[132:133]
	;; [unrolled: 9-line block ×7, first 2 shown]
	buffer_load_dword v133, off, s[0:3], 0 offset:484
	buffer_load_dword v132, off, s[0:3], 0 offset:480
	s_waitcnt vmcnt(0)
	v_fmac_f64_e32 v[128:129], v[132:133], v[134:135]
	buffer_load_dword v133, off, s[0:3], 0 offset:492
	buffer_load_dword v132, off, s[0:3], 0 offset:488
	ds_read_b64 v[134:135], v130 offset:984
	s_waitcnt vmcnt(0) lgkmcnt(0)
	v_fmac_f64_e32 v[128:129], v[132:133], v[134:135]
	v_add_f64 v[126:127], v[126:127], -v[128:129]
	buffer_store_dword v127, off, s[0:3], 0 offset:308
	buffer_store_dword v126, off, s[0:3], 0 offset:304
	s_and_saveexec_b64 s[4:5], vcc
	s_cbranch_execz .LBB125_305
; %bb.304:
	buffer_load_dword v126, off, s[0:3], 0 offset:296
	buffer_load_dword v127, off, s[0:3], 0 offset:300
	s_waitcnt vmcnt(0)
	ds_write_b64 v1, v[126:127]
	buffer_store_dword v130, off, s[0:3], 0 offset:296
	buffer_store_dword v130, off, s[0:3], 0 offset:300
.LBB125_305:
	s_or_b64 exec, exec, s[4:5]
	s_waitcnt lgkmcnt(0)
	; wave barrier
	s_waitcnt lgkmcnt(0)
	buffer_load_dword v126, off, s[0:3], 0 offset:296
	buffer_load_dword v127, off, s[0:3], 0 offset:300
	;; [unrolled: 1-line block ×16, first 2 shown]
	ds_read_b128 v[132:135], v130 offset:800
	ds_read_b128 v[136:139], v130 offset:816
	;; [unrolled: 1-line block ×4, first 2 shown]
	v_cmp_lt_u32_e32 vcc, 36, v0
	s_waitcnt vmcnt(12) lgkmcnt(3)
	v_fma_f64 v[128:129], v[128:129], v[132:133], 0
	buffer_load_dword v133, off, s[0:3], 0 offset:364
	buffer_load_dword v132, off, s[0:3], 0 offset:360
	s_waitcnt vmcnt(12)
	v_fmac_f64_e32 v[128:129], v[148:149], v[134:135]
	s_waitcnt vmcnt(10) lgkmcnt(2)
	v_fmac_f64_e32 v[128:129], v[150:151], v[136:137]
	buffer_load_dword v137, off, s[0:3], 0 offset:372
	buffer_load_dword v136, off, s[0:3], 0 offset:368
	s_waitcnt vmcnt(10)
	v_fmac_f64_e32 v[128:129], v[152:153], v[138:139]
	s_waitcnt vmcnt(8) lgkmcnt(1)
	v_fmac_f64_e32 v[128:129], v[154:155], v[140:141]
	s_waitcnt vmcnt(6)
	v_fmac_f64_e32 v[128:129], v[156:157], v[142:143]
	s_waitcnt vmcnt(4) lgkmcnt(0)
	v_fmac_f64_e32 v[128:129], v[158:159], v[144:145]
	s_waitcnt vmcnt(2)
	v_fmac_f64_e32 v[128:129], v[132:133], v[146:147]
	ds_read_b128 v[132:135], v130 offset:864
	s_waitcnt vmcnt(0) lgkmcnt(0)
	v_fmac_f64_e32 v[128:129], v[136:137], v[132:133]
	buffer_load_dword v133, off, s[0:3], 0 offset:380
	buffer_load_dword v132, off, s[0:3], 0 offset:376
	buffer_load_dword v137, off, s[0:3], 0 offset:388
	buffer_load_dword v136, off, s[0:3], 0 offset:384
	s_waitcnt vmcnt(2)
	v_fmac_f64_e32 v[128:129], v[132:133], v[134:135]
	ds_read_b128 v[132:135], v130 offset:880
	s_waitcnt vmcnt(0) lgkmcnt(0)
	v_fmac_f64_e32 v[128:129], v[136:137], v[132:133]
	buffer_load_dword v133, off, s[0:3], 0 offset:396
	buffer_load_dword v132, off, s[0:3], 0 offset:392
	buffer_load_dword v137, off, s[0:3], 0 offset:404
	buffer_load_dword v136, off, s[0:3], 0 offset:400
	;; [unrolled: 9-line block ×6, first 2 shown]
	s_waitcnt vmcnt(2)
	v_fmac_f64_e32 v[128:129], v[132:133], v[134:135]
	ds_read_b128 v[132:135], v130 offset:960
	s_waitcnt vmcnt(0) lgkmcnt(0)
	v_fmac_f64_e32 v[128:129], v[136:137], v[132:133]
	buffer_load_dword v133, off, s[0:3], 0 offset:476
	buffer_load_dword v132, off, s[0:3], 0 offset:472
	s_waitcnt vmcnt(0)
	v_fmac_f64_e32 v[128:129], v[132:133], v[134:135]
	buffer_load_dword v135, off, s[0:3], 0 offset:484
	buffer_load_dword v134, off, s[0:3], 0 offset:480
	ds_read_b128 v[130:133], v130 offset:976
	s_waitcnt vmcnt(0) lgkmcnt(0)
	v_fmac_f64_e32 v[128:129], v[134:135], v[130:131]
	buffer_load_dword v131, off, s[0:3], 0 offset:492
	buffer_load_dword v130, off, s[0:3], 0 offset:488
	s_waitcnt vmcnt(0)
	v_fmac_f64_e32 v[128:129], v[130:131], v[132:133]
	v_add_f64 v[126:127], v[126:127], -v[128:129]
	buffer_store_dword v127, off, s[0:3], 0 offset:300
	buffer_store_dword v126, off, s[0:3], 0 offset:296
	s_and_saveexec_b64 s[4:5], vcc
	s_cbranch_execz .LBB125_307
; %bb.306:
	buffer_load_dword v126, off, s[0:3], 0 offset:288
	buffer_load_dword v127, off, s[0:3], 0 offset:292
	v_mov_b32_e32 v128, 0
	buffer_store_dword v128, off, s[0:3], 0 offset:288
	buffer_store_dword v128, off, s[0:3], 0 offset:292
	s_waitcnt vmcnt(2)
	ds_write_b64 v1, v[126:127]
.LBB125_307:
	s_or_b64 exec, exec, s[4:5]
	s_waitcnt lgkmcnt(0)
	; wave barrier
	s_waitcnt lgkmcnt(0)
	buffer_load_dword v126, off, s[0:3], 0 offset:288
	buffer_load_dword v127, off, s[0:3], 0 offset:292
	;; [unrolled: 1-line block ×16, first 2 shown]
	v_mov_b32_e32 v130, 0
	ds_read2_b64 v[132:135], v130 offset0:99 offset1:100
	v_cmp_lt_u32_e32 vcc, 35, v0
	s_waitcnt vmcnt(12) lgkmcnt(0)
	v_fma_f64 v[128:129], v[128:129], v[132:133], 0
	s_waitcnt vmcnt(10)
	v_fmac_f64_e32 v[128:129], v[136:137], v[134:135]
	ds_read2_b64 v[132:135], v130 offset0:101 offset1:102
	s_waitcnt vmcnt(8) lgkmcnt(0)
	v_fmac_f64_e32 v[128:129], v[138:139], v[132:133]
	s_waitcnt vmcnt(6)
	v_fmac_f64_e32 v[128:129], v[140:141], v[134:135]
	ds_read2_b64 v[132:135], v130 offset0:103 offset1:104
	s_waitcnt vmcnt(4) lgkmcnt(0)
	v_fmac_f64_e32 v[128:129], v[142:143], v[132:133]
	;; [unrolled: 5-line block ×3, first 2 shown]
	buffer_load_dword v133, off, s[0:3], 0 offset:356
	buffer_load_dword v132, off, s[0:3], 0 offset:352
	buffer_load_dword v137, off, s[0:3], 0 offset:364
	buffer_load_dword v136, off, s[0:3], 0 offset:360
	s_waitcnt vmcnt(2)
	v_fmac_f64_e32 v[128:129], v[132:133], v[134:135]
	ds_read2_b64 v[132:135], v130 offset0:107 offset1:108
	s_waitcnt vmcnt(0) lgkmcnt(0)
	v_fmac_f64_e32 v[128:129], v[136:137], v[132:133]
	buffer_load_dword v133, off, s[0:3], 0 offset:372
	buffer_load_dword v132, off, s[0:3], 0 offset:368
	buffer_load_dword v137, off, s[0:3], 0 offset:380
	buffer_load_dword v136, off, s[0:3], 0 offset:376
	s_waitcnt vmcnt(2)
	v_fmac_f64_e32 v[128:129], v[132:133], v[134:135]
	ds_read2_b64 v[132:135], v130 offset0:109 offset1:110
	s_waitcnt vmcnt(0) lgkmcnt(0)
	v_fmac_f64_e32 v[128:129], v[136:137], v[132:133]
	;; [unrolled: 9-line block ×8, first 2 shown]
	buffer_load_dword v133, off, s[0:3], 0 offset:484
	buffer_load_dword v132, off, s[0:3], 0 offset:480
	s_waitcnt vmcnt(0)
	v_fmac_f64_e32 v[128:129], v[132:133], v[134:135]
	buffer_load_dword v133, off, s[0:3], 0 offset:492
	buffer_load_dword v132, off, s[0:3], 0 offset:488
	ds_read_b64 v[134:135], v130 offset:984
	s_waitcnt vmcnt(0) lgkmcnt(0)
	v_fmac_f64_e32 v[128:129], v[132:133], v[134:135]
	v_add_f64 v[126:127], v[126:127], -v[128:129]
	buffer_store_dword v127, off, s[0:3], 0 offset:292
	buffer_store_dword v126, off, s[0:3], 0 offset:288
	s_and_saveexec_b64 s[4:5], vcc
	s_cbranch_execz .LBB125_309
; %bb.308:
	buffer_load_dword v126, off, s[0:3], 0 offset:280
	buffer_load_dword v127, off, s[0:3], 0 offset:284
	s_waitcnt vmcnt(0)
	ds_write_b64 v1, v[126:127]
	buffer_store_dword v130, off, s[0:3], 0 offset:280
	buffer_store_dword v130, off, s[0:3], 0 offset:284
.LBB125_309:
	s_or_b64 exec, exec, s[4:5]
	s_waitcnt lgkmcnt(0)
	; wave barrier
	s_waitcnt lgkmcnt(0)
	buffer_load_dword v126, off, s[0:3], 0 offset:280
	buffer_load_dword v127, off, s[0:3], 0 offset:284
	;; [unrolled: 1-line block ×16, first 2 shown]
	ds_read_b128 v[132:135], v130 offset:784
	ds_read_b128 v[136:139], v130 offset:800
	ds_read_b128 v[140:143], v130 offset:816
	ds_read_b128 v[144:147], v130 offset:832
	v_cmp_lt_u32_e32 vcc, 34, v0
	s_waitcnt vmcnt(12) lgkmcnt(3)
	v_fma_f64 v[128:129], v[128:129], v[132:133], 0
	buffer_load_dword v133, off, s[0:3], 0 offset:348
	buffer_load_dword v132, off, s[0:3], 0 offset:344
	s_waitcnt vmcnt(12)
	v_fmac_f64_e32 v[128:129], v[148:149], v[134:135]
	s_waitcnt vmcnt(10) lgkmcnt(2)
	v_fmac_f64_e32 v[128:129], v[150:151], v[136:137]
	buffer_load_dword v137, off, s[0:3], 0 offset:356
	buffer_load_dword v136, off, s[0:3], 0 offset:352
	s_waitcnt vmcnt(10)
	v_fmac_f64_e32 v[128:129], v[152:153], v[138:139]
	s_waitcnt vmcnt(8) lgkmcnt(1)
	v_fmac_f64_e32 v[128:129], v[154:155], v[140:141]
	s_waitcnt vmcnt(6)
	v_fmac_f64_e32 v[128:129], v[156:157], v[142:143]
	s_waitcnt vmcnt(4) lgkmcnt(0)
	v_fmac_f64_e32 v[128:129], v[158:159], v[144:145]
	s_waitcnt vmcnt(2)
	v_fmac_f64_e32 v[128:129], v[132:133], v[146:147]
	ds_read_b128 v[132:135], v130 offset:848
	s_waitcnt vmcnt(0) lgkmcnt(0)
	v_fmac_f64_e32 v[128:129], v[136:137], v[132:133]
	buffer_load_dword v133, off, s[0:3], 0 offset:364
	buffer_load_dword v132, off, s[0:3], 0 offset:360
	buffer_load_dword v137, off, s[0:3], 0 offset:372
	buffer_load_dword v136, off, s[0:3], 0 offset:368
	s_waitcnt vmcnt(2)
	v_fmac_f64_e32 v[128:129], v[132:133], v[134:135]
	ds_read_b128 v[132:135], v130 offset:864
	s_waitcnt vmcnt(0) lgkmcnt(0)
	v_fmac_f64_e32 v[128:129], v[136:137], v[132:133]
	buffer_load_dword v133, off, s[0:3], 0 offset:380
	buffer_load_dword v132, off, s[0:3], 0 offset:376
	buffer_load_dword v137, off, s[0:3], 0 offset:388
	buffer_load_dword v136, off, s[0:3], 0 offset:384
	;; [unrolled: 9-line block ×7, first 2 shown]
	s_waitcnt vmcnt(2)
	v_fmac_f64_e32 v[128:129], v[132:133], v[134:135]
	ds_read_b128 v[132:135], v130 offset:960
	s_waitcnt vmcnt(0) lgkmcnt(0)
	v_fmac_f64_e32 v[128:129], v[136:137], v[132:133]
	buffer_load_dword v133, off, s[0:3], 0 offset:476
	buffer_load_dword v132, off, s[0:3], 0 offset:472
	s_waitcnt vmcnt(0)
	v_fmac_f64_e32 v[128:129], v[132:133], v[134:135]
	buffer_load_dword v135, off, s[0:3], 0 offset:484
	buffer_load_dword v134, off, s[0:3], 0 offset:480
	ds_read_b128 v[130:133], v130 offset:976
	s_waitcnt vmcnt(0) lgkmcnt(0)
	v_fmac_f64_e32 v[128:129], v[134:135], v[130:131]
	buffer_load_dword v131, off, s[0:3], 0 offset:492
	buffer_load_dword v130, off, s[0:3], 0 offset:488
	s_waitcnt vmcnt(0)
	v_fmac_f64_e32 v[128:129], v[130:131], v[132:133]
	v_add_f64 v[126:127], v[126:127], -v[128:129]
	buffer_store_dword v127, off, s[0:3], 0 offset:284
	buffer_store_dword v126, off, s[0:3], 0 offset:280
	s_and_saveexec_b64 s[4:5], vcc
	s_cbranch_execz .LBB125_311
; %bb.310:
	buffer_load_dword v126, off, s[0:3], 0 offset:272
	buffer_load_dword v127, off, s[0:3], 0 offset:276
	v_mov_b32_e32 v128, 0
	buffer_store_dword v128, off, s[0:3], 0 offset:272
	buffer_store_dword v128, off, s[0:3], 0 offset:276
	s_waitcnt vmcnt(2)
	ds_write_b64 v1, v[126:127]
.LBB125_311:
	s_or_b64 exec, exec, s[4:5]
	s_waitcnt lgkmcnt(0)
	; wave barrier
	s_waitcnt lgkmcnt(0)
	buffer_load_dword v126, off, s[0:3], 0 offset:272
	buffer_load_dword v127, off, s[0:3], 0 offset:276
	;; [unrolled: 1-line block ×16, first 2 shown]
	v_mov_b32_e32 v130, 0
	ds_read2_b64 v[132:135], v130 offset0:97 offset1:98
	v_cmp_lt_u32_e32 vcc, 33, v0
	s_waitcnt vmcnt(12) lgkmcnt(0)
	v_fma_f64 v[128:129], v[128:129], v[132:133], 0
	s_waitcnt vmcnt(10)
	v_fmac_f64_e32 v[128:129], v[136:137], v[134:135]
	ds_read2_b64 v[132:135], v130 offset0:99 offset1:100
	s_waitcnt vmcnt(8) lgkmcnt(0)
	v_fmac_f64_e32 v[128:129], v[138:139], v[132:133]
	s_waitcnt vmcnt(6)
	v_fmac_f64_e32 v[128:129], v[140:141], v[134:135]
	ds_read2_b64 v[132:135], v130 offset0:101 offset1:102
	s_waitcnt vmcnt(4) lgkmcnt(0)
	v_fmac_f64_e32 v[128:129], v[142:143], v[132:133]
	;; [unrolled: 5-line block ×3, first 2 shown]
	buffer_load_dword v133, off, s[0:3], 0 offset:340
	buffer_load_dword v132, off, s[0:3], 0 offset:336
	buffer_load_dword v137, off, s[0:3], 0 offset:348
	buffer_load_dword v136, off, s[0:3], 0 offset:344
	s_waitcnt vmcnt(2)
	v_fmac_f64_e32 v[128:129], v[132:133], v[134:135]
	ds_read2_b64 v[132:135], v130 offset0:105 offset1:106
	s_waitcnt vmcnt(0) lgkmcnt(0)
	v_fmac_f64_e32 v[128:129], v[136:137], v[132:133]
	buffer_load_dword v133, off, s[0:3], 0 offset:356
	buffer_load_dword v132, off, s[0:3], 0 offset:352
	buffer_load_dword v137, off, s[0:3], 0 offset:364
	buffer_load_dword v136, off, s[0:3], 0 offset:360
	s_waitcnt vmcnt(2)
	v_fmac_f64_e32 v[128:129], v[132:133], v[134:135]
	ds_read2_b64 v[132:135], v130 offset0:107 offset1:108
	s_waitcnt vmcnt(0) lgkmcnt(0)
	v_fmac_f64_e32 v[128:129], v[136:137], v[132:133]
	;; [unrolled: 9-line block ×9, first 2 shown]
	buffer_load_dword v133, off, s[0:3], 0 offset:484
	buffer_load_dword v132, off, s[0:3], 0 offset:480
	s_waitcnt vmcnt(0)
	v_fmac_f64_e32 v[128:129], v[132:133], v[134:135]
	buffer_load_dword v133, off, s[0:3], 0 offset:492
	buffer_load_dword v132, off, s[0:3], 0 offset:488
	ds_read_b64 v[134:135], v130 offset:984
	s_waitcnt vmcnt(0) lgkmcnt(0)
	v_fmac_f64_e32 v[128:129], v[132:133], v[134:135]
	v_add_f64 v[126:127], v[126:127], -v[128:129]
	buffer_store_dword v127, off, s[0:3], 0 offset:276
	buffer_store_dword v126, off, s[0:3], 0 offset:272
	s_and_saveexec_b64 s[4:5], vcc
	s_cbranch_execz .LBB125_313
; %bb.312:
	buffer_load_dword v126, off, s[0:3], 0 offset:264
	buffer_load_dword v127, off, s[0:3], 0 offset:268
	s_waitcnt vmcnt(0)
	ds_write_b64 v1, v[126:127]
	buffer_store_dword v130, off, s[0:3], 0 offset:264
	buffer_store_dword v130, off, s[0:3], 0 offset:268
.LBB125_313:
	s_or_b64 exec, exec, s[4:5]
	s_waitcnt lgkmcnt(0)
	; wave barrier
	s_waitcnt lgkmcnt(0)
	buffer_load_dword v126, off, s[0:3], 0 offset:264
	buffer_load_dword v127, off, s[0:3], 0 offset:268
	;; [unrolled: 1-line block ×16, first 2 shown]
	ds_read_b128 v[132:135], v130 offset:768
	ds_read_b128 v[136:139], v130 offset:784
	;; [unrolled: 1-line block ×4, first 2 shown]
	v_cmp_lt_u32_e32 vcc, 32, v0
	s_waitcnt vmcnt(12) lgkmcnt(3)
	v_fma_f64 v[128:129], v[128:129], v[132:133], 0
	buffer_load_dword v133, off, s[0:3], 0 offset:332
	buffer_load_dword v132, off, s[0:3], 0 offset:328
	s_waitcnt vmcnt(12)
	v_fmac_f64_e32 v[128:129], v[148:149], v[134:135]
	s_waitcnt vmcnt(10) lgkmcnt(2)
	v_fmac_f64_e32 v[128:129], v[150:151], v[136:137]
	buffer_load_dword v137, off, s[0:3], 0 offset:340
	buffer_load_dword v136, off, s[0:3], 0 offset:336
	s_waitcnt vmcnt(10)
	v_fmac_f64_e32 v[128:129], v[152:153], v[138:139]
	s_waitcnt vmcnt(8) lgkmcnt(1)
	v_fmac_f64_e32 v[128:129], v[154:155], v[140:141]
	s_waitcnt vmcnt(6)
	v_fmac_f64_e32 v[128:129], v[156:157], v[142:143]
	s_waitcnt vmcnt(4) lgkmcnt(0)
	v_fmac_f64_e32 v[128:129], v[158:159], v[144:145]
	s_waitcnt vmcnt(2)
	v_fmac_f64_e32 v[128:129], v[132:133], v[146:147]
	ds_read_b128 v[132:135], v130 offset:832
	s_waitcnt vmcnt(0) lgkmcnt(0)
	v_fmac_f64_e32 v[128:129], v[136:137], v[132:133]
	buffer_load_dword v133, off, s[0:3], 0 offset:348
	buffer_load_dword v132, off, s[0:3], 0 offset:344
	buffer_load_dword v137, off, s[0:3], 0 offset:356
	buffer_load_dword v136, off, s[0:3], 0 offset:352
	s_waitcnt vmcnt(2)
	v_fmac_f64_e32 v[128:129], v[132:133], v[134:135]
	ds_read_b128 v[132:135], v130 offset:848
	s_waitcnt vmcnt(0) lgkmcnt(0)
	v_fmac_f64_e32 v[128:129], v[136:137], v[132:133]
	buffer_load_dword v133, off, s[0:3], 0 offset:364
	buffer_load_dword v132, off, s[0:3], 0 offset:360
	buffer_load_dword v137, off, s[0:3], 0 offset:372
	buffer_load_dword v136, off, s[0:3], 0 offset:368
	;; [unrolled: 9-line block ×8, first 2 shown]
	s_waitcnt vmcnt(2)
	v_fmac_f64_e32 v[128:129], v[132:133], v[134:135]
	ds_read_b128 v[132:135], v130 offset:960
	s_waitcnt vmcnt(0) lgkmcnt(0)
	v_fmac_f64_e32 v[128:129], v[136:137], v[132:133]
	buffer_load_dword v133, off, s[0:3], 0 offset:476
	buffer_load_dword v132, off, s[0:3], 0 offset:472
	s_waitcnt vmcnt(0)
	v_fmac_f64_e32 v[128:129], v[132:133], v[134:135]
	buffer_load_dword v135, off, s[0:3], 0 offset:484
	buffer_load_dword v134, off, s[0:3], 0 offset:480
	ds_read_b128 v[130:133], v130 offset:976
	s_waitcnt vmcnt(0) lgkmcnt(0)
	v_fmac_f64_e32 v[128:129], v[134:135], v[130:131]
	buffer_load_dword v131, off, s[0:3], 0 offset:492
	buffer_load_dword v130, off, s[0:3], 0 offset:488
	s_waitcnt vmcnt(0)
	v_fmac_f64_e32 v[128:129], v[130:131], v[132:133]
	v_add_f64 v[126:127], v[126:127], -v[128:129]
	buffer_store_dword v127, off, s[0:3], 0 offset:268
	buffer_store_dword v126, off, s[0:3], 0 offset:264
	s_and_saveexec_b64 s[4:5], vcc
	s_cbranch_execz .LBB125_315
; %bb.314:
	buffer_load_dword v126, off, s[0:3], 0 offset:256
	buffer_load_dword v127, off, s[0:3], 0 offset:260
	v_mov_b32_e32 v128, 0
	buffer_store_dword v128, off, s[0:3], 0 offset:256
	buffer_store_dword v128, off, s[0:3], 0 offset:260
	s_waitcnt vmcnt(2)
	ds_write_b64 v1, v[126:127]
.LBB125_315:
	s_or_b64 exec, exec, s[4:5]
	s_waitcnt lgkmcnt(0)
	; wave barrier
	s_waitcnt lgkmcnt(0)
	buffer_load_dword v126, off, s[0:3], 0 offset:256
	buffer_load_dword v127, off, s[0:3], 0 offset:260
	;; [unrolled: 1-line block ×16, first 2 shown]
	v_mov_b32_e32 v130, 0
	ds_read2_b64 v[132:135], v130 offset0:95 offset1:96
	v_cmp_lt_u32_e32 vcc, 31, v0
	s_waitcnt vmcnt(12) lgkmcnt(0)
	v_fma_f64 v[128:129], v[128:129], v[132:133], 0
	s_waitcnt vmcnt(10)
	v_fmac_f64_e32 v[128:129], v[136:137], v[134:135]
	ds_read2_b64 v[132:135], v130 offset0:97 offset1:98
	s_waitcnt vmcnt(8) lgkmcnt(0)
	v_fmac_f64_e32 v[128:129], v[138:139], v[132:133]
	s_waitcnt vmcnt(6)
	v_fmac_f64_e32 v[128:129], v[140:141], v[134:135]
	ds_read2_b64 v[132:135], v130 offset0:99 offset1:100
	s_waitcnt vmcnt(4) lgkmcnt(0)
	v_fmac_f64_e32 v[128:129], v[142:143], v[132:133]
	;; [unrolled: 5-line block ×3, first 2 shown]
	buffer_load_dword v133, off, s[0:3], 0 offset:324
	buffer_load_dword v132, off, s[0:3], 0 offset:320
	buffer_load_dword v137, off, s[0:3], 0 offset:332
	buffer_load_dword v136, off, s[0:3], 0 offset:328
	s_waitcnt vmcnt(2)
	v_fmac_f64_e32 v[128:129], v[132:133], v[134:135]
	ds_read2_b64 v[132:135], v130 offset0:103 offset1:104
	s_waitcnt vmcnt(0) lgkmcnt(0)
	v_fmac_f64_e32 v[128:129], v[136:137], v[132:133]
	buffer_load_dword v133, off, s[0:3], 0 offset:340
	buffer_load_dword v132, off, s[0:3], 0 offset:336
	buffer_load_dword v137, off, s[0:3], 0 offset:348
	buffer_load_dword v136, off, s[0:3], 0 offset:344
	s_waitcnt vmcnt(2)
	v_fmac_f64_e32 v[128:129], v[132:133], v[134:135]
	ds_read2_b64 v[132:135], v130 offset0:105 offset1:106
	s_waitcnt vmcnt(0) lgkmcnt(0)
	v_fmac_f64_e32 v[128:129], v[136:137], v[132:133]
	;; [unrolled: 9-line block ×10, first 2 shown]
	buffer_load_dword v133, off, s[0:3], 0 offset:484
	buffer_load_dword v132, off, s[0:3], 0 offset:480
	s_waitcnt vmcnt(0)
	v_fmac_f64_e32 v[128:129], v[132:133], v[134:135]
	buffer_load_dword v133, off, s[0:3], 0 offset:492
	buffer_load_dword v132, off, s[0:3], 0 offset:488
	ds_read_b64 v[134:135], v130 offset:984
	s_waitcnt vmcnt(0) lgkmcnt(0)
	v_fmac_f64_e32 v[128:129], v[132:133], v[134:135]
	v_add_f64 v[126:127], v[126:127], -v[128:129]
	buffer_store_dword v127, off, s[0:3], 0 offset:260
	buffer_store_dword v126, off, s[0:3], 0 offset:256
	s_and_saveexec_b64 s[4:5], vcc
	s_cbranch_execz .LBB125_317
; %bb.316:
	buffer_load_dword v126, off, s[0:3], 0 offset:248
	buffer_load_dword v127, off, s[0:3], 0 offset:252
	s_waitcnt vmcnt(0)
	ds_write_b64 v1, v[126:127]
	buffer_store_dword v130, off, s[0:3], 0 offset:248
	buffer_store_dword v130, off, s[0:3], 0 offset:252
.LBB125_317:
	s_or_b64 exec, exec, s[4:5]
	s_waitcnt lgkmcnt(0)
	; wave barrier
	s_waitcnt lgkmcnt(0)
	buffer_load_dword v126, off, s[0:3], 0 offset:248
	buffer_load_dword v127, off, s[0:3], 0 offset:252
	;; [unrolled: 1-line block ×16, first 2 shown]
	ds_read_b128 v[132:135], v130 offset:752
	ds_read_b128 v[136:139], v130 offset:768
	;; [unrolled: 1-line block ×4, first 2 shown]
	v_cmp_lt_u32_e32 vcc, 30, v0
	s_waitcnt vmcnt(12) lgkmcnt(3)
	v_fma_f64 v[128:129], v[128:129], v[132:133], 0
	buffer_load_dword v133, off, s[0:3], 0 offset:316
	buffer_load_dword v132, off, s[0:3], 0 offset:312
	s_waitcnt vmcnt(12)
	v_fmac_f64_e32 v[128:129], v[148:149], v[134:135]
	s_waitcnt vmcnt(10) lgkmcnt(2)
	v_fmac_f64_e32 v[128:129], v[150:151], v[136:137]
	buffer_load_dword v137, off, s[0:3], 0 offset:324
	buffer_load_dword v136, off, s[0:3], 0 offset:320
	s_waitcnt vmcnt(10)
	v_fmac_f64_e32 v[128:129], v[152:153], v[138:139]
	s_waitcnt vmcnt(8) lgkmcnt(1)
	v_fmac_f64_e32 v[128:129], v[154:155], v[140:141]
	s_waitcnt vmcnt(6)
	v_fmac_f64_e32 v[128:129], v[156:157], v[142:143]
	s_waitcnt vmcnt(4) lgkmcnt(0)
	v_fmac_f64_e32 v[128:129], v[158:159], v[144:145]
	s_waitcnt vmcnt(2)
	v_fmac_f64_e32 v[128:129], v[132:133], v[146:147]
	ds_read_b128 v[132:135], v130 offset:816
	s_waitcnt vmcnt(0) lgkmcnt(0)
	v_fmac_f64_e32 v[128:129], v[136:137], v[132:133]
	buffer_load_dword v133, off, s[0:3], 0 offset:332
	buffer_load_dword v132, off, s[0:3], 0 offset:328
	buffer_load_dword v137, off, s[0:3], 0 offset:340
	buffer_load_dword v136, off, s[0:3], 0 offset:336
	s_waitcnt vmcnt(2)
	v_fmac_f64_e32 v[128:129], v[132:133], v[134:135]
	ds_read_b128 v[132:135], v130 offset:832
	s_waitcnt vmcnt(0) lgkmcnt(0)
	v_fmac_f64_e32 v[128:129], v[136:137], v[132:133]
	buffer_load_dword v133, off, s[0:3], 0 offset:348
	buffer_load_dword v132, off, s[0:3], 0 offset:344
	buffer_load_dword v137, off, s[0:3], 0 offset:356
	buffer_load_dword v136, off, s[0:3], 0 offset:352
	;; [unrolled: 9-line block ×9, first 2 shown]
	s_waitcnt vmcnt(2)
	v_fmac_f64_e32 v[128:129], v[132:133], v[134:135]
	ds_read_b128 v[132:135], v130 offset:960
	s_waitcnt vmcnt(0) lgkmcnt(0)
	v_fmac_f64_e32 v[128:129], v[136:137], v[132:133]
	buffer_load_dword v133, off, s[0:3], 0 offset:476
	buffer_load_dword v132, off, s[0:3], 0 offset:472
	s_waitcnt vmcnt(0)
	v_fmac_f64_e32 v[128:129], v[132:133], v[134:135]
	buffer_load_dword v135, off, s[0:3], 0 offset:484
	buffer_load_dword v134, off, s[0:3], 0 offset:480
	ds_read_b128 v[130:133], v130 offset:976
	s_waitcnt vmcnt(0) lgkmcnt(0)
	v_fmac_f64_e32 v[128:129], v[134:135], v[130:131]
	buffer_load_dword v131, off, s[0:3], 0 offset:492
	buffer_load_dword v130, off, s[0:3], 0 offset:488
	s_waitcnt vmcnt(0)
	v_fmac_f64_e32 v[128:129], v[130:131], v[132:133]
	v_add_f64 v[126:127], v[126:127], -v[128:129]
	buffer_store_dword v127, off, s[0:3], 0 offset:252
	buffer_store_dword v126, off, s[0:3], 0 offset:248
	s_and_saveexec_b64 s[4:5], vcc
	s_cbranch_execz .LBB125_319
; %bb.318:
	buffer_load_dword v126, off, s[0:3], 0 offset:240
	buffer_load_dword v127, off, s[0:3], 0 offset:244
	v_mov_b32_e32 v128, 0
	buffer_store_dword v128, off, s[0:3], 0 offset:240
	buffer_store_dword v128, off, s[0:3], 0 offset:244
	s_waitcnt vmcnt(2)
	ds_write_b64 v1, v[126:127]
.LBB125_319:
	s_or_b64 exec, exec, s[4:5]
	s_waitcnt lgkmcnt(0)
	; wave barrier
	s_waitcnt lgkmcnt(0)
	buffer_load_dword v126, off, s[0:3], 0 offset:240
	buffer_load_dword v127, off, s[0:3], 0 offset:244
	buffer_load_dword v128, off, s[0:3], 0 offset:248
	buffer_load_dword v129, off, s[0:3], 0 offset:252
	buffer_load_dword v136, off, s[0:3], 0 offset:256
	buffer_load_dword v137, off, s[0:3], 0 offset:260
	buffer_load_dword v138, off, s[0:3], 0 offset:264
	buffer_load_dword v139, off, s[0:3], 0 offset:268
	buffer_load_dword v140, off, s[0:3], 0 offset:272
	buffer_load_dword v141, off, s[0:3], 0 offset:276
	buffer_load_dword v142, off, s[0:3], 0 offset:280
	buffer_load_dword v143, off, s[0:3], 0 offset:284
	buffer_load_dword v144, off, s[0:3], 0 offset:288
	buffer_load_dword v145, off, s[0:3], 0 offset:292
	buffer_load_dword v146, off, s[0:3], 0 offset:296
	buffer_load_dword v147, off, s[0:3], 0 offset:300
	v_mov_b32_e32 v130, 0
	ds_read2_b64 v[132:135], v130 offset0:93 offset1:94
	v_cmp_lt_u32_e32 vcc, 29, v0
	s_waitcnt vmcnt(12) lgkmcnt(0)
	v_fma_f64 v[128:129], v[128:129], v[132:133], 0
	s_waitcnt vmcnt(10)
	v_fmac_f64_e32 v[128:129], v[136:137], v[134:135]
	ds_read2_b64 v[132:135], v130 offset0:95 offset1:96
	s_waitcnt vmcnt(8) lgkmcnt(0)
	v_fmac_f64_e32 v[128:129], v[138:139], v[132:133]
	s_waitcnt vmcnt(6)
	v_fmac_f64_e32 v[128:129], v[140:141], v[134:135]
	ds_read2_b64 v[132:135], v130 offset0:97 offset1:98
	s_waitcnt vmcnt(4) lgkmcnt(0)
	v_fmac_f64_e32 v[128:129], v[142:143], v[132:133]
	;; [unrolled: 5-line block ×3, first 2 shown]
	buffer_load_dword v133, off, s[0:3], 0 offset:308
	buffer_load_dword v132, off, s[0:3], 0 offset:304
	buffer_load_dword v137, off, s[0:3], 0 offset:316
	buffer_load_dword v136, off, s[0:3], 0 offset:312
	s_waitcnt vmcnt(2)
	v_fmac_f64_e32 v[128:129], v[132:133], v[134:135]
	ds_read2_b64 v[132:135], v130 offset0:101 offset1:102
	s_waitcnt vmcnt(0) lgkmcnt(0)
	v_fmac_f64_e32 v[128:129], v[136:137], v[132:133]
	buffer_load_dword v133, off, s[0:3], 0 offset:324
	buffer_load_dword v132, off, s[0:3], 0 offset:320
	buffer_load_dword v137, off, s[0:3], 0 offset:332
	buffer_load_dword v136, off, s[0:3], 0 offset:328
	s_waitcnt vmcnt(2)
	v_fmac_f64_e32 v[128:129], v[132:133], v[134:135]
	ds_read2_b64 v[132:135], v130 offset0:103 offset1:104
	s_waitcnt vmcnt(0) lgkmcnt(0)
	v_fmac_f64_e32 v[128:129], v[136:137], v[132:133]
	;; [unrolled: 9-line block ×11, first 2 shown]
	buffer_load_dword v133, off, s[0:3], 0 offset:484
	buffer_load_dword v132, off, s[0:3], 0 offset:480
	s_waitcnt vmcnt(0)
	v_fmac_f64_e32 v[128:129], v[132:133], v[134:135]
	buffer_load_dword v133, off, s[0:3], 0 offset:492
	buffer_load_dword v132, off, s[0:3], 0 offset:488
	ds_read_b64 v[134:135], v130 offset:984
	s_waitcnt vmcnt(0) lgkmcnt(0)
	v_fmac_f64_e32 v[128:129], v[132:133], v[134:135]
	v_add_f64 v[126:127], v[126:127], -v[128:129]
	buffer_store_dword v127, off, s[0:3], 0 offset:244
	buffer_store_dword v126, off, s[0:3], 0 offset:240
	s_and_saveexec_b64 s[4:5], vcc
	s_cbranch_execz .LBB125_321
; %bb.320:
	buffer_load_dword v126, off, s[0:3], 0 offset:232
	buffer_load_dword v127, off, s[0:3], 0 offset:236
	s_waitcnt vmcnt(0)
	ds_write_b64 v1, v[126:127]
	buffer_store_dword v130, off, s[0:3], 0 offset:232
	buffer_store_dword v130, off, s[0:3], 0 offset:236
.LBB125_321:
	s_or_b64 exec, exec, s[4:5]
	s_waitcnt lgkmcnt(0)
	; wave barrier
	s_waitcnt lgkmcnt(0)
	buffer_load_dword v126, off, s[0:3], 0 offset:232
	buffer_load_dword v127, off, s[0:3], 0 offset:236
	;; [unrolled: 1-line block ×16, first 2 shown]
	ds_read_b128 v[132:135], v130 offset:736
	ds_read_b128 v[136:139], v130 offset:752
	;; [unrolled: 1-line block ×4, first 2 shown]
	v_cmp_lt_u32_e32 vcc, 28, v0
	s_waitcnt vmcnt(12) lgkmcnt(3)
	v_fma_f64 v[128:129], v[128:129], v[132:133], 0
	buffer_load_dword v133, off, s[0:3], 0 offset:300
	buffer_load_dword v132, off, s[0:3], 0 offset:296
	s_waitcnt vmcnt(12)
	v_fmac_f64_e32 v[128:129], v[148:149], v[134:135]
	s_waitcnt vmcnt(10) lgkmcnt(2)
	v_fmac_f64_e32 v[128:129], v[150:151], v[136:137]
	buffer_load_dword v137, off, s[0:3], 0 offset:308
	buffer_load_dword v136, off, s[0:3], 0 offset:304
	s_waitcnt vmcnt(10)
	v_fmac_f64_e32 v[128:129], v[152:153], v[138:139]
	s_waitcnt vmcnt(8) lgkmcnt(1)
	v_fmac_f64_e32 v[128:129], v[154:155], v[140:141]
	s_waitcnt vmcnt(6)
	v_fmac_f64_e32 v[128:129], v[156:157], v[142:143]
	s_waitcnt vmcnt(4) lgkmcnt(0)
	v_fmac_f64_e32 v[128:129], v[158:159], v[144:145]
	s_waitcnt vmcnt(2)
	v_fmac_f64_e32 v[128:129], v[132:133], v[146:147]
	ds_read_b128 v[132:135], v130 offset:800
	s_waitcnt vmcnt(0) lgkmcnt(0)
	v_fmac_f64_e32 v[128:129], v[136:137], v[132:133]
	buffer_load_dword v133, off, s[0:3], 0 offset:316
	buffer_load_dword v132, off, s[0:3], 0 offset:312
	buffer_load_dword v137, off, s[0:3], 0 offset:324
	buffer_load_dword v136, off, s[0:3], 0 offset:320
	s_waitcnt vmcnt(2)
	v_fmac_f64_e32 v[128:129], v[132:133], v[134:135]
	ds_read_b128 v[132:135], v130 offset:816
	s_waitcnt vmcnt(0) lgkmcnt(0)
	v_fmac_f64_e32 v[128:129], v[136:137], v[132:133]
	buffer_load_dword v133, off, s[0:3], 0 offset:332
	buffer_load_dword v132, off, s[0:3], 0 offset:328
	buffer_load_dword v137, off, s[0:3], 0 offset:340
	buffer_load_dword v136, off, s[0:3], 0 offset:336
	;; [unrolled: 9-line block ×10, first 2 shown]
	s_waitcnt vmcnt(2)
	v_fmac_f64_e32 v[128:129], v[132:133], v[134:135]
	ds_read_b128 v[132:135], v130 offset:960
	s_waitcnt vmcnt(0) lgkmcnt(0)
	v_fmac_f64_e32 v[128:129], v[136:137], v[132:133]
	buffer_load_dword v133, off, s[0:3], 0 offset:476
	buffer_load_dword v132, off, s[0:3], 0 offset:472
	s_waitcnt vmcnt(0)
	v_fmac_f64_e32 v[128:129], v[132:133], v[134:135]
	buffer_load_dword v135, off, s[0:3], 0 offset:484
	buffer_load_dword v134, off, s[0:3], 0 offset:480
	ds_read_b128 v[130:133], v130 offset:976
	s_waitcnt vmcnt(0) lgkmcnt(0)
	v_fmac_f64_e32 v[128:129], v[134:135], v[130:131]
	buffer_load_dword v131, off, s[0:3], 0 offset:492
	buffer_load_dword v130, off, s[0:3], 0 offset:488
	s_waitcnt vmcnt(0)
	v_fmac_f64_e32 v[128:129], v[130:131], v[132:133]
	v_add_f64 v[126:127], v[126:127], -v[128:129]
	buffer_store_dword v127, off, s[0:3], 0 offset:236
	buffer_store_dword v126, off, s[0:3], 0 offset:232
	s_and_saveexec_b64 s[4:5], vcc
	s_cbranch_execz .LBB125_323
; %bb.322:
	buffer_load_dword v126, off, s[0:3], 0 offset:224
	buffer_load_dword v127, off, s[0:3], 0 offset:228
	v_mov_b32_e32 v128, 0
	buffer_store_dword v128, off, s[0:3], 0 offset:224
	buffer_store_dword v128, off, s[0:3], 0 offset:228
	s_waitcnt vmcnt(2)
	ds_write_b64 v1, v[126:127]
.LBB125_323:
	s_or_b64 exec, exec, s[4:5]
	s_waitcnt lgkmcnt(0)
	; wave barrier
	s_waitcnt lgkmcnt(0)
	buffer_load_dword v126, off, s[0:3], 0 offset:224
	buffer_load_dword v127, off, s[0:3], 0 offset:228
	;; [unrolled: 1-line block ×16, first 2 shown]
	v_mov_b32_e32 v130, 0
	ds_read2_b64 v[132:135], v130 offset0:91 offset1:92
	v_cmp_lt_u32_e32 vcc, 27, v0
	s_waitcnt vmcnt(12) lgkmcnt(0)
	v_fma_f64 v[128:129], v[128:129], v[132:133], 0
	s_waitcnt vmcnt(10)
	v_fmac_f64_e32 v[128:129], v[136:137], v[134:135]
	ds_read2_b64 v[132:135], v130 offset0:93 offset1:94
	s_waitcnt vmcnt(8) lgkmcnt(0)
	v_fmac_f64_e32 v[128:129], v[138:139], v[132:133]
	s_waitcnt vmcnt(6)
	v_fmac_f64_e32 v[128:129], v[140:141], v[134:135]
	ds_read2_b64 v[132:135], v130 offset0:95 offset1:96
	s_waitcnt vmcnt(4) lgkmcnt(0)
	v_fmac_f64_e32 v[128:129], v[142:143], v[132:133]
	s_waitcnt vmcnt(2)
	v_fmac_f64_e32 v[128:129], v[144:145], v[134:135]
	ds_read2_b64 v[132:135], v130 offset0:97 offset1:98
	s_waitcnt vmcnt(0) lgkmcnt(0)
	v_fmac_f64_e32 v[128:129], v[146:147], v[132:133]
	buffer_load_dword v133, off, s[0:3], 0 offset:292
	buffer_load_dword v132, off, s[0:3], 0 offset:288
	buffer_load_dword v137, off, s[0:3], 0 offset:300
	buffer_load_dword v136, off, s[0:3], 0 offset:296
	s_waitcnt vmcnt(2)
	v_fmac_f64_e32 v[128:129], v[132:133], v[134:135]
	ds_read2_b64 v[132:135], v130 offset0:99 offset1:100
	s_waitcnt vmcnt(0) lgkmcnt(0)
	v_fmac_f64_e32 v[128:129], v[136:137], v[132:133]
	buffer_load_dword v133, off, s[0:3], 0 offset:308
	buffer_load_dword v132, off, s[0:3], 0 offset:304
	buffer_load_dword v137, off, s[0:3], 0 offset:316
	buffer_load_dword v136, off, s[0:3], 0 offset:312
	s_waitcnt vmcnt(2)
	v_fmac_f64_e32 v[128:129], v[132:133], v[134:135]
	ds_read2_b64 v[132:135], v130 offset0:101 offset1:102
	s_waitcnt vmcnt(0) lgkmcnt(0)
	v_fmac_f64_e32 v[128:129], v[136:137], v[132:133]
	;; [unrolled: 9-line block ×12, first 2 shown]
	buffer_load_dword v133, off, s[0:3], 0 offset:484
	buffer_load_dword v132, off, s[0:3], 0 offset:480
	s_waitcnt vmcnt(0)
	v_fmac_f64_e32 v[128:129], v[132:133], v[134:135]
	buffer_load_dword v133, off, s[0:3], 0 offset:492
	buffer_load_dword v132, off, s[0:3], 0 offset:488
	ds_read_b64 v[134:135], v130 offset:984
	s_waitcnt vmcnt(0) lgkmcnt(0)
	v_fmac_f64_e32 v[128:129], v[132:133], v[134:135]
	v_add_f64 v[126:127], v[126:127], -v[128:129]
	buffer_store_dword v127, off, s[0:3], 0 offset:228
	buffer_store_dword v126, off, s[0:3], 0 offset:224
	s_and_saveexec_b64 s[4:5], vcc
	s_cbranch_execz .LBB125_325
; %bb.324:
	buffer_load_dword v126, off, s[0:3], 0 offset:216
	buffer_load_dword v127, off, s[0:3], 0 offset:220
	s_waitcnt vmcnt(0)
	ds_write_b64 v1, v[126:127]
	buffer_store_dword v130, off, s[0:3], 0 offset:216
	buffer_store_dword v130, off, s[0:3], 0 offset:220
.LBB125_325:
	s_or_b64 exec, exec, s[4:5]
	s_waitcnt lgkmcnt(0)
	; wave barrier
	s_waitcnt lgkmcnt(0)
	buffer_load_dword v126, off, s[0:3], 0 offset:216
	buffer_load_dword v127, off, s[0:3], 0 offset:220
	;; [unrolled: 1-line block ×16, first 2 shown]
	ds_read_b128 v[132:135], v130 offset:720
	ds_read_b128 v[136:139], v130 offset:736
	;; [unrolled: 1-line block ×4, first 2 shown]
	v_cmp_lt_u32_e32 vcc, 26, v0
	s_waitcnt vmcnt(12) lgkmcnt(3)
	v_fma_f64 v[128:129], v[128:129], v[132:133], 0
	buffer_load_dword v133, off, s[0:3], 0 offset:284
	buffer_load_dword v132, off, s[0:3], 0 offset:280
	s_waitcnt vmcnt(12)
	v_fmac_f64_e32 v[128:129], v[148:149], v[134:135]
	s_waitcnt vmcnt(10) lgkmcnt(2)
	v_fmac_f64_e32 v[128:129], v[150:151], v[136:137]
	buffer_load_dword v137, off, s[0:3], 0 offset:292
	buffer_load_dword v136, off, s[0:3], 0 offset:288
	s_waitcnt vmcnt(10)
	v_fmac_f64_e32 v[128:129], v[152:153], v[138:139]
	s_waitcnt vmcnt(8) lgkmcnt(1)
	v_fmac_f64_e32 v[128:129], v[154:155], v[140:141]
	s_waitcnt vmcnt(6)
	v_fmac_f64_e32 v[128:129], v[156:157], v[142:143]
	s_waitcnt vmcnt(4) lgkmcnt(0)
	v_fmac_f64_e32 v[128:129], v[158:159], v[144:145]
	s_waitcnt vmcnt(2)
	v_fmac_f64_e32 v[128:129], v[132:133], v[146:147]
	ds_read_b128 v[132:135], v130 offset:784
	s_waitcnt vmcnt(0) lgkmcnt(0)
	v_fmac_f64_e32 v[128:129], v[136:137], v[132:133]
	buffer_load_dword v133, off, s[0:3], 0 offset:300
	buffer_load_dword v132, off, s[0:3], 0 offset:296
	buffer_load_dword v137, off, s[0:3], 0 offset:308
	buffer_load_dword v136, off, s[0:3], 0 offset:304
	s_waitcnt vmcnt(2)
	v_fmac_f64_e32 v[128:129], v[132:133], v[134:135]
	ds_read_b128 v[132:135], v130 offset:800
	s_waitcnt vmcnt(0) lgkmcnt(0)
	v_fmac_f64_e32 v[128:129], v[136:137], v[132:133]
	buffer_load_dword v133, off, s[0:3], 0 offset:316
	buffer_load_dword v132, off, s[0:3], 0 offset:312
	buffer_load_dword v137, off, s[0:3], 0 offset:324
	buffer_load_dword v136, off, s[0:3], 0 offset:320
	;; [unrolled: 9-line block ×11, first 2 shown]
	s_waitcnt vmcnt(2)
	v_fmac_f64_e32 v[128:129], v[132:133], v[134:135]
	ds_read_b128 v[132:135], v130 offset:960
	s_waitcnt vmcnt(0) lgkmcnt(0)
	v_fmac_f64_e32 v[128:129], v[136:137], v[132:133]
	buffer_load_dword v133, off, s[0:3], 0 offset:476
	buffer_load_dword v132, off, s[0:3], 0 offset:472
	s_waitcnt vmcnt(0)
	v_fmac_f64_e32 v[128:129], v[132:133], v[134:135]
	buffer_load_dword v135, off, s[0:3], 0 offset:484
	buffer_load_dword v134, off, s[0:3], 0 offset:480
	ds_read_b128 v[130:133], v130 offset:976
	s_waitcnt vmcnt(0) lgkmcnt(0)
	v_fmac_f64_e32 v[128:129], v[134:135], v[130:131]
	buffer_load_dword v131, off, s[0:3], 0 offset:492
	buffer_load_dword v130, off, s[0:3], 0 offset:488
	s_waitcnt vmcnt(0)
	v_fmac_f64_e32 v[128:129], v[130:131], v[132:133]
	v_add_f64 v[126:127], v[126:127], -v[128:129]
	buffer_store_dword v127, off, s[0:3], 0 offset:220
	buffer_store_dword v126, off, s[0:3], 0 offset:216
	s_and_saveexec_b64 s[4:5], vcc
	s_cbranch_execz .LBB125_327
; %bb.326:
	buffer_load_dword v126, off, s[0:3], 0 offset:208
	buffer_load_dword v127, off, s[0:3], 0 offset:212
	v_mov_b32_e32 v128, 0
	buffer_store_dword v128, off, s[0:3], 0 offset:208
	buffer_store_dword v128, off, s[0:3], 0 offset:212
	s_waitcnt vmcnt(2)
	ds_write_b64 v1, v[126:127]
.LBB125_327:
	s_or_b64 exec, exec, s[4:5]
	s_waitcnt lgkmcnt(0)
	; wave barrier
	s_waitcnt lgkmcnt(0)
	buffer_load_dword v126, off, s[0:3], 0 offset:208
	buffer_load_dword v127, off, s[0:3], 0 offset:212
	;; [unrolled: 1-line block ×16, first 2 shown]
	v_mov_b32_e32 v130, 0
	ds_read2_b64 v[132:135], v130 offset0:89 offset1:90
	v_cmp_lt_u32_e32 vcc, 25, v0
	s_waitcnt vmcnt(12) lgkmcnt(0)
	v_fma_f64 v[128:129], v[128:129], v[132:133], 0
	s_waitcnt vmcnt(10)
	v_fmac_f64_e32 v[128:129], v[136:137], v[134:135]
	ds_read2_b64 v[132:135], v130 offset0:91 offset1:92
	s_waitcnt vmcnt(8) lgkmcnt(0)
	v_fmac_f64_e32 v[128:129], v[138:139], v[132:133]
	s_waitcnt vmcnt(6)
	v_fmac_f64_e32 v[128:129], v[140:141], v[134:135]
	ds_read2_b64 v[132:135], v130 offset0:93 offset1:94
	s_waitcnt vmcnt(4) lgkmcnt(0)
	v_fmac_f64_e32 v[128:129], v[142:143], v[132:133]
	;; [unrolled: 5-line block ×3, first 2 shown]
	buffer_load_dword v133, off, s[0:3], 0 offset:276
	buffer_load_dword v132, off, s[0:3], 0 offset:272
	buffer_load_dword v137, off, s[0:3], 0 offset:284
	buffer_load_dword v136, off, s[0:3], 0 offset:280
	s_waitcnt vmcnt(2)
	v_fmac_f64_e32 v[128:129], v[132:133], v[134:135]
	ds_read2_b64 v[132:135], v130 offset0:97 offset1:98
	s_waitcnt vmcnt(0) lgkmcnt(0)
	v_fmac_f64_e32 v[128:129], v[136:137], v[132:133]
	buffer_load_dword v133, off, s[0:3], 0 offset:292
	buffer_load_dword v132, off, s[0:3], 0 offset:288
	buffer_load_dword v137, off, s[0:3], 0 offset:300
	buffer_load_dword v136, off, s[0:3], 0 offset:296
	s_waitcnt vmcnt(2)
	v_fmac_f64_e32 v[128:129], v[132:133], v[134:135]
	ds_read2_b64 v[132:135], v130 offset0:99 offset1:100
	s_waitcnt vmcnt(0) lgkmcnt(0)
	v_fmac_f64_e32 v[128:129], v[136:137], v[132:133]
	;; [unrolled: 9-line block ×13, first 2 shown]
	buffer_load_dword v133, off, s[0:3], 0 offset:484
	buffer_load_dword v132, off, s[0:3], 0 offset:480
	s_waitcnt vmcnt(0)
	v_fmac_f64_e32 v[128:129], v[132:133], v[134:135]
	buffer_load_dword v133, off, s[0:3], 0 offset:492
	buffer_load_dword v132, off, s[0:3], 0 offset:488
	ds_read_b64 v[134:135], v130 offset:984
	s_waitcnt vmcnt(0) lgkmcnt(0)
	v_fmac_f64_e32 v[128:129], v[132:133], v[134:135]
	v_add_f64 v[126:127], v[126:127], -v[128:129]
	buffer_store_dword v127, off, s[0:3], 0 offset:212
	buffer_store_dword v126, off, s[0:3], 0 offset:208
	s_and_saveexec_b64 s[4:5], vcc
	s_cbranch_execz .LBB125_329
; %bb.328:
	buffer_load_dword v126, off, s[0:3], 0 offset:200
	buffer_load_dword v127, off, s[0:3], 0 offset:204
	s_waitcnt vmcnt(0)
	ds_write_b64 v1, v[126:127]
	buffer_store_dword v130, off, s[0:3], 0 offset:200
	buffer_store_dword v130, off, s[0:3], 0 offset:204
.LBB125_329:
	s_or_b64 exec, exec, s[4:5]
	s_waitcnt lgkmcnt(0)
	; wave barrier
	s_waitcnt lgkmcnt(0)
	buffer_load_dword v126, off, s[0:3], 0 offset:200
	buffer_load_dword v127, off, s[0:3], 0 offset:204
	;; [unrolled: 1-line block ×16, first 2 shown]
	ds_read_b128 v[132:135], v130 offset:704
	ds_read_b128 v[136:139], v130 offset:720
	;; [unrolled: 1-line block ×4, first 2 shown]
	v_cmp_lt_u32_e32 vcc, 24, v0
	s_waitcnt vmcnt(12) lgkmcnt(3)
	v_fma_f64 v[128:129], v[128:129], v[132:133], 0
	buffer_load_dword v133, off, s[0:3], 0 offset:268
	buffer_load_dword v132, off, s[0:3], 0 offset:264
	s_waitcnt vmcnt(12)
	v_fmac_f64_e32 v[128:129], v[148:149], v[134:135]
	s_waitcnt vmcnt(10) lgkmcnt(2)
	v_fmac_f64_e32 v[128:129], v[150:151], v[136:137]
	buffer_load_dword v137, off, s[0:3], 0 offset:276
	buffer_load_dword v136, off, s[0:3], 0 offset:272
	s_waitcnt vmcnt(10)
	v_fmac_f64_e32 v[128:129], v[152:153], v[138:139]
	s_waitcnt vmcnt(8) lgkmcnt(1)
	v_fmac_f64_e32 v[128:129], v[154:155], v[140:141]
	s_waitcnt vmcnt(6)
	v_fmac_f64_e32 v[128:129], v[156:157], v[142:143]
	s_waitcnt vmcnt(4) lgkmcnt(0)
	v_fmac_f64_e32 v[128:129], v[158:159], v[144:145]
	s_waitcnt vmcnt(2)
	v_fmac_f64_e32 v[128:129], v[132:133], v[146:147]
	ds_read_b128 v[132:135], v130 offset:768
	s_waitcnt vmcnt(0) lgkmcnt(0)
	v_fmac_f64_e32 v[128:129], v[136:137], v[132:133]
	buffer_load_dword v133, off, s[0:3], 0 offset:284
	buffer_load_dword v132, off, s[0:3], 0 offset:280
	buffer_load_dword v137, off, s[0:3], 0 offset:292
	buffer_load_dword v136, off, s[0:3], 0 offset:288
	s_waitcnt vmcnt(2)
	v_fmac_f64_e32 v[128:129], v[132:133], v[134:135]
	ds_read_b128 v[132:135], v130 offset:784
	s_waitcnt vmcnt(0) lgkmcnt(0)
	v_fmac_f64_e32 v[128:129], v[136:137], v[132:133]
	buffer_load_dword v133, off, s[0:3], 0 offset:300
	buffer_load_dword v132, off, s[0:3], 0 offset:296
	buffer_load_dword v137, off, s[0:3], 0 offset:308
	buffer_load_dword v136, off, s[0:3], 0 offset:304
	;; [unrolled: 9-line block ×12, first 2 shown]
	s_waitcnt vmcnt(2)
	v_fmac_f64_e32 v[128:129], v[132:133], v[134:135]
	ds_read_b128 v[132:135], v130 offset:960
	s_waitcnt vmcnt(0) lgkmcnt(0)
	v_fmac_f64_e32 v[128:129], v[136:137], v[132:133]
	buffer_load_dword v133, off, s[0:3], 0 offset:476
	buffer_load_dword v132, off, s[0:3], 0 offset:472
	s_waitcnt vmcnt(0)
	v_fmac_f64_e32 v[128:129], v[132:133], v[134:135]
	buffer_load_dword v135, off, s[0:3], 0 offset:484
	buffer_load_dword v134, off, s[0:3], 0 offset:480
	ds_read_b128 v[130:133], v130 offset:976
	s_waitcnt vmcnt(0) lgkmcnt(0)
	v_fmac_f64_e32 v[128:129], v[134:135], v[130:131]
	buffer_load_dword v131, off, s[0:3], 0 offset:492
	buffer_load_dword v130, off, s[0:3], 0 offset:488
	s_waitcnt vmcnt(0)
	v_fmac_f64_e32 v[128:129], v[130:131], v[132:133]
	v_add_f64 v[126:127], v[126:127], -v[128:129]
	buffer_store_dword v127, off, s[0:3], 0 offset:204
	buffer_store_dword v126, off, s[0:3], 0 offset:200
	s_and_saveexec_b64 s[4:5], vcc
	s_cbranch_execz .LBB125_331
; %bb.330:
	buffer_load_dword v126, off, s[0:3], 0 offset:192
	buffer_load_dword v127, off, s[0:3], 0 offset:196
	v_mov_b32_e32 v128, 0
	buffer_store_dword v128, off, s[0:3], 0 offset:192
	buffer_store_dword v128, off, s[0:3], 0 offset:196
	s_waitcnt vmcnt(2)
	ds_write_b64 v1, v[126:127]
.LBB125_331:
	s_or_b64 exec, exec, s[4:5]
	s_waitcnt lgkmcnt(0)
	; wave barrier
	s_waitcnt lgkmcnt(0)
	buffer_load_dword v126, off, s[0:3], 0 offset:192
	buffer_load_dword v127, off, s[0:3], 0 offset:196
	;; [unrolled: 1-line block ×16, first 2 shown]
	v_mov_b32_e32 v130, 0
	ds_read2_b64 v[132:135], v130 offset0:87 offset1:88
	v_cmp_lt_u32_e32 vcc, 23, v0
	s_waitcnt vmcnt(12) lgkmcnt(0)
	v_fma_f64 v[128:129], v[128:129], v[132:133], 0
	s_waitcnt vmcnt(10)
	v_fmac_f64_e32 v[128:129], v[136:137], v[134:135]
	ds_read2_b64 v[132:135], v130 offset0:89 offset1:90
	s_waitcnt vmcnt(8) lgkmcnt(0)
	v_fmac_f64_e32 v[128:129], v[138:139], v[132:133]
	s_waitcnt vmcnt(6)
	v_fmac_f64_e32 v[128:129], v[140:141], v[134:135]
	ds_read2_b64 v[132:135], v130 offset0:91 offset1:92
	s_waitcnt vmcnt(4) lgkmcnt(0)
	v_fmac_f64_e32 v[128:129], v[142:143], v[132:133]
	;; [unrolled: 5-line block ×3, first 2 shown]
	buffer_load_dword v133, off, s[0:3], 0 offset:260
	buffer_load_dword v132, off, s[0:3], 0 offset:256
	buffer_load_dword v137, off, s[0:3], 0 offset:268
	buffer_load_dword v136, off, s[0:3], 0 offset:264
	s_waitcnt vmcnt(2)
	v_fmac_f64_e32 v[128:129], v[132:133], v[134:135]
	ds_read2_b64 v[132:135], v130 offset0:95 offset1:96
	s_waitcnt vmcnt(0) lgkmcnt(0)
	v_fmac_f64_e32 v[128:129], v[136:137], v[132:133]
	buffer_load_dword v133, off, s[0:3], 0 offset:276
	buffer_load_dword v132, off, s[0:3], 0 offset:272
	buffer_load_dword v137, off, s[0:3], 0 offset:284
	buffer_load_dword v136, off, s[0:3], 0 offset:280
	s_waitcnt vmcnt(2)
	v_fmac_f64_e32 v[128:129], v[132:133], v[134:135]
	ds_read2_b64 v[132:135], v130 offset0:97 offset1:98
	s_waitcnt vmcnt(0) lgkmcnt(0)
	v_fmac_f64_e32 v[128:129], v[136:137], v[132:133]
	;; [unrolled: 9-line block ×14, first 2 shown]
	buffer_load_dword v133, off, s[0:3], 0 offset:484
	buffer_load_dword v132, off, s[0:3], 0 offset:480
	s_waitcnt vmcnt(0)
	v_fmac_f64_e32 v[128:129], v[132:133], v[134:135]
	buffer_load_dword v133, off, s[0:3], 0 offset:492
	buffer_load_dword v132, off, s[0:3], 0 offset:488
	ds_read_b64 v[134:135], v130 offset:984
	s_waitcnt vmcnt(0) lgkmcnt(0)
	v_fmac_f64_e32 v[128:129], v[132:133], v[134:135]
	v_add_f64 v[126:127], v[126:127], -v[128:129]
	buffer_store_dword v127, off, s[0:3], 0 offset:196
	buffer_store_dword v126, off, s[0:3], 0 offset:192
	s_and_saveexec_b64 s[4:5], vcc
	s_cbranch_execz .LBB125_333
; %bb.332:
	buffer_load_dword v126, off, s[0:3], 0 offset:184
	buffer_load_dword v127, off, s[0:3], 0 offset:188
	s_waitcnt vmcnt(0)
	ds_write_b64 v1, v[126:127]
	buffer_store_dword v130, off, s[0:3], 0 offset:184
	buffer_store_dword v130, off, s[0:3], 0 offset:188
.LBB125_333:
	s_or_b64 exec, exec, s[4:5]
	s_waitcnt lgkmcnt(0)
	; wave barrier
	s_waitcnt lgkmcnt(0)
	buffer_load_dword v126, off, s[0:3], 0 offset:184
	buffer_load_dword v127, off, s[0:3], 0 offset:188
	;; [unrolled: 1-line block ×16, first 2 shown]
	ds_read_b128 v[132:135], v130 offset:688
	ds_read_b128 v[136:139], v130 offset:704
	;; [unrolled: 1-line block ×4, first 2 shown]
	v_cmp_lt_u32_e32 vcc, 22, v0
	s_waitcnt vmcnt(12) lgkmcnt(3)
	v_fma_f64 v[128:129], v[128:129], v[132:133], 0
	buffer_load_dword v133, off, s[0:3], 0 offset:252
	buffer_load_dword v132, off, s[0:3], 0 offset:248
	s_waitcnt vmcnt(12)
	v_fmac_f64_e32 v[128:129], v[148:149], v[134:135]
	s_waitcnt vmcnt(10) lgkmcnt(2)
	v_fmac_f64_e32 v[128:129], v[150:151], v[136:137]
	buffer_load_dword v137, off, s[0:3], 0 offset:260
	buffer_load_dword v136, off, s[0:3], 0 offset:256
	s_waitcnt vmcnt(10)
	v_fmac_f64_e32 v[128:129], v[152:153], v[138:139]
	s_waitcnt vmcnt(8) lgkmcnt(1)
	v_fmac_f64_e32 v[128:129], v[154:155], v[140:141]
	s_waitcnt vmcnt(6)
	v_fmac_f64_e32 v[128:129], v[156:157], v[142:143]
	s_waitcnt vmcnt(4) lgkmcnt(0)
	v_fmac_f64_e32 v[128:129], v[158:159], v[144:145]
	s_waitcnt vmcnt(2)
	v_fmac_f64_e32 v[128:129], v[132:133], v[146:147]
	ds_read_b128 v[132:135], v130 offset:752
	s_waitcnt vmcnt(0) lgkmcnt(0)
	v_fmac_f64_e32 v[128:129], v[136:137], v[132:133]
	buffer_load_dword v133, off, s[0:3], 0 offset:268
	buffer_load_dword v132, off, s[0:3], 0 offset:264
	buffer_load_dword v137, off, s[0:3], 0 offset:276
	buffer_load_dword v136, off, s[0:3], 0 offset:272
	s_waitcnt vmcnt(2)
	v_fmac_f64_e32 v[128:129], v[132:133], v[134:135]
	ds_read_b128 v[132:135], v130 offset:768
	s_waitcnt vmcnt(0) lgkmcnt(0)
	v_fmac_f64_e32 v[128:129], v[136:137], v[132:133]
	buffer_load_dword v133, off, s[0:3], 0 offset:284
	buffer_load_dword v132, off, s[0:3], 0 offset:280
	buffer_load_dword v137, off, s[0:3], 0 offset:292
	buffer_load_dword v136, off, s[0:3], 0 offset:288
	;; [unrolled: 9-line block ×13, first 2 shown]
	s_waitcnt vmcnt(2)
	v_fmac_f64_e32 v[128:129], v[132:133], v[134:135]
	ds_read_b128 v[132:135], v130 offset:960
	s_waitcnt vmcnt(0) lgkmcnt(0)
	v_fmac_f64_e32 v[128:129], v[136:137], v[132:133]
	buffer_load_dword v133, off, s[0:3], 0 offset:476
	buffer_load_dword v132, off, s[0:3], 0 offset:472
	s_waitcnt vmcnt(0)
	v_fmac_f64_e32 v[128:129], v[132:133], v[134:135]
	buffer_load_dword v135, off, s[0:3], 0 offset:484
	buffer_load_dword v134, off, s[0:3], 0 offset:480
	ds_read_b128 v[130:133], v130 offset:976
	s_waitcnt vmcnt(0) lgkmcnt(0)
	v_fmac_f64_e32 v[128:129], v[134:135], v[130:131]
	buffer_load_dword v131, off, s[0:3], 0 offset:492
	buffer_load_dword v130, off, s[0:3], 0 offset:488
	s_waitcnt vmcnt(0)
	v_fmac_f64_e32 v[128:129], v[130:131], v[132:133]
	v_add_f64 v[126:127], v[126:127], -v[128:129]
	buffer_store_dword v127, off, s[0:3], 0 offset:188
	buffer_store_dword v126, off, s[0:3], 0 offset:184
	s_and_saveexec_b64 s[4:5], vcc
	s_cbranch_execz .LBB125_335
; %bb.334:
	buffer_load_dword v126, off, s[0:3], 0 offset:176
	buffer_load_dword v127, off, s[0:3], 0 offset:180
	v_mov_b32_e32 v128, 0
	buffer_store_dword v128, off, s[0:3], 0 offset:176
	buffer_store_dword v128, off, s[0:3], 0 offset:180
	s_waitcnt vmcnt(2)
	ds_write_b64 v1, v[126:127]
.LBB125_335:
	s_or_b64 exec, exec, s[4:5]
	s_waitcnt lgkmcnt(0)
	; wave barrier
	s_waitcnt lgkmcnt(0)
	buffer_load_dword v126, off, s[0:3], 0 offset:176
	buffer_load_dword v127, off, s[0:3], 0 offset:180
	;; [unrolled: 1-line block ×16, first 2 shown]
	v_mov_b32_e32 v130, 0
	ds_read2_b64 v[132:135], v130 offset0:85 offset1:86
	v_cmp_lt_u32_e32 vcc, 21, v0
	s_waitcnt vmcnt(12) lgkmcnt(0)
	v_fma_f64 v[128:129], v[128:129], v[132:133], 0
	s_waitcnt vmcnt(10)
	v_fmac_f64_e32 v[128:129], v[136:137], v[134:135]
	ds_read2_b64 v[132:135], v130 offset0:87 offset1:88
	s_waitcnt vmcnt(8) lgkmcnt(0)
	v_fmac_f64_e32 v[128:129], v[138:139], v[132:133]
	s_waitcnt vmcnt(6)
	v_fmac_f64_e32 v[128:129], v[140:141], v[134:135]
	ds_read2_b64 v[132:135], v130 offset0:89 offset1:90
	s_waitcnt vmcnt(4) lgkmcnt(0)
	v_fmac_f64_e32 v[128:129], v[142:143], v[132:133]
	;; [unrolled: 5-line block ×3, first 2 shown]
	buffer_load_dword v133, off, s[0:3], 0 offset:244
	buffer_load_dword v132, off, s[0:3], 0 offset:240
	buffer_load_dword v137, off, s[0:3], 0 offset:252
	buffer_load_dword v136, off, s[0:3], 0 offset:248
	s_waitcnt vmcnt(2)
	v_fmac_f64_e32 v[128:129], v[132:133], v[134:135]
	ds_read2_b64 v[132:135], v130 offset0:93 offset1:94
	s_waitcnt vmcnt(0) lgkmcnt(0)
	v_fmac_f64_e32 v[128:129], v[136:137], v[132:133]
	buffer_load_dword v133, off, s[0:3], 0 offset:260
	buffer_load_dword v132, off, s[0:3], 0 offset:256
	buffer_load_dword v137, off, s[0:3], 0 offset:268
	buffer_load_dword v136, off, s[0:3], 0 offset:264
	s_waitcnt vmcnt(2)
	v_fmac_f64_e32 v[128:129], v[132:133], v[134:135]
	ds_read2_b64 v[132:135], v130 offset0:95 offset1:96
	s_waitcnt vmcnt(0) lgkmcnt(0)
	v_fmac_f64_e32 v[128:129], v[136:137], v[132:133]
	;; [unrolled: 9-line block ×15, first 2 shown]
	buffer_load_dword v133, off, s[0:3], 0 offset:484
	buffer_load_dword v132, off, s[0:3], 0 offset:480
	s_waitcnt vmcnt(0)
	v_fmac_f64_e32 v[128:129], v[132:133], v[134:135]
	buffer_load_dword v133, off, s[0:3], 0 offset:492
	buffer_load_dword v132, off, s[0:3], 0 offset:488
	ds_read_b64 v[134:135], v130 offset:984
	s_waitcnt vmcnt(0) lgkmcnt(0)
	v_fmac_f64_e32 v[128:129], v[132:133], v[134:135]
	v_add_f64 v[126:127], v[126:127], -v[128:129]
	buffer_store_dword v127, off, s[0:3], 0 offset:180
	buffer_store_dword v126, off, s[0:3], 0 offset:176
	s_and_saveexec_b64 s[4:5], vcc
	s_cbranch_execz .LBB125_337
; %bb.336:
	buffer_load_dword v126, off, s[0:3], 0 offset:168
	buffer_load_dword v127, off, s[0:3], 0 offset:172
	s_waitcnt vmcnt(0)
	ds_write_b64 v1, v[126:127]
	buffer_store_dword v130, off, s[0:3], 0 offset:168
	buffer_store_dword v130, off, s[0:3], 0 offset:172
.LBB125_337:
	s_or_b64 exec, exec, s[4:5]
	s_waitcnt lgkmcnt(0)
	; wave barrier
	s_waitcnt lgkmcnt(0)
	buffer_load_dword v126, off, s[0:3], 0 offset:168
	buffer_load_dword v127, off, s[0:3], 0 offset:172
	buffer_load_dword v128, off, s[0:3], 0 offset:176
	buffer_load_dword v129, off, s[0:3], 0 offset:180
	buffer_load_dword v148, off, s[0:3], 0 offset:184
	buffer_load_dword v149, off, s[0:3], 0 offset:188
	buffer_load_dword v150, off, s[0:3], 0 offset:192
	buffer_load_dword v151, off, s[0:3], 0 offset:196
	buffer_load_dword v152, off, s[0:3], 0 offset:200
	buffer_load_dword v153, off, s[0:3], 0 offset:204
	buffer_load_dword v154, off, s[0:3], 0 offset:208
	buffer_load_dword v155, off, s[0:3], 0 offset:212
	buffer_load_dword v156, off, s[0:3], 0 offset:216
	buffer_load_dword v157, off, s[0:3], 0 offset:220
	buffer_load_dword v158, off, s[0:3], 0 offset:224
	buffer_load_dword v159, off, s[0:3], 0 offset:228
	ds_read_b128 v[132:135], v130 offset:672
	ds_read_b128 v[136:139], v130 offset:688
	;; [unrolled: 1-line block ×4, first 2 shown]
	v_cmp_lt_u32_e32 vcc, 20, v0
	s_waitcnt vmcnt(12) lgkmcnt(3)
	v_fma_f64 v[128:129], v[128:129], v[132:133], 0
	buffer_load_dword v133, off, s[0:3], 0 offset:236
	buffer_load_dword v132, off, s[0:3], 0 offset:232
	s_waitcnt vmcnt(12)
	v_fmac_f64_e32 v[128:129], v[148:149], v[134:135]
	s_waitcnt vmcnt(10) lgkmcnt(2)
	v_fmac_f64_e32 v[128:129], v[150:151], v[136:137]
	buffer_load_dword v137, off, s[0:3], 0 offset:244
	buffer_load_dword v136, off, s[0:3], 0 offset:240
	s_waitcnt vmcnt(10)
	v_fmac_f64_e32 v[128:129], v[152:153], v[138:139]
	s_waitcnt vmcnt(8) lgkmcnt(1)
	v_fmac_f64_e32 v[128:129], v[154:155], v[140:141]
	s_waitcnt vmcnt(6)
	v_fmac_f64_e32 v[128:129], v[156:157], v[142:143]
	s_waitcnt vmcnt(4) lgkmcnt(0)
	v_fmac_f64_e32 v[128:129], v[158:159], v[144:145]
	s_waitcnt vmcnt(2)
	v_fmac_f64_e32 v[128:129], v[132:133], v[146:147]
	ds_read_b128 v[132:135], v130 offset:736
	s_waitcnt vmcnt(0) lgkmcnt(0)
	v_fmac_f64_e32 v[128:129], v[136:137], v[132:133]
	buffer_load_dword v133, off, s[0:3], 0 offset:252
	buffer_load_dword v132, off, s[0:3], 0 offset:248
	buffer_load_dword v137, off, s[0:3], 0 offset:260
	buffer_load_dword v136, off, s[0:3], 0 offset:256
	s_waitcnt vmcnt(2)
	v_fmac_f64_e32 v[128:129], v[132:133], v[134:135]
	ds_read_b128 v[132:135], v130 offset:752
	s_waitcnt vmcnt(0) lgkmcnt(0)
	v_fmac_f64_e32 v[128:129], v[136:137], v[132:133]
	buffer_load_dword v133, off, s[0:3], 0 offset:268
	buffer_load_dword v132, off, s[0:3], 0 offset:264
	buffer_load_dword v137, off, s[0:3], 0 offset:276
	buffer_load_dword v136, off, s[0:3], 0 offset:272
	;; [unrolled: 9-line block ×14, first 2 shown]
	s_waitcnt vmcnt(2)
	v_fmac_f64_e32 v[128:129], v[132:133], v[134:135]
	ds_read_b128 v[132:135], v130 offset:960
	s_waitcnt vmcnt(0) lgkmcnt(0)
	v_fmac_f64_e32 v[128:129], v[136:137], v[132:133]
	buffer_load_dword v133, off, s[0:3], 0 offset:476
	buffer_load_dword v132, off, s[0:3], 0 offset:472
	s_waitcnt vmcnt(0)
	v_fmac_f64_e32 v[128:129], v[132:133], v[134:135]
	buffer_load_dword v135, off, s[0:3], 0 offset:484
	buffer_load_dword v134, off, s[0:3], 0 offset:480
	ds_read_b128 v[130:133], v130 offset:976
	s_waitcnt vmcnt(0) lgkmcnt(0)
	v_fmac_f64_e32 v[128:129], v[134:135], v[130:131]
	buffer_load_dword v131, off, s[0:3], 0 offset:492
	buffer_load_dword v130, off, s[0:3], 0 offset:488
	s_waitcnt vmcnt(0)
	v_fmac_f64_e32 v[128:129], v[130:131], v[132:133]
	v_add_f64 v[126:127], v[126:127], -v[128:129]
	buffer_store_dword v127, off, s[0:3], 0 offset:172
	buffer_store_dword v126, off, s[0:3], 0 offset:168
	s_and_saveexec_b64 s[4:5], vcc
	s_cbranch_execz .LBB125_339
; %bb.338:
	buffer_load_dword v126, off, s[0:3], 0 offset:160
	buffer_load_dword v127, off, s[0:3], 0 offset:164
	v_mov_b32_e32 v128, 0
	buffer_store_dword v128, off, s[0:3], 0 offset:160
	buffer_store_dword v128, off, s[0:3], 0 offset:164
	s_waitcnt vmcnt(2)
	ds_write_b64 v1, v[126:127]
.LBB125_339:
	s_or_b64 exec, exec, s[4:5]
	s_waitcnt lgkmcnt(0)
	; wave barrier
	s_waitcnt lgkmcnt(0)
	buffer_load_dword v126, off, s[0:3], 0 offset:160
	buffer_load_dword v127, off, s[0:3], 0 offset:164
	;; [unrolled: 1-line block ×16, first 2 shown]
	v_mov_b32_e32 v130, 0
	ds_read2_b64 v[132:135], v130 offset0:83 offset1:84
	v_cmp_lt_u32_e32 vcc, 19, v0
	s_waitcnt vmcnt(12) lgkmcnt(0)
	v_fma_f64 v[128:129], v[128:129], v[132:133], 0
	s_waitcnt vmcnt(10)
	v_fmac_f64_e32 v[128:129], v[136:137], v[134:135]
	ds_read2_b64 v[132:135], v130 offset0:85 offset1:86
	s_waitcnt vmcnt(8) lgkmcnt(0)
	v_fmac_f64_e32 v[128:129], v[138:139], v[132:133]
	s_waitcnt vmcnt(6)
	v_fmac_f64_e32 v[128:129], v[140:141], v[134:135]
	ds_read2_b64 v[132:135], v130 offset0:87 offset1:88
	s_waitcnt vmcnt(4) lgkmcnt(0)
	v_fmac_f64_e32 v[128:129], v[142:143], v[132:133]
	s_waitcnt vmcnt(2)
	v_fmac_f64_e32 v[128:129], v[144:145], v[134:135]
	ds_read2_b64 v[132:135], v130 offset0:89 offset1:90
	s_waitcnt vmcnt(0) lgkmcnt(0)
	v_fmac_f64_e32 v[128:129], v[146:147], v[132:133]
	buffer_load_dword v133, off, s[0:3], 0 offset:228
	buffer_load_dword v132, off, s[0:3], 0 offset:224
	buffer_load_dword v137, off, s[0:3], 0 offset:236
	buffer_load_dword v136, off, s[0:3], 0 offset:232
	s_waitcnt vmcnt(2)
	v_fmac_f64_e32 v[128:129], v[132:133], v[134:135]
	ds_read2_b64 v[132:135], v130 offset0:91 offset1:92
	s_waitcnt vmcnt(0) lgkmcnt(0)
	v_fmac_f64_e32 v[128:129], v[136:137], v[132:133]
	buffer_load_dword v133, off, s[0:3], 0 offset:244
	buffer_load_dword v132, off, s[0:3], 0 offset:240
	buffer_load_dword v137, off, s[0:3], 0 offset:252
	buffer_load_dword v136, off, s[0:3], 0 offset:248
	s_waitcnt vmcnt(2)
	v_fmac_f64_e32 v[128:129], v[132:133], v[134:135]
	ds_read2_b64 v[132:135], v130 offset0:93 offset1:94
	s_waitcnt vmcnt(0) lgkmcnt(0)
	v_fmac_f64_e32 v[128:129], v[136:137], v[132:133]
	;; [unrolled: 9-line block ×16, first 2 shown]
	buffer_load_dword v133, off, s[0:3], 0 offset:484
	buffer_load_dword v132, off, s[0:3], 0 offset:480
	s_waitcnt vmcnt(0)
	v_fmac_f64_e32 v[128:129], v[132:133], v[134:135]
	buffer_load_dword v133, off, s[0:3], 0 offset:492
	buffer_load_dword v132, off, s[0:3], 0 offset:488
	ds_read_b64 v[134:135], v130 offset:984
	s_waitcnt vmcnt(0) lgkmcnt(0)
	v_fmac_f64_e32 v[128:129], v[132:133], v[134:135]
	v_add_f64 v[126:127], v[126:127], -v[128:129]
	buffer_store_dword v127, off, s[0:3], 0 offset:164
	buffer_store_dword v126, off, s[0:3], 0 offset:160
	s_and_saveexec_b64 s[4:5], vcc
	s_cbranch_execz .LBB125_341
; %bb.340:
	buffer_load_dword v126, off, s[0:3], 0 offset:152
	buffer_load_dword v127, off, s[0:3], 0 offset:156
	s_waitcnt vmcnt(0)
	ds_write_b64 v1, v[126:127]
	buffer_store_dword v130, off, s[0:3], 0 offset:152
	buffer_store_dword v130, off, s[0:3], 0 offset:156
.LBB125_341:
	s_or_b64 exec, exec, s[4:5]
	s_waitcnt lgkmcnt(0)
	; wave barrier
	s_waitcnt lgkmcnt(0)
	buffer_load_dword v126, off, s[0:3], 0 offset:152
	buffer_load_dword v127, off, s[0:3], 0 offset:156
	;; [unrolled: 1-line block ×16, first 2 shown]
	ds_read_b128 v[132:135], v130 offset:656
	ds_read_b128 v[136:139], v130 offset:672
	;; [unrolled: 1-line block ×4, first 2 shown]
	v_cmp_lt_u32_e32 vcc, 18, v0
	s_waitcnt vmcnt(12) lgkmcnt(3)
	v_fma_f64 v[128:129], v[128:129], v[132:133], 0
	buffer_load_dword v133, off, s[0:3], 0 offset:220
	buffer_load_dword v132, off, s[0:3], 0 offset:216
	s_waitcnt vmcnt(12)
	v_fmac_f64_e32 v[128:129], v[148:149], v[134:135]
	s_waitcnt vmcnt(10) lgkmcnt(2)
	v_fmac_f64_e32 v[128:129], v[150:151], v[136:137]
	buffer_load_dword v137, off, s[0:3], 0 offset:228
	buffer_load_dword v136, off, s[0:3], 0 offset:224
	s_waitcnt vmcnt(10)
	v_fmac_f64_e32 v[128:129], v[152:153], v[138:139]
	s_waitcnt vmcnt(8) lgkmcnt(1)
	v_fmac_f64_e32 v[128:129], v[154:155], v[140:141]
	s_waitcnt vmcnt(6)
	v_fmac_f64_e32 v[128:129], v[156:157], v[142:143]
	s_waitcnt vmcnt(4) lgkmcnt(0)
	v_fmac_f64_e32 v[128:129], v[158:159], v[144:145]
	s_waitcnt vmcnt(2)
	v_fmac_f64_e32 v[128:129], v[132:133], v[146:147]
	ds_read_b128 v[132:135], v130 offset:720
	s_waitcnt vmcnt(0) lgkmcnt(0)
	v_fmac_f64_e32 v[128:129], v[136:137], v[132:133]
	buffer_load_dword v133, off, s[0:3], 0 offset:236
	buffer_load_dword v132, off, s[0:3], 0 offset:232
	buffer_load_dword v137, off, s[0:3], 0 offset:244
	buffer_load_dword v136, off, s[0:3], 0 offset:240
	s_waitcnt vmcnt(2)
	v_fmac_f64_e32 v[128:129], v[132:133], v[134:135]
	ds_read_b128 v[132:135], v130 offset:736
	s_waitcnt vmcnt(0) lgkmcnt(0)
	v_fmac_f64_e32 v[128:129], v[136:137], v[132:133]
	buffer_load_dword v133, off, s[0:3], 0 offset:252
	buffer_load_dword v132, off, s[0:3], 0 offset:248
	buffer_load_dword v137, off, s[0:3], 0 offset:260
	buffer_load_dword v136, off, s[0:3], 0 offset:256
	;; [unrolled: 9-line block ×15, first 2 shown]
	s_waitcnt vmcnt(2)
	v_fmac_f64_e32 v[128:129], v[132:133], v[134:135]
	ds_read_b128 v[132:135], v130 offset:960
	s_waitcnt vmcnt(0) lgkmcnt(0)
	v_fmac_f64_e32 v[128:129], v[136:137], v[132:133]
	buffer_load_dword v133, off, s[0:3], 0 offset:476
	buffer_load_dword v132, off, s[0:3], 0 offset:472
	s_waitcnt vmcnt(0)
	v_fmac_f64_e32 v[128:129], v[132:133], v[134:135]
	buffer_load_dword v135, off, s[0:3], 0 offset:484
	buffer_load_dword v134, off, s[0:3], 0 offset:480
	ds_read_b128 v[130:133], v130 offset:976
	s_waitcnt vmcnt(0) lgkmcnt(0)
	v_fmac_f64_e32 v[128:129], v[134:135], v[130:131]
	buffer_load_dword v131, off, s[0:3], 0 offset:492
	buffer_load_dword v130, off, s[0:3], 0 offset:488
	s_waitcnt vmcnt(0)
	v_fmac_f64_e32 v[128:129], v[130:131], v[132:133]
	v_add_f64 v[126:127], v[126:127], -v[128:129]
	buffer_store_dword v127, off, s[0:3], 0 offset:156
	buffer_store_dword v126, off, s[0:3], 0 offset:152
	s_and_saveexec_b64 s[4:5], vcc
	s_cbranch_execz .LBB125_343
; %bb.342:
	buffer_load_dword v126, off, s[0:3], 0 offset:144
	buffer_load_dword v127, off, s[0:3], 0 offset:148
	v_mov_b32_e32 v128, 0
	buffer_store_dword v128, off, s[0:3], 0 offset:144
	buffer_store_dword v128, off, s[0:3], 0 offset:148
	s_waitcnt vmcnt(2)
	ds_write_b64 v1, v[126:127]
.LBB125_343:
	s_or_b64 exec, exec, s[4:5]
	s_waitcnt lgkmcnt(0)
	; wave barrier
	s_waitcnt lgkmcnt(0)
	buffer_load_dword v126, off, s[0:3], 0 offset:144
	buffer_load_dword v127, off, s[0:3], 0 offset:148
	;; [unrolled: 1-line block ×16, first 2 shown]
	v_mov_b32_e32 v130, 0
	ds_read2_b64 v[132:135], v130 offset0:81 offset1:82
	v_cmp_lt_u32_e32 vcc, 17, v0
	s_waitcnt vmcnt(12) lgkmcnt(0)
	v_fma_f64 v[128:129], v[128:129], v[132:133], 0
	s_waitcnt vmcnt(10)
	v_fmac_f64_e32 v[128:129], v[136:137], v[134:135]
	ds_read2_b64 v[132:135], v130 offset0:83 offset1:84
	s_waitcnt vmcnt(8) lgkmcnt(0)
	v_fmac_f64_e32 v[128:129], v[138:139], v[132:133]
	s_waitcnt vmcnt(6)
	v_fmac_f64_e32 v[128:129], v[140:141], v[134:135]
	ds_read2_b64 v[132:135], v130 offset0:85 offset1:86
	s_waitcnt vmcnt(4) lgkmcnt(0)
	v_fmac_f64_e32 v[128:129], v[142:143], v[132:133]
	s_waitcnt vmcnt(2)
	v_fmac_f64_e32 v[128:129], v[144:145], v[134:135]
	ds_read2_b64 v[132:135], v130 offset0:87 offset1:88
	s_waitcnt vmcnt(0) lgkmcnt(0)
	v_fmac_f64_e32 v[128:129], v[146:147], v[132:133]
	buffer_load_dword v133, off, s[0:3], 0 offset:212
	buffer_load_dword v132, off, s[0:3], 0 offset:208
	buffer_load_dword v137, off, s[0:3], 0 offset:220
	buffer_load_dword v136, off, s[0:3], 0 offset:216
	s_waitcnt vmcnt(2)
	v_fmac_f64_e32 v[128:129], v[132:133], v[134:135]
	ds_read2_b64 v[132:135], v130 offset0:89 offset1:90
	s_waitcnt vmcnt(0) lgkmcnt(0)
	v_fmac_f64_e32 v[128:129], v[136:137], v[132:133]
	buffer_load_dword v133, off, s[0:3], 0 offset:228
	buffer_load_dword v132, off, s[0:3], 0 offset:224
	buffer_load_dword v137, off, s[0:3], 0 offset:236
	buffer_load_dword v136, off, s[0:3], 0 offset:232
	s_waitcnt vmcnt(2)
	v_fmac_f64_e32 v[128:129], v[132:133], v[134:135]
	ds_read2_b64 v[132:135], v130 offset0:91 offset1:92
	s_waitcnt vmcnt(0) lgkmcnt(0)
	v_fmac_f64_e32 v[128:129], v[136:137], v[132:133]
	;; [unrolled: 9-line block ×17, first 2 shown]
	buffer_load_dword v133, off, s[0:3], 0 offset:484
	buffer_load_dword v132, off, s[0:3], 0 offset:480
	s_waitcnt vmcnt(0)
	v_fmac_f64_e32 v[128:129], v[132:133], v[134:135]
	buffer_load_dword v133, off, s[0:3], 0 offset:492
	buffer_load_dword v132, off, s[0:3], 0 offset:488
	ds_read_b64 v[134:135], v130 offset:984
	s_waitcnt vmcnt(0) lgkmcnt(0)
	v_fmac_f64_e32 v[128:129], v[132:133], v[134:135]
	v_add_f64 v[126:127], v[126:127], -v[128:129]
	buffer_store_dword v127, off, s[0:3], 0 offset:148
	buffer_store_dword v126, off, s[0:3], 0 offset:144
	s_and_saveexec_b64 s[4:5], vcc
	s_cbranch_execz .LBB125_345
; %bb.344:
	buffer_load_dword v126, off, s[0:3], 0 offset:136
	buffer_load_dword v127, off, s[0:3], 0 offset:140
	s_waitcnt vmcnt(0)
	ds_write_b64 v1, v[126:127]
	buffer_store_dword v130, off, s[0:3], 0 offset:136
	buffer_store_dword v130, off, s[0:3], 0 offset:140
.LBB125_345:
	s_or_b64 exec, exec, s[4:5]
	s_waitcnt lgkmcnt(0)
	; wave barrier
	s_waitcnt lgkmcnt(0)
	buffer_load_dword v126, off, s[0:3], 0 offset:136
	buffer_load_dword v127, off, s[0:3], 0 offset:140
	;; [unrolled: 1-line block ×16, first 2 shown]
	ds_read_b128 v[132:135], v130 offset:640
	ds_read_b128 v[136:139], v130 offset:656
	ds_read_b128 v[140:143], v130 offset:672
	ds_read_b128 v[144:147], v130 offset:688
	v_cmp_lt_u32_e32 vcc, 16, v0
	s_waitcnt vmcnt(12) lgkmcnt(3)
	v_fma_f64 v[128:129], v[128:129], v[132:133], 0
	buffer_load_dword v133, off, s[0:3], 0 offset:204
	buffer_load_dword v132, off, s[0:3], 0 offset:200
	s_waitcnt vmcnt(12)
	v_fmac_f64_e32 v[128:129], v[148:149], v[134:135]
	s_waitcnt vmcnt(10) lgkmcnt(2)
	v_fmac_f64_e32 v[128:129], v[150:151], v[136:137]
	buffer_load_dword v137, off, s[0:3], 0 offset:212
	buffer_load_dword v136, off, s[0:3], 0 offset:208
	s_waitcnt vmcnt(10)
	v_fmac_f64_e32 v[128:129], v[152:153], v[138:139]
	s_waitcnt vmcnt(8) lgkmcnt(1)
	v_fmac_f64_e32 v[128:129], v[154:155], v[140:141]
	s_waitcnt vmcnt(6)
	v_fmac_f64_e32 v[128:129], v[156:157], v[142:143]
	s_waitcnt vmcnt(4) lgkmcnt(0)
	v_fmac_f64_e32 v[128:129], v[158:159], v[144:145]
	s_waitcnt vmcnt(2)
	v_fmac_f64_e32 v[128:129], v[132:133], v[146:147]
	ds_read_b128 v[132:135], v130 offset:704
	s_waitcnt vmcnt(0) lgkmcnt(0)
	v_fmac_f64_e32 v[128:129], v[136:137], v[132:133]
	buffer_load_dword v133, off, s[0:3], 0 offset:220
	buffer_load_dword v132, off, s[0:3], 0 offset:216
	buffer_load_dword v137, off, s[0:3], 0 offset:228
	buffer_load_dword v136, off, s[0:3], 0 offset:224
	s_waitcnt vmcnt(2)
	v_fmac_f64_e32 v[128:129], v[132:133], v[134:135]
	ds_read_b128 v[132:135], v130 offset:720
	s_waitcnt vmcnt(0) lgkmcnt(0)
	v_fmac_f64_e32 v[128:129], v[136:137], v[132:133]
	buffer_load_dword v133, off, s[0:3], 0 offset:236
	buffer_load_dword v132, off, s[0:3], 0 offset:232
	buffer_load_dword v137, off, s[0:3], 0 offset:244
	buffer_load_dword v136, off, s[0:3], 0 offset:240
	;; [unrolled: 9-line block ×16, first 2 shown]
	s_waitcnt vmcnt(2)
	v_fmac_f64_e32 v[128:129], v[132:133], v[134:135]
	ds_read_b128 v[132:135], v130 offset:960
	s_waitcnt vmcnt(0) lgkmcnt(0)
	v_fmac_f64_e32 v[128:129], v[136:137], v[132:133]
	buffer_load_dword v133, off, s[0:3], 0 offset:476
	buffer_load_dword v132, off, s[0:3], 0 offset:472
	s_waitcnt vmcnt(0)
	v_fmac_f64_e32 v[128:129], v[132:133], v[134:135]
	buffer_load_dword v135, off, s[0:3], 0 offset:484
	buffer_load_dword v134, off, s[0:3], 0 offset:480
	ds_read_b128 v[130:133], v130 offset:976
	s_waitcnt vmcnt(0) lgkmcnt(0)
	v_fmac_f64_e32 v[128:129], v[134:135], v[130:131]
	buffer_load_dword v131, off, s[0:3], 0 offset:492
	buffer_load_dword v130, off, s[0:3], 0 offset:488
	s_waitcnt vmcnt(0)
	v_fmac_f64_e32 v[128:129], v[130:131], v[132:133]
	v_add_f64 v[126:127], v[126:127], -v[128:129]
	buffer_store_dword v127, off, s[0:3], 0 offset:140
	buffer_store_dword v126, off, s[0:3], 0 offset:136
	s_and_saveexec_b64 s[4:5], vcc
	s_cbranch_execz .LBB125_347
; %bb.346:
	buffer_load_dword v126, off, s[0:3], 0 offset:128
	buffer_load_dword v127, off, s[0:3], 0 offset:132
	v_mov_b32_e32 v128, 0
	buffer_store_dword v128, off, s[0:3], 0 offset:128
	buffer_store_dword v128, off, s[0:3], 0 offset:132
	s_waitcnt vmcnt(2)
	ds_write_b64 v1, v[126:127]
.LBB125_347:
	s_or_b64 exec, exec, s[4:5]
	s_waitcnt lgkmcnt(0)
	; wave barrier
	s_waitcnt lgkmcnt(0)
	buffer_load_dword v126, off, s[0:3], 0 offset:128
	buffer_load_dword v127, off, s[0:3], 0 offset:132
	;; [unrolled: 1-line block ×16, first 2 shown]
	v_mov_b32_e32 v130, 0
	ds_read2_b64 v[132:135], v130 offset0:79 offset1:80
	v_cmp_lt_u32_e32 vcc, 15, v0
	s_waitcnt vmcnt(12) lgkmcnt(0)
	v_fma_f64 v[128:129], v[128:129], v[132:133], 0
	s_waitcnt vmcnt(10)
	v_fmac_f64_e32 v[128:129], v[136:137], v[134:135]
	ds_read2_b64 v[132:135], v130 offset0:81 offset1:82
	s_waitcnt vmcnt(8) lgkmcnt(0)
	v_fmac_f64_e32 v[128:129], v[138:139], v[132:133]
	s_waitcnt vmcnt(6)
	v_fmac_f64_e32 v[128:129], v[140:141], v[134:135]
	ds_read2_b64 v[132:135], v130 offset0:83 offset1:84
	s_waitcnt vmcnt(4) lgkmcnt(0)
	v_fmac_f64_e32 v[128:129], v[142:143], v[132:133]
	;; [unrolled: 5-line block ×3, first 2 shown]
	buffer_load_dword v133, off, s[0:3], 0 offset:196
	buffer_load_dword v132, off, s[0:3], 0 offset:192
	buffer_load_dword v137, off, s[0:3], 0 offset:204
	buffer_load_dword v136, off, s[0:3], 0 offset:200
	s_waitcnt vmcnt(2)
	v_fmac_f64_e32 v[128:129], v[132:133], v[134:135]
	ds_read2_b64 v[132:135], v130 offset0:87 offset1:88
	s_waitcnt vmcnt(0) lgkmcnt(0)
	v_fmac_f64_e32 v[128:129], v[136:137], v[132:133]
	buffer_load_dword v133, off, s[0:3], 0 offset:212
	buffer_load_dword v132, off, s[0:3], 0 offset:208
	buffer_load_dword v137, off, s[0:3], 0 offset:220
	buffer_load_dword v136, off, s[0:3], 0 offset:216
	s_waitcnt vmcnt(2)
	v_fmac_f64_e32 v[128:129], v[132:133], v[134:135]
	ds_read2_b64 v[132:135], v130 offset0:89 offset1:90
	s_waitcnt vmcnt(0) lgkmcnt(0)
	v_fmac_f64_e32 v[128:129], v[136:137], v[132:133]
	;; [unrolled: 9-line block ×18, first 2 shown]
	buffer_load_dword v133, off, s[0:3], 0 offset:484
	buffer_load_dword v132, off, s[0:3], 0 offset:480
	s_waitcnt vmcnt(0)
	v_fmac_f64_e32 v[128:129], v[132:133], v[134:135]
	buffer_load_dword v133, off, s[0:3], 0 offset:492
	buffer_load_dword v132, off, s[0:3], 0 offset:488
	ds_read_b64 v[134:135], v130 offset:984
	s_waitcnt vmcnt(0) lgkmcnt(0)
	v_fmac_f64_e32 v[128:129], v[132:133], v[134:135]
	v_add_f64 v[126:127], v[126:127], -v[128:129]
	buffer_store_dword v127, off, s[0:3], 0 offset:132
	buffer_store_dword v126, off, s[0:3], 0 offset:128
	s_and_saveexec_b64 s[4:5], vcc
	s_cbranch_execz .LBB125_349
; %bb.348:
	buffer_load_dword v126, off, s[0:3], 0 offset:120
	buffer_load_dword v127, off, s[0:3], 0 offset:124
	s_waitcnt vmcnt(0)
	ds_write_b64 v1, v[126:127]
	buffer_store_dword v130, off, s[0:3], 0 offset:120
	buffer_store_dword v130, off, s[0:3], 0 offset:124
.LBB125_349:
	s_or_b64 exec, exec, s[4:5]
	s_waitcnt lgkmcnt(0)
	; wave barrier
	s_waitcnt lgkmcnt(0)
	buffer_load_dword v126, off, s[0:3], 0 offset:120
	buffer_load_dword v127, off, s[0:3], 0 offset:124
	;; [unrolled: 1-line block ×16, first 2 shown]
	ds_read_b128 v[132:135], v130 offset:624
	ds_read_b128 v[136:139], v130 offset:640
	;; [unrolled: 1-line block ×4, first 2 shown]
	v_cmp_lt_u32_e32 vcc, 14, v0
	s_waitcnt vmcnt(12) lgkmcnt(3)
	v_fma_f64 v[128:129], v[128:129], v[132:133], 0
	buffer_load_dword v133, off, s[0:3], 0 offset:188
	buffer_load_dword v132, off, s[0:3], 0 offset:184
	s_waitcnt vmcnt(12)
	v_fmac_f64_e32 v[128:129], v[148:149], v[134:135]
	s_waitcnt vmcnt(10) lgkmcnt(2)
	v_fmac_f64_e32 v[128:129], v[150:151], v[136:137]
	buffer_load_dword v137, off, s[0:3], 0 offset:196
	buffer_load_dword v136, off, s[0:3], 0 offset:192
	s_waitcnt vmcnt(10)
	v_fmac_f64_e32 v[128:129], v[152:153], v[138:139]
	s_waitcnt vmcnt(8) lgkmcnt(1)
	v_fmac_f64_e32 v[128:129], v[154:155], v[140:141]
	s_waitcnt vmcnt(6)
	v_fmac_f64_e32 v[128:129], v[156:157], v[142:143]
	s_waitcnt vmcnt(4) lgkmcnt(0)
	v_fmac_f64_e32 v[128:129], v[158:159], v[144:145]
	s_waitcnt vmcnt(2)
	v_fmac_f64_e32 v[128:129], v[132:133], v[146:147]
	ds_read_b128 v[132:135], v130 offset:688
	s_waitcnt vmcnt(0) lgkmcnt(0)
	v_fmac_f64_e32 v[128:129], v[136:137], v[132:133]
	buffer_load_dword v133, off, s[0:3], 0 offset:204
	buffer_load_dword v132, off, s[0:3], 0 offset:200
	buffer_load_dword v137, off, s[0:3], 0 offset:212
	buffer_load_dword v136, off, s[0:3], 0 offset:208
	s_waitcnt vmcnt(2)
	v_fmac_f64_e32 v[128:129], v[132:133], v[134:135]
	ds_read_b128 v[132:135], v130 offset:704
	s_waitcnt vmcnt(0) lgkmcnt(0)
	v_fmac_f64_e32 v[128:129], v[136:137], v[132:133]
	buffer_load_dword v133, off, s[0:3], 0 offset:220
	buffer_load_dword v132, off, s[0:3], 0 offset:216
	buffer_load_dword v137, off, s[0:3], 0 offset:228
	buffer_load_dword v136, off, s[0:3], 0 offset:224
	;; [unrolled: 9-line block ×17, first 2 shown]
	s_waitcnt vmcnt(2)
	v_fmac_f64_e32 v[128:129], v[132:133], v[134:135]
	ds_read_b128 v[132:135], v130 offset:960
	s_waitcnt vmcnt(0) lgkmcnt(0)
	v_fmac_f64_e32 v[128:129], v[136:137], v[132:133]
	buffer_load_dword v133, off, s[0:3], 0 offset:476
	buffer_load_dword v132, off, s[0:3], 0 offset:472
	s_waitcnt vmcnt(0)
	v_fmac_f64_e32 v[128:129], v[132:133], v[134:135]
	buffer_load_dword v135, off, s[0:3], 0 offset:484
	buffer_load_dword v134, off, s[0:3], 0 offset:480
	ds_read_b128 v[130:133], v130 offset:976
	s_waitcnt vmcnt(0) lgkmcnt(0)
	v_fmac_f64_e32 v[128:129], v[134:135], v[130:131]
	buffer_load_dword v131, off, s[0:3], 0 offset:492
	buffer_load_dword v130, off, s[0:3], 0 offset:488
	s_waitcnt vmcnt(0)
	v_fmac_f64_e32 v[128:129], v[130:131], v[132:133]
	v_add_f64 v[126:127], v[126:127], -v[128:129]
	buffer_store_dword v127, off, s[0:3], 0 offset:124
	buffer_store_dword v126, off, s[0:3], 0 offset:120
	s_and_saveexec_b64 s[4:5], vcc
	s_cbranch_execz .LBB125_351
; %bb.350:
	buffer_load_dword v126, off, s[0:3], 0 offset:112
	buffer_load_dword v127, off, s[0:3], 0 offset:116
	v_mov_b32_e32 v128, 0
	buffer_store_dword v128, off, s[0:3], 0 offset:112
	buffer_store_dword v128, off, s[0:3], 0 offset:116
	s_waitcnt vmcnt(2)
	ds_write_b64 v1, v[126:127]
.LBB125_351:
	s_or_b64 exec, exec, s[4:5]
	s_waitcnt lgkmcnt(0)
	; wave barrier
	s_waitcnt lgkmcnt(0)
	buffer_load_dword v126, off, s[0:3], 0 offset:112
	buffer_load_dword v127, off, s[0:3], 0 offset:116
	;; [unrolled: 1-line block ×16, first 2 shown]
	v_mov_b32_e32 v130, 0
	ds_read2_b64 v[132:135], v130 offset0:77 offset1:78
	v_cmp_lt_u32_e32 vcc, 13, v0
	s_waitcnt vmcnt(12) lgkmcnt(0)
	v_fma_f64 v[128:129], v[128:129], v[132:133], 0
	s_waitcnt vmcnt(10)
	v_fmac_f64_e32 v[128:129], v[136:137], v[134:135]
	ds_read2_b64 v[132:135], v130 offset0:79 offset1:80
	s_waitcnt vmcnt(8) lgkmcnt(0)
	v_fmac_f64_e32 v[128:129], v[138:139], v[132:133]
	s_waitcnt vmcnt(6)
	v_fmac_f64_e32 v[128:129], v[140:141], v[134:135]
	ds_read2_b64 v[132:135], v130 offset0:81 offset1:82
	s_waitcnt vmcnt(4) lgkmcnt(0)
	v_fmac_f64_e32 v[128:129], v[142:143], v[132:133]
	;; [unrolled: 5-line block ×3, first 2 shown]
	buffer_load_dword v133, off, s[0:3], 0 offset:180
	buffer_load_dword v132, off, s[0:3], 0 offset:176
	buffer_load_dword v137, off, s[0:3], 0 offset:188
	buffer_load_dword v136, off, s[0:3], 0 offset:184
	s_waitcnt vmcnt(2)
	v_fmac_f64_e32 v[128:129], v[132:133], v[134:135]
	ds_read2_b64 v[132:135], v130 offset0:85 offset1:86
	s_waitcnt vmcnt(0) lgkmcnt(0)
	v_fmac_f64_e32 v[128:129], v[136:137], v[132:133]
	buffer_load_dword v133, off, s[0:3], 0 offset:196
	buffer_load_dword v132, off, s[0:3], 0 offset:192
	buffer_load_dword v137, off, s[0:3], 0 offset:204
	buffer_load_dword v136, off, s[0:3], 0 offset:200
	s_waitcnt vmcnt(2)
	v_fmac_f64_e32 v[128:129], v[132:133], v[134:135]
	ds_read2_b64 v[132:135], v130 offset0:87 offset1:88
	s_waitcnt vmcnt(0) lgkmcnt(0)
	v_fmac_f64_e32 v[128:129], v[136:137], v[132:133]
	;; [unrolled: 9-line block ×19, first 2 shown]
	buffer_load_dword v133, off, s[0:3], 0 offset:484
	buffer_load_dword v132, off, s[0:3], 0 offset:480
	s_waitcnt vmcnt(0)
	v_fmac_f64_e32 v[128:129], v[132:133], v[134:135]
	buffer_load_dword v133, off, s[0:3], 0 offset:492
	buffer_load_dword v132, off, s[0:3], 0 offset:488
	ds_read_b64 v[134:135], v130 offset:984
	s_waitcnt vmcnt(0) lgkmcnt(0)
	v_fmac_f64_e32 v[128:129], v[132:133], v[134:135]
	v_add_f64 v[126:127], v[126:127], -v[128:129]
	buffer_store_dword v127, off, s[0:3], 0 offset:116
	buffer_store_dword v126, off, s[0:3], 0 offset:112
	s_and_saveexec_b64 s[4:5], vcc
	s_cbranch_execz .LBB125_353
; %bb.352:
	buffer_load_dword v126, off, s[0:3], 0 offset:104
	buffer_load_dword v127, off, s[0:3], 0 offset:108
	s_waitcnt vmcnt(0)
	ds_write_b64 v1, v[126:127]
	buffer_store_dword v130, off, s[0:3], 0 offset:104
	buffer_store_dword v130, off, s[0:3], 0 offset:108
.LBB125_353:
	s_or_b64 exec, exec, s[4:5]
	s_waitcnt lgkmcnt(0)
	; wave barrier
	s_waitcnt lgkmcnt(0)
	buffer_load_dword v126, off, s[0:3], 0 offset:104
	buffer_load_dword v127, off, s[0:3], 0 offset:108
	;; [unrolled: 1-line block ×16, first 2 shown]
	ds_read_b128 v[132:135], v130 offset:608
	ds_read_b128 v[136:139], v130 offset:624
	;; [unrolled: 1-line block ×4, first 2 shown]
	v_cmp_lt_u32_e32 vcc, 12, v0
	s_waitcnt vmcnt(12) lgkmcnt(3)
	v_fma_f64 v[128:129], v[128:129], v[132:133], 0
	buffer_load_dword v133, off, s[0:3], 0 offset:172
	buffer_load_dword v132, off, s[0:3], 0 offset:168
	s_waitcnt vmcnt(12)
	v_fmac_f64_e32 v[128:129], v[148:149], v[134:135]
	s_waitcnt vmcnt(10) lgkmcnt(2)
	v_fmac_f64_e32 v[128:129], v[150:151], v[136:137]
	buffer_load_dword v137, off, s[0:3], 0 offset:180
	buffer_load_dword v136, off, s[0:3], 0 offset:176
	s_waitcnt vmcnt(10)
	v_fmac_f64_e32 v[128:129], v[152:153], v[138:139]
	s_waitcnt vmcnt(8) lgkmcnt(1)
	v_fmac_f64_e32 v[128:129], v[154:155], v[140:141]
	s_waitcnt vmcnt(6)
	v_fmac_f64_e32 v[128:129], v[156:157], v[142:143]
	s_waitcnt vmcnt(4) lgkmcnt(0)
	v_fmac_f64_e32 v[128:129], v[158:159], v[144:145]
	s_waitcnt vmcnt(2)
	v_fmac_f64_e32 v[128:129], v[132:133], v[146:147]
	ds_read_b128 v[132:135], v130 offset:672
	s_waitcnt vmcnt(0) lgkmcnt(0)
	v_fmac_f64_e32 v[128:129], v[136:137], v[132:133]
	buffer_load_dword v133, off, s[0:3], 0 offset:188
	buffer_load_dword v132, off, s[0:3], 0 offset:184
	buffer_load_dword v137, off, s[0:3], 0 offset:196
	buffer_load_dword v136, off, s[0:3], 0 offset:192
	s_waitcnt vmcnt(2)
	v_fmac_f64_e32 v[128:129], v[132:133], v[134:135]
	ds_read_b128 v[132:135], v130 offset:688
	s_waitcnt vmcnt(0) lgkmcnt(0)
	v_fmac_f64_e32 v[128:129], v[136:137], v[132:133]
	buffer_load_dword v133, off, s[0:3], 0 offset:204
	buffer_load_dword v132, off, s[0:3], 0 offset:200
	buffer_load_dword v137, off, s[0:3], 0 offset:212
	buffer_load_dword v136, off, s[0:3], 0 offset:208
	;; [unrolled: 9-line block ×18, first 2 shown]
	s_waitcnt vmcnt(2)
	v_fmac_f64_e32 v[128:129], v[132:133], v[134:135]
	ds_read_b128 v[132:135], v130 offset:960
	s_waitcnt vmcnt(0) lgkmcnt(0)
	v_fmac_f64_e32 v[128:129], v[136:137], v[132:133]
	buffer_load_dword v133, off, s[0:3], 0 offset:476
	buffer_load_dword v132, off, s[0:3], 0 offset:472
	s_waitcnt vmcnt(0)
	v_fmac_f64_e32 v[128:129], v[132:133], v[134:135]
	buffer_load_dword v135, off, s[0:3], 0 offset:484
	buffer_load_dword v134, off, s[0:3], 0 offset:480
	ds_read_b128 v[130:133], v130 offset:976
	s_waitcnt vmcnt(0) lgkmcnt(0)
	v_fmac_f64_e32 v[128:129], v[134:135], v[130:131]
	buffer_load_dword v131, off, s[0:3], 0 offset:492
	buffer_load_dword v130, off, s[0:3], 0 offset:488
	s_waitcnt vmcnt(0)
	v_fmac_f64_e32 v[128:129], v[130:131], v[132:133]
	v_add_f64 v[126:127], v[126:127], -v[128:129]
	buffer_store_dword v127, off, s[0:3], 0 offset:108
	buffer_store_dword v126, off, s[0:3], 0 offset:104
	s_and_saveexec_b64 s[4:5], vcc
	s_cbranch_execz .LBB125_355
; %bb.354:
	buffer_load_dword v126, off, s[0:3], 0 offset:96
	buffer_load_dword v127, off, s[0:3], 0 offset:100
	v_mov_b32_e32 v128, 0
	buffer_store_dword v128, off, s[0:3], 0 offset:96
	buffer_store_dword v128, off, s[0:3], 0 offset:100
	s_waitcnt vmcnt(2)
	ds_write_b64 v1, v[126:127]
.LBB125_355:
	s_or_b64 exec, exec, s[4:5]
	s_waitcnt lgkmcnt(0)
	; wave barrier
	s_waitcnt lgkmcnt(0)
	buffer_load_dword v126, off, s[0:3], 0 offset:96
	buffer_load_dword v127, off, s[0:3], 0 offset:100
	;; [unrolled: 1-line block ×16, first 2 shown]
	v_mov_b32_e32 v130, 0
	ds_read2_b64 v[132:135], v130 offset0:75 offset1:76
	v_cmp_lt_u32_e32 vcc, 11, v0
	s_waitcnt vmcnt(12) lgkmcnt(0)
	v_fma_f64 v[128:129], v[128:129], v[132:133], 0
	s_waitcnt vmcnt(10)
	v_fmac_f64_e32 v[128:129], v[136:137], v[134:135]
	ds_read2_b64 v[132:135], v130 offset0:77 offset1:78
	s_waitcnt vmcnt(8) lgkmcnt(0)
	v_fmac_f64_e32 v[128:129], v[138:139], v[132:133]
	s_waitcnt vmcnt(6)
	v_fmac_f64_e32 v[128:129], v[140:141], v[134:135]
	ds_read2_b64 v[132:135], v130 offset0:79 offset1:80
	s_waitcnt vmcnt(4) lgkmcnt(0)
	v_fmac_f64_e32 v[128:129], v[142:143], v[132:133]
	;; [unrolled: 5-line block ×3, first 2 shown]
	buffer_load_dword v133, off, s[0:3], 0 offset:164
	buffer_load_dword v132, off, s[0:3], 0 offset:160
	buffer_load_dword v137, off, s[0:3], 0 offset:172
	buffer_load_dword v136, off, s[0:3], 0 offset:168
	s_waitcnt vmcnt(2)
	v_fmac_f64_e32 v[128:129], v[132:133], v[134:135]
	ds_read2_b64 v[132:135], v130 offset0:83 offset1:84
	s_waitcnt vmcnt(0) lgkmcnt(0)
	v_fmac_f64_e32 v[128:129], v[136:137], v[132:133]
	buffer_load_dword v133, off, s[0:3], 0 offset:180
	buffer_load_dword v132, off, s[0:3], 0 offset:176
	buffer_load_dword v137, off, s[0:3], 0 offset:188
	buffer_load_dword v136, off, s[0:3], 0 offset:184
	s_waitcnt vmcnt(2)
	v_fmac_f64_e32 v[128:129], v[132:133], v[134:135]
	ds_read2_b64 v[132:135], v130 offset0:85 offset1:86
	s_waitcnt vmcnt(0) lgkmcnt(0)
	v_fmac_f64_e32 v[128:129], v[136:137], v[132:133]
	;; [unrolled: 9-line block ×20, first 2 shown]
	buffer_load_dword v133, off, s[0:3], 0 offset:484
	buffer_load_dword v132, off, s[0:3], 0 offset:480
	s_waitcnt vmcnt(0)
	v_fmac_f64_e32 v[128:129], v[132:133], v[134:135]
	buffer_load_dword v133, off, s[0:3], 0 offset:492
	buffer_load_dword v132, off, s[0:3], 0 offset:488
	ds_read_b64 v[134:135], v130 offset:984
	s_waitcnt vmcnt(0) lgkmcnt(0)
	v_fmac_f64_e32 v[128:129], v[132:133], v[134:135]
	v_add_f64 v[126:127], v[126:127], -v[128:129]
	buffer_store_dword v127, off, s[0:3], 0 offset:100
	buffer_store_dword v126, off, s[0:3], 0 offset:96
	s_and_saveexec_b64 s[4:5], vcc
	s_cbranch_execz .LBB125_357
; %bb.356:
	buffer_load_dword v126, off, s[0:3], 0 offset:88
	buffer_load_dword v127, off, s[0:3], 0 offset:92
	s_waitcnt vmcnt(0)
	ds_write_b64 v1, v[126:127]
	buffer_store_dword v130, off, s[0:3], 0 offset:88
	buffer_store_dword v130, off, s[0:3], 0 offset:92
.LBB125_357:
	s_or_b64 exec, exec, s[4:5]
	s_waitcnt lgkmcnt(0)
	; wave barrier
	s_waitcnt lgkmcnt(0)
	buffer_load_dword v126, off, s[0:3], 0 offset:88
	buffer_load_dword v127, off, s[0:3], 0 offset:92
	;; [unrolled: 1-line block ×16, first 2 shown]
	ds_read_b128 v[132:135], v130 offset:592
	v_cmp_lt_u32_e32 vcc, 10, v0
	s_waitcnt vmcnt(12) lgkmcnt(0)
	v_fma_f64 v[128:129], v[128:129], v[132:133], 0
	s_waitcnt vmcnt(10)
	v_fmac_f64_e32 v[128:129], v[136:137], v[134:135]
	ds_read_b128 v[132:135], v130 offset:608
	s_waitcnt vmcnt(8) lgkmcnt(0)
	v_fmac_f64_e32 v[128:129], v[138:139], v[132:133]
	s_waitcnt vmcnt(6)
	v_fmac_f64_e32 v[128:129], v[140:141], v[134:135]
	ds_read_b128 v[132:135], v130 offset:624
	s_waitcnt vmcnt(4) lgkmcnt(0)
	v_fmac_f64_e32 v[128:129], v[142:143], v[132:133]
	;; [unrolled: 5-line block ×3, first 2 shown]
	buffer_load_dword v133, off, s[0:3], 0 offset:156
	buffer_load_dword v132, off, s[0:3], 0 offset:152
	buffer_load_dword v137, off, s[0:3], 0 offset:164
	buffer_load_dword v136, off, s[0:3], 0 offset:160
	s_waitcnt vmcnt(2)
	v_fmac_f64_e32 v[128:129], v[132:133], v[134:135]
	ds_read_b128 v[132:135], v130 offset:656
	s_waitcnt vmcnt(0) lgkmcnt(0)
	v_fmac_f64_e32 v[128:129], v[136:137], v[132:133]
	buffer_load_dword v133, off, s[0:3], 0 offset:172
	buffer_load_dword v132, off, s[0:3], 0 offset:168
	buffer_load_dword v137, off, s[0:3], 0 offset:180
	buffer_load_dword v136, off, s[0:3], 0 offset:176
	s_waitcnt vmcnt(2)
	v_fmac_f64_e32 v[128:129], v[132:133], v[134:135]
	ds_read_b128 v[132:135], v130 offset:672
	s_waitcnt vmcnt(0) lgkmcnt(0)
	v_fmac_f64_e32 v[128:129], v[136:137], v[132:133]
	;; [unrolled: 9-line block ×20, first 2 shown]
	buffer_load_dword v133, off, s[0:3], 0 offset:476
	buffer_load_dword v132, off, s[0:3], 0 offset:472
	s_waitcnt vmcnt(0)
	v_fmac_f64_e32 v[128:129], v[132:133], v[134:135]
	buffer_load_dword v135, off, s[0:3], 0 offset:484
	buffer_load_dword v134, off, s[0:3], 0 offset:480
	ds_read_b128 v[130:133], v130 offset:976
	s_waitcnt vmcnt(0) lgkmcnt(0)
	v_fmac_f64_e32 v[128:129], v[134:135], v[130:131]
	buffer_load_dword v131, off, s[0:3], 0 offset:492
	buffer_load_dword v130, off, s[0:3], 0 offset:488
	s_waitcnt vmcnt(0)
	v_fmac_f64_e32 v[128:129], v[130:131], v[132:133]
	v_add_f64 v[126:127], v[126:127], -v[128:129]
	buffer_store_dword v127, off, s[0:3], 0 offset:92
	buffer_store_dword v126, off, s[0:3], 0 offset:88
	s_and_saveexec_b64 s[4:5], vcc
	s_cbranch_execz .LBB125_359
; %bb.358:
	buffer_load_dword v126, off, s[0:3], 0 offset:80
	buffer_load_dword v127, off, s[0:3], 0 offset:84
	v_mov_b32_e32 v128, 0
	buffer_store_dword v128, off, s[0:3], 0 offset:80
	buffer_store_dword v128, off, s[0:3], 0 offset:84
	s_waitcnt vmcnt(2)
	ds_write_b64 v1, v[126:127]
.LBB125_359:
	s_or_b64 exec, exec, s[4:5]
	s_waitcnt lgkmcnt(0)
	; wave barrier
	s_waitcnt lgkmcnt(0)
	buffer_load_dword v126, off, s[0:3], 0 offset:80
	buffer_load_dword v127, off, s[0:3], 0 offset:84
	buffer_load_dword v128, off, s[0:3], 0 offset:88
	buffer_load_dword v129, off, s[0:3], 0 offset:92
	buffer_load_dword v136, off, s[0:3], 0 offset:96
	buffer_load_dword v137, off, s[0:3], 0 offset:100
	buffer_load_dword v138, off, s[0:3], 0 offset:104
	buffer_load_dword v139, off, s[0:3], 0 offset:108
	buffer_load_dword v140, off, s[0:3], 0 offset:112
	buffer_load_dword v141, off, s[0:3], 0 offset:116
	buffer_load_dword v142, off, s[0:3], 0 offset:120
	buffer_load_dword v143, off, s[0:3], 0 offset:124
	buffer_load_dword v144, off, s[0:3], 0 offset:128
	buffer_load_dword v145, off, s[0:3], 0 offset:132
	buffer_load_dword v146, off, s[0:3], 0 offset:136
	buffer_load_dword v147, off, s[0:3], 0 offset:140
	v_mov_b32_e32 v130, 0
	ds_read2_b64 v[132:135], v130 offset0:73 offset1:74
	v_cmp_lt_u32_e32 vcc, 9, v0
	s_waitcnt vmcnt(12) lgkmcnt(0)
	v_fma_f64 v[128:129], v[128:129], v[132:133], 0
	s_waitcnt vmcnt(10)
	v_fmac_f64_e32 v[128:129], v[136:137], v[134:135]
	ds_read2_b64 v[132:135], v130 offset0:75 offset1:76
	s_waitcnt vmcnt(8) lgkmcnt(0)
	v_fmac_f64_e32 v[128:129], v[138:139], v[132:133]
	s_waitcnt vmcnt(6)
	v_fmac_f64_e32 v[128:129], v[140:141], v[134:135]
	ds_read2_b64 v[132:135], v130 offset0:77 offset1:78
	s_waitcnt vmcnt(4) lgkmcnt(0)
	v_fmac_f64_e32 v[128:129], v[142:143], v[132:133]
	;; [unrolled: 5-line block ×3, first 2 shown]
	buffer_load_dword v133, off, s[0:3], 0 offset:148
	buffer_load_dword v132, off, s[0:3], 0 offset:144
	buffer_load_dword v137, off, s[0:3], 0 offset:156
	buffer_load_dword v136, off, s[0:3], 0 offset:152
	s_waitcnt vmcnt(2)
	v_fmac_f64_e32 v[128:129], v[132:133], v[134:135]
	ds_read2_b64 v[132:135], v130 offset0:81 offset1:82
	s_waitcnt vmcnt(0) lgkmcnt(0)
	v_fmac_f64_e32 v[128:129], v[136:137], v[132:133]
	buffer_load_dword v133, off, s[0:3], 0 offset:164
	buffer_load_dword v132, off, s[0:3], 0 offset:160
	buffer_load_dword v137, off, s[0:3], 0 offset:172
	buffer_load_dword v136, off, s[0:3], 0 offset:168
	s_waitcnt vmcnt(2)
	v_fmac_f64_e32 v[128:129], v[132:133], v[134:135]
	ds_read2_b64 v[132:135], v130 offset0:83 offset1:84
	s_waitcnt vmcnt(0) lgkmcnt(0)
	v_fmac_f64_e32 v[128:129], v[136:137], v[132:133]
	;; [unrolled: 9-line block ×21, first 2 shown]
	buffer_load_dword v133, off, s[0:3], 0 offset:484
	buffer_load_dword v132, off, s[0:3], 0 offset:480
	s_waitcnt vmcnt(0)
	v_fmac_f64_e32 v[128:129], v[132:133], v[134:135]
	buffer_load_dword v133, off, s[0:3], 0 offset:492
	buffer_load_dword v132, off, s[0:3], 0 offset:488
	ds_read_b64 v[134:135], v130 offset:984
	s_waitcnt vmcnt(0) lgkmcnt(0)
	v_fmac_f64_e32 v[128:129], v[132:133], v[134:135]
	v_add_f64 v[126:127], v[126:127], -v[128:129]
	buffer_store_dword v127, off, s[0:3], 0 offset:84
	buffer_store_dword v126, off, s[0:3], 0 offset:80
	s_and_saveexec_b64 s[4:5], vcc
	s_cbranch_execz .LBB125_361
; %bb.360:
	buffer_load_dword v126, off, s[0:3], 0 offset:72
	buffer_load_dword v127, off, s[0:3], 0 offset:76
	s_waitcnt vmcnt(0)
	ds_write_b64 v1, v[126:127]
	buffer_store_dword v130, off, s[0:3], 0 offset:72
	buffer_store_dword v130, off, s[0:3], 0 offset:76
.LBB125_361:
	s_or_b64 exec, exec, s[4:5]
	s_waitcnt lgkmcnt(0)
	; wave barrier
	s_waitcnt lgkmcnt(0)
	buffer_load_dword v126, off, s[0:3], 0 offset:72
	buffer_load_dword v127, off, s[0:3], 0 offset:76
	;; [unrolled: 1-line block ×16, first 2 shown]
	ds_read_b128 v[132:135], v130 offset:576
	v_cmp_lt_u32_e32 vcc, 8, v0
	s_waitcnt vmcnt(12) lgkmcnt(0)
	v_fma_f64 v[128:129], v[128:129], v[132:133], 0
	s_waitcnt vmcnt(10)
	v_fmac_f64_e32 v[128:129], v[136:137], v[134:135]
	ds_read_b128 v[132:135], v130 offset:592
	s_waitcnt vmcnt(8) lgkmcnt(0)
	v_fmac_f64_e32 v[128:129], v[138:139], v[132:133]
	s_waitcnt vmcnt(6)
	v_fmac_f64_e32 v[128:129], v[140:141], v[134:135]
	ds_read_b128 v[132:135], v130 offset:608
	s_waitcnt vmcnt(4) lgkmcnt(0)
	v_fmac_f64_e32 v[128:129], v[142:143], v[132:133]
	;; [unrolled: 5-line block ×3, first 2 shown]
	buffer_load_dword v133, off, s[0:3], 0 offset:140
	buffer_load_dword v132, off, s[0:3], 0 offset:136
	buffer_load_dword v137, off, s[0:3], 0 offset:148
	buffer_load_dword v136, off, s[0:3], 0 offset:144
	s_waitcnt vmcnt(2)
	v_fmac_f64_e32 v[128:129], v[132:133], v[134:135]
	ds_read_b128 v[132:135], v130 offset:640
	s_waitcnt vmcnt(0) lgkmcnt(0)
	v_fmac_f64_e32 v[128:129], v[136:137], v[132:133]
	buffer_load_dword v133, off, s[0:3], 0 offset:156
	buffer_load_dword v132, off, s[0:3], 0 offset:152
	buffer_load_dword v137, off, s[0:3], 0 offset:164
	buffer_load_dword v136, off, s[0:3], 0 offset:160
	s_waitcnt vmcnt(2)
	v_fmac_f64_e32 v[128:129], v[132:133], v[134:135]
	ds_read_b128 v[132:135], v130 offset:656
	s_waitcnt vmcnt(0) lgkmcnt(0)
	v_fmac_f64_e32 v[128:129], v[136:137], v[132:133]
	;; [unrolled: 9-line block ×21, first 2 shown]
	buffer_load_dword v133, off, s[0:3], 0 offset:476
	buffer_load_dword v132, off, s[0:3], 0 offset:472
	s_waitcnt vmcnt(0)
	v_fmac_f64_e32 v[128:129], v[132:133], v[134:135]
	buffer_load_dword v135, off, s[0:3], 0 offset:484
	buffer_load_dword v134, off, s[0:3], 0 offset:480
	ds_read_b128 v[130:133], v130 offset:976
	s_waitcnt vmcnt(0) lgkmcnt(0)
	v_fmac_f64_e32 v[128:129], v[134:135], v[130:131]
	buffer_load_dword v131, off, s[0:3], 0 offset:492
	buffer_load_dword v130, off, s[0:3], 0 offset:488
	s_waitcnt vmcnt(0)
	v_fmac_f64_e32 v[128:129], v[130:131], v[132:133]
	v_add_f64 v[126:127], v[126:127], -v[128:129]
	buffer_store_dword v127, off, s[0:3], 0 offset:76
	buffer_store_dword v126, off, s[0:3], 0 offset:72
	s_and_saveexec_b64 s[4:5], vcc
	s_cbranch_execz .LBB125_363
; %bb.362:
	buffer_load_dword v126, off, s[0:3], 0 offset:64
	buffer_load_dword v127, off, s[0:3], 0 offset:68
	v_mov_b32_e32 v128, 0
	buffer_store_dword v128, off, s[0:3], 0 offset:64
	buffer_store_dword v128, off, s[0:3], 0 offset:68
	s_waitcnt vmcnt(2)
	ds_write_b64 v1, v[126:127]
.LBB125_363:
	s_or_b64 exec, exec, s[4:5]
	s_waitcnt lgkmcnt(0)
	; wave barrier
	s_waitcnt lgkmcnt(0)
	buffer_load_dword v126, off, s[0:3], 0 offset:64
	buffer_load_dword v127, off, s[0:3], 0 offset:68
	;; [unrolled: 1-line block ×16, first 2 shown]
	v_mov_b32_e32 v130, 0
	ds_read2_b64 v[132:135], v130 offset0:71 offset1:72
	v_cmp_lt_u32_e32 vcc, 7, v0
	s_waitcnt vmcnt(12) lgkmcnt(0)
	v_fma_f64 v[128:129], v[128:129], v[132:133], 0
	s_waitcnt vmcnt(10)
	v_fmac_f64_e32 v[128:129], v[136:137], v[134:135]
	ds_read2_b64 v[132:135], v130 offset0:73 offset1:74
	s_waitcnt vmcnt(8) lgkmcnt(0)
	v_fmac_f64_e32 v[128:129], v[138:139], v[132:133]
	s_waitcnt vmcnt(6)
	v_fmac_f64_e32 v[128:129], v[140:141], v[134:135]
	ds_read2_b64 v[132:135], v130 offset0:75 offset1:76
	s_waitcnt vmcnt(4) lgkmcnt(0)
	v_fmac_f64_e32 v[128:129], v[142:143], v[132:133]
	;; [unrolled: 5-line block ×3, first 2 shown]
	buffer_load_dword v133, off, s[0:3], 0 offset:132
	buffer_load_dword v132, off, s[0:3], 0 offset:128
	buffer_load_dword v137, off, s[0:3], 0 offset:140
	buffer_load_dword v136, off, s[0:3], 0 offset:136
	s_waitcnt vmcnt(2)
	v_fmac_f64_e32 v[128:129], v[132:133], v[134:135]
	ds_read2_b64 v[132:135], v130 offset0:79 offset1:80
	s_waitcnt vmcnt(0) lgkmcnt(0)
	v_fmac_f64_e32 v[128:129], v[136:137], v[132:133]
	buffer_load_dword v133, off, s[0:3], 0 offset:148
	buffer_load_dword v132, off, s[0:3], 0 offset:144
	buffer_load_dword v137, off, s[0:3], 0 offset:156
	buffer_load_dword v136, off, s[0:3], 0 offset:152
	s_waitcnt vmcnt(2)
	v_fmac_f64_e32 v[128:129], v[132:133], v[134:135]
	ds_read2_b64 v[132:135], v130 offset0:81 offset1:82
	s_waitcnt vmcnt(0) lgkmcnt(0)
	v_fmac_f64_e32 v[128:129], v[136:137], v[132:133]
	;; [unrolled: 9-line block ×22, first 2 shown]
	buffer_load_dword v133, off, s[0:3], 0 offset:484
	buffer_load_dword v132, off, s[0:3], 0 offset:480
	s_waitcnt vmcnt(0)
	v_fmac_f64_e32 v[128:129], v[132:133], v[134:135]
	buffer_load_dword v133, off, s[0:3], 0 offset:492
	buffer_load_dword v132, off, s[0:3], 0 offset:488
	ds_read_b64 v[134:135], v130 offset:984
	s_waitcnt vmcnt(0) lgkmcnt(0)
	v_fmac_f64_e32 v[128:129], v[132:133], v[134:135]
	v_add_f64 v[126:127], v[126:127], -v[128:129]
	buffer_store_dword v127, off, s[0:3], 0 offset:68
	buffer_store_dword v126, off, s[0:3], 0 offset:64
	s_and_saveexec_b64 s[4:5], vcc
	s_cbranch_execz .LBB125_365
; %bb.364:
	buffer_load_dword v126, off, s[0:3], 0 offset:56
	buffer_load_dword v127, off, s[0:3], 0 offset:60
	s_waitcnt vmcnt(0)
	ds_write_b64 v1, v[126:127]
	buffer_store_dword v130, off, s[0:3], 0 offset:56
	buffer_store_dword v130, off, s[0:3], 0 offset:60
.LBB125_365:
	s_or_b64 exec, exec, s[4:5]
	s_waitcnt lgkmcnt(0)
	; wave barrier
	s_waitcnt lgkmcnt(0)
	buffer_load_dword v126, off, s[0:3], 0 offset:56
	buffer_load_dword v127, off, s[0:3], 0 offset:60
	;; [unrolled: 1-line block ×16, first 2 shown]
	ds_read_b128 v[132:135], v130 offset:560
	v_cmp_lt_u32_e32 vcc, 6, v0
	s_waitcnt vmcnt(12) lgkmcnt(0)
	v_fma_f64 v[128:129], v[128:129], v[132:133], 0
	s_waitcnt vmcnt(10)
	v_fmac_f64_e32 v[128:129], v[136:137], v[134:135]
	ds_read_b128 v[132:135], v130 offset:576
	s_waitcnt vmcnt(8) lgkmcnt(0)
	v_fmac_f64_e32 v[128:129], v[138:139], v[132:133]
	s_waitcnt vmcnt(6)
	v_fmac_f64_e32 v[128:129], v[140:141], v[134:135]
	ds_read_b128 v[132:135], v130 offset:592
	s_waitcnt vmcnt(4) lgkmcnt(0)
	v_fmac_f64_e32 v[128:129], v[142:143], v[132:133]
	s_waitcnt vmcnt(2)
	v_fmac_f64_e32 v[128:129], v[144:145], v[134:135]
	ds_read_b128 v[132:135], v130 offset:608
	s_waitcnt vmcnt(0) lgkmcnt(0)
	v_fmac_f64_e32 v[128:129], v[146:147], v[132:133]
	buffer_load_dword v133, off, s[0:3], 0 offset:124
	buffer_load_dword v132, off, s[0:3], 0 offset:120
	buffer_load_dword v137, off, s[0:3], 0 offset:132
	buffer_load_dword v136, off, s[0:3], 0 offset:128
	s_waitcnt vmcnt(2)
	v_fmac_f64_e32 v[128:129], v[132:133], v[134:135]
	ds_read_b128 v[132:135], v130 offset:624
	s_waitcnt vmcnt(0) lgkmcnt(0)
	v_fmac_f64_e32 v[128:129], v[136:137], v[132:133]
	buffer_load_dword v133, off, s[0:3], 0 offset:140
	buffer_load_dword v132, off, s[0:3], 0 offset:136
	buffer_load_dword v137, off, s[0:3], 0 offset:148
	buffer_load_dword v136, off, s[0:3], 0 offset:144
	s_waitcnt vmcnt(2)
	v_fmac_f64_e32 v[128:129], v[132:133], v[134:135]
	ds_read_b128 v[132:135], v130 offset:640
	s_waitcnt vmcnt(0) lgkmcnt(0)
	v_fmac_f64_e32 v[128:129], v[136:137], v[132:133]
	;; [unrolled: 9-line block ×22, first 2 shown]
	buffer_load_dword v133, off, s[0:3], 0 offset:476
	buffer_load_dword v132, off, s[0:3], 0 offset:472
	s_waitcnt vmcnt(0)
	v_fmac_f64_e32 v[128:129], v[132:133], v[134:135]
	buffer_load_dword v135, off, s[0:3], 0 offset:484
	buffer_load_dword v134, off, s[0:3], 0 offset:480
	ds_read_b128 v[130:133], v130 offset:976
	s_waitcnt vmcnt(0) lgkmcnt(0)
	v_fmac_f64_e32 v[128:129], v[134:135], v[130:131]
	buffer_load_dword v131, off, s[0:3], 0 offset:492
	buffer_load_dword v130, off, s[0:3], 0 offset:488
	s_waitcnt vmcnt(0)
	v_fmac_f64_e32 v[128:129], v[130:131], v[132:133]
	v_add_f64 v[126:127], v[126:127], -v[128:129]
	buffer_store_dword v127, off, s[0:3], 0 offset:60
	buffer_store_dword v126, off, s[0:3], 0 offset:56
	s_and_saveexec_b64 s[4:5], vcc
	s_cbranch_execz .LBB125_367
; %bb.366:
	buffer_load_dword v126, off, s[0:3], 0 offset:48
	buffer_load_dword v127, off, s[0:3], 0 offset:52
	v_mov_b32_e32 v128, 0
	buffer_store_dword v128, off, s[0:3], 0 offset:48
	buffer_store_dword v128, off, s[0:3], 0 offset:52
	s_waitcnt vmcnt(2)
	ds_write_b64 v1, v[126:127]
.LBB125_367:
	s_or_b64 exec, exec, s[4:5]
	s_waitcnt lgkmcnt(0)
	; wave barrier
	s_waitcnt lgkmcnt(0)
	buffer_load_dword v126, off, s[0:3], 0 offset:48
	buffer_load_dword v127, off, s[0:3], 0 offset:52
	;; [unrolled: 1-line block ×16, first 2 shown]
	v_mov_b32_e32 v130, 0
	ds_read2_b64 v[132:135], v130 offset0:69 offset1:70
	v_cmp_lt_u32_e32 vcc, 5, v0
	s_waitcnt vmcnt(12) lgkmcnt(0)
	v_fma_f64 v[128:129], v[128:129], v[132:133], 0
	s_waitcnt vmcnt(10)
	v_fmac_f64_e32 v[128:129], v[136:137], v[134:135]
	ds_read2_b64 v[132:135], v130 offset0:71 offset1:72
	s_waitcnt vmcnt(8) lgkmcnt(0)
	v_fmac_f64_e32 v[128:129], v[138:139], v[132:133]
	s_waitcnt vmcnt(6)
	v_fmac_f64_e32 v[128:129], v[140:141], v[134:135]
	ds_read2_b64 v[132:135], v130 offset0:73 offset1:74
	s_waitcnt vmcnt(4) lgkmcnt(0)
	v_fmac_f64_e32 v[128:129], v[142:143], v[132:133]
	;; [unrolled: 5-line block ×3, first 2 shown]
	buffer_load_dword v133, off, s[0:3], 0 offset:116
	buffer_load_dword v132, off, s[0:3], 0 offset:112
	buffer_load_dword v137, off, s[0:3], 0 offset:124
	buffer_load_dword v136, off, s[0:3], 0 offset:120
	s_waitcnt vmcnt(2)
	v_fmac_f64_e32 v[128:129], v[132:133], v[134:135]
	ds_read2_b64 v[132:135], v130 offset0:77 offset1:78
	s_waitcnt vmcnt(0) lgkmcnt(0)
	v_fmac_f64_e32 v[128:129], v[136:137], v[132:133]
	buffer_load_dword v133, off, s[0:3], 0 offset:132
	buffer_load_dword v132, off, s[0:3], 0 offset:128
	buffer_load_dword v137, off, s[0:3], 0 offset:140
	buffer_load_dword v136, off, s[0:3], 0 offset:136
	s_waitcnt vmcnt(2)
	v_fmac_f64_e32 v[128:129], v[132:133], v[134:135]
	ds_read2_b64 v[132:135], v130 offset0:79 offset1:80
	s_waitcnt vmcnt(0) lgkmcnt(0)
	v_fmac_f64_e32 v[128:129], v[136:137], v[132:133]
	;; [unrolled: 9-line block ×23, first 2 shown]
	buffer_load_dword v133, off, s[0:3], 0 offset:484
	buffer_load_dword v132, off, s[0:3], 0 offset:480
	s_waitcnt vmcnt(0)
	v_fmac_f64_e32 v[128:129], v[132:133], v[134:135]
	buffer_load_dword v133, off, s[0:3], 0 offset:492
	buffer_load_dword v132, off, s[0:3], 0 offset:488
	ds_read_b64 v[134:135], v130 offset:984
	s_waitcnt vmcnt(0) lgkmcnt(0)
	v_fmac_f64_e32 v[128:129], v[132:133], v[134:135]
	v_add_f64 v[126:127], v[126:127], -v[128:129]
	buffer_store_dword v127, off, s[0:3], 0 offset:52
	buffer_store_dword v126, off, s[0:3], 0 offset:48
	s_and_saveexec_b64 s[4:5], vcc
	s_cbranch_execz .LBB125_369
; %bb.368:
	buffer_load_dword v126, off, s[0:3], 0 offset:40
	buffer_load_dword v127, off, s[0:3], 0 offset:44
	s_waitcnt vmcnt(0)
	ds_write_b64 v1, v[126:127]
	buffer_store_dword v130, off, s[0:3], 0 offset:40
	buffer_store_dword v130, off, s[0:3], 0 offset:44
.LBB125_369:
	s_or_b64 exec, exec, s[4:5]
	s_waitcnt lgkmcnt(0)
	; wave barrier
	s_waitcnt lgkmcnt(0)
	buffer_load_dword v126, off, s[0:3], 0 offset:40
	buffer_load_dword v127, off, s[0:3], 0 offset:44
	;; [unrolled: 1-line block ×16, first 2 shown]
	ds_read_b128 v[132:135], v130 offset:544
	v_cmp_lt_u32_e32 vcc, 4, v0
	s_waitcnt vmcnt(12) lgkmcnt(0)
	v_fma_f64 v[128:129], v[128:129], v[132:133], 0
	s_waitcnt vmcnt(10)
	v_fmac_f64_e32 v[128:129], v[136:137], v[134:135]
	ds_read_b128 v[132:135], v130 offset:560
	s_waitcnt vmcnt(8) lgkmcnt(0)
	v_fmac_f64_e32 v[128:129], v[138:139], v[132:133]
	s_waitcnt vmcnt(6)
	v_fmac_f64_e32 v[128:129], v[140:141], v[134:135]
	ds_read_b128 v[132:135], v130 offset:576
	s_waitcnt vmcnt(4) lgkmcnt(0)
	v_fmac_f64_e32 v[128:129], v[142:143], v[132:133]
	;; [unrolled: 5-line block ×3, first 2 shown]
	buffer_load_dword v133, off, s[0:3], 0 offset:108
	buffer_load_dword v132, off, s[0:3], 0 offset:104
	buffer_load_dword v137, off, s[0:3], 0 offset:116
	buffer_load_dword v136, off, s[0:3], 0 offset:112
	s_waitcnt vmcnt(2)
	v_fmac_f64_e32 v[128:129], v[132:133], v[134:135]
	ds_read_b128 v[132:135], v130 offset:608
	s_waitcnt vmcnt(0) lgkmcnt(0)
	v_fmac_f64_e32 v[128:129], v[136:137], v[132:133]
	buffer_load_dword v133, off, s[0:3], 0 offset:124
	buffer_load_dword v132, off, s[0:3], 0 offset:120
	buffer_load_dword v137, off, s[0:3], 0 offset:132
	buffer_load_dword v136, off, s[0:3], 0 offset:128
	s_waitcnt vmcnt(2)
	v_fmac_f64_e32 v[128:129], v[132:133], v[134:135]
	ds_read_b128 v[132:135], v130 offset:624
	s_waitcnt vmcnt(0) lgkmcnt(0)
	v_fmac_f64_e32 v[128:129], v[136:137], v[132:133]
	;; [unrolled: 9-line block ×23, first 2 shown]
	buffer_load_dword v133, off, s[0:3], 0 offset:476
	buffer_load_dword v132, off, s[0:3], 0 offset:472
	s_waitcnt vmcnt(0)
	v_fmac_f64_e32 v[128:129], v[132:133], v[134:135]
	buffer_load_dword v135, off, s[0:3], 0 offset:484
	buffer_load_dword v134, off, s[0:3], 0 offset:480
	ds_read_b128 v[130:133], v130 offset:976
	s_waitcnt vmcnt(0) lgkmcnt(0)
	v_fmac_f64_e32 v[128:129], v[134:135], v[130:131]
	buffer_load_dword v131, off, s[0:3], 0 offset:492
	buffer_load_dword v130, off, s[0:3], 0 offset:488
	s_waitcnt vmcnt(0)
	v_fmac_f64_e32 v[128:129], v[130:131], v[132:133]
	v_add_f64 v[126:127], v[126:127], -v[128:129]
	buffer_store_dword v127, off, s[0:3], 0 offset:44
	buffer_store_dword v126, off, s[0:3], 0 offset:40
	s_and_saveexec_b64 s[4:5], vcc
	s_cbranch_execz .LBB125_371
; %bb.370:
	buffer_load_dword v126, off, s[0:3], 0 offset:32
	buffer_load_dword v127, off, s[0:3], 0 offset:36
	v_mov_b32_e32 v128, 0
	buffer_store_dword v128, off, s[0:3], 0 offset:32
	buffer_store_dword v128, off, s[0:3], 0 offset:36
	s_waitcnt vmcnt(2)
	ds_write_b64 v1, v[126:127]
.LBB125_371:
	s_or_b64 exec, exec, s[4:5]
	s_waitcnt lgkmcnt(0)
	; wave barrier
	s_waitcnt lgkmcnt(0)
	buffer_load_dword v126, off, s[0:3], 0 offset:32
	buffer_load_dword v127, off, s[0:3], 0 offset:36
	buffer_load_dword v128, off, s[0:3], 0 offset:40
	buffer_load_dword v129, off, s[0:3], 0 offset:44
	buffer_load_dword v136, off, s[0:3], 0 offset:48
	buffer_load_dword v137, off, s[0:3], 0 offset:52
	buffer_load_dword v138, off, s[0:3], 0 offset:56
	buffer_load_dword v139, off, s[0:3], 0 offset:60
	buffer_load_dword v140, off, s[0:3], 0 offset:64
	buffer_load_dword v141, off, s[0:3], 0 offset:68
	buffer_load_dword v142, off, s[0:3], 0 offset:72
	buffer_load_dword v143, off, s[0:3], 0 offset:76
	buffer_load_dword v144, off, s[0:3], 0 offset:80
	buffer_load_dword v145, off, s[0:3], 0 offset:84
	buffer_load_dword v146, off, s[0:3], 0 offset:88
	buffer_load_dword v147, off, s[0:3], 0 offset:92
	v_mov_b32_e32 v130, 0
	ds_read2_b64 v[132:135], v130 offset0:67 offset1:68
	v_cmp_lt_u32_e32 vcc, 3, v0
	s_waitcnt vmcnt(12) lgkmcnt(0)
	v_fma_f64 v[128:129], v[128:129], v[132:133], 0
	s_waitcnt vmcnt(10)
	v_fmac_f64_e32 v[128:129], v[136:137], v[134:135]
	ds_read2_b64 v[132:135], v130 offset0:69 offset1:70
	s_waitcnt vmcnt(8) lgkmcnt(0)
	v_fmac_f64_e32 v[128:129], v[138:139], v[132:133]
	s_waitcnt vmcnt(6)
	v_fmac_f64_e32 v[128:129], v[140:141], v[134:135]
	ds_read2_b64 v[132:135], v130 offset0:71 offset1:72
	s_waitcnt vmcnt(4) lgkmcnt(0)
	v_fmac_f64_e32 v[128:129], v[142:143], v[132:133]
	;; [unrolled: 5-line block ×3, first 2 shown]
	buffer_load_dword v133, off, s[0:3], 0 offset:100
	buffer_load_dword v132, off, s[0:3], 0 offset:96
	buffer_load_dword v137, off, s[0:3], 0 offset:108
	buffer_load_dword v136, off, s[0:3], 0 offset:104
	s_waitcnt vmcnt(2)
	v_fmac_f64_e32 v[128:129], v[132:133], v[134:135]
	ds_read2_b64 v[132:135], v130 offset0:75 offset1:76
	s_waitcnt vmcnt(0) lgkmcnt(0)
	v_fmac_f64_e32 v[128:129], v[136:137], v[132:133]
	buffer_load_dword v133, off, s[0:3], 0 offset:116
	buffer_load_dword v132, off, s[0:3], 0 offset:112
	buffer_load_dword v137, off, s[0:3], 0 offset:124
	buffer_load_dword v136, off, s[0:3], 0 offset:120
	s_waitcnt vmcnt(2)
	v_fmac_f64_e32 v[128:129], v[132:133], v[134:135]
	ds_read2_b64 v[132:135], v130 offset0:77 offset1:78
	s_waitcnt vmcnt(0) lgkmcnt(0)
	v_fmac_f64_e32 v[128:129], v[136:137], v[132:133]
	;; [unrolled: 9-line block ×24, first 2 shown]
	buffer_load_dword v133, off, s[0:3], 0 offset:484
	buffer_load_dword v132, off, s[0:3], 0 offset:480
	s_waitcnt vmcnt(0)
	v_fmac_f64_e32 v[128:129], v[132:133], v[134:135]
	buffer_load_dword v133, off, s[0:3], 0 offset:492
	buffer_load_dword v132, off, s[0:3], 0 offset:488
	ds_read_b64 v[134:135], v130 offset:984
	s_waitcnt vmcnt(0) lgkmcnt(0)
	v_fmac_f64_e32 v[128:129], v[132:133], v[134:135]
	v_add_f64 v[126:127], v[126:127], -v[128:129]
	buffer_store_dword v127, off, s[0:3], 0 offset:36
	buffer_store_dword v126, off, s[0:3], 0 offset:32
	s_and_saveexec_b64 s[4:5], vcc
	s_cbranch_execz .LBB125_373
; %bb.372:
	buffer_load_dword v126, off, s[0:3], 0 offset:24
	buffer_load_dword v127, off, s[0:3], 0 offset:28
	s_waitcnt vmcnt(0)
	ds_write_b64 v1, v[126:127]
	buffer_store_dword v130, off, s[0:3], 0 offset:24
	buffer_store_dword v130, off, s[0:3], 0 offset:28
.LBB125_373:
	s_or_b64 exec, exec, s[4:5]
	s_waitcnt lgkmcnt(0)
	; wave barrier
	s_waitcnt lgkmcnt(0)
	buffer_load_dword v126, off, s[0:3], 0 offset:24
	buffer_load_dword v127, off, s[0:3], 0 offset:28
	;; [unrolled: 1-line block ×16, first 2 shown]
	ds_read_b128 v[132:135], v130 offset:528
	v_cmp_lt_u32_e32 vcc, 2, v0
	s_waitcnt vmcnt(12) lgkmcnt(0)
	v_fma_f64 v[128:129], v[128:129], v[132:133], 0
	s_waitcnt vmcnt(10)
	v_fmac_f64_e32 v[128:129], v[136:137], v[134:135]
	ds_read_b128 v[132:135], v130 offset:544
	s_waitcnt vmcnt(8) lgkmcnt(0)
	v_fmac_f64_e32 v[128:129], v[138:139], v[132:133]
	s_waitcnt vmcnt(6)
	v_fmac_f64_e32 v[128:129], v[140:141], v[134:135]
	ds_read_b128 v[132:135], v130 offset:560
	s_waitcnt vmcnt(4) lgkmcnt(0)
	v_fmac_f64_e32 v[128:129], v[142:143], v[132:133]
	;; [unrolled: 5-line block ×3, first 2 shown]
	buffer_load_dword v133, off, s[0:3], 0 offset:92
	buffer_load_dword v132, off, s[0:3], 0 offset:88
	buffer_load_dword v137, off, s[0:3], 0 offset:100
	buffer_load_dword v136, off, s[0:3], 0 offset:96
	s_waitcnt vmcnt(2)
	v_fmac_f64_e32 v[128:129], v[132:133], v[134:135]
	ds_read_b128 v[132:135], v130 offset:592
	s_waitcnt vmcnt(0) lgkmcnt(0)
	v_fmac_f64_e32 v[128:129], v[136:137], v[132:133]
	buffer_load_dword v133, off, s[0:3], 0 offset:108
	buffer_load_dword v132, off, s[0:3], 0 offset:104
	buffer_load_dword v137, off, s[0:3], 0 offset:116
	buffer_load_dword v136, off, s[0:3], 0 offset:112
	s_waitcnt vmcnt(2)
	v_fmac_f64_e32 v[128:129], v[132:133], v[134:135]
	ds_read_b128 v[132:135], v130 offset:608
	s_waitcnt vmcnt(0) lgkmcnt(0)
	v_fmac_f64_e32 v[128:129], v[136:137], v[132:133]
	;; [unrolled: 9-line block ×24, first 2 shown]
	buffer_load_dword v133, off, s[0:3], 0 offset:476
	buffer_load_dword v132, off, s[0:3], 0 offset:472
	s_waitcnt vmcnt(0)
	v_fmac_f64_e32 v[128:129], v[132:133], v[134:135]
	buffer_load_dword v135, off, s[0:3], 0 offset:484
	buffer_load_dword v134, off, s[0:3], 0 offset:480
	ds_read_b128 v[130:133], v130 offset:976
	s_waitcnt vmcnt(0) lgkmcnt(0)
	v_fmac_f64_e32 v[128:129], v[134:135], v[130:131]
	buffer_load_dword v131, off, s[0:3], 0 offset:492
	buffer_load_dword v130, off, s[0:3], 0 offset:488
	s_waitcnt vmcnt(0)
	v_fmac_f64_e32 v[128:129], v[130:131], v[132:133]
	v_add_f64 v[126:127], v[126:127], -v[128:129]
	buffer_store_dword v127, off, s[0:3], 0 offset:28
	buffer_store_dword v126, off, s[0:3], 0 offset:24
	s_and_saveexec_b64 s[4:5], vcc
	s_cbranch_execz .LBB125_375
; %bb.374:
	buffer_load_dword v126, off, s[0:3], 0 offset:16
	buffer_load_dword v127, off, s[0:3], 0 offset:20
	v_mov_b32_e32 v128, 0
	buffer_store_dword v128, off, s[0:3], 0 offset:16
	buffer_store_dword v128, off, s[0:3], 0 offset:20
	s_waitcnt vmcnt(2)
	ds_write_b64 v1, v[126:127]
.LBB125_375:
	s_or_b64 exec, exec, s[4:5]
	s_waitcnt lgkmcnt(0)
	; wave barrier
	s_waitcnt lgkmcnt(0)
	buffer_load_dword v126, off, s[0:3], 0 offset:16
	buffer_load_dword v127, off, s[0:3], 0 offset:20
	buffer_load_dword v128, off, s[0:3], 0 offset:24
	buffer_load_dword v129, off, s[0:3], 0 offset:28
	buffer_load_dword v136, off, s[0:3], 0 offset:32
	buffer_load_dword v137, off, s[0:3], 0 offset:36
	buffer_load_dword v138, off, s[0:3], 0 offset:40
	buffer_load_dword v139, off, s[0:3], 0 offset:44
	buffer_load_dword v140, off, s[0:3], 0 offset:48
	buffer_load_dword v141, off, s[0:3], 0 offset:52
	buffer_load_dword v142, off, s[0:3], 0 offset:56
	buffer_load_dword v143, off, s[0:3], 0 offset:60
	buffer_load_dword v144, off, s[0:3], 0 offset:64
	buffer_load_dword v145, off, s[0:3], 0 offset:68
	buffer_load_dword v146, off, s[0:3], 0 offset:72
	buffer_load_dword v147, off, s[0:3], 0 offset:76
	v_mov_b32_e32 v130, 0
	ds_read2_b64 v[132:135], v130 offset0:65 offset1:66
	v_cmp_lt_u32_e32 vcc, 1, v0
	s_waitcnt vmcnt(12) lgkmcnt(0)
	v_fma_f64 v[128:129], v[128:129], v[132:133], 0
	s_waitcnt vmcnt(10)
	v_fmac_f64_e32 v[128:129], v[136:137], v[134:135]
	ds_read2_b64 v[132:135], v130 offset0:67 offset1:68
	s_waitcnt vmcnt(8) lgkmcnt(0)
	v_fmac_f64_e32 v[128:129], v[138:139], v[132:133]
	s_waitcnt vmcnt(6)
	v_fmac_f64_e32 v[128:129], v[140:141], v[134:135]
	ds_read2_b64 v[132:135], v130 offset0:69 offset1:70
	s_waitcnt vmcnt(4) lgkmcnt(0)
	v_fmac_f64_e32 v[128:129], v[142:143], v[132:133]
	s_waitcnt vmcnt(2)
	v_fmac_f64_e32 v[128:129], v[144:145], v[134:135]
	ds_read2_b64 v[132:135], v130 offset0:71 offset1:72
	s_waitcnt vmcnt(0) lgkmcnt(0)
	v_fmac_f64_e32 v[128:129], v[146:147], v[132:133]
	buffer_load_dword v133, off, s[0:3], 0 offset:84
	buffer_load_dword v132, off, s[0:3], 0 offset:80
	buffer_load_dword v137, off, s[0:3], 0 offset:92
	buffer_load_dword v136, off, s[0:3], 0 offset:88
	s_waitcnt vmcnt(2)
	v_fmac_f64_e32 v[128:129], v[132:133], v[134:135]
	ds_read2_b64 v[132:135], v130 offset0:73 offset1:74
	s_waitcnt vmcnt(0) lgkmcnt(0)
	v_fmac_f64_e32 v[128:129], v[136:137], v[132:133]
	buffer_load_dword v133, off, s[0:3], 0 offset:100
	buffer_load_dword v132, off, s[0:3], 0 offset:96
	buffer_load_dword v137, off, s[0:3], 0 offset:108
	buffer_load_dword v136, off, s[0:3], 0 offset:104
	s_waitcnt vmcnt(2)
	v_fmac_f64_e32 v[128:129], v[132:133], v[134:135]
	ds_read2_b64 v[132:135], v130 offset0:75 offset1:76
	s_waitcnt vmcnt(0) lgkmcnt(0)
	v_fmac_f64_e32 v[128:129], v[136:137], v[132:133]
	;; [unrolled: 9-line block ×25, first 2 shown]
	buffer_load_dword v133, off, s[0:3], 0 offset:484
	buffer_load_dword v132, off, s[0:3], 0 offset:480
	s_waitcnt vmcnt(0)
	v_fmac_f64_e32 v[128:129], v[132:133], v[134:135]
	buffer_load_dword v133, off, s[0:3], 0 offset:492
	buffer_load_dword v132, off, s[0:3], 0 offset:488
	ds_read_b64 v[134:135], v130 offset:984
	s_waitcnt vmcnt(0) lgkmcnt(0)
	v_fmac_f64_e32 v[128:129], v[132:133], v[134:135]
	v_add_f64 v[126:127], v[126:127], -v[128:129]
	buffer_store_dword v127, off, s[0:3], 0 offset:20
	buffer_store_dword v126, off, s[0:3], 0 offset:16
	s_and_saveexec_b64 s[4:5], vcc
	s_cbranch_execz .LBB125_377
; %bb.376:
	buffer_load_dword v126, off, s[0:3], 0 offset:8
	buffer_load_dword v127, off, s[0:3], 0 offset:12
	s_waitcnt vmcnt(0)
	ds_write_b64 v1, v[126:127]
	buffer_store_dword v130, off, s[0:3], 0 offset:8
	buffer_store_dword v130, off, s[0:3], 0 offset:12
.LBB125_377:
	s_or_b64 exec, exec, s[4:5]
	s_waitcnt lgkmcnt(0)
	; wave barrier
	s_waitcnt lgkmcnt(0)
	buffer_load_dword v126, off, s[0:3], 0 offset:8
	buffer_load_dword v127, off, s[0:3], 0 offset:12
	;; [unrolled: 1-line block ×16, first 2 shown]
	ds_read_b128 v[132:135], v130 offset:512
	v_cmp_ne_u32_e32 vcc, 0, v0
	s_waitcnt vmcnt(12) lgkmcnt(0)
	v_fma_f64 v[128:129], v[128:129], v[132:133], 0
	s_waitcnt vmcnt(10)
	v_fmac_f64_e32 v[128:129], v[136:137], v[134:135]
	ds_read_b128 v[132:135], v130 offset:528
	s_waitcnt vmcnt(8) lgkmcnt(0)
	v_fmac_f64_e32 v[128:129], v[138:139], v[132:133]
	s_waitcnt vmcnt(6)
	v_fmac_f64_e32 v[128:129], v[140:141], v[134:135]
	ds_read_b128 v[132:135], v130 offset:544
	s_waitcnt vmcnt(4) lgkmcnt(0)
	v_fmac_f64_e32 v[128:129], v[142:143], v[132:133]
	;; [unrolled: 5-line block ×3, first 2 shown]
	buffer_load_dword v133, off, s[0:3], 0 offset:76
	buffer_load_dword v132, off, s[0:3], 0 offset:72
	buffer_load_dword v137, off, s[0:3], 0 offset:84
	buffer_load_dword v136, off, s[0:3], 0 offset:80
	s_waitcnt vmcnt(2)
	v_fmac_f64_e32 v[128:129], v[132:133], v[134:135]
	ds_read_b128 v[132:135], v130 offset:576
	s_waitcnt vmcnt(0) lgkmcnt(0)
	v_fmac_f64_e32 v[128:129], v[136:137], v[132:133]
	buffer_load_dword v133, off, s[0:3], 0 offset:92
	buffer_load_dword v132, off, s[0:3], 0 offset:88
	buffer_load_dword v137, off, s[0:3], 0 offset:100
	buffer_load_dword v136, off, s[0:3], 0 offset:96
	s_waitcnt vmcnt(2)
	v_fmac_f64_e32 v[128:129], v[132:133], v[134:135]
	ds_read_b128 v[132:135], v130 offset:592
	s_waitcnt vmcnt(0) lgkmcnt(0)
	v_fmac_f64_e32 v[128:129], v[136:137], v[132:133]
	;; [unrolled: 9-line block ×25, first 2 shown]
	buffer_load_dword v133, off, s[0:3], 0 offset:476
	buffer_load_dword v132, off, s[0:3], 0 offset:472
	s_waitcnt vmcnt(0)
	v_fmac_f64_e32 v[128:129], v[132:133], v[134:135]
	buffer_load_dword v135, off, s[0:3], 0 offset:484
	buffer_load_dword v134, off, s[0:3], 0 offset:480
	ds_read_b128 v[130:133], v130 offset:976
	s_waitcnt vmcnt(0) lgkmcnt(0)
	v_fmac_f64_e32 v[128:129], v[134:135], v[130:131]
	buffer_load_dword v131, off, s[0:3], 0 offset:492
	buffer_load_dword v130, off, s[0:3], 0 offset:488
	s_waitcnt vmcnt(0)
	v_fmac_f64_e32 v[128:129], v[130:131], v[132:133]
	v_add_f64 v[126:127], v[126:127], -v[128:129]
	buffer_store_dword v127, off, s[0:3], 0 offset:12
	buffer_store_dword v126, off, s[0:3], 0 offset:8
	s_and_saveexec_b64 s[4:5], vcc
	s_cbranch_execz .LBB125_379
; %bb.378:
	buffer_load_dword v126, off, s[0:3], 0
	buffer_load_dword v127, off, s[0:3], 0 offset:4
	v_mov_b32_e32 v0, 0
	buffer_store_dword v0, off, s[0:3], 0
	buffer_store_dword v0, off, s[0:3], 0 offset:4
	s_waitcnt vmcnt(2)
	ds_write_b64 v1, v[126:127]
.LBB125_379:
	s_or_b64 exec, exec, s[4:5]
	s_waitcnt lgkmcnt(0)
	; wave barrier
	s_waitcnt lgkmcnt(0)
	buffer_load_dword v0, off, s[0:3], 0
	buffer_load_dword v1, off, s[0:3], 0 offset:4
	buffer_load_dword v132, off, s[0:3], 0 offset:8
	;; [unrolled: 1-line block ×15, first 2 shown]
	v_mov_b32_e32 v130, 0
	ds_read2_b64 v[126:129], v130 offset0:63 offset1:64
	s_and_b64 vcc, exec, s[16:17]
	s_waitcnt vmcnt(12) lgkmcnt(0)
	v_fma_f64 v[126:127], v[132:133], v[126:127], 0
	s_waitcnt vmcnt(10)
	v_fmac_f64_e32 v[126:127], v[134:135], v[128:129]
	ds_read2_b64 v[132:135], v130 offset0:65 offset1:66
	s_waitcnt vmcnt(8) lgkmcnt(0)
	v_fmac_f64_e32 v[126:127], v[136:137], v[132:133]
	s_waitcnt vmcnt(6)
	v_fmac_f64_e32 v[126:127], v[138:139], v[134:135]
	ds_read2_b64 v[132:135], v130 offset0:67 offset1:68
	s_waitcnt vmcnt(4) lgkmcnt(0)
	v_fmac_f64_e32 v[126:127], v[140:141], v[132:133]
	s_waitcnt vmcnt(2)
	v_fmac_f64_e32 v[126:127], v[142:143], v[134:135]
	ds_read2_b64 v[132:135], v130 offset0:69 offset1:70
	buffer_load_dword v129, off, s[0:3], 0 offset:68
	buffer_load_dword v128, off, s[0:3], 0 offset:64
	s_waitcnt vmcnt(2) lgkmcnt(0)
	v_fmac_f64_e32 v[126:127], v[144:145], v[132:133]
	s_waitcnt vmcnt(0)
	v_fmac_f64_e32 v[126:127], v[128:129], v[134:135]
	buffer_load_dword v129, off, s[0:3], 0 offset:76
	buffer_load_dword v128, off, s[0:3], 0 offset:72
	ds_read2_b64 v[132:135], v130 offset0:71 offset1:72
	s_waitcnt vmcnt(0) lgkmcnt(0)
	v_fmac_f64_e32 v[126:127], v[128:129], v[132:133]
	buffer_load_dword v129, off, s[0:3], 0 offset:84
	buffer_load_dword v128, off, s[0:3], 0 offset:80
	s_waitcnt vmcnt(0)
	v_fmac_f64_e32 v[126:127], v[128:129], v[134:135]
	buffer_load_dword v129, off, s[0:3], 0 offset:92
	buffer_load_dword v128, off, s[0:3], 0 offset:88
	ds_read2_b64 v[132:135], v130 offset0:73 offset1:74
	s_waitcnt vmcnt(0) lgkmcnt(0)
	v_fmac_f64_e32 v[126:127], v[128:129], v[132:133]
	buffer_load_dword v129, off, s[0:3], 0 offset:100
	buffer_load_dword v128, off, s[0:3], 0 offset:96
	;; [unrolled: 9-line block ×26, first 2 shown]
	buffer_load_dword v133, off, s[0:3], 0 offset:492
	buffer_load_dword v132, off, s[0:3], 0 offset:488
	ds_read_b64 v[130:131], v130 offset:984
	s_waitcnt vmcnt(2)
	v_fmac_f64_e32 v[126:127], v[128:129], v[134:135]
	s_waitcnt vmcnt(0) lgkmcnt(0)
	v_fmac_f64_e32 v[126:127], v[132:133], v[130:131]
	v_add_f64 v[0:1], v[0:1], -v[126:127]
	buffer_store_dword v1, off, s[0:3], 0 offset:4
	buffer_store_dword v0, off, s[0:3], 0
	s_cbranch_vccz .LBB125_503
; %bb.380:
	v_pk_mov_b32 v[0:1], s[10:11], s[10:11] op_sel:[0,1]
	flat_load_dword v0, v[0:1] offset:240
	s_waitcnt vmcnt(0) lgkmcnt(0)
	v_add_u32_e32 v0, -1, v0
	v_cmp_ne_u32_e32 vcc, 60, v0
	s_and_saveexec_b64 s[4:5], vcc
	s_cbranch_execz .LBB125_382
; %bb.381:
	v_mov_b32_e32 v1, 0
	v_lshl_add_u32 v0, v0, 3, v1
	buffer_load_dword v1, v0, s[0:3], 0 offen offset:4
	buffer_load_dword v126, v0, s[0:3], 0 offen
	s_waitcnt vmcnt(1)
	buffer_store_dword v1, off, s[0:3], 0 offset:484
	s_waitcnt vmcnt(1)
	buffer_store_dword v126, off, s[0:3], 0 offset:480
	buffer_store_dword v129, v0, s[0:3], 0 offen offset:4
	buffer_store_dword v128, v0, s[0:3], 0 offen
.LBB125_382:
	s_or_b64 exec, exec, s[4:5]
	v_pk_mov_b32 v[0:1], s[10:11], s[10:11] op_sel:[0,1]
	flat_load_dword v0, v[0:1] offset:236
	s_waitcnt vmcnt(0) lgkmcnt(0)
	v_add_u32_e32 v0, -1, v0
	v_cmp_ne_u32_e32 vcc, 59, v0
	s_and_saveexec_b64 s[4:5], vcc
	s_cbranch_execz .LBB125_384
; %bb.383:
	v_mov_b32_e32 v1, 0
	v_lshl_add_u32 v0, v0, 3, v1
	buffer_load_dword v1, v0, s[0:3], 0 offen
	buffer_load_dword v126, v0, s[0:3], 0 offen offset:4
	buffer_load_dword v127, off, s[0:3], 0 offset:472
	buffer_load_dword v128, off, s[0:3], 0 offset:476
	s_waitcnt vmcnt(3)
	buffer_store_dword v1, off, s[0:3], 0 offset:472
	s_waitcnt vmcnt(3)
	buffer_store_dword v126, off, s[0:3], 0 offset:476
	s_waitcnt vmcnt(3)
	buffer_store_dword v127, v0, s[0:3], 0 offen
	s_waitcnt vmcnt(3)
	buffer_store_dword v128, v0, s[0:3], 0 offen offset:4
.LBB125_384:
	s_or_b64 exec, exec, s[4:5]
	v_pk_mov_b32 v[0:1], s[10:11], s[10:11] op_sel:[0,1]
	flat_load_dword v0, v[0:1] offset:232
	s_waitcnt vmcnt(0) lgkmcnt(0)
	v_add_u32_e32 v0, -1, v0
	v_cmp_ne_u32_e32 vcc, 58, v0
	s_and_saveexec_b64 s[4:5], vcc
	s_cbranch_execz .LBB125_386
; %bb.385:
	v_mov_b32_e32 v1, 0
	v_lshl_add_u32 v0, v0, 3, v1
	buffer_load_dword v1, v0, s[0:3], 0 offen
	buffer_load_dword v126, v0, s[0:3], 0 offen offset:4
	buffer_load_dword v127, off, s[0:3], 0 offset:468
	buffer_load_dword v128, off, s[0:3], 0 offset:464
	s_waitcnt vmcnt(3)
	buffer_store_dword v1, off, s[0:3], 0 offset:464
	s_waitcnt vmcnt(3)
	buffer_store_dword v126, off, s[0:3], 0 offset:468
	s_waitcnt vmcnt(3)
	buffer_store_dword v127, v0, s[0:3], 0 offen offset:4
	s_waitcnt vmcnt(3)
	buffer_store_dword v128, v0, s[0:3], 0 offen
.LBB125_386:
	s_or_b64 exec, exec, s[4:5]
	v_pk_mov_b32 v[0:1], s[10:11], s[10:11] op_sel:[0,1]
	flat_load_dword v0, v[0:1] offset:228
	s_waitcnt vmcnt(0) lgkmcnt(0)
	v_add_u32_e32 v0, -1, v0
	v_cmp_ne_u32_e32 vcc, 57, v0
	s_and_saveexec_b64 s[4:5], vcc
	s_cbranch_execz .LBB125_388
; %bb.387:
	v_mov_b32_e32 v1, 0
	v_lshl_add_u32 v0, v0, 3, v1
	buffer_load_dword v1, v0, s[0:3], 0 offen
	buffer_load_dword v126, v0, s[0:3], 0 offen offset:4
	buffer_load_dword v127, off, s[0:3], 0 offset:456
	buffer_load_dword v128, off, s[0:3], 0 offset:460
	s_waitcnt vmcnt(3)
	buffer_store_dword v1, off, s[0:3], 0 offset:456
	s_waitcnt vmcnt(3)
	buffer_store_dword v126, off, s[0:3], 0 offset:460
	s_waitcnt vmcnt(3)
	buffer_store_dword v127, v0, s[0:3], 0 offen
	s_waitcnt vmcnt(3)
	buffer_store_dword v128, v0, s[0:3], 0 offen offset:4
.LBB125_388:
	s_or_b64 exec, exec, s[4:5]
	v_pk_mov_b32 v[0:1], s[10:11], s[10:11] op_sel:[0,1]
	flat_load_dword v0, v[0:1] offset:224
	s_waitcnt vmcnt(0) lgkmcnt(0)
	v_add_u32_e32 v0, -1, v0
	v_cmp_ne_u32_e32 vcc, 56, v0
	s_and_saveexec_b64 s[4:5], vcc
	s_cbranch_execz .LBB125_390
; %bb.389:
	v_mov_b32_e32 v1, 0
	v_lshl_add_u32 v0, v0, 3, v1
	buffer_load_dword v1, v0, s[0:3], 0 offen
	buffer_load_dword v126, v0, s[0:3], 0 offen offset:4
	buffer_load_dword v127, off, s[0:3], 0 offset:452
	buffer_load_dword v128, off, s[0:3], 0 offset:448
	s_waitcnt vmcnt(3)
	buffer_store_dword v1, off, s[0:3], 0 offset:448
	s_waitcnt vmcnt(3)
	buffer_store_dword v126, off, s[0:3], 0 offset:452
	s_waitcnt vmcnt(3)
	buffer_store_dword v127, v0, s[0:3], 0 offen offset:4
	s_waitcnt vmcnt(3)
	buffer_store_dword v128, v0, s[0:3], 0 offen
.LBB125_390:
	s_or_b64 exec, exec, s[4:5]
	v_pk_mov_b32 v[0:1], s[10:11], s[10:11] op_sel:[0,1]
	flat_load_dword v0, v[0:1] offset:220
	s_waitcnt vmcnt(0) lgkmcnt(0)
	v_add_u32_e32 v0, -1, v0
	v_cmp_ne_u32_e32 vcc, 55, v0
	s_and_saveexec_b64 s[4:5], vcc
	s_cbranch_execz .LBB125_392
; %bb.391:
	v_mov_b32_e32 v1, 0
	v_lshl_add_u32 v0, v0, 3, v1
	buffer_load_dword v1, v0, s[0:3], 0 offen
	buffer_load_dword v126, v0, s[0:3], 0 offen offset:4
	buffer_load_dword v127, off, s[0:3], 0 offset:440
	buffer_load_dword v128, off, s[0:3], 0 offset:444
	s_waitcnt vmcnt(3)
	buffer_store_dword v1, off, s[0:3], 0 offset:440
	s_waitcnt vmcnt(3)
	buffer_store_dword v126, off, s[0:3], 0 offset:444
	s_waitcnt vmcnt(3)
	buffer_store_dword v127, v0, s[0:3], 0 offen
	s_waitcnt vmcnt(3)
	buffer_store_dword v128, v0, s[0:3], 0 offen offset:4
.LBB125_392:
	s_or_b64 exec, exec, s[4:5]
	v_pk_mov_b32 v[0:1], s[10:11], s[10:11] op_sel:[0,1]
	flat_load_dword v0, v[0:1] offset:216
	s_waitcnt vmcnt(0) lgkmcnt(0)
	v_add_u32_e32 v0, -1, v0
	v_cmp_ne_u32_e32 vcc, 54, v0
	s_and_saveexec_b64 s[4:5], vcc
	s_cbranch_execz .LBB125_394
; %bb.393:
	v_mov_b32_e32 v1, 0
	v_lshl_add_u32 v0, v0, 3, v1
	buffer_load_dword v1, v0, s[0:3], 0 offen
	buffer_load_dword v126, v0, s[0:3], 0 offen offset:4
	buffer_load_dword v127, off, s[0:3], 0 offset:436
	buffer_load_dword v128, off, s[0:3], 0 offset:432
	s_waitcnt vmcnt(3)
	buffer_store_dword v1, off, s[0:3], 0 offset:432
	s_waitcnt vmcnt(3)
	buffer_store_dword v126, off, s[0:3], 0 offset:436
	s_waitcnt vmcnt(3)
	buffer_store_dword v127, v0, s[0:3], 0 offen offset:4
	s_waitcnt vmcnt(3)
	buffer_store_dword v128, v0, s[0:3], 0 offen
.LBB125_394:
	s_or_b64 exec, exec, s[4:5]
	v_pk_mov_b32 v[0:1], s[10:11], s[10:11] op_sel:[0,1]
	flat_load_dword v0, v[0:1] offset:212
	s_waitcnt vmcnt(0) lgkmcnt(0)
	v_add_u32_e32 v0, -1, v0
	v_cmp_ne_u32_e32 vcc, 53, v0
	s_and_saveexec_b64 s[4:5], vcc
	s_cbranch_execz .LBB125_396
; %bb.395:
	v_mov_b32_e32 v1, 0
	v_lshl_add_u32 v0, v0, 3, v1
	buffer_load_dword v1, v0, s[0:3], 0 offen
	buffer_load_dword v126, v0, s[0:3], 0 offen offset:4
	buffer_load_dword v127, off, s[0:3], 0 offset:424
	buffer_load_dword v128, off, s[0:3], 0 offset:428
	s_waitcnt vmcnt(3)
	buffer_store_dword v1, off, s[0:3], 0 offset:424
	s_waitcnt vmcnt(3)
	buffer_store_dword v126, off, s[0:3], 0 offset:428
	s_waitcnt vmcnt(3)
	buffer_store_dword v127, v0, s[0:3], 0 offen
	s_waitcnt vmcnt(3)
	buffer_store_dword v128, v0, s[0:3], 0 offen offset:4
.LBB125_396:
	s_or_b64 exec, exec, s[4:5]
	v_pk_mov_b32 v[0:1], s[10:11], s[10:11] op_sel:[0,1]
	flat_load_dword v0, v[0:1] offset:208
	s_waitcnt vmcnt(0) lgkmcnt(0)
	v_add_u32_e32 v0, -1, v0
	v_cmp_ne_u32_e32 vcc, 52, v0
	s_and_saveexec_b64 s[4:5], vcc
	s_cbranch_execz .LBB125_398
; %bb.397:
	v_mov_b32_e32 v1, 0
	v_lshl_add_u32 v0, v0, 3, v1
	buffer_load_dword v1, v0, s[0:3], 0 offen
	buffer_load_dword v126, v0, s[0:3], 0 offen offset:4
	buffer_load_dword v127, off, s[0:3], 0 offset:420
	buffer_load_dword v128, off, s[0:3], 0 offset:416
	s_waitcnt vmcnt(3)
	buffer_store_dword v1, off, s[0:3], 0 offset:416
	s_waitcnt vmcnt(3)
	buffer_store_dword v126, off, s[0:3], 0 offset:420
	s_waitcnt vmcnt(3)
	buffer_store_dword v127, v0, s[0:3], 0 offen offset:4
	s_waitcnt vmcnt(3)
	buffer_store_dword v128, v0, s[0:3], 0 offen
.LBB125_398:
	s_or_b64 exec, exec, s[4:5]
	v_pk_mov_b32 v[0:1], s[10:11], s[10:11] op_sel:[0,1]
	flat_load_dword v0, v[0:1] offset:204
	s_waitcnt vmcnt(0) lgkmcnt(0)
	v_add_u32_e32 v0, -1, v0
	v_cmp_ne_u32_e32 vcc, 51, v0
	s_and_saveexec_b64 s[4:5], vcc
	s_cbranch_execz .LBB125_400
; %bb.399:
	v_mov_b32_e32 v1, 0
	v_lshl_add_u32 v0, v0, 3, v1
	buffer_load_dword v1, v0, s[0:3], 0 offen
	buffer_load_dword v126, v0, s[0:3], 0 offen offset:4
	buffer_load_dword v127, off, s[0:3], 0 offset:408
	buffer_load_dword v128, off, s[0:3], 0 offset:412
	s_waitcnt vmcnt(3)
	buffer_store_dword v1, off, s[0:3], 0 offset:408
	s_waitcnt vmcnt(3)
	buffer_store_dword v126, off, s[0:3], 0 offset:412
	s_waitcnt vmcnt(3)
	buffer_store_dword v127, v0, s[0:3], 0 offen
	s_waitcnt vmcnt(3)
	buffer_store_dword v128, v0, s[0:3], 0 offen offset:4
.LBB125_400:
	s_or_b64 exec, exec, s[4:5]
	v_pk_mov_b32 v[0:1], s[10:11], s[10:11] op_sel:[0,1]
	flat_load_dword v0, v[0:1] offset:200
	s_waitcnt vmcnt(0) lgkmcnt(0)
	v_add_u32_e32 v0, -1, v0
	v_cmp_ne_u32_e32 vcc, 50, v0
	s_and_saveexec_b64 s[4:5], vcc
	s_cbranch_execz .LBB125_402
; %bb.401:
	v_mov_b32_e32 v1, 0
	v_lshl_add_u32 v0, v0, 3, v1
	buffer_load_dword v1, v0, s[0:3], 0 offen
	buffer_load_dword v126, v0, s[0:3], 0 offen offset:4
	buffer_load_dword v127, off, s[0:3], 0 offset:404
	buffer_load_dword v128, off, s[0:3], 0 offset:400
	s_waitcnt vmcnt(3)
	buffer_store_dword v1, off, s[0:3], 0 offset:400
	s_waitcnt vmcnt(3)
	buffer_store_dword v126, off, s[0:3], 0 offset:404
	s_waitcnt vmcnt(3)
	buffer_store_dword v127, v0, s[0:3], 0 offen offset:4
	s_waitcnt vmcnt(3)
	buffer_store_dword v128, v0, s[0:3], 0 offen
.LBB125_402:
	s_or_b64 exec, exec, s[4:5]
	v_pk_mov_b32 v[0:1], s[10:11], s[10:11] op_sel:[0,1]
	flat_load_dword v0, v[0:1] offset:196
	s_waitcnt vmcnt(0) lgkmcnt(0)
	v_add_u32_e32 v0, -1, v0
	v_cmp_ne_u32_e32 vcc, 49, v0
	s_and_saveexec_b64 s[4:5], vcc
	s_cbranch_execz .LBB125_404
; %bb.403:
	v_mov_b32_e32 v1, 0
	v_lshl_add_u32 v0, v0, 3, v1
	buffer_load_dword v1, v0, s[0:3], 0 offen
	buffer_load_dword v126, v0, s[0:3], 0 offen offset:4
	buffer_load_dword v127, off, s[0:3], 0 offset:392
	buffer_load_dword v128, off, s[0:3], 0 offset:396
	s_waitcnt vmcnt(3)
	buffer_store_dword v1, off, s[0:3], 0 offset:392
	s_waitcnt vmcnt(3)
	buffer_store_dword v126, off, s[0:3], 0 offset:396
	s_waitcnt vmcnt(3)
	buffer_store_dword v127, v0, s[0:3], 0 offen
	s_waitcnt vmcnt(3)
	buffer_store_dword v128, v0, s[0:3], 0 offen offset:4
.LBB125_404:
	s_or_b64 exec, exec, s[4:5]
	v_pk_mov_b32 v[0:1], s[10:11], s[10:11] op_sel:[0,1]
	flat_load_dword v0, v[0:1] offset:192
	s_waitcnt vmcnt(0) lgkmcnt(0)
	v_add_u32_e32 v0, -1, v0
	v_cmp_ne_u32_e32 vcc, 48, v0
	s_and_saveexec_b64 s[4:5], vcc
	s_cbranch_execz .LBB125_406
; %bb.405:
	v_mov_b32_e32 v1, 0
	v_lshl_add_u32 v0, v0, 3, v1
	buffer_load_dword v1, v0, s[0:3], 0 offen
	buffer_load_dword v126, v0, s[0:3], 0 offen offset:4
	buffer_load_dword v127, off, s[0:3], 0 offset:388
	buffer_load_dword v128, off, s[0:3], 0 offset:384
	s_waitcnt vmcnt(3)
	buffer_store_dword v1, off, s[0:3], 0 offset:384
	s_waitcnt vmcnt(3)
	buffer_store_dword v126, off, s[0:3], 0 offset:388
	s_waitcnt vmcnt(3)
	buffer_store_dword v127, v0, s[0:3], 0 offen offset:4
	s_waitcnt vmcnt(3)
	buffer_store_dword v128, v0, s[0:3], 0 offen
.LBB125_406:
	s_or_b64 exec, exec, s[4:5]
	v_pk_mov_b32 v[0:1], s[10:11], s[10:11] op_sel:[0,1]
	flat_load_dword v0, v[0:1] offset:188
	s_waitcnt vmcnt(0) lgkmcnt(0)
	v_add_u32_e32 v0, -1, v0
	v_cmp_ne_u32_e32 vcc, 47, v0
	s_and_saveexec_b64 s[4:5], vcc
	s_cbranch_execz .LBB125_408
; %bb.407:
	v_mov_b32_e32 v1, 0
	v_lshl_add_u32 v0, v0, 3, v1
	buffer_load_dword v1, v0, s[0:3], 0 offen
	buffer_load_dword v126, v0, s[0:3], 0 offen offset:4
	buffer_load_dword v127, off, s[0:3], 0 offset:376
	buffer_load_dword v128, off, s[0:3], 0 offset:380
	s_waitcnt vmcnt(3)
	buffer_store_dword v1, off, s[0:3], 0 offset:376
	s_waitcnt vmcnt(3)
	buffer_store_dword v126, off, s[0:3], 0 offset:380
	s_waitcnt vmcnt(3)
	buffer_store_dword v127, v0, s[0:3], 0 offen
	s_waitcnt vmcnt(3)
	buffer_store_dword v128, v0, s[0:3], 0 offen offset:4
.LBB125_408:
	s_or_b64 exec, exec, s[4:5]
	v_pk_mov_b32 v[0:1], s[10:11], s[10:11] op_sel:[0,1]
	flat_load_dword v0, v[0:1] offset:184
	s_waitcnt vmcnt(0) lgkmcnt(0)
	v_add_u32_e32 v0, -1, v0
	v_cmp_ne_u32_e32 vcc, 46, v0
	s_and_saveexec_b64 s[4:5], vcc
	s_cbranch_execz .LBB125_410
; %bb.409:
	v_mov_b32_e32 v1, 0
	v_lshl_add_u32 v0, v0, 3, v1
	buffer_load_dword v1, v0, s[0:3], 0 offen
	buffer_load_dword v126, v0, s[0:3], 0 offen offset:4
	buffer_load_dword v127, off, s[0:3], 0 offset:372
	buffer_load_dword v128, off, s[0:3], 0 offset:368
	s_waitcnt vmcnt(3)
	buffer_store_dword v1, off, s[0:3], 0 offset:368
	s_waitcnt vmcnt(3)
	buffer_store_dword v126, off, s[0:3], 0 offset:372
	s_waitcnt vmcnt(3)
	buffer_store_dword v127, v0, s[0:3], 0 offen offset:4
	s_waitcnt vmcnt(3)
	buffer_store_dword v128, v0, s[0:3], 0 offen
.LBB125_410:
	s_or_b64 exec, exec, s[4:5]
	v_pk_mov_b32 v[0:1], s[10:11], s[10:11] op_sel:[0,1]
	flat_load_dword v0, v[0:1] offset:180
	s_waitcnt vmcnt(0) lgkmcnt(0)
	v_add_u32_e32 v0, -1, v0
	v_cmp_ne_u32_e32 vcc, 45, v0
	s_and_saveexec_b64 s[4:5], vcc
	s_cbranch_execz .LBB125_412
; %bb.411:
	v_mov_b32_e32 v1, 0
	v_lshl_add_u32 v0, v0, 3, v1
	buffer_load_dword v1, v0, s[0:3], 0 offen
	buffer_load_dword v126, v0, s[0:3], 0 offen offset:4
	buffer_load_dword v127, off, s[0:3], 0 offset:360
	buffer_load_dword v128, off, s[0:3], 0 offset:364
	s_waitcnt vmcnt(3)
	buffer_store_dword v1, off, s[0:3], 0 offset:360
	s_waitcnt vmcnt(3)
	buffer_store_dword v126, off, s[0:3], 0 offset:364
	s_waitcnt vmcnt(3)
	buffer_store_dword v127, v0, s[0:3], 0 offen
	s_waitcnt vmcnt(3)
	buffer_store_dword v128, v0, s[0:3], 0 offen offset:4
.LBB125_412:
	s_or_b64 exec, exec, s[4:5]
	v_pk_mov_b32 v[0:1], s[10:11], s[10:11] op_sel:[0,1]
	flat_load_dword v0, v[0:1] offset:176
	s_waitcnt vmcnt(0) lgkmcnt(0)
	v_add_u32_e32 v0, -1, v0
	v_cmp_ne_u32_e32 vcc, 44, v0
	s_and_saveexec_b64 s[4:5], vcc
	s_cbranch_execz .LBB125_414
; %bb.413:
	v_mov_b32_e32 v1, 0
	v_lshl_add_u32 v0, v0, 3, v1
	buffer_load_dword v1, v0, s[0:3], 0 offen
	buffer_load_dword v126, v0, s[0:3], 0 offen offset:4
	buffer_load_dword v127, off, s[0:3], 0 offset:356
	buffer_load_dword v128, off, s[0:3], 0 offset:352
	s_waitcnt vmcnt(3)
	buffer_store_dword v1, off, s[0:3], 0 offset:352
	s_waitcnt vmcnt(3)
	buffer_store_dword v126, off, s[0:3], 0 offset:356
	s_waitcnt vmcnt(3)
	buffer_store_dword v127, v0, s[0:3], 0 offen offset:4
	s_waitcnt vmcnt(3)
	buffer_store_dword v128, v0, s[0:3], 0 offen
.LBB125_414:
	s_or_b64 exec, exec, s[4:5]
	v_pk_mov_b32 v[0:1], s[10:11], s[10:11] op_sel:[0,1]
	flat_load_dword v0, v[0:1] offset:172
	s_waitcnt vmcnt(0) lgkmcnt(0)
	v_add_u32_e32 v0, -1, v0
	v_cmp_ne_u32_e32 vcc, 43, v0
	s_and_saveexec_b64 s[4:5], vcc
	s_cbranch_execz .LBB125_416
; %bb.415:
	v_mov_b32_e32 v1, 0
	v_lshl_add_u32 v0, v0, 3, v1
	buffer_load_dword v1, v0, s[0:3], 0 offen
	buffer_load_dword v126, v0, s[0:3], 0 offen offset:4
	buffer_load_dword v127, off, s[0:3], 0 offset:344
	buffer_load_dword v128, off, s[0:3], 0 offset:348
	s_waitcnt vmcnt(3)
	buffer_store_dword v1, off, s[0:3], 0 offset:344
	s_waitcnt vmcnt(3)
	buffer_store_dword v126, off, s[0:3], 0 offset:348
	s_waitcnt vmcnt(3)
	buffer_store_dword v127, v0, s[0:3], 0 offen
	s_waitcnt vmcnt(3)
	buffer_store_dword v128, v0, s[0:3], 0 offen offset:4
.LBB125_416:
	s_or_b64 exec, exec, s[4:5]
	v_pk_mov_b32 v[0:1], s[10:11], s[10:11] op_sel:[0,1]
	flat_load_dword v0, v[0:1] offset:168
	s_waitcnt vmcnt(0) lgkmcnt(0)
	v_add_u32_e32 v0, -1, v0
	v_cmp_ne_u32_e32 vcc, 42, v0
	s_and_saveexec_b64 s[4:5], vcc
	s_cbranch_execz .LBB125_418
; %bb.417:
	v_mov_b32_e32 v1, 0
	v_lshl_add_u32 v0, v0, 3, v1
	buffer_load_dword v1, v0, s[0:3], 0 offen
	buffer_load_dword v126, v0, s[0:3], 0 offen offset:4
	buffer_load_dword v127, off, s[0:3], 0 offset:340
	buffer_load_dword v128, off, s[0:3], 0 offset:336
	s_waitcnt vmcnt(3)
	buffer_store_dword v1, off, s[0:3], 0 offset:336
	s_waitcnt vmcnt(3)
	buffer_store_dword v126, off, s[0:3], 0 offset:340
	s_waitcnt vmcnt(3)
	buffer_store_dword v127, v0, s[0:3], 0 offen offset:4
	s_waitcnt vmcnt(3)
	buffer_store_dword v128, v0, s[0:3], 0 offen
.LBB125_418:
	s_or_b64 exec, exec, s[4:5]
	v_pk_mov_b32 v[0:1], s[10:11], s[10:11] op_sel:[0,1]
	flat_load_dword v0, v[0:1] offset:164
	s_waitcnt vmcnt(0) lgkmcnt(0)
	v_add_u32_e32 v0, -1, v0
	v_cmp_ne_u32_e32 vcc, 41, v0
	s_and_saveexec_b64 s[4:5], vcc
	s_cbranch_execz .LBB125_420
; %bb.419:
	v_mov_b32_e32 v1, 0
	v_lshl_add_u32 v0, v0, 3, v1
	buffer_load_dword v1, v0, s[0:3], 0 offen
	buffer_load_dword v126, v0, s[0:3], 0 offen offset:4
	buffer_load_dword v127, off, s[0:3], 0 offset:328
	buffer_load_dword v128, off, s[0:3], 0 offset:332
	s_waitcnt vmcnt(3)
	buffer_store_dword v1, off, s[0:3], 0 offset:328
	s_waitcnt vmcnt(3)
	buffer_store_dword v126, off, s[0:3], 0 offset:332
	s_waitcnt vmcnt(3)
	buffer_store_dword v127, v0, s[0:3], 0 offen
	s_waitcnt vmcnt(3)
	buffer_store_dword v128, v0, s[0:3], 0 offen offset:4
.LBB125_420:
	s_or_b64 exec, exec, s[4:5]
	v_pk_mov_b32 v[0:1], s[10:11], s[10:11] op_sel:[0,1]
	flat_load_dword v0, v[0:1] offset:160
	s_waitcnt vmcnt(0) lgkmcnt(0)
	v_add_u32_e32 v0, -1, v0
	v_cmp_ne_u32_e32 vcc, 40, v0
	s_and_saveexec_b64 s[4:5], vcc
	s_cbranch_execz .LBB125_422
; %bb.421:
	v_mov_b32_e32 v1, 0
	v_lshl_add_u32 v0, v0, 3, v1
	buffer_load_dword v1, v0, s[0:3], 0 offen
	buffer_load_dword v126, v0, s[0:3], 0 offen offset:4
	buffer_load_dword v127, off, s[0:3], 0 offset:324
	buffer_load_dword v128, off, s[0:3], 0 offset:320
	s_waitcnt vmcnt(3)
	buffer_store_dword v1, off, s[0:3], 0 offset:320
	s_waitcnt vmcnt(3)
	buffer_store_dword v126, off, s[0:3], 0 offset:324
	s_waitcnt vmcnt(3)
	buffer_store_dword v127, v0, s[0:3], 0 offen offset:4
	s_waitcnt vmcnt(3)
	buffer_store_dword v128, v0, s[0:3], 0 offen
.LBB125_422:
	s_or_b64 exec, exec, s[4:5]
	v_pk_mov_b32 v[0:1], s[10:11], s[10:11] op_sel:[0,1]
	flat_load_dword v0, v[0:1] offset:156
	s_waitcnt vmcnt(0) lgkmcnt(0)
	v_add_u32_e32 v0, -1, v0
	v_cmp_ne_u32_e32 vcc, 39, v0
	s_and_saveexec_b64 s[4:5], vcc
	s_cbranch_execz .LBB125_424
; %bb.423:
	v_mov_b32_e32 v1, 0
	v_lshl_add_u32 v0, v0, 3, v1
	buffer_load_dword v1, v0, s[0:3], 0 offen
	buffer_load_dword v126, v0, s[0:3], 0 offen offset:4
	buffer_load_dword v127, off, s[0:3], 0 offset:312
	buffer_load_dword v128, off, s[0:3], 0 offset:316
	s_waitcnt vmcnt(3)
	buffer_store_dword v1, off, s[0:3], 0 offset:312
	s_waitcnt vmcnt(3)
	buffer_store_dword v126, off, s[0:3], 0 offset:316
	s_waitcnt vmcnt(3)
	buffer_store_dword v127, v0, s[0:3], 0 offen
	s_waitcnt vmcnt(3)
	buffer_store_dword v128, v0, s[0:3], 0 offen offset:4
.LBB125_424:
	s_or_b64 exec, exec, s[4:5]
	v_pk_mov_b32 v[0:1], s[10:11], s[10:11] op_sel:[0,1]
	flat_load_dword v0, v[0:1] offset:152
	s_waitcnt vmcnt(0) lgkmcnt(0)
	v_add_u32_e32 v0, -1, v0
	v_cmp_ne_u32_e32 vcc, 38, v0
	s_and_saveexec_b64 s[4:5], vcc
	s_cbranch_execz .LBB125_426
; %bb.425:
	v_mov_b32_e32 v1, 0
	v_lshl_add_u32 v0, v0, 3, v1
	buffer_load_dword v1, v0, s[0:3], 0 offen
	buffer_load_dword v126, v0, s[0:3], 0 offen offset:4
	buffer_load_dword v127, off, s[0:3], 0 offset:308
	buffer_load_dword v128, off, s[0:3], 0 offset:304
	s_waitcnt vmcnt(3)
	buffer_store_dword v1, off, s[0:3], 0 offset:304
	s_waitcnt vmcnt(3)
	buffer_store_dword v126, off, s[0:3], 0 offset:308
	s_waitcnt vmcnt(3)
	buffer_store_dword v127, v0, s[0:3], 0 offen offset:4
	s_waitcnt vmcnt(3)
	buffer_store_dword v128, v0, s[0:3], 0 offen
.LBB125_426:
	s_or_b64 exec, exec, s[4:5]
	v_pk_mov_b32 v[0:1], s[10:11], s[10:11] op_sel:[0,1]
	flat_load_dword v0, v[0:1] offset:148
	s_waitcnt vmcnt(0) lgkmcnt(0)
	v_add_u32_e32 v0, -1, v0
	v_cmp_ne_u32_e32 vcc, 37, v0
	s_and_saveexec_b64 s[4:5], vcc
	s_cbranch_execz .LBB125_428
; %bb.427:
	v_mov_b32_e32 v1, 0
	v_lshl_add_u32 v0, v0, 3, v1
	buffer_load_dword v1, v0, s[0:3], 0 offen
	buffer_load_dword v126, v0, s[0:3], 0 offen offset:4
	buffer_load_dword v127, off, s[0:3], 0 offset:296
	buffer_load_dword v128, off, s[0:3], 0 offset:300
	s_waitcnt vmcnt(3)
	buffer_store_dword v1, off, s[0:3], 0 offset:296
	s_waitcnt vmcnt(3)
	buffer_store_dword v126, off, s[0:3], 0 offset:300
	s_waitcnt vmcnt(3)
	buffer_store_dword v127, v0, s[0:3], 0 offen
	s_waitcnt vmcnt(3)
	buffer_store_dword v128, v0, s[0:3], 0 offen offset:4
.LBB125_428:
	s_or_b64 exec, exec, s[4:5]
	v_pk_mov_b32 v[0:1], s[10:11], s[10:11] op_sel:[0,1]
	flat_load_dword v0, v[0:1] offset:144
	s_waitcnt vmcnt(0) lgkmcnt(0)
	v_add_u32_e32 v0, -1, v0
	v_cmp_ne_u32_e32 vcc, 36, v0
	s_and_saveexec_b64 s[4:5], vcc
	s_cbranch_execz .LBB125_430
; %bb.429:
	v_mov_b32_e32 v1, 0
	v_lshl_add_u32 v0, v0, 3, v1
	buffer_load_dword v1, v0, s[0:3], 0 offen
	buffer_load_dword v126, v0, s[0:3], 0 offen offset:4
	buffer_load_dword v127, off, s[0:3], 0 offset:292
	buffer_load_dword v128, off, s[0:3], 0 offset:288
	s_waitcnt vmcnt(3)
	buffer_store_dword v1, off, s[0:3], 0 offset:288
	s_waitcnt vmcnt(3)
	buffer_store_dword v126, off, s[0:3], 0 offset:292
	s_waitcnt vmcnt(3)
	buffer_store_dword v127, v0, s[0:3], 0 offen offset:4
	s_waitcnt vmcnt(3)
	buffer_store_dword v128, v0, s[0:3], 0 offen
.LBB125_430:
	s_or_b64 exec, exec, s[4:5]
	v_pk_mov_b32 v[0:1], s[10:11], s[10:11] op_sel:[0,1]
	flat_load_dword v0, v[0:1] offset:140
	s_waitcnt vmcnt(0) lgkmcnt(0)
	v_add_u32_e32 v0, -1, v0
	v_cmp_ne_u32_e32 vcc, 35, v0
	s_and_saveexec_b64 s[4:5], vcc
	s_cbranch_execz .LBB125_432
; %bb.431:
	v_mov_b32_e32 v1, 0
	v_lshl_add_u32 v0, v0, 3, v1
	buffer_load_dword v1, v0, s[0:3], 0 offen
	buffer_load_dword v126, v0, s[0:3], 0 offen offset:4
	buffer_load_dword v127, off, s[0:3], 0 offset:280
	buffer_load_dword v128, off, s[0:3], 0 offset:284
	s_waitcnt vmcnt(3)
	buffer_store_dword v1, off, s[0:3], 0 offset:280
	s_waitcnt vmcnt(3)
	buffer_store_dword v126, off, s[0:3], 0 offset:284
	s_waitcnt vmcnt(3)
	buffer_store_dword v127, v0, s[0:3], 0 offen
	s_waitcnt vmcnt(3)
	buffer_store_dword v128, v0, s[0:3], 0 offen offset:4
.LBB125_432:
	s_or_b64 exec, exec, s[4:5]
	v_pk_mov_b32 v[0:1], s[10:11], s[10:11] op_sel:[0,1]
	flat_load_dword v0, v[0:1] offset:136
	s_waitcnt vmcnt(0) lgkmcnt(0)
	v_add_u32_e32 v0, -1, v0
	v_cmp_ne_u32_e32 vcc, 34, v0
	s_and_saveexec_b64 s[4:5], vcc
	s_cbranch_execz .LBB125_434
; %bb.433:
	v_mov_b32_e32 v1, 0
	v_lshl_add_u32 v0, v0, 3, v1
	buffer_load_dword v1, v0, s[0:3], 0 offen
	buffer_load_dword v126, v0, s[0:3], 0 offen offset:4
	buffer_load_dword v127, off, s[0:3], 0 offset:276
	buffer_load_dword v128, off, s[0:3], 0 offset:272
	s_waitcnt vmcnt(3)
	buffer_store_dword v1, off, s[0:3], 0 offset:272
	s_waitcnt vmcnt(3)
	buffer_store_dword v126, off, s[0:3], 0 offset:276
	s_waitcnt vmcnt(3)
	buffer_store_dword v127, v0, s[0:3], 0 offen offset:4
	s_waitcnt vmcnt(3)
	buffer_store_dword v128, v0, s[0:3], 0 offen
.LBB125_434:
	s_or_b64 exec, exec, s[4:5]
	v_pk_mov_b32 v[0:1], s[10:11], s[10:11] op_sel:[0,1]
	flat_load_dword v0, v[0:1] offset:132
	s_waitcnt vmcnt(0) lgkmcnt(0)
	v_add_u32_e32 v0, -1, v0
	v_cmp_ne_u32_e32 vcc, 33, v0
	s_and_saveexec_b64 s[4:5], vcc
	s_cbranch_execz .LBB125_436
; %bb.435:
	v_mov_b32_e32 v1, 0
	v_lshl_add_u32 v0, v0, 3, v1
	buffer_load_dword v1, v0, s[0:3], 0 offen
	buffer_load_dword v126, v0, s[0:3], 0 offen offset:4
	buffer_load_dword v127, off, s[0:3], 0 offset:264
	buffer_load_dword v128, off, s[0:3], 0 offset:268
	s_waitcnt vmcnt(3)
	buffer_store_dword v1, off, s[0:3], 0 offset:264
	s_waitcnt vmcnt(3)
	buffer_store_dword v126, off, s[0:3], 0 offset:268
	s_waitcnt vmcnt(3)
	buffer_store_dword v127, v0, s[0:3], 0 offen
	s_waitcnt vmcnt(3)
	buffer_store_dword v128, v0, s[0:3], 0 offen offset:4
.LBB125_436:
	s_or_b64 exec, exec, s[4:5]
	v_pk_mov_b32 v[0:1], s[10:11], s[10:11] op_sel:[0,1]
	flat_load_dword v0, v[0:1] offset:128
	s_waitcnt vmcnt(0) lgkmcnt(0)
	v_add_u32_e32 v0, -1, v0
	v_cmp_ne_u32_e32 vcc, 32, v0
	s_and_saveexec_b64 s[4:5], vcc
	s_cbranch_execz .LBB125_438
; %bb.437:
	v_mov_b32_e32 v1, 0
	v_lshl_add_u32 v0, v0, 3, v1
	buffer_load_dword v1, v0, s[0:3], 0 offen
	buffer_load_dword v126, v0, s[0:3], 0 offen offset:4
	buffer_load_dword v127, off, s[0:3], 0 offset:260
	buffer_load_dword v128, off, s[0:3], 0 offset:256
	s_waitcnt vmcnt(3)
	buffer_store_dword v1, off, s[0:3], 0 offset:256
	s_waitcnt vmcnt(3)
	buffer_store_dword v126, off, s[0:3], 0 offset:260
	s_waitcnt vmcnt(3)
	buffer_store_dword v127, v0, s[0:3], 0 offen offset:4
	s_waitcnt vmcnt(3)
	buffer_store_dword v128, v0, s[0:3], 0 offen
.LBB125_438:
	s_or_b64 exec, exec, s[4:5]
	v_pk_mov_b32 v[0:1], s[10:11], s[10:11] op_sel:[0,1]
	flat_load_dword v0, v[0:1] offset:124
	s_waitcnt vmcnt(0) lgkmcnt(0)
	v_add_u32_e32 v0, -1, v0
	v_cmp_ne_u32_e32 vcc, 31, v0
	s_and_saveexec_b64 s[4:5], vcc
	s_cbranch_execz .LBB125_440
; %bb.439:
	v_mov_b32_e32 v1, 0
	v_lshl_add_u32 v0, v0, 3, v1
	buffer_load_dword v1, v0, s[0:3], 0 offen
	buffer_load_dword v126, v0, s[0:3], 0 offen offset:4
	buffer_load_dword v127, off, s[0:3], 0 offset:248
	buffer_load_dword v128, off, s[0:3], 0 offset:252
	s_waitcnt vmcnt(3)
	buffer_store_dword v1, off, s[0:3], 0 offset:248
	s_waitcnt vmcnt(3)
	buffer_store_dword v126, off, s[0:3], 0 offset:252
	s_waitcnt vmcnt(3)
	buffer_store_dword v127, v0, s[0:3], 0 offen
	s_waitcnt vmcnt(3)
	buffer_store_dword v128, v0, s[0:3], 0 offen offset:4
.LBB125_440:
	s_or_b64 exec, exec, s[4:5]
	v_pk_mov_b32 v[0:1], s[10:11], s[10:11] op_sel:[0,1]
	flat_load_dword v0, v[0:1] offset:120
	s_waitcnt vmcnt(0) lgkmcnt(0)
	v_add_u32_e32 v0, -1, v0
	v_cmp_ne_u32_e32 vcc, 30, v0
	s_and_saveexec_b64 s[4:5], vcc
	s_cbranch_execz .LBB125_442
; %bb.441:
	v_mov_b32_e32 v1, 0
	v_lshl_add_u32 v0, v0, 3, v1
	buffer_load_dword v1, v0, s[0:3], 0 offen
	buffer_load_dword v126, v0, s[0:3], 0 offen offset:4
	buffer_load_dword v127, off, s[0:3], 0 offset:244
	buffer_load_dword v128, off, s[0:3], 0 offset:240
	s_waitcnt vmcnt(3)
	buffer_store_dword v1, off, s[0:3], 0 offset:240
	s_waitcnt vmcnt(3)
	buffer_store_dword v126, off, s[0:3], 0 offset:244
	s_waitcnt vmcnt(3)
	buffer_store_dword v127, v0, s[0:3], 0 offen offset:4
	s_waitcnt vmcnt(3)
	buffer_store_dword v128, v0, s[0:3], 0 offen
.LBB125_442:
	s_or_b64 exec, exec, s[4:5]
	v_pk_mov_b32 v[0:1], s[10:11], s[10:11] op_sel:[0,1]
	flat_load_dword v0, v[0:1] offset:116
	s_waitcnt vmcnt(0) lgkmcnt(0)
	v_add_u32_e32 v0, -1, v0
	v_cmp_ne_u32_e32 vcc, 29, v0
	s_and_saveexec_b64 s[4:5], vcc
	s_cbranch_execz .LBB125_444
; %bb.443:
	v_mov_b32_e32 v1, 0
	v_lshl_add_u32 v0, v0, 3, v1
	buffer_load_dword v1, v0, s[0:3], 0 offen
	buffer_load_dword v126, v0, s[0:3], 0 offen offset:4
	buffer_load_dword v127, off, s[0:3], 0 offset:232
	buffer_load_dword v128, off, s[0:3], 0 offset:236
	s_waitcnt vmcnt(3)
	buffer_store_dword v1, off, s[0:3], 0 offset:232
	s_waitcnt vmcnt(3)
	buffer_store_dword v126, off, s[0:3], 0 offset:236
	s_waitcnt vmcnt(3)
	buffer_store_dword v127, v0, s[0:3], 0 offen
	s_waitcnt vmcnt(3)
	buffer_store_dword v128, v0, s[0:3], 0 offen offset:4
.LBB125_444:
	s_or_b64 exec, exec, s[4:5]
	v_pk_mov_b32 v[0:1], s[10:11], s[10:11] op_sel:[0,1]
	flat_load_dword v0, v[0:1] offset:112
	s_waitcnt vmcnt(0) lgkmcnt(0)
	v_add_u32_e32 v0, -1, v0
	v_cmp_ne_u32_e32 vcc, 28, v0
	s_and_saveexec_b64 s[4:5], vcc
	s_cbranch_execz .LBB125_446
; %bb.445:
	v_mov_b32_e32 v1, 0
	v_lshl_add_u32 v0, v0, 3, v1
	buffer_load_dword v1, v0, s[0:3], 0 offen
	buffer_load_dword v126, v0, s[0:3], 0 offen offset:4
	buffer_load_dword v127, off, s[0:3], 0 offset:228
	buffer_load_dword v128, off, s[0:3], 0 offset:224
	s_waitcnt vmcnt(3)
	buffer_store_dword v1, off, s[0:3], 0 offset:224
	s_waitcnt vmcnt(3)
	buffer_store_dword v126, off, s[0:3], 0 offset:228
	s_waitcnt vmcnt(3)
	buffer_store_dword v127, v0, s[0:3], 0 offen offset:4
	s_waitcnt vmcnt(3)
	buffer_store_dword v128, v0, s[0:3], 0 offen
.LBB125_446:
	s_or_b64 exec, exec, s[4:5]
	v_pk_mov_b32 v[0:1], s[10:11], s[10:11] op_sel:[0,1]
	flat_load_dword v0, v[0:1] offset:108
	s_waitcnt vmcnt(0) lgkmcnt(0)
	v_add_u32_e32 v0, -1, v0
	v_cmp_ne_u32_e32 vcc, 27, v0
	s_and_saveexec_b64 s[4:5], vcc
	s_cbranch_execz .LBB125_448
; %bb.447:
	v_mov_b32_e32 v1, 0
	v_lshl_add_u32 v0, v0, 3, v1
	buffer_load_dword v1, v0, s[0:3], 0 offen
	buffer_load_dword v126, v0, s[0:3], 0 offen offset:4
	buffer_load_dword v127, off, s[0:3], 0 offset:216
	buffer_load_dword v128, off, s[0:3], 0 offset:220
	s_waitcnt vmcnt(3)
	buffer_store_dword v1, off, s[0:3], 0 offset:216
	s_waitcnt vmcnt(3)
	buffer_store_dword v126, off, s[0:3], 0 offset:220
	s_waitcnt vmcnt(3)
	buffer_store_dword v127, v0, s[0:3], 0 offen
	s_waitcnt vmcnt(3)
	buffer_store_dword v128, v0, s[0:3], 0 offen offset:4
.LBB125_448:
	s_or_b64 exec, exec, s[4:5]
	v_pk_mov_b32 v[0:1], s[10:11], s[10:11] op_sel:[0,1]
	flat_load_dword v0, v[0:1] offset:104
	s_waitcnt vmcnt(0) lgkmcnt(0)
	v_add_u32_e32 v0, -1, v0
	v_cmp_ne_u32_e32 vcc, 26, v0
	s_and_saveexec_b64 s[4:5], vcc
	s_cbranch_execz .LBB125_450
; %bb.449:
	v_mov_b32_e32 v1, 0
	v_lshl_add_u32 v0, v0, 3, v1
	buffer_load_dword v1, v0, s[0:3], 0 offen
	buffer_load_dword v126, v0, s[0:3], 0 offen offset:4
	buffer_load_dword v127, off, s[0:3], 0 offset:212
	buffer_load_dword v128, off, s[0:3], 0 offset:208
	s_waitcnt vmcnt(3)
	buffer_store_dword v1, off, s[0:3], 0 offset:208
	s_waitcnt vmcnt(3)
	buffer_store_dword v126, off, s[0:3], 0 offset:212
	s_waitcnt vmcnt(3)
	buffer_store_dword v127, v0, s[0:3], 0 offen offset:4
	s_waitcnt vmcnt(3)
	buffer_store_dword v128, v0, s[0:3], 0 offen
.LBB125_450:
	s_or_b64 exec, exec, s[4:5]
	v_pk_mov_b32 v[0:1], s[10:11], s[10:11] op_sel:[0,1]
	flat_load_dword v0, v[0:1] offset:100
	s_waitcnt vmcnt(0) lgkmcnt(0)
	v_add_u32_e32 v0, -1, v0
	v_cmp_ne_u32_e32 vcc, 25, v0
	s_and_saveexec_b64 s[4:5], vcc
	s_cbranch_execz .LBB125_452
; %bb.451:
	v_mov_b32_e32 v1, 0
	v_lshl_add_u32 v0, v0, 3, v1
	buffer_load_dword v1, v0, s[0:3], 0 offen
	buffer_load_dword v126, v0, s[0:3], 0 offen offset:4
	buffer_load_dword v127, off, s[0:3], 0 offset:200
	buffer_load_dword v128, off, s[0:3], 0 offset:204
	s_waitcnt vmcnt(3)
	buffer_store_dword v1, off, s[0:3], 0 offset:200
	s_waitcnt vmcnt(3)
	buffer_store_dword v126, off, s[0:3], 0 offset:204
	s_waitcnt vmcnt(3)
	buffer_store_dword v127, v0, s[0:3], 0 offen
	s_waitcnt vmcnt(3)
	buffer_store_dword v128, v0, s[0:3], 0 offen offset:4
.LBB125_452:
	s_or_b64 exec, exec, s[4:5]
	v_pk_mov_b32 v[0:1], s[10:11], s[10:11] op_sel:[0,1]
	flat_load_dword v0, v[0:1] offset:96
	s_waitcnt vmcnt(0) lgkmcnt(0)
	v_add_u32_e32 v0, -1, v0
	v_cmp_ne_u32_e32 vcc, 24, v0
	s_and_saveexec_b64 s[4:5], vcc
	s_cbranch_execz .LBB125_454
; %bb.453:
	v_mov_b32_e32 v1, 0
	v_lshl_add_u32 v0, v0, 3, v1
	buffer_load_dword v1, v0, s[0:3], 0 offen
	buffer_load_dword v126, v0, s[0:3], 0 offen offset:4
	buffer_load_dword v127, off, s[0:3], 0 offset:196
	buffer_load_dword v128, off, s[0:3], 0 offset:192
	s_waitcnt vmcnt(3)
	buffer_store_dword v1, off, s[0:3], 0 offset:192
	s_waitcnt vmcnt(3)
	buffer_store_dword v126, off, s[0:3], 0 offset:196
	s_waitcnt vmcnt(3)
	buffer_store_dword v127, v0, s[0:3], 0 offen offset:4
	s_waitcnt vmcnt(3)
	buffer_store_dword v128, v0, s[0:3], 0 offen
.LBB125_454:
	s_or_b64 exec, exec, s[4:5]
	v_pk_mov_b32 v[0:1], s[10:11], s[10:11] op_sel:[0,1]
	flat_load_dword v0, v[0:1] offset:92
	s_waitcnt vmcnt(0) lgkmcnt(0)
	v_add_u32_e32 v0, -1, v0
	v_cmp_ne_u32_e32 vcc, 23, v0
	s_and_saveexec_b64 s[4:5], vcc
	s_cbranch_execz .LBB125_456
; %bb.455:
	v_mov_b32_e32 v1, 0
	v_lshl_add_u32 v0, v0, 3, v1
	buffer_load_dword v1, v0, s[0:3], 0 offen
	buffer_load_dword v126, v0, s[0:3], 0 offen offset:4
	buffer_load_dword v127, off, s[0:3], 0 offset:184
	buffer_load_dword v128, off, s[0:3], 0 offset:188
	s_waitcnt vmcnt(3)
	buffer_store_dword v1, off, s[0:3], 0 offset:184
	s_waitcnt vmcnt(3)
	buffer_store_dword v126, off, s[0:3], 0 offset:188
	s_waitcnt vmcnt(3)
	buffer_store_dword v127, v0, s[0:3], 0 offen
	s_waitcnt vmcnt(3)
	buffer_store_dword v128, v0, s[0:3], 0 offen offset:4
.LBB125_456:
	s_or_b64 exec, exec, s[4:5]
	v_pk_mov_b32 v[0:1], s[10:11], s[10:11] op_sel:[0,1]
	flat_load_dword v0, v[0:1] offset:88
	s_waitcnt vmcnt(0) lgkmcnt(0)
	v_add_u32_e32 v0, -1, v0
	v_cmp_ne_u32_e32 vcc, 22, v0
	s_and_saveexec_b64 s[4:5], vcc
	s_cbranch_execz .LBB125_458
; %bb.457:
	v_mov_b32_e32 v1, 0
	v_lshl_add_u32 v0, v0, 3, v1
	buffer_load_dword v1, v0, s[0:3], 0 offen
	buffer_load_dword v126, v0, s[0:3], 0 offen offset:4
	buffer_load_dword v127, off, s[0:3], 0 offset:180
	buffer_load_dword v128, off, s[0:3], 0 offset:176
	s_waitcnt vmcnt(3)
	buffer_store_dword v1, off, s[0:3], 0 offset:176
	s_waitcnt vmcnt(3)
	buffer_store_dword v126, off, s[0:3], 0 offset:180
	s_waitcnt vmcnt(3)
	buffer_store_dword v127, v0, s[0:3], 0 offen offset:4
	s_waitcnt vmcnt(3)
	buffer_store_dword v128, v0, s[0:3], 0 offen
.LBB125_458:
	s_or_b64 exec, exec, s[4:5]
	v_pk_mov_b32 v[0:1], s[10:11], s[10:11] op_sel:[0,1]
	flat_load_dword v0, v[0:1] offset:84
	s_waitcnt vmcnt(0) lgkmcnt(0)
	v_add_u32_e32 v0, -1, v0
	v_cmp_ne_u32_e32 vcc, 21, v0
	s_and_saveexec_b64 s[4:5], vcc
	s_cbranch_execz .LBB125_460
; %bb.459:
	v_mov_b32_e32 v1, 0
	v_lshl_add_u32 v0, v0, 3, v1
	buffer_load_dword v1, v0, s[0:3], 0 offen
	buffer_load_dword v126, v0, s[0:3], 0 offen offset:4
	buffer_load_dword v127, off, s[0:3], 0 offset:168
	buffer_load_dword v128, off, s[0:3], 0 offset:172
	s_waitcnt vmcnt(3)
	buffer_store_dword v1, off, s[0:3], 0 offset:168
	s_waitcnt vmcnt(3)
	buffer_store_dword v126, off, s[0:3], 0 offset:172
	s_waitcnt vmcnt(3)
	buffer_store_dword v127, v0, s[0:3], 0 offen
	s_waitcnt vmcnt(3)
	buffer_store_dword v128, v0, s[0:3], 0 offen offset:4
.LBB125_460:
	s_or_b64 exec, exec, s[4:5]
	v_pk_mov_b32 v[0:1], s[10:11], s[10:11] op_sel:[0,1]
	flat_load_dword v0, v[0:1] offset:80
	s_waitcnt vmcnt(0) lgkmcnt(0)
	v_add_u32_e32 v0, -1, v0
	v_cmp_ne_u32_e32 vcc, 20, v0
	s_and_saveexec_b64 s[4:5], vcc
	s_cbranch_execz .LBB125_462
; %bb.461:
	v_mov_b32_e32 v1, 0
	v_lshl_add_u32 v0, v0, 3, v1
	buffer_load_dword v1, v0, s[0:3], 0 offen
	buffer_load_dword v126, v0, s[0:3], 0 offen offset:4
	buffer_load_dword v127, off, s[0:3], 0 offset:164
	buffer_load_dword v128, off, s[0:3], 0 offset:160
	s_waitcnt vmcnt(3)
	buffer_store_dword v1, off, s[0:3], 0 offset:160
	s_waitcnt vmcnt(3)
	buffer_store_dword v126, off, s[0:3], 0 offset:164
	s_waitcnt vmcnt(3)
	buffer_store_dword v127, v0, s[0:3], 0 offen offset:4
	s_waitcnt vmcnt(3)
	buffer_store_dword v128, v0, s[0:3], 0 offen
.LBB125_462:
	s_or_b64 exec, exec, s[4:5]
	v_pk_mov_b32 v[0:1], s[10:11], s[10:11] op_sel:[0,1]
	flat_load_dword v0, v[0:1] offset:76
	s_waitcnt vmcnt(0) lgkmcnt(0)
	v_add_u32_e32 v0, -1, v0
	v_cmp_ne_u32_e32 vcc, 19, v0
	s_and_saveexec_b64 s[4:5], vcc
	s_cbranch_execz .LBB125_464
; %bb.463:
	v_mov_b32_e32 v1, 0
	v_lshl_add_u32 v0, v0, 3, v1
	buffer_load_dword v1, v0, s[0:3], 0 offen
	buffer_load_dword v126, v0, s[0:3], 0 offen offset:4
	buffer_load_dword v127, off, s[0:3], 0 offset:152
	buffer_load_dword v128, off, s[0:3], 0 offset:156
	s_waitcnt vmcnt(3)
	buffer_store_dword v1, off, s[0:3], 0 offset:152
	s_waitcnt vmcnt(3)
	buffer_store_dword v126, off, s[0:3], 0 offset:156
	s_waitcnt vmcnt(3)
	buffer_store_dword v127, v0, s[0:3], 0 offen
	s_waitcnt vmcnt(3)
	buffer_store_dword v128, v0, s[0:3], 0 offen offset:4
.LBB125_464:
	s_or_b64 exec, exec, s[4:5]
	v_pk_mov_b32 v[0:1], s[10:11], s[10:11] op_sel:[0,1]
	flat_load_dword v0, v[0:1] offset:72
	s_waitcnt vmcnt(0) lgkmcnt(0)
	v_add_u32_e32 v0, -1, v0
	v_cmp_ne_u32_e32 vcc, 18, v0
	s_and_saveexec_b64 s[4:5], vcc
	s_cbranch_execz .LBB125_466
; %bb.465:
	v_mov_b32_e32 v1, 0
	v_lshl_add_u32 v0, v0, 3, v1
	buffer_load_dword v1, v0, s[0:3], 0 offen
	buffer_load_dword v126, v0, s[0:3], 0 offen offset:4
	buffer_load_dword v127, off, s[0:3], 0 offset:148
	buffer_load_dword v128, off, s[0:3], 0 offset:144
	s_waitcnt vmcnt(3)
	buffer_store_dword v1, off, s[0:3], 0 offset:144
	s_waitcnt vmcnt(3)
	buffer_store_dword v126, off, s[0:3], 0 offset:148
	s_waitcnt vmcnt(3)
	buffer_store_dword v127, v0, s[0:3], 0 offen offset:4
	s_waitcnt vmcnt(3)
	buffer_store_dword v128, v0, s[0:3], 0 offen
.LBB125_466:
	s_or_b64 exec, exec, s[4:5]
	v_pk_mov_b32 v[0:1], s[10:11], s[10:11] op_sel:[0,1]
	flat_load_dword v0, v[0:1] offset:68
	s_waitcnt vmcnt(0) lgkmcnt(0)
	v_add_u32_e32 v0, -1, v0
	v_cmp_ne_u32_e32 vcc, 17, v0
	s_and_saveexec_b64 s[4:5], vcc
	s_cbranch_execz .LBB125_468
; %bb.467:
	v_mov_b32_e32 v1, 0
	v_lshl_add_u32 v0, v0, 3, v1
	buffer_load_dword v1, v0, s[0:3], 0 offen
	buffer_load_dword v126, v0, s[0:3], 0 offen offset:4
	buffer_load_dword v127, off, s[0:3], 0 offset:136
	buffer_load_dword v128, off, s[0:3], 0 offset:140
	s_waitcnt vmcnt(3)
	buffer_store_dword v1, off, s[0:3], 0 offset:136
	s_waitcnt vmcnt(3)
	buffer_store_dword v126, off, s[0:3], 0 offset:140
	s_waitcnt vmcnt(3)
	buffer_store_dword v127, v0, s[0:3], 0 offen
	s_waitcnt vmcnt(3)
	buffer_store_dword v128, v0, s[0:3], 0 offen offset:4
.LBB125_468:
	s_or_b64 exec, exec, s[4:5]
	v_pk_mov_b32 v[0:1], s[10:11], s[10:11] op_sel:[0,1]
	flat_load_dword v0, v[0:1] offset:64
	s_waitcnt vmcnt(0) lgkmcnt(0)
	v_add_u32_e32 v0, -1, v0
	v_cmp_ne_u32_e32 vcc, 16, v0
	s_and_saveexec_b64 s[4:5], vcc
	s_cbranch_execz .LBB125_470
; %bb.469:
	v_mov_b32_e32 v1, 0
	v_lshl_add_u32 v0, v0, 3, v1
	buffer_load_dword v1, v0, s[0:3], 0 offen
	buffer_load_dword v126, v0, s[0:3], 0 offen offset:4
	buffer_load_dword v127, off, s[0:3], 0 offset:132
	buffer_load_dword v128, off, s[0:3], 0 offset:128
	s_waitcnt vmcnt(3)
	buffer_store_dword v1, off, s[0:3], 0 offset:128
	s_waitcnt vmcnt(3)
	buffer_store_dword v126, off, s[0:3], 0 offset:132
	s_waitcnt vmcnt(3)
	buffer_store_dword v127, v0, s[0:3], 0 offen offset:4
	s_waitcnt vmcnt(3)
	buffer_store_dword v128, v0, s[0:3], 0 offen
.LBB125_470:
	s_or_b64 exec, exec, s[4:5]
	v_pk_mov_b32 v[0:1], s[10:11], s[10:11] op_sel:[0,1]
	flat_load_dword v0, v[0:1] offset:60
	s_waitcnt vmcnt(0) lgkmcnt(0)
	v_add_u32_e32 v0, -1, v0
	v_cmp_ne_u32_e32 vcc, 15, v0
	s_and_saveexec_b64 s[4:5], vcc
	s_cbranch_execz .LBB125_472
; %bb.471:
	v_mov_b32_e32 v1, 0
	v_lshl_add_u32 v0, v0, 3, v1
	buffer_load_dword v1, v0, s[0:3], 0 offen
	buffer_load_dword v126, v0, s[0:3], 0 offen offset:4
	buffer_load_dword v127, off, s[0:3], 0 offset:120
	buffer_load_dword v128, off, s[0:3], 0 offset:124
	s_waitcnt vmcnt(3)
	buffer_store_dword v1, off, s[0:3], 0 offset:120
	s_waitcnt vmcnt(3)
	buffer_store_dword v126, off, s[0:3], 0 offset:124
	s_waitcnt vmcnt(3)
	buffer_store_dword v127, v0, s[0:3], 0 offen
	s_waitcnt vmcnt(3)
	buffer_store_dword v128, v0, s[0:3], 0 offen offset:4
.LBB125_472:
	s_or_b64 exec, exec, s[4:5]
	v_pk_mov_b32 v[0:1], s[10:11], s[10:11] op_sel:[0,1]
	flat_load_dword v0, v[0:1] offset:56
	s_waitcnt vmcnt(0) lgkmcnt(0)
	v_add_u32_e32 v0, -1, v0
	v_cmp_ne_u32_e32 vcc, 14, v0
	s_and_saveexec_b64 s[4:5], vcc
	s_cbranch_execz .LBB125_474
; %bb.473:
	v_mov_b32_e32 v1, 0
	v_lshl_add_u32 v0, v0, 3, v1
	buffer_load_dword v1, v0, s[0:3], 0 offen
	buffer_load_dword v126, v0, s[0:3], 0 offen offset:4
	buffer_load_dword v127, off, s[0:3], 0 offset:116
	buffer_load_dword v128, off, s[0:3], 0 offset:112
	s_waitcnt vmcnt(3)
	buffer_store_dword v1, off, s[0:3], 0 offset:112
	s_waitcnt vmcnt(3)
	buffer_store_dword v126, off, s[0:3], 0 offset:116
	s_waitcnt vmcnt(3)
	buffer_store_dword v127, v0, s[0:3], 0 offen offset:4
	s_waitcnt vmcnt(3)
	buffer_store_dword v128, v0, s[0:3], 0 offen
.LBB125_474:
	s_or_b64 exec, exec, s[4:5]
	v_pk_mov_b32 v[0:1], s[10:11], s[10:11] op_sel:[0,1]
	flat_load_dword v0, v[0:1] offset:52
	s_waitcnt vmcnt(0) lgkmcnt(0)
	v_add_u32_e32 v0, -1, v0
	v_cmp_ne_u32_e32 vcc, 13, v0
	s_and_saveexec_b64 s[4:5], vcc
	s_cbranch_execz .LBB125_476
; %bb.475:
	v_mov_b32_e32 v1, 0
	v_lshl_add_u32 v0, v0, 3, v1
	buffer_load_dword v1, v0, s[0:3], 0 offen
	buffer_load_dword v126, v0, s[0:3], 0 offen offset:4
	buffer_load_dword v127, off, s[0:3], 0 offset:104
	buffer_load_dword v128, off, s[0:3], 0 offset:108
	s_waitcnt vmcnt(3)
	buffer_store_dword v1, off, s[0:3], 0 offset:104
	s_waitcnt vmcnt(3)
	buffer_store_dword v126, off, s[0:3], 0 offset:108
	s_waitcnt vmcnt(3)
	buffer_store_dword v127, v0, s[0:3], 0 offen
	s_waitcnt vmcnt(3)
	buffer_store_dword v128, v0, s[0:3], 0 offen offset:4
.LBB125_476:
	s_or_b64 exec, exec, s[4:5]
	v_pk_mov_b32 v[0:1], s[10:11], s[10:11] op_sel:[0,1]
	flat_load_dword v0, v[0:1] offset:48
	s_waitcnt vmcnt(0) lgkmcnt(0)
	v_add_u32_e32 v0, -1, v0
	v_cmp_ne_u32_e32 vcc, 12, v0
	s_and_saveexec_b64 s[4:5], vcc
	s_cbranch_execz .LBB125_478
; %bb.477:
	v_mov_b32_e32 v1, 0
	v_lshl_add_u32 v0, v0, 3, v1
	buffer_load_dword v1, v0, s[0:3], 0 offen
	buffer_load_dword v126, v0, s[0:3], 0 offen offset:4
	buffer_load_dword v127, off, s[0:3], 0 offset:100
	buffer_load_dword v128, off, s[0:3], 0 offset:96
	s_waitcnt vmcnt(3)
	buffer_store_dword v1, off, s[0:3], 0 offset:96
	s_waitcnt vmcnt(3)
	buffer_store_dword v126, off, s[0:3], 0 offset:100
	s_waitcnt vmcnt(3)
	buffer_store_dword v127, v0, s[0:3], 0 offen offset:4
	s_waitcnt vmcnt(3)
	buffer_store_dword v128, v0, s[0:3], 0 offen
.LBB125_478:
	s_or_b64 exec, exec, s[4:5]
	v_pk_mov_b32 v[0:1], s[10:11], s[10:11] op_sel:[0,1]
	flat_load_dword v0, v[0:1] offset:44
	s_waitcnt vmcnt(0) lgkmcnt(0)
	v_add_u32_e32 v0, -1, v0
	v_cmp_ne_u32_e32 vcc, 11, v0
	s_and_saveexec_b64 s[4:5], vcc
	s_cbranch_execz .LBB125_480
; %bb.479:
	v_mov_b32_e32 v1, 0
	v_lshl_add_u32 v0, v0, 3, v1
	buffer_load_dword v1, v0, s[0:3], 0 offen
	buffer_load_dword v126, v0, s[0:3], 0 offen offset:4
	buffer_load_dword v127, off, s[0:3], 0 offset:88
	buffer_load_dword v128, off, s[0:3], 0 offset:92
	s_waitcnt vmcnt(3)
	buffer_store_dword v1, off, s[0:3], 0 offset:88
	s_waitcnt vmcnt(3)
	buffer_store_dword v126, off, s[0:3], 0 offset:92
	s_waitcnt vmcnt(3)
	buffer_store_dword v127, v0, s[0:3], 0 offen
	s_waitcnt vmcnt(3)
	buffer_store_dword v128, v0, s[0:3], 0 offen offset:4
.LBB125_480:
	s_or_b64 exec, exec, s[4:5]
	v_pk_mov_b32 v[0:1], s[10:11], s[10:11] op_sel:[0,1]
	flat_load_dword v0, v[0:1] offset:40
	s_waitcnt vmcnt(0) lgkmcnt(0)
	v_add_u32_e32 v0, -1, v0
	v_cmp_ne_u32_e32 vcc, 10, v0
	s_and_saveexec_b64 s[4:5], vcc
	s_cbranch_execz .LBB125_482
; %bb.481:
	v_mov_b32_e32 v1, 0
	v_lshl_add_u32 v0, v0, 3, v1
	buffer_load_dword v1, v0, s[0:3], 0 offen
	buffer_load_dword v126, v0, s[0:3], 0 offen offset:4
	buffer_load_dword v127, off, s[0:3], 0 offset:84
	buffer_load_dword v128, off, s[0:3], 0 offset:80
	s_waitcnt vmcnt(3)
	buffer_store_dword v1, off, s[0:3], 0 offset:80
	s_waitcnt vmcnt(3)
	buffer_store_dword v126, off, s[0:3], 0 offset:84
	s_waitcnt vmcnt(3)
	buffer_store_dword v127, v0, s[0:3], 0 offen offset:4
	s_waitcnt vmcnt(3)
	buffer_store_dword v128, v0, s[0:3], 0 offen
.LBB125_482:
	s_or_b64 exec, exec, s[4:5]
	v_pk_mov_b32 v[0:1], s[10:11], s[10:11] op_sel:[0,1]
	flat_load_dword v0, v[0:1] offset:36
	s_waitcnt vmcnt(0) lgkmcnt(0)
	v_add_u32_e32 v0, -1, v0
	v_cmp_ne_u32_e32 vcc, 9, v0
	s_and_saveexec_b64 s[4:5], vcc
	s_cbranch_execz .LBB125_484
; %bb.483:
	v_mov_b32_e32 v1, 0
	v_lshl_add_u32 v0, v0, 3, v1
	buffer_load_dword v1, v0, s[0:3], 0 offen
	buffer_load_dword v126, v0, s[0:3], 0 offen offset:4
	buffer_load_dword v127, off, s[0:3], 0 offset:72
	buffer_load_dword v128, off, s[0:3], 0 offset:76
	s_waitcnt vmcnt(3)
	buffer_store_dword v1, off, s[0:3], 0 offset:72
	s_waitcnt vmcnt(3)
	buffer_store_dword v126, off, s[0:3], 0 offset:76
	s_waitcnt vmcnt(3)
	buffer_store_dword v127, v0, s[0:3], 0 offen
	s_waitcnt vmcnt(3)
	buffer_store_dword v128, v0, s[0:3], 0 offen offset:4
.LBB125_484:
	s_or_b64 exec, exec, s[4:5]
	v_pk_mov_b32 v[0:1], s[10:11], s[10:11] op_sel:[0,1]
	flat_load_dword v0, v[0:1] offset:32
	s_waitcnt vmcnt(0) lgkmcnt(0)
	v_add_u32_e32 v0, -1, v0
	v_cmp_ne_u32_e32 vcc, 8, v0
	s_and_saveexec_b64 s[4:5], vcc
	s_cbranch_execz .LBB125_486
; %bb.485:
	v_mov_b32_e32 v1, 0
	v_lshl_add_u32 v0, v0, 3, v1
	buffer_load_dword v1, v0, s[0:3], 0 offen
	buffer_load_dword v126, v0, s[0:3], 0 offen offset:4
	buffer_load_dword v127, off, s[0:3], 0 offset:68
	buffer_load_dword v128, off, s[0:3], 0 offset:64
	s_waitcnt vmcnt(3)
	buffer_store_dword v1, off, s[0:3], 0 offset:64
	s_waitcnt vmcnt(3)
	buffer_store_dword v126, off, s[0:3], 0 offset:68
	s_waitcnt vmcnt(3)
	buffer_store_dword v127, v0, s[0:3], 0 offen offset:4
	s_waitcnt vmcnt(3)
	buffer_store_dword v128, v0, s[0:3], 0 offen
.LBB125_486:
	s_or_b64 exec, exec, s[4:5]
	v_pk_mov_b32 v[0:1], s[10:11], s[10:11] op_sel:[0,1]
	flat_load_dword v0, v[0:1] offset:28
	s_waitcnt vmcnt(0) lgkmcnt(0)
	v_add_u32_e32 v0, -1, v0
	v_cmp_ne_u32_e32 vcc, 7, v0
	s_and_saveexec_b64 s[4:5], vcc
	s_cbranch_execz .LBB125_488
; %bb.487:
	v_mov_b32_e32 v1, 0
	v_lshl_add_u32 v0, v0, 3, v1
	buffer_load_dword v1, v0, s[0:3], 0 offen
	buffer_load_dword v126, v0, s[0:3], 0 offen offset:4
	buffer_load_dword v127, off, s[0:3], 0 offset:56
	buffer_load_dword v128, off, s[0:3], 0 offset:60
	s_waitcnt vmcnt(3)
	buffer_store_dword v1, off, s[0:3], 0 offset:56
	s_waitcnt vmcnt(3)
	buffer_store_dword v126, off, s[0:3], 0 offset:60
	s_waitcnt vmcnt(3)
	buffer_store_dword v127, v0, s[0:3], 0 offen
	s_waitcnt vmcnt(3)
	buffer_store_dword v128, v0, s[0:3], 0 offen offset:4
.LBB125_488:
	s_or_b64 exec, exec, s[4:5]
	v_pk_mov_b32 v[0:1], s[10:11], s[10:11] op_sel:[0,1]
	flat_load_dword v0, v[0:1] offset:24
	s_waitcnt vmcnt(0) lgkmcnt(0)
	v_add_u32_e32 v0, -1, v0
	v_cmp_ne_u32_e32 vcc, 6, v0
	s_and_saveexec_b64 s[4:5], vcc
	s_cbranch_execz .LBB125_490
; %bb.489:
	v_mov_b32_e32 v1, 0
	v_lshl_add_u32 v0, v0, 3, v1
	buffer_load_dword v1, v0, s[0:3], 0 offen
	buffer_load_dword v126, v0, s[0:3], 0 offen offset:4
	buffer_load_dword v127, off, s[0:3], 0 offset:52
	buffer_load_dword v128, off, s[0:3], 0 offset:48
	s_waitcnt vmcnt(3)
	buffer_store_dword v1, off, s[0:3], 0 offset:48
	s_waitcnt vmcnt(3)
	buffer_store_dword v126, off, s[0:3], 0 offset:52
	s_waitcnt vmcnt(3)
	buffer_store_dword v127, v0, s[0:3], 0 offen offset:4
	s_waitcnt vmcnt(3)
	buffer_store_dword v128, v0, s[0:3], 0 offen
.LBB125_490:
	s_or_b64 exec, exec, s[4:5]
	v_pk_mov_b32 v[0:1], s[10:11], s[10:11] op_sel:[0,1]
	flat_load_dword v0, v[0:1] offset:20
	s_waitcnt vmcnt(0) lgkmcnt(0)
	v_add_u32_e32 v0, -1, v0
	v_cmp_ne_u32_e32 vcc, 5, v0
	s_and_saveexec_b64 s[4:5], vcc
	s_cbranch_execz .LBB125_492
; %bb.491:
	v_mov_b32_e32 v1, 0
	v_lshl_add_u32 v0, v0, 3, v1
	buffer_load_dword v1, v0, s[0:3], 0 offen
	buffer_load_dword v126, v0, s[0:3], 0 offen offset:4
	buffer_load_dword v127, off, s[0:3], 0 offset:40
	buffer_load_dword v128, off, s[0:3], 0 offset:44
	s_waitcnt vmcnt(3)
	buffer_store_dword v1, off, s[0:3], 0 offset:40
	s_waitcnt vmcnt(3)
	buffer_store_dword v126, off, s[0:3], 0 offset:44
	s_waitcnt vmcnt(3)
	buffer_store_dword v127, v0, s[0:3], 0 offen
	s_waitcnt vmcnt(3)
	buffer_store_dword v128, v0, s[0:3], 0 offen offset:4
.LBB125_492:
	s_or_b64 exec, exec, s[4:5]
	v_pk_mov_b32 v[0:1], s[10:11], s[10:11] op_sel:[0,1]
	flat_load_dword v0, v[0:1] offset:16
	s_waitcnt vmcnt(0) lgkmcnt(0)
	v_add_u32_e32 v0, -1, v0
	v_cmp_ne_u32_e32 vcc, 4, v0
	s_and_saveexec_b64 s[4:5], vcc
	s_cbranch_execz .LBB125_494
; %bb.493:
	v_mov_b32_e32 v1, 0
	v_lshl_add_u32 v0, v0, 3, v1
	buffer_load_dword v1, v0, s[0:3], 0 offen
	buffer_load_dword v126, v0, s[0:3], 0 offen offset:4
	buffer_load_dword v127, off, s[0:3], 0 offset:36
	buffer_load_dword v128, off, s[0:3], 0 offset:32
	s_waitcnt vmcnt(3)
	buffer_store_dword v1, off, s[0:3], 0 offset:32
	s_waitcnt vmcnt(3)
	buffer_store_dword v126, off, s[0:3], 0 offset:36
	s_waitcnt vmcnt(3)
	buffer_store_dword v127, v0, s[0:3], 0 offen offset:4
	s_waitcnt vmcnt(3)
	buffer_store_dword v128, v0, s[0:3], 0 offen
.LBB125_494:
	s_or_b64 exec, exec, s[4:5]
	v_pk_mov_b32 v[0:1], s[10:11], s[10:11] op_sel:[0,1]
	flat_load_dword v0, v[0:1] offset:12
	s_waitcnt vmcnt(0) lgkmcnt(0)
	v_add_u32_e32 v0, -1, v0
	v_cmp_ne_u32_e32 vcc, 3, v0
	s_and_saveexec_b64 s[4:5], vcc
	s_cbranch_execz .LBB125_496
; %bb.495:
	v_mov_b32_e32 v1, 0
	v_lshl_add_u32 v0, v0, 3, v1
	buffer_load_dword v1, v0, s[0:3], 0 offen
	buffer_load_dword v126, v0, s[0:3], 0 offen offset:4
	buffer_load_dword v127, off, s[0:3], 0 offset:24
	buffer_load_dword v128, off, s[0:3], 0 offset:28
	s_waitcnt vmcnt(3)
	buffer_store_dword v1, off, s[0:3], 0 offset:24
	s_waitcnt vmcnt(3)
	buffer_store_dword v126, off, s[0:3], 0 offset:28
	s_waitcnt vmcnt(3)
	buffer_store_dword v127, v0, s[0:3], 0 offen
	s_waitcnt vmcnt(3)
	buffer_store_dword v128, v0, s[0:3], 0 offen offset:4
.LBB125_496:
	s_or_b64 exec, exec, s[4:5]
	v_pk_mov_b32 v[0:1], s[10:11], s[10:11] op_sel:[0,1]
	flat_load_dword v0, v[0:1] offset:8
	s_waitcnt vmcnt(0) lgkmcnt(0)
	v_add_u32_e32 v0, -1, v0
	v_cmp_ne_u32_e32 vcc, 2, v0
	s_and_saveexec_b64 s[4:5], vcc
	s_cbranch_execz .LBB125_498
; %bb.497:
	v_mov_b32_e32 v1, 0
	v_lshl_add_u32 v0, v0, 3, v1
	buffer_load_dword v1, v0, s[0:3], 0 offen
	buffer_load_dword v126, v0, s[0:3], 0 offen offset:4
	buffer_load_dword v127, off, s[0:3], 0 offset:20
	buffer_load_dword v128, off, s[0:3], 0 offset:16
	s_waitcnt vmcnt(3)
	buffer_store_dword v1, off, s[0:3], 0 offset:16
	s_waitcnt vmcnt(3)
	buffer_store_dword v126, off, s[0:3], 0 offset:20
	s_waitcnt vmcnt(3)
	buffer_store_dword v127, v0, s[0:3], 0 offen offset:4
	s_waitcnt vmcnt(3)
	buffer_store_dword v128, v0, s[0:3], 0 offen
.LBB125_498:
	s_or_b64 exec, exec, s[4:5]
	v_pk_mov_b32 v[0:1], s[10:11], s[10:11] op_sel:[0,1]
	flat_load_dword v0, v[0:1] offset:4
	s_waitcnt vmcnt(0) lgkmcnt(0)
	v_add_u32_e32 v0, -1, v0
	v_cmp_ne_u32_e32 vcc, 1, v0
	s_and_saveexec_b64 s[4:5], vcc
	s_cbranch_execz .LBB125_500
; %bb.499:
	v_mov_b32_e32 v1, 0
	v_lshl_add_u32 v0, v0, 3, v1
	buffer_load_dword v1, v0, s[0:3], 0 offen
	buffer_load_dword v126, v0, s[0:3], 0 offen offset:4
	buffer_load_dword v127, off, s[0:3], 0 offset:8
	buffer_load_dword v128, off, s[0:3], 0 offset:12
	s_waitcnt vmcnt(3)
	buffer_store_dword v1, off, s[0:3], 0 offset:8
	s_waitcnt vmcnt(3)
	buffer_store_dword v126, off, s[0:3], 0 offset:12
	s_waitcnt vmcnt(3)
	buffer_store_dword v127, v0, s[0:3], 0 offen
	s_waitcnt vmcnt(3)
	buffer_store_dword v128, v0, s[0:3], 0 offen offset:4
.LBB125_500:
	s_or_b64 exec, exec, s[4:5]
	v_pk_mov_b32 v[0:1], s[10:11], s[10:11] op_sel:[0,1]
	flat_load_dword v126, v[0:1]
	s_nop 0
	buffer_load_dword v0, off, s[0:3], 0
	buffer_load_dword v1, off, s[0:3], 0 offset:4
	s_waitcnt vmcnt(0) lgkmcnt(0)
	v_add_u32_e32 v126, -1, v126
	v_cmp_ne_u32_e32 vcc, 0, v126
	s_and_saveexec_b64 s[4:5], vcc
	s_cbranch_execz .LBB125_502
; %bb.501:
	v_mov_b32_e32 v127, 0
	v_lshl_add_u32 v126, v126, 3, v127
	buffer_load_dword v127, v126, s[0:3], 0 offen offset:4
	buffer_load_dword v128, v126, s[0:3], 0 offen
	s_waitcnt vmcnt(1)
	buffer_store_dword v127, off, s[0:3], 0 offset:4
	s_waitcnt vmcnt(1)
	buffer_store_dword v128, off, s[0:3], 0
	buffer_store_dword v1, v126, s[0:3], 0 offen offset:4
	buffer_store_dword v0, v126, s[0:3], 0 offen
	buffer_load_dword v0, off, s[0:3], 0
	s_nop 0
	buffer_load_dword v1, off, s[0:3], 0 offset:4
.LBB125_502:
	s_or_b64 exec, exec, s[4:5]
.LBB125_503:
	s_waitcnt vmcnt(0)
	global_store_dwordx2 v[4:5], v[0:1], off
	buffer_load_dword v0, off, s[0:3], 0 offset:8
	s_nop 0
	buffer_load_dword v1, off, s[0:3], 0 offset:12
	buffer_load_dword v4, off, s[0:3], 0 offset:16
	;; [unrolled: 1-line block ×15, first 2 shown]
	s_waitcnt vmcnt(14)
	global_store_dwordx2 v[2:3], v[0:1], off
	s_waitcnt vmcnt(13)
	global_store_dwordx2 v[8:9], v[4:5], off
	;; [unrolled: 2-line block ×8, first 2 shown]
	buffer_load_dword v0, off, s[0:3], 0 offset:72
	buffer_load_dword v1, off, s[0:3], 0 offset:76
	s_waitcnt vmcnt(0)
	global_store_dwordx2 v[32:33], v[0:1], off
	buffer_load_dword v0, off, s[0:3], 0 offset:80
	s_nop 0
	buffer_load_dword v1, off, s[0:3], 0 offset:84
	s_waitcnt vmcnt(0)
	global_store_dwordx2 v[26:27], v[0:1], off
	buffer_load_dword v0, off, s[0:3], 0 offset:88
	s_nop 0
	buffer_load_dword v1, off, s[0:3], 0 offset:92
	s_waitcnt vmcnt(0)
	global_store_dwordx2 v[20:21], v[0:1], off
	buffer_load_dword v0, off, s[0:3], 0 offset:96
	s_nop 0
	buffer_load_dword v1, off, s[0:3], 0 offset:100
	s_waitcnt vmcnt(0)
	global_store_dwordx2 v[14:15], v[0:1], off
	buffer_load_dword v0, off, s[0:3], 0 offset:104
	s_nop 0
	buffer_load_dword v1, off, s[0:3], 0 offset:108
	s_waitcnt vmcnt(0)
	global_store_dwordx2 v[34:35], v[0:1], off
	buffer_load_dword v0, off, s[0:3], 0 offset:112
	s_nop 0
	buffer_load_dword v1, off, s[0:3], 0 offset:116
	s_waitcnt vmcnt(0)
	global_store_dwordx2 v[28:29], v[0:1], off
	buffer_load_dword v0, off, s[0:3], 0 offset:120
	s_nop 0
	buffer_load_dword v1, off, s[0:3], 0 offset:124
	s_waitcnt vmcnt(0)
	global_store_dwordx2 v[22:23], v[0:1], off
	buffer_load_dword v0, off, s[0:3], 0 offset:128
	s_nop 0
	buffer_load_dword v1, off, s[0:3], 0 offset:132
	s_waitcnt vmcnt(0)
	global_store_dwordx2 v[16:17], v[0:1], off
	buffer_load_dword v0, off, s[0:3], 0 offset:136
	s_nop 0
	buffer_load_dword v1, off, s[0:3], 0 offset:140
	s_waitcnt vmcnt(0)
	global_store_dwordx2 v[36:37], v[0:1], off
	buffer_load_dword v0, off, s[0:3], 0 offset:144
	s_nop 0
	buffer_load_dword v1, off, s[0:3], 0 offset:148
	s_waitcnt vmcnt(0)
	global_store_dwordx2 v[38:39], v[0:1], off
	buffer_load_dword v0, off, s[0:3], 0 offset:152
	s_nop 0
	buffer_load_dword v1, off, s[0:3], 0 offset:156
	s_waitcnt vmcnt(0)
	global_store_dwordx2 v[30:31], v[0:1], off
	buffer_load_dword v0, off, s[0:3], 0 offset:160
	s_nop 0
	buffer_load_dword v1, off, s[0:3], 0 offset:164
	s_waitcnt vmcnt(0)
	global_store_dwordx2 v[24:25], v[0:1], off
	buffer_load_dword v0, off, s[0:3], 0 offset:168
	s_nop 0
	buffer_load_dword v1, off, s[0:3], 0 offset:172
	s_waitcnt vmcnt(0)
	global_store_dwordx2 v[18:19], v[0:1], off
	buffer_load_dword v0, off, s[0:3], 0 offset:176
	s_nop 0
	buffer_load_dword v1, off, s[0:3], 0 offset:180
	s_waitcnt vmcnt(0)
	global_store_dwordx2 v[60:61], v[0:1], off
	buffer_load_dword v0, off, s[0:3], 0 offset:184
	s_nop 0
	buffer_load_dword v1, off, s[0:3], 0 offset:188
	s_waitcnt vmcnt(0)
	global_store_dwordx2 v[50:51], v[0:1], off
	buffer_load_dword v0, off, s[0:3], 0 offset:192
	s_nop 0
	buffer_load_dword v1, off, s[0:3], 0 offset:196
	s_waitcnt vmcnt(0)
	global_store_dwordx2 v[48:49], v[0:1], off
	buffer_load_dword v0, off, s[0:3], 0 offset:200
	s_nop 0
	buffer_load_dword v1, off, s[0:3], 0 offset:204
	s_waitcnt vmcnt(0)
	global_store_dwordx2 v[78:79], v[0:1], off
	buffer_load_dword v0, off, s[0:3], 0 offset:208
	s_nop 0
	buffer_load_dword v1, off, s[0:3], 0 offset:212
	s_waitcnt vmcnt(0)
	global_store_dwordx2 v[70:71], v[0:1], off
	buffer_load_dword v0, off, s[0:3], 0 offset:216
	s_nop 0
	buffer_load_dword v1, off, s[0:3], 0 offset:220
	s_waitcnt vmcnt(0)
	global_store_dwordx2 v[62:63], v[0:1], off
	buffer_load_dword v0, off, s[0:3], 0 offset:224
	s_nop 0
	buffer_load_dword v1, off, s[0:3], 0 offset:228
	s_waitcnt vmcnt(0)
	global_store_dwordx2 v[52:53], v[0:1], off
	buffer_load_dword v0, off, s[0:3], 0 offset:232
	s_nop 0
	buffer_load_dword v1, off, s[0:3], 0 offset:236
	s_waitcnt vmcnt(0)
	global_store_dwordx2 v[80:81], v[0:1], off
	buffer_load_dword v0, off, s[0:3], 0 offset:240
	s_nop 0
	buffer_load_dword v1, off, s[0:3], 0 offset:244
	s_waitcnt vmcnt(0)
	global_store_dwordx2 v[72:73], v[0:1], off
	buffer_load_dword v0, off, s[0:3], 0 offset:248
	s_nop 0
	buffer_load_dword v1, off, s[0:3], 0 offset:252
	s_waitcnt vmcnt(0)
	global_store_dwordx2 v[64:65], v[0:1], off
	buffer_load_dword v0, off, s[0:3], 0 offset:256
	s_nop 0
	buffer_load_dword v1, off, s[0:3], 0 offset:260
	s_waitcnt vmcnt(0)
	global_store_dwordx2 v[54:55], v[0:1], off
	buffer_load_dword v0, off, s[0:3], 0 offset:264
	s_nop 0
	buffer_load_dword v1, off, s[0:3], 0 offset:268
	s_waitcnt vmcnt(0)
	global_store_dwordx2 v[82:83], v[0:1], off
	buffer_load_dword v0, off, s[0:3], 0 offset:272
	s_nop 0
	buffer_load_dword v1, off, s[0:3], 0 offset:276
	s_waitcnt vmcnt(0)
	global_store_dwordx2 v[74:75], v[0:1], off
	buffer_load_dword v0, off, s[0:3], 0 offset:280
	s_nop 0
	buffer_load_dword v1, off, s[0:3], 0 offset:284
	s_waitcnt vmcnt(0)
	global_store_dwordx2 v[66:67], v[0:1], off
	buffer_load_dword v0, off, s[0:3], 0 offset:288
	s_nop 0
	buffer_load_dword v1, off, s[0:3], 0 offset:292
	s_waitcnt vmcnt(0)
	global_store_dwordx2 v[56:57], v[0:1], off
	buffer_load_dword v0, off, s[0:3], 0 offset:296
	s_nop 0
	buffer_load_dword v1, off, s[0:3], 0 offset:300
	s_waitcnt vmcnt(0)
	global_store_dwordx2 v[84:85], v[0:1], off
	buffer_load_dword v0, off, s[0:3], 0 offset:304
	s_nop 0
	buffer_load_dword v1, off, s[0:3], 0 offset:308
	s_waitcnt vmcnt(0)
	global_store_dwordx2 v[86:87], v[0:1], off
	buffer_load_dword v0, off, s[0:3], 0 offset:312
	s_nop 0
	buffer_load_dword v1, off, s[0:3], 0 offset:316
	s_waitcnt vmcnt(0)
	global_store_dwordx2 v[76:77], v[0:1], off
	buffer_load_dword v0, off, s[0:3], 0 offset:320
	s_nop 0
	buffer_load_dword v1, off, s[0:3], 0 offset:324
	s_waitcnt vmcnt(0)
	global_store_dwordx2 v[68:69], v[0:1], off
	buffer_load_dword v0, off, s[0:3], 0 offset:328
	s_nop 0
	buffer_load_dword v1, off, s[0:3], 0 offset:332
	s_waitcnt vmcnt(0)
	global_store_dwordx2 v[58:59], v[0:1], off
	buffer_load_dword v0, off, s[0:3], 0 offset:336
	s_nop 0
	buffer_load_dword v1, off, s[0:3], 0 offset:340
	s_waitcnt vmcnt(0)
	global_store_dwordx2 v[98:99], v[0:1], off
	buffer_load_dword v0, off, s[0:3], 0 offset:344
	s_nop 0
	buffer_load_dword v1, off, s[0:3], 0 offset:348
	s_waitcnt vmcnt(0)
	global_store_dwordx2 v[90:91], v[0:1], off
	buffer_load_dword v0, off, s[0:3], 0 offset:352
	s_nop 0
	buffer_load_dword v1, off, s[0:3], 0 offset:356
	s_waitcnt vmcnt(0)
	global_store_dwordx2 v[88:89], v[0:1], off
	buffer_load_dword v0, off, s[0:3], 0 offset:360
	s_nop 0
	buffer_load_dword v1, off, s[0:3], 0 offset:364
	s_waitcnt vmcnt(0)
	global_store_dwordx2 v[116:117], v[0:1], off
	buffer_load_dword v0, off, s[0:3], 0 offset:368
	s_nop 0
	buffer_load_dword v1, off, s[0:3], 0 offset:372
	s_waitcnt vmcnt(0)
	global_store_dwordx2 v[108:109], v[0:1], off
	buffer_load_dword v0, off, s[0:3], 0 offset:376
	s_nop 0
	buffer_load_dword v1, off, s[0:3], 0 offset:380
	s_waitcnt vmcnt(0)
	global_store_dwordx2 v[100:101], v[0:1], off
	buffer_load_dword v0, off, s[0:3], 0 offset:384
	s_nop 0
	buffer_load_dword v1, off, s[0:3], 0 offset:388
	s_waitcnt vmcnt(0)
	global_store_dwordx2 v[92:93], v[0:1], off
	buffer_load_dword v0, off, s[0:3], 0 offset:392
	s_nop 0
	buffer_load_dword v1, off, s[0:3], 0 offset:396
	s_waitcnt vmcnt(0)
	global_store_dwordx2 v[118:119], v[0:1], off
	buffer_load_dword v0, off, s[0:3], 0 offset:400
	s_nop 0
	buffer_load_dword v1, off, s[0:3], 0 offset:404
	s_waitcnt vmcnt(0)
	global_store_dwordx2 v[110:111], v[0:1], off
	buffer_load_dword v0, off, s[0:3], 0 offset:408
	s_nop 0
	buffer_load_dword v1, off, s[0:3], 0 offset:412
	s_waitcnt vmcnt(0)
	global_store_dwordx2 v[102:103], v[0:1], off
	buffer_load_dword v0, off, s[0:3], 0 offset:416
	s_nop 0
	buffer_load_dword v1, off, s[0:3], 0 offset:420
	s_waitcnt vmcnt(0)
	global_store_dwordx2 v[94:95], v[0:1], off
	buffer_load_dword v0, off, s[0:3], 0 offset:424
	s_nop 0
	buffer_load_dword v1, off, s[0:3], 0 offset:428
	s_waitcnt vmcnt(0)
	global_store_dwordx2 v[120:121], v[0:1], off
	buffer_load_dword v0, off, s[0:3], 0 offset:432
	s_nop 0
	buffer_load_dword v1, off, s[0:3], 0 offset:436
	s_waitcnt vmcnt(0)
	global_store_dwordx2 v[112:113], v[0:1], off
	buffer_load_dword v0, off, s[0:3], 0 offset:440
	s_nop 0
	buffer_load_dword v1, off, s[0:3], 0 offset:444
	s_waitcnt vmcnt(0)
	global_store_dwordx2 v[104:105], v[0:1], off
	buffer_load_dword v0, off, s[0:3], 0 offset:448
	s_nop 0
	buffer_load_dword v1, off, s[0:3], 0 offset:452
	s_waitcnt vmcnt(0)
	global_store_dwordx2 v[96:97], v[0:1], off
	buffer_load_dword v0, off, s[0:3], 0 offset:456
	s_nop 0
	buffer_load_dword v1, off, s[0:3], 0 offset:460
	s_waitcnt vmcnt(0)
	global_store_dwordx2 v[122:123], v[0:1], off
	buffer_load_dword v0, off, s[0:3], 0 offset:464
	s_nop 0
	buffer_load_dword v1, off, s[0:3], 0 offset:468
	s_waitcnt vmcnt(0)
	global_store_dwordx2 v[124:125], v[0:1], off
	buffer_load_dword v0, off, s[0:3], 0 offset:472
	s_nop 0
	buffer_load_dword v1, off, s[0:3], 0 offset:476
	s_waitcnt vmcnt(0)
	global_store_dwordx2 v[114:115], v[0:1], off
	buffer_load_dword v0, off, s[0:3], 0 offset:480
	s_nop 0
	buffer_load_dword v1, off, s[0:3], 0 offset:484
	s_waitcnt vmcnt(0)
	global_store_dwordx2 v[106:107], v[0:1], off
	buffer_load_dword v0, off, s[0:3], 0 offset:488
	s_nop 0
	buffer_load_dword v1, off, s[0:3], 0 offset:492
	s_waitcnt vmcnt(0)
	global_store_dwordx2 v[6:7], v[0:1], off
	s_endpgm
	.section	.rodata,"a",@progbits
	.p2align	6, 0x0
	.amdhsa_kernel _ZN9rocsolver6v33100L18getri_kernel_smallILi62EdPKPdEEvT1_iilPiilS6_bb
		.amdhsa_group_segment_fixed_size 1000
		.amdhsa_private_segment_fixed_size 512
		.amdhsa_kernarg_size 60
		.amdhsa_user_sgpr_count 8
		.amdhsa_user_sgpr_private_segment_buffer 1
		.amdhsa_user_sgpr_dispatch_ptr 0
		.amdhsa_user_sgpr_queue_ptr 0
		.amdhsa_user_sgpr_kernarg_segment_ptr 1
		.amdhsa_user_sgpr_dispatch_id 0
		.amdhsa_user_sgpr_flat_scratch_init 1
		.amdhsa_user_sgpr_kernarg_preload_length 0
		.amdhsa_user_sgpr_kernarg_preload_offset 0
		.amdhsa_user_sgpr_private_segment_size 0
		.amdhsa_uses_dynamic_stack 0
		.amdhsa_system_sgpr_private_segment_wavefront_offset 1
		.amdhsa_system_sgpr_workgroup_id_x 1
		.amdhsa_system_sgpr_workgroup_id_y 0
		.amdhsa_system_sgpr_workgroup_id_z 0
		.amdhsa_system_sgpr_workgroup_info 0
		.amdhsa_system_vgpr_workitem_id 0
		.amdhsa_next_free_vgpr 168
		.amdhsa_next_free_sgpr 22
		.amdhsa_accum_offset 168
		.amdhsa_reserve_vcc 1
		.amdhsa_reserve_flat_scratch 1
		.amdhsa_float_round_mode_32 0
		.amdhsa_float_round_mode_16_64 0
		.amdhsa_float_denorm_mode_32 3
		.amdhsa_float_denorm_mode_16_64 3
		.amdhsa_dx10_clamp 1
		.amdhsa_ieee_mode 1
		.amdhsa_fp16_overflow 0
		.amdhsa_tg_split 0
		.amdhsa_exception_fp_ieee_invalid_op 0
		.amdhsa_exception_fp_denorm_src 0
		.amdhsa_exception_fp_ieee_div_zero 0
		.amdhsa_exception_fp_ieee_overflow 0
		.amdhsa_exception_fp_ieee_underflow 0
		.amdhsa_exception_fp_ieee_inexact 0
		.amdhsa_exception_int_div_zero 0
	.end_amdhsa_kernel
	.section	.text._ZN9rocsolver6v33100L18getri_kernel_smallILi62EdPKPdEEvT1_iilPiilS6_bb,"axG",@progbits,_ZN9rocsolver6v33100L18getri_kernel_smallILi62EdPKPdEEvT1_iilPiilS6_bb,comdat
.Lfunc_end125:
	.size	_ZN9rocsolver6v33100L18getri_kernel_smallILi62EdPKPdEEvT1_iilPiilS6_bb, .Lfunc_end125-_ZN9rocsolver6v33100L18getri_kernel_smallILi62EdPKPdEEvT1_iilPiilS6_bb
                                        ; -- End function
	.section	.AMDGPU.csdata,"",@progbits
; Kernel info:
; codeLenInByte = 85576
; NumSgprs: 28
; NumVgprs: 168
; NumAgprs: 0
; TotalNumVgprs: 168
; ScratchSize: 512
; MemoryBound: 1
; FloatMode: 240
; IeeeMode: 1
; LDSByteSize: 1000 bytes/workgroup (compile time only)
; SGPRBlocks: 3
; VGPRBlocks: 20
; NumSGPRsForWavesPerEU: 28
; NumVGPRsForWavesPerEU: 168
; AccumOffset: 168
; Occupancy: 3
; WaveLimiterHint : 1
; COMPUTE_PGM_RSRC2:SCRATCH_EN: 1
; COMPUTE_PGM_RSRC2:USER_SGPR: 8
; COMPUTE_PGM_RSRC2:TRAP_HANDLER: 0
; COMPUTE_PGM_RSRC2:TGID_X_EN: 1
; COMPUTE_PGM_RSRC2:TGID_Y_EN: 0
; COMPUTE_PGM_RSRC2:TGID_Z_EN: 0
; COMPUTE_PGM_RSRC2:TIDIG_COMP_CNT: 0
; COMPUTE_PGM_RSRC3_GFX90A:ACCUM_OFFSET: 41
; COMPUTE_PGM_RSRC3_GFX90A:TG_SPLIT: 0
	.section	.text._ZN9rocsolver6v33100L18getri_kernel_smallILi63EdPKPdEEvT1_iilPiilS6_bb,"axG",@progbits,_ZN9rocsolver6v33100L18getri_kernel_smallILi63EdPKPdEEvT1_iilPiilS6_bb,comdat
	.globl	_ZN9rocsolver6v33100L18getri_kernel_smallILi63EdPKPdEEvT1_iilPiilS6_bb ; -- Begin function _ZN9rocsolver6v33100L18getri_kernel_smallILi63EdPKPdEEvT1_iilPiilS6_bb
	.p2align	8
	.type	_ZN9rocsolver6v33100L18getri_kernel_smallILi63EdPKPdEEvT1_iilPiilS6_bb,@function
_ZN9rocsolver6v33100L18getri_kernel_smallILi63EdPKPdEEvT1_iilPiilS6_bb: ; @_ZN9rocsolver6v33100L18getri_kernel_smallILi63EdPKPdEEvT1_iilPiilS6_bb
; %bb.0:
	s_add_u32 flat_scratch_lo, s6, s9
	s_addc_u32 flat_scratch_hi, s7, 0
	s_add_u32 s0, s0, s9
	s_addc_u32 s1, s1, 0
	v_cmp_gt_u32_e32 vcc, 63, v0
	s_and_saveexec_b64 s[6:7], vcc
	s_cbranch_execz .LBB126_260
; %bb.1:
	s_load_dword s20, s[4:5], 0x38
	s_load_dwordx2 s[6:7], s[4:5], 0x0
	s_load_dwordx4 s[12:15], s[4:5], 0x28
	s_waitcnt lgkmcnt(0)
	s_bitcmp1_b32 s20, 8
	s_cselect_b64 s[16:17], -1, 0
	s_ashr_i32 s9, s8, 31
	s_lshl_b64 s[10:11], s[8:9], 3
	s_add_u32 s6, s6, s10
	s_addc_u32 s7, s7, s11
	s_load_dwordx2 s[18:19], s[6:7], 0x0
	s_bfe_u32 s6, s20, 0x10008
	s_cmp_eq_u32 s6, 0
                                        ; implicit-def: $sgpr10_sgpr11
	s_cbranch_scc1 .LBB126_3
; %bb.2:
	s_load_dword s6, s[4:5], 0x20
	s_load_dwordx2 s[10:11], s[4:5], 0x18
	s_mul_i32 s7, s8, s13
	s_mul_hi_u32 s13, s8, s12
	s_add_i32 s13, s13, s7
	s_mul_i32 s21, s9, s12
	s_add_i32 s13, s13, s21
	s_mul_i32 s12, s8, s12
	s_waitcnt lgkmcnt(0)
	s_ashr_i32 s7, s6, 31
	s_lshl_b64 s[12:13], s[12:13], 2
	s_add_u32 s10, s10, s12
	s_addc_u32 s11, s11, s13
	s_lshl_b64 s[6:7], s[6:7], 2
	s_add_u32 s10, s10, s6
	s_addc_u32 s11, s11, s7
.LBB126_3:
	s_load_dwordx2 s[6:7], s[4:5], 0x8
	s_waitcnt lgkmcnt(0)
	s_ashr_i32 s5, s6, 31
	s_mov_b32 s4, s6
	s_lshl_b64 s[4:5], s[4:5], 3
	s_add_u32 s4, s18, s4
	s_addc_u32 s5, s19, s5
	s_add_i32 s6, s7, s7
	v_add_u32_e32 v4, s6, v0
	v_ashrrev_i32_e32 v5, 31, v4
	v_lshlrev_b64 v[2:3], 3, v[4:5]
	v_add_u32_e32 v6, s7, v4
	v_mov_b32_e32 v1, s5
	v_add_co_u32_e32 v2, vcc, s4, v2
	v_ashrrev_i32_e32 v7, 31, v6
	v_addc_co_u32_e32 v3, vcc, v1, v3, vcc
	v_lshlrev_b64 v[4:5], 3, v[6:7]
	v_add_u32_e32 v8, s7, v6
	v_add_co_u32_e32 v4, vcc, s4, v4
	v_ashrrev_i32_e32 v9, 31, v8
	v_addc_co_u32_e32 v5, vcc, v1, v5, vcc
	v_lshlrev_b64 v[6:7], 3, v[8:9]
	v_add_u32_e32 v10, s7, v8
	v_add_co_u32_e32 v6, vcc, s4, v6
	v_ashrrev_i32_e32 v11, 31, v10
	v_addc_co_u32_e32 v7, vcc, v1, v7, vcc
	v_lshlrev_b64 v[8:9], 3, v[10:11]
	v_add_u32_e32 v12, s7, v10
	v_add_co_u32_e32 v8, vcc, s4, v8
	v_ashrrev_i32_e32 v13, 31, v12
	v_addc_co_u32_e32 v9, vcc, v1, v9, vcc
	v_lshlrev_b64 v[10:11], 3, v[12:13]
	v_add_u32_e32 v14, s7, v12
	v_add_co_u32_e32 v10, vcc, s4, v10
	v_ashrrev_i32_e32 v15, 31, v14
	v_addc_co_u32_e32 v11, vcc, v1, v11, vcc
	v_lshlrev_b64 v[12:13], 3, v[14:15]
	v_add_u32_e32 v14, s7, v14
	v_add_co_u32_e32 v12, vcc, s4, v12
	v_ashrrev_i32_e32 v15, 31, v14
	v_addc_co_u32_e32 v13, vcc, v1, v13, vcc
	v_lshlrev_b64 v[16:17], 3, v[14:15]
	v_add_co_u32_e32 v18, vcc, s4, v16
	v_add_u32_e32 v16, s7, v14
	v_addc_co_u32_e32 v19, vcc, v1, v17, vcc
	v_ashrrev_i32_e32 v17, 31, v16
	v_lshlrev_b64 v[14:15], 3, v[16:17]
	v_add_u32_e32 v20, s7, v16
	v_add_co_u32_e32 v14, vcc, s4, v14
	v_ashrrev_i32_e32 v21, 31, v20
	v_addc_co_u32_e32 v15, vcc, v1, v15, vcc
	v_lshlrev_b64 v[16:17], 3, v[20:21]
	v_add_u32_e32 v22, s7, v20
	v_add_co_u32_e32 v16, vcc, s4, v16
	v_ashrrev_i32_e32 v23, 31, v22
	v_addc_co_u32_e32 v17, vcc, v1, v17, vcc
	;; [unrolled: 5-line block ×45, first 2 shown]
	v_lshlrev_b64 v[106:107], 3, v[108:109]
	v_add_co_u32_e32 v106, vcc, s4, v106
	v_add_u32_e32 v108, s7, v108
	v_addc_co_u32_e32 v107, vcc, v1, v107, vcc
	v_ashrrev_i32_e32 v109, 31, v108
	v_lshlrev_b32_e32 v1, 3, v0
	v_lshlrev_b64 v[110:111], 3, v[108:109]
	v_mov_b32_e32 v109, s5
	v_add_co_u32_e32 v126, vcc, s4, v1
	s_ashr_i32 s13, s7, 31
	s_mov_b32 s12, s7
	v_addc_co_u32_e32 v127, vcc, 0, v109, vcc
	s_lshl_b64 s[12:13], s[12:13], 3
	v_mov_b32_e32 v109, s13
	v_add_co_u32_e32 v124, vcc, s12, v126
	global_load_dwordx2 v[130:131], v1, s[4:5]
	global_load_dwordx2 v[134:135], v[2:3], off
	global_load_dwordx2 v[136:137], v[4:5], off
	;; [unrolled: 1-line block ×3, first 2 shown]
	v_addc_co_u32_e32 v125, vcc, v127, v109, vcc
	global_load_dwordx2 v[132:133], v[124:125], off
	global_load_dwordx2 v[140:141], v[8:9], off
	;; [unrolled: 1-line block ×8, first 2 shown]
	v_add_u32_e32 v108, s7, v108
	v_mov_b32_e32 v112, s5
	v_add_co_u32_e32 v110, vcc, s4, v110
	v_ashrrev_i32_e32 v109, 31, v108
	v_addc_co_u32_e32 v111, vcc, v112, v111, vcc
	v_lshlrev_b64 v[112:113], 3, v[108:109]
	v_add_u32_e32 v108, s7, v108
	v_mov_b32_e32 v114, s5
	v_add_co_u32_e32 v112, vcc, s4, v112
	v_ashrrev_i32_e32 v109, 31, v108
	v_addc_co_u32_e32 v113, vcc, v114, v113, vcc
	v_lshlrev_b64 v[114:115], 3, v[108:109]
	;; [unrolled: 6-line block ×6, first 2 shown]
	v_add_u32_e32 v108, s7, v108
	v_mov_b32_e32 v128, s5
	v_add_co_u32_e32 v122, vcc, s4, v122
	v_ashrrev_i32_e32 v109, 31, v108
	global_load_dwordx2 v[154:155], v[22:23], off
	global_load_dwordx2 v[156:157], v[24:25], off
	global_load_dwordx2 v[158:159], v[26:27], off
	global_load_dwordx2 v[160:161], v[28:29], off
	v_addc_co_u32_e32 v123, vcc, v128, v123, vcc
	v_lshlrev_b64 v[108:109], 3, v[108:109]
	v_add_co_u32_e32 v108, vcc, s4, v108
	v_addc_co_u32_e32 v109, vcc, v128, v109, vcc
	global_load_dwordx2 v[162:163], v[30:31], off
	global_load_dwordx2 v[128:129], v[108:109], off
	s_waitcnt vmcnt(17)
	buffer_store_dword v131, off, s[0:3], 0 offset:4
	buffer_store_dword v130, off, s[0:3], 0
	global_load_dwordx2 v[130:131], v[32:33], off
	s_waitcnt vmcnt(16)
	buffer_store_dword v133, off, s[0:3], 0 offset:12
	buffer_store_dword v132, off, s[0:3], 0 offset:8
	global_load_dwordx2 v[132:133], v[34:35], off
	s_nop 0
	buffer_store_dword v135, off, s[0:3], 0 offset:20
	buffer_store_dword v134, off, s[0:3], 0 offset:16
	global_load_dwordx2 v[134:135], v[36:37], off
	s_nop 0
	;; [unrolled: 4-line block ×3, first 2 shown]
	buffer_store_dword v139, off, s[0:3], 0 offset:36
	buffer_store_dword v138, off, s[0:3], 0 offset:32
	global_load_dwordx2 v[138:139], v[40:41], off
	s_waitcnt vmcnt(27)
	buffer_store_dword v141, off, s[0:3], 0 offset:44
	buffer_store_dword v140, off, s[0:3], 0 offset:40
	global_load_dwordx2 v[140:141], v[42:43], off
	s_waitcnt vmcnt(29)
	;; [unrolled: 4-line block ×6, first 2 shown]
	buffer_store_dword v150, off, s[0:3], 0 offset:80
	buffer_store_dword v151, off, s[0:3], 0 offset:84
	global_load_dwordx2 v[150:151], v[52:53], off
	s_nop 0
	buffer_store_dword v152, off, s[0:3], 0 offset:88
	buffer_store_dword v153, off, s[0:3], 0 offset:92
	s_waitcnt vmcnt(40)
	buffer_store_dword v154, off, s[0:3], 0 offset:96
	buffer_store_dword v155, off, s[0:3], 0 offset:100
	s_waitcnt vmcnt(41)
	;; [unrolled: 3-line block ×4, first 2 shown]
	buffer_store_dword v160, off, s[0:3], 0 offset:120
	buffer_store_dword v161, off, s[0:3], 0 offset:124
	global_load_dwordx2 v[152:153], v[54:55], off
	global_load_dwordx2 v[154:155], v[56:57], off
	;; [unrolled: 1-line block ×4, first 2 shown]
	s_nop 0
	global_load_dwordx2 v[160:161], v[64:65], off
	s_bitcmp0_b32 s20, 0
	s_waitcnt vmcnt(49)
	buffer_store_dword v162, off, s[0:3], 0 offset:128
	buffer_store_dword v163, off, s[0:3], 0 offset:132
	global_load_dwordx2 v[162:163], v[68:69], off
	s_mov_b64 s[6:7], -1
	s_waitcnt vmcnt(48)
	buffer_store_dword v130, off, s[0:3], 0 offset:136
	buffer_store_dword v131, off, s[0:3], 0 offset:140
	global_load_dwordx2 v[130:131], v[62:63], off
	s_waitcnt vmcnt(48)
	buffer_store_dword v132, off, s[0:3], 0 offset:144
	buffer_store_dword v133, off, s[0:3], 0 offset:148
	global_load_dwordx2 v[132:133], v[66:67], off
	s_waitcnt vmcnt(48)
	buffer_store_dword v135, off, s[0:3], 0 offset:156
	buffer_store_dword v134, off, s[0:3], 0 offset:152
	global_load_dwordx2 v[134:135], v[70:71], off
	s_waitcnt vmcnt(48)
	buffer_store_dword v137, off, s[0:3], 0 offset:164
	buffer_store_dword v136, off, s[0:3], 0 offset:160
	global_load_dwordx2 v[136:137], v[72:73], off
	s_waitcnt vmcnt(48)
	buffer_store_dword v138, off, s[0:3], 0 offset:168
	buffer_store_dword v139, off, s[0:3], 0 offset:172
	global_load_dwordx2 v[138:139], v[74:75], off
	s_waitcnt vmcnt(48)
	buffer_store_dword v140, off, s[0:3], 0 offset:176
	buffer_store_dword v141, off, s[0:3], 0 offset:180
	global_load_dwordx2 v[140:141], v[76:77], off
	s_waitcnt vmcnt(48)
	buffer_store_dword v142, off, s[0:3], 0 offset:184
	buffer_store_dword v143, off, s[0:3], 0 offset:188
	global_load_dwordx2 v[142:143], v[78:79], off
	s_waitcnt vmcnt(48)
	buffer_store_dword v144, off, s[0:3], 0 offset:192
	buffer_store_dword v145, off, s[0:3], 0 offset:196
	global_load_dwordx2 v[144:145], v[80:81], off
	s_waitcnt vmcnt(48)
	buffer_store_dword v147, off, s[0:3], 0 offset:204
	buffer_store_dword v146, off, s[0:3], 0 offset:200
	global_load_dwordx2 v[146:147], v[82:83], off
	s_waitcnt vmcnt(48)
	buffer_store_dword v149, off, s[0:3], 0 offset:212
	buffer_store_dword v148, off, s[0:3], 0 offset:208
	global_load_dwordx2 v[148:149], v[84:85], off
	s_waitcnt vmcnt(48)
	buffer_store_dword v150, off, s[0:3], 0 offset:216
	buffer_store_dword v151, off, s[0:3], 0 offset:220
	global_load_dwordx2 v[150:151], v[86:87], off
	s_waitcnt vmcnt(40)
	buffer_store_dword v152, off, s[0:3], 0 offset:224
	buffer_store_dword v153, off, s[0:3], 0 offset:228
	s_waitcnt vmcnt(41)
	buffer_store_dword v154, off, s[0:3], 0 offset:232
	buffer_store_dword v155, off, s[0:3], 0 offset:236
	;; [unrolled: 3-line block ×5, first 2 shown]
	buffer_store_dword v160, off, s[0:3], 0 offset:264
	buffer_store_dword v161, off, s[0:3], 0 offset:268
	s_waitcnt vmcnt(39)
	buffer_store_dword v132, off, s[0:3], 0 offset:272
	buffer_store_dword v133, off, s[0:3], 0 offset:276
	;; [unrolled: 1-line block ×4, first 2 shown]
	s_waitcnt vmcnt(40)
	buffer_store_dword v134, off, s[0:3], 0 offset:288
	buffer_store_dword v135, off, s[0:3], 0 offset:292
	global_load_dwordx2 v[130:131], v[88:89], off
	global_load_dwordx2 v[132:133], v[90:91], off
	s_nop 0
	global_load_dwordx2 v[134:135], v[92:93], off
	global_load_dwordx2 v[152:153], v[98:99], off
	;; [unrolled: 1-line block ×7, first 2 shown]
	s_waitcnt vmcnt(48)
	buffer_store_dword v137, off, s[0:3], 0 offset:300
	buffer_store_dword v136, off, s[0:3], 0 offset:296
	global_load_dwordx2 v[136:137], v[94:95], off
	s_waitcnt vmcnt(48)
	buffer_store_dword v139, off, s[0:3], 0 offset:308
	buffer_store_dword v138, off, s[0:3], 0 offset:304
	global_load_dwordx2 v[138:139], v[96:97], off
	s_waitcnt vmcnt(48)
	buffer_store_dword v140, off, s[0:3], 0 offset:312
	buffer_store_dword v141, off, s[0:3], 0 offset:316
	global_load_dwordx2 v[140:141], v[100:101], off
	s_waitcnt vmcnt(48)
	buffer_store_dword v142, off, s[0:3], 0 offset:320
	buffer_store_dword v143, off, s[0:3], 0 offset:324
	global_load_dwordx2 v[142:143], v[104:105], off
	s_waitcnt vmcnt(48)
	buffer_store_dword v144, off, s[0:3], 0 offset:328
	buffer_store_dword v145, off, s[0:3], 0 offset:332
	global_load_dwordx2 v[144:145], v[110:111], off
	s_waitcnt vmcnt(48)
	buffer_store_dword v146, off, s[0:3], 0 offset:336
	buffer_store_dword v147, off, s[0:3], 0 offset:340
	global_load_dwordx2 v[146:147], v[114:115], off
	s_waitcnt vmcnt(48)
	buffer_store_dword v149, off, s[0:3], 0 offset:348
	buffer_store_dword v148, off, s[0:3], 0 offset:344
	global_load_dwordx2 v[148:149], v[118:119], off
	s_waitcnt vmcnt(48)
	buffer_store_dword v151, off, s[0:3], 0 offset:356
	buffer_store_dword v150, off, s[0:3], 0 offset:352
	global_load_dwordx2 v[150:151], v[122:123], off
	s_waitcnt vmcnt(32)
	buffer_store_dword v130, off, s[0:3], 0 offset:360
	buffer_store_dword v131, off, s[0:3], 0 offset:364
	s_waitcnt vmcnt(33)
	buffer_store_dword v132, off, s[0:3], 0 offset:368
	buffer_store_dword v133, off, s[0:3], 0 offset:372
	;; [unrolled: 3-line block ×5, first 2 shown]
	buffer_store_dword v153, off, s[0:3], 0 offset:404
	buffer_store_dword v152, off, s[0:3], 0 offset:400
	s_waitcnt vmcnt(27)
	buffer_store_dword v140, off, s[0:3], 0 offset:408
	buffer_store_dword v141, off, s[0:3], 0 offset:412
	buffer_store_dword v154, off, s[0:3], 0 offset:416
	buffer_store_dword v155, off, s[0:3], 0 offset:420
	s_waitcnt vmcnt(28)
	buffer_store_dword v142, off, s[0:3], 0 offset:424
	buffer_store_dword v143, off, s[0:3], 0 offset:428
	;; [unrolled: 5-line block ×6, first 2 shown]
	buffer_store_dword v129, off, s[0:3], 0 offset:500
	buffer_store_dword v128, off, s[0:3], 0 offset:496
	s_cbranch_scc1 .LBB126_258
; %bb.4:
	v_cmp_eq_u32_e64 s[4:5], 0, v0
	s_and_saveexec_b64 s[6:7], s[4:5]
	s_cbranch_execz .LBB126_6
; %bb.5:
	v_mov_b32_e32 v128, 0
	ds_write_b32 v128, v128 offset:504
.LBB126_6:
	s_or_b64 exec, exec, s[6:7]
	v_mov_b32_e32 v128, 0
	v_lshl_add_u32 v128, v0, 3, v128
	s_waitcnt lgkmcnt(0)
	; wave barrier
	s_waitcnt lgkmcnt(0)
	buffer_load_dword v130, v128, s[0:3], 0 offen
	buffer_load_dword v131, v128, s[0:3], 0 offen offset:4
	s_waitcnt vmcnt(0)
	v_cmp_eq_f64_e32 vcc, 0, v[130:131]
	s_and_saveexec_b64 s[12:13], vcc
	s_cbranch_execz .LBB126_10
; %bb.7:
	v_mov_b32_e32 v129, 0
	ds_read_b32 v131, v129 offset:504
	v_add_u32_e32 v130, 1, v0
	s_waitcnt lgkmcnt(0)
	v_readfirstlane_b32 s6, v131
	s_cmp_eq_u32 s6, 0
	s_cselect_b64 s[18:19], -1, 0
	v_cmp_gt_i32_e32 vcc, s6, v130
	s_or_b64 s[18:19], s[18:19], vcc
	s_and_b64 exec, exec, s[18:19]
	s_cbranch_execz .LBB126_10
; %bb.8:
	s_mov_b64 s[18:19], 0
	v_mov_b32_e32 v131, s6
.LBB126_9:                              ; =>This Inner Loop Header: Depth=1
	ds_cmpst_rtn_b32 v131, v129, v131, v130 offset:504
	s_waitcnt lgkmcnt(0)
	v_cmp_ne_u32_e32 vcc, 0, v131
	v_cmp_le_i32_e64 s[6:7], v131, v130
	s_and_b64 s[6:7], vcc, s[6:7]
	s_and_b64 s[6:7], exec, s[6:7]
	s_or_b64 s[18:19], s[6:7], s[18:19]
	s_andn2_b64 exec, exec, s[18:19]
	s_cbranch_execnz .LBB126_9
.LBB126_10:
	s_or_b64 exec, exec, s[12:13]
	v_mov_b32_e32 v130, 0
	s_waitcnt lgkmcnt(0)
	; wave barrier
	ds_read_b32 v129, v130 offset:504
	s_and_saveexec_b64 s[6:7], s[4:5]
	s_cbranch_execz .LBB126_12
; %bb.11:
	s_lshl_b64 s[12:13], s[8:9], 2
	s_add_u32 s12, s14, s12
	s_addc_u32 s13, s15, s13
	s_waitcnt lgkmcnt(0)
	global_store_dword v130, v129, s[12:13]
.LBB126_12:
	s_or_b64 exec, exec, s[6:7]
	s_waitcnt lgkmcnt(0)
	v_cmp_ne_u32_e32 vcc, 0, v129
	s_mov_b64 s[6:7], 0
	s_cbranch_vccnz .LBB126_258
; %bb.13:
	buffer_load_dword v130, v128, s[0:3], 0 offen
	buffer_load_dword v131, v128, s[0:3], 0 offen offset:4
	s_waitcnt vmcnt(0)
	v_div_scale_f64 v[132:133], s[6:7], v[130:131], v[130:131], 1.0
	v_rcp_f64_e32 v[134:135], v[132:133]
	v_div_scale_f64 v[136:137], vcc, 1.0, v[130:131], 1.0
	v_fma_f64 v[138:139], -v[132:133], v[134:135], 1.0
	v_fmac_f64_e32 v[134:135], v[134:135], v[138:139]
	v_fma_f64 v[138:139], -v[132:133], v[134:135], 1.0
	v_fmac_f64_e32 v[134:135], v[134:135], v[138:139]
	v_mul_f64 v[138:139], v[136:137], v[134:135]
	v_fma_f64 v[132:133], -v[132:133], v[138:139], v[136:137]
	v_div_fmas_f64 v[132:133], v[132:133], v[134:135], v[138:139]
	v_div_fixup_f64 v[132:133], v[132:133], v[130:131], 1.0
	buffer_store_dword v133, v128, s[0:3], 0 offen offset:4
	buffer_store_dword v132, v128, s[0:3], 0 offen
	buffer_load_dword v135, off, s[0:3], 0 offset:12
	buffer_load_dword v134, off, s[0:3], 0 offset:8
	v_or_b32_e32 v130, 0x200, v1
	v_xor_b32_e32 v133, 0x80000000, v133
	s_waitcnt vmcnt(0)
	ds_write2st64_b64 v1, v[132:133], v[134:135] offset1:1
	s_waitcnt lgkmcnt(0)
	; wave barrier
	s_waitcnt lgkmcnt(0)
	s_and_saveexec_b64 s[6:7], s[4:5]
	s_cbranch_execz .LBB126_15
; %bb.14:
	buffer_load_dword v132, v128, s[0:3], 0 offen
	buffer_load_dword v133, v128, s[0:3], 0 offen offset:4
	v_mov_b32_e32 v129, 0
	ds_read_b64 v[134:135], v130
	ds_read_b64 v[136:137], v129 offset:8
	s_waitcnt vmcnt(0) lgkmcnt(1)
	v_fma_f64 v[132:133], v[132:133], v[134:135], 0
	s_waitcnt lgkmcnt(0)
	v_mul_f64 v[132:133], v[132:133], v[136:137]
	buffer_store_dword v132, off, s[0:3], 0 offset:8
	buffer_store_dword v133, off, s[0:3], 0 offset:12
.LBB126_15:
	s_or_b64 exec, exec, s[6:7]
	s_waitcnt lgkmcnt(0)
	; wave barrier
	buffer_load_dword v132, off, s[0:3], 0 offset:16
	buffer_load_dword v133, off, s[0:3], 0 offset:20
	v_cmp_gt_u32_e32 vcc, 2, v0
	s_waitcnt vmcnt(0)
	ds_write_b64 v130, v[132:133]
	s_waitcnt lgkmcnt(0)
	; wave barrier
	s_waitcnt lgkmcnt(0)
	s_and_saveexec_b64 s[6:7], vcc
	s_cbranch_execz .LBB126_17
; %bb.16:
	buffer_load_dword v129, v128, s[0:3], 0 offen offset:4
	buffer_load_dword v136, off, s[0:3], 0 offset:8
	s_nop 0
	buffer_load_dword v128, v128, s[0:3], 0 offen
	s_nop 0
	buffer_load_dword v137, off, s[0:3], 0 offset:12
	ds_read_b64 v[138:139], v130
	v_mov_b32_e32 v131, 0
	ds_read2_b64 v[132:135], v131 offset0:2 offset1:65
	s_waitcnt vmcnt(1) lgkmcnt(1)
	v_fma_f64 v[128:129], v[128:129], v[138:139], 0
	s_waitcnt vmcnt(0) lgkmcnt(0)
	v_fma_f64 v[134:135], v[136:137], v[134:135], v[128:129]
	v_cndmask_b32_e64 v129, v129, v135, s[4:5]
	v_cndmask_b32_e64 v128, v128, v134, s[4:5]
	v_mul_f64 v[128:129], v[128:129], v[132:133]
	buffer_store_dword v129, off, s[0:3], 0 offset:20
	buffer_store_dword v128, off, s[0:3], 0 offset:16
.LBB126_17:
	s_or_b64 exec, exec, s[6:7]
	s_waitcnt lgkmcnt(0)
	; wave barrier
	buffer_load_dword v128, off, s[0:3], 0 offset:24
	buffer_load_dword v129, off, s[0:3], 0 offset:28
	v_cmp_gt_u32_e32 vcc, 3, v0
	v_add_u32_e32 v131, -1, v0
	s_waitcnt vmcnt(0)
	ds_write_b64 v130, v[128:129]
	s_waitcnt lgkmcnt(0)
	; wave barrier
	s_waitcnt lgkmcnt(0)
	s_and_saveexec_b64 s[4:5], vcc
	s_cbranch_execz .LBB126_21
; %bb.18:
	v_add_u32_e32 v132, -1, v0
	v_or_b32_e32 v133, 0x200, v1
	v_add_u32_e32 v134, 0, v1
	s_mov_b64 s[6:7], 0
	v_pk_mov_b32 v[128:129], 0, 0
.LBB126_19:                             ; =>This Inner Loop Header: Depth=1
	buffer_load_dword v136, v134, s[0:3], 0 offen
	buffer_load_dword v137, v134, s[0:3], 0 offen offset:4
	ds_read_b64 v[138:139], v133
	v_add_u32_e32 v132, 1, v132
	v_cmp_lt_u32_e32 vcc, 1, v132
	v_add_u32_e32 v133, 8, v133
	v_add_u32_e32 v134, 8, v134
	s_or_b64 s[6:7], vcc, s[6:7]
	s_waitcnt vmcnt(0) lgkmcnt(0)
	v_fmac_f64_e32 v[128:129], v[136:137], v[138:139]
	s_andn2_b64 exec, exec, s[6:7]
	s_cbranch_execnz .LBB126_19
; %bb.20:
	s_or_b64 exec, exec, s[6:7]
	v_mov_b32_e32 v132, 0
	ds_read_b64 v[132:133], v132 offset:24
	s_waitcnt lgkmcnt(0)
	v_mul_f64 v[128:129], v[128:129], v[132:133]
	buffer_store_dword v129, off, s[0:3], 0 offset:28
	buffer_store_dword v128, off, s[0:3], 0 offset:24
.LBB126_21:
	s_or_b64 exec, exec, s[4:5]
	s_waitcnt lgkmcnt(0)
	; wave barrier
	buffer_load_dword v128, off, s[0:3], 0 offset:32
	buffer_load_dword v129, off, s[0:3], 0 offset:36
	v_cmp_gt_u32_e32 vcc, 4, v0
	s_waitcnt vmcnt(0)
	ds_write_b64 v130, v[128:129]
	s_waitcnt lgkmcnt(0)
	; wave barrier
	s_waitcnt lgkmcnt(0)
	s_and_saveexec_b64 s[4:5], vcc
	s_cbranch_execz .LBB126_25
; %bb.22:
	v_add_u32_e32 v132, -1, v0
	v_or_b32_e32 v133, 0x200, v1
	v_add_u32_e32 v134, 0, v1
	s_mov_b64 s[6:7], 0
	v_pk_mov_b32 v[128:129], 0, 0
.LBB126_23:                             ; =>This Inner Loop Header: Depth=1
	buffer_load_dword v136, v134, s[0:3], 0 offen
	buffer_load_dword v137, v134, s[0:3], 0 offen offset:4
	ds_read_b64 v[138:139], v133
	v_add_u32_e32 v132, 1, v132
	v_cmp_lt_u32_e32 vcc, 2, v132
	v_add_u32_e32 v133, 8, v133
	v_add_u32_e32 v134, 8, v134
	s_or_b64 s[6:7], vcc, s[6:7]
	s_waitcnt vmcnt(0) lgkmcnt(0)
	v_fmac_f64_e32 v[128:129], v[136:137], v[138:139]
	s_andn2_b64 exec, exec, s[6:7]
	s_cbranch_execnz .LBB126_23
; %bb.24:
	s_or_b64 exec, exec, s[6:7]
	v_mov_b32_e32 v132, 0
	ds_read_b64 v[132:133], v132 offset:32
	s_waitcnt lgkmcnt(0)
	v_mul_f64 v[128:129], v[128:129], v[132:133]
	buffer_store_dword v129, off, s[0:3], 0 offset:36
	buffer_store_dword v128, off, s[0:3], 0 offset:32
.LBB126_25:
	s_or_b64 exec, exec, s[4:5]
	s_waitcnt lgkmcnt(0)
	; wave barrier
	buffer_load_dword v128, off, s[0:3], 0 offset:40
	buffer_load_dword v129, off, s[0:3], 0 offset:44
	v_cmp_gt_u32_e32 vcc, 5, v0
	;; [unrolled: 41-line block ×21, first 2 shown]
	s_waitcnt vmcnt(0)
	ds_write_b64 v130, v[128:129]
	s_waitcnt lgkmcnt(0)
	; wave barrier
	s_waitcnt lgkmcnt(0)
	s_and_saveexec_b64 s[4:5], vcc
	s_cbranch_execz .LBB126_105
; %bb.102:
	v_add_u32_e32 v132, -1, v0
	v_or_b32_e32 v133, 0x200, v1
	v_add_u32_e32 v134, 0, v1
	s_mov_b64 s[6:7], 0
	v_pk_mov_b32 v[128:129], 0, 0
.LBB126_103:                            ; =>This Inner Loop Header: Depth=1
	buffer_load_dword v136, v134, s[0:3], 0 offen
	buffer_load_dword v137, v134, s[0:3], 0 offen offset:4
	ds_read_b64 v[138:139], v133
	v_add_u32_e32 v132, 1, v132
	v_cmp_lt_u32_e32 vcc, 22, v132
	v_add_u32_e32 v133, 8, v133
	v_add_u32_e32 v134, 8, v134
	s_or_b64 s[6:7], vcc, s[6:7]
	s_waitcnt vmcnt(0) lgkmcnt(0)
	v_fmac_f64_e32 v[128:129], v[136:137], v[138:139]
	s_andn2_b64 exec, exec, s[6:7]
	s_cbranch_execnz .LBB126_103
; %bb.104:
	s_or_b64 exec, exec, s[6:7]
	v_mov_b32_e32 v132, 0
	ds_read_b64 v[132:133], v132 offset:192
	s_waitcnt lgkmcnt(0)
	v_mul_f64 v[128:129], v[128:129], v[132:133]
	buffer_store_dword v129, off, s[0:3], 0 offset:196
	buffer_store_dword v128, off, s[0:3], 0 offset:192
.LBB126_105:
	s_or_b64 exec, exec, s[4:5]
	s_waitcnt lgkmcnt(0)
	; wave barrier
	buffer_load_dword v128, off, s[0:3], 0 offset:200
	buffer_load_dword v129, off, s[0:3], 0 offset:204
	v_cmp_gt_u32_e32 vcc, 25, v0
	s_waitcnt vmcnt(0)
	ds_write_b64 v130, v[128:129]
	s_waitcnt lgkmcnt(0)
	; wave barrier
	s_waitcnt lgkmcnt(0)
	s_and_saveexec_b64 s[4:5], vcc
	s_cbranch_execz .LBB126_109
; %bb.106:
	v_add_u32_e32 v132, -1, v0
	v_or_b32_e32 v133, 0x200, v1
	v_add_u32_e32 v134, 0, v1
	s_mov_b64 s[6:7], 0
	v_pk_mov_b32 v[128:129], 0, 0
.LBB126_107:                            ; =>This Inner Loop Header: Depth=1
	buffer_load_dword v136, v134, s[0:3], 0 offen
	buffer_load_dword v137, v134, s[0:3], 0 offen offset:4
	ds_read_b64 v[138:139], v133
	v_add_u32_e32 v132, 1, v132
	v_cmp_lt_u32_e32 vcc, 23, v132
	v_add_u32_e32 v133, 8, v133
	v_add_u32_e32 v134, 8, v134
	s_or_b64 s[6:7], vcc, s[6:7]
	s_waitcnt vmcnt(0) lgkmcnt(0)
	v_fmac_f64_e32 v[128:129], v[136:137], v[138:139]
	s_andn2_b64 exec, exec, s[6:7]
	s_cbranch_execnz .LBB126_107
; %bb.108:
	s_or_b64 exec, exec, s[6:7]
	v_mov_b32_e32 v132, 0
	ds_read_b64 v[132:133], v132 offset:200
	s_waitcnt lgkmcnt(0)
	v_mul_f64 v[128:129], v[128:129], v[132:133]
	buffer_store_dword v129, off, s[0:3], 0 offset:204
	buffer_store_dword v128, off, s[0:3], 0 offset:200
.LBB126_109:
	s_or_b64 exec, exec, s[4:5]
	s_waitcnt lgkmcnt(0)
	; wave barrier
	buffer_load_dword v128, off, s[0:3], 0 offset:208
	buffer_load_dword v129, off, s[0:3], 0 offset:212
	v_cmp_gt_u32_e32 vcc, 26, v0
	s_waitcnt vmcnt(0)
	ds_write_b64 v130, v[128:129]
	s_waitcnt lgkmcnt(0)
	; wave barrier
	s_waitcnt lgkmcnt(0)
	s_and_saveexec_b64 s[4:5], vcc
	s_cbranch_execz .LBB126_113
; %bb.110:
	v_add_u32_e32 v132, -1, v0
	v_or_b32_e32 v133, 0x200, v1
	v_add_u32_e32 v134, 0, v1
	s_mov_b64 s[6:7], 0
	v_pk_mov_b32 v[128:129], 0, 0
.LBB126_111:                            ; =>This Inner Loop Header: Depth=1
	buffer_load_dword v136, v134, s[0:3], 0 offen
	buffer_load_dword v137, v134, s[0:3], 0 offen offset:4
	ds_read_b64 v[138:139], v133
	v_add_u32_e32 v132, 1, v132
	v_cmp_lt_u32_e32 vcc, 24, v132
	v_add_u32_e32 v133, 8, v133
	v_add_u32_e32 v134, 8, v134
	s_or_b64 s[6:7], vcc, s[6:7]
	s_waitcnt vmcnt(0) lgkmcnt(0)
	v_fmac_f64_e32 v[128:129], v[136:137], v[138:139]
	s_andn2_b64 exec, exec, s[6:7]
	s_cbranch_execnz .LBB126_111
; %bb.112:
	s_or_b64 exec, exec, s[6:7]
	v_mov_b32_e32 v132, 0
	ds_read_b64 v[132:133], v132 offset:208
	s_waitcnt lgkmcnt(0)
	v_mul_f64 v[128:129], v[128:129], v[132:133]
	buffer_store_dword v129, off, s[0:3], 0 offset:212
	buffer_store_dword v128, off, s[0:3], 0 offset:208
.LBB126_113:
	s_or_b64 exec, exec, s[4:5]
	s_waitcnt lgkmcnt(0)
	; wave barrier
	buffer_load_dword v128, off, s[0:3], 0 offset:216
	buffer_load_dword v129, off, s[0:3], 0 offset:220
	v_cmp_gt_u32_e32 vcc, 27, v0
	s_waitcnt vmcnt(0)
	ds_write_b64 v130, v[128:129]
	s_waitcnt lgkmcnt(0)
	; wave barrier
	s_waitcnt lgkmcnt(0)
	s_and_saveexec_b64 s[4:5], vcc
	s_cbranch_execz .LBB126_117
; %bb.114:
	v_add_u32_e32 v132, -1, v0
	v_or_b32_e32 v133, 0x200, v1
	v_add_u32_e32 v134, 0, v1
	s_mov_b64 s[6:7], 0
	v_pk_mov_b32 v[128:129], 0, 0
.LBB126_115:                            ; =>This Inner Loop Header: Depth=1
	buffer_load_dword v136, v134, s[0:3], 0 offen
	buffer_load_dword v137, v134, s[0:3], 0 offen offset:4
	ds_read_b64 v[138:139], v133
	v_add_u32_e32 v132, 1, v132
	v_cmp_lt_u32_e32 vcc, 25, v132
	v_add_u32_e32 v133, 8, v133
	v_add_u32_e32 v134, 8, v134
	s_or_b64 s[6:7], vcc, s[6:7]
	s_waitcnt vmcnt(0) lgkmcnt(0)
	v_fmac_f64_e32 v[128:129], v[136:137], v[138:139]
	s_andn2_b64 exec, exec, s[6:7]
	s_cbranch_execnz .LBB126_115
; %bb.116:
	s_or_b64 exec, exec, s[6:7]
	v_mov_b32_e32 v132, 0
	ds_read_b64 v[132:133], v132 offset:216
	s_waitcnt lgkmcnt(0)
	v_mul_f64 v[128:129], v[128:129], v[132:133]
	buffer_store_dword v129, off, s[0:3], 0 offset:220
	buffer_store_dword v128, off, s[0:3], 0 offset:216
.LBB126_117:
	s_or_b64 exec, exec, s[4:5]
	s_waitcnt lgkmcnt(0)
	; wave barrier
	buffer_load_dword v128, off, s[0:3], 0 offset:224
	buffer_load_dword v129, off, s[0:3], 0 offset:228
	v_cmp_gt_u32_e32 vcc, 28, v0
	s_waitcnt vmcnt(0)
	ds_write_b64 v130, v[128:129]
	s_waitcnt lgkmcnt(0)
	; wave barrier
	s_waitcnt lgkmcnt(0)
	s_and_saveexec_b64 s[4:5], vcc
	s_cbranch_execz .LBB126_121
; %bb.118:
	v_add_u32_e32 v132, -1, v0
	v_or_b32_e32 v133, 0x200, v1
	v_add_u32_e32 v134, 0, v1
	s_mov_b64 s[6:7], 0
	v_pk_mov_b32 v[128:129], 0, 0
.LBB126_119:                            ; =>This Inner Loop Header: Depth=1
	buffer_load_dword v136, v134, s[0:3], 0 offen
	buffer_load_dword v137, v134, s[0:3], 0 offen offset:4
	ds_read_b64 v[138:139], v133
	v_add_u32_e32 v132, 1, v132
	v_cmp_lt_u32_e32 vcc, 26, v132
	v_add_u32_e32 v133, 8, v133
	v_add_u32_e32 v134, 8, v134
	s_or_b64 s[6:7], vcc, s[6:7]
	s_waitcnt vmcnt(0) lgkmcnt(0)
	v_fmac_f64_e32 v[128:129], v[136:137], v[138:139]
	s_andn2_b64 exec, exec, s[6:7]
	s_cbranch_execnz .LBB126_119
; %bb.120:
	s_or_b64 exec, exec, s[6:7]
	v_mov_b32_e32 v132, 0
	ds_read_b64 v[132:133], v132 offset:224
	s_waitcnt lgkmcnt(0)
	v_mul_f64 v[128:129], v[128:129], v[132:133]
	buffer_store_dword v129, off, s[0:3], 0 offset:228
	buffer_store_dword v128, off, s[0:3], 0 offset:224
.LBB126_121:
	s_or_b64 exec, exec, s[4:5]
	s_waitcnt lgkmcnt(0)
	; wave barrier
	buffer_load_dword v128, off, s[0:3], 0 offset:232
	buffer_load_dword v129, off, s[0:3], 0 offset:236
	v_cmp_gt_u32_e32 vcc, 29, v0
	s_waitcnt vmcnt(0)
	ds_write_b64 v130, v[128:129]
	s_waitcnt lgkmcnt(0)
	; wave barrier
	s_waitcnt lgkmcnt(0)
	s_and_saveexec_b64 s[4:5], vcc
	s_cbranch_execz .LBB126_125
; %bb.122:
	v_add_u32_e32 v132, -1, v0
	v_or_b32_e32 v133, 0x200, v1
	v_add_u32_e32 v134, 0, v1
	s_mov_b64 s[6:7], 0
	v_pk_mov_b32 v[128:129], 0, 0
.LBB126_123:                            ; =>This Inner Loop Header: Depth=1
	buffer_load_dword v136, v134, s[0:3], 0 offen
	buffer_load_dword v137, v134, s[0:3], 0 offen offset:4
	ds_read_b64 v[138:139], v133
	v_add_u32_e32 v132, 1, v132
	v_cmp_lt_u32_e32 vcc, 27, v132
	v_add_u32_e32 v133, 8, v133
	v_add_u32_e32 v134, 8, v134
	s_or_b64 s[6:7], vcc, s[6:7]
	s_waitcnt vmcnt(0) lgkmcnt(0)
	v_fmac_f64_e32 v[128:129], v[136:137], v[138:139]
	s_andn2_b64 exec, exec, s[6:7]
	s_cbranch_execnz .LBB126_123
; %bb.124:
	s_or_b64 exec, exec, s[6:7]
	v_mov_b32_e32 v132, 0
	ds_read_b64 v[132:133], v132 offset:232
	s_waitcnt lgkmcnt(0)
	v_mul_f64 v[128:129], v[128:129], v[132:133]
	buffer_store_dword v129, off, s[0:3], 0 offset:236
	buffer_store_dword v128, off, s[0:3], 0 offset:232
.LBB126_125:
	s_or_b64 exec, exec, s[4:5]
	s_waitcnt lgkmcnt(0)
	; wave barrier
	buffer_load_dword v128, off, s[0:3], 0 offset:240
	buffer_load_dword v129, off, s[0:3], 0 offset:244
	v_cmp_gt_u32_e32 vcc, 30, v0
	s_waitcnt vmcnt(0)
	ds_write_b64 v130, v[128:129]
	s_waitcnt lgkmcnt(0)
	; wave barrier
	s_waitcnt lgkmcnt(0)
	s_and_saveexec_b64 s[4:5], vcc
	s_cbranch_execz .LBB126_129
; %bb.126:
	v_add_u32_e32 v132, -1, v0
	v_or_b32_e32 v133, 0x200, v1
	v_add_u32_e32 v134, 0, v1
	s_mov_b64 s[6:7], 0
	v_pk_mov_b32 v[128:129], 0, 0
.LBB126_127:                            ; =>This Inner Loop Header: Depth=1
	buffer_load_dword v136, v134, s[0:3], 0 offen
	buffer_load_dword v137, v134, s[0:3], 0 offen offset:4
	ds_read_b64 v[138:139], v133
	v_add_u32_e32 v132, 1, v132
	v_cmp_lt_u32_e32 vcc, 28, v132
	v_add_u32_e32 v133, 8, v133
	v_add_u32_e32 v134, 8, v134
	s_or_b64 s[6:7], vcc, s[6:7]
	s_waitcnt vmcnt(0) lgkmcnt(0)
	v_fmac_f64_e32 v[128:129], v[136:137], v[138:139]
	s_andn2_b64 exec, exec, s[6:7]
	s_cbranch_execnz .LBB126_127
; %bb.128:
	s_or_b64 exec, exec, s[6:7]
	v_mov_b32_e32 v132, 0
	ds_read_b64 v[132:133], v132 offset:240
	s_waitcnt lgkmcnt(0)
	v_mul_f64 v[128:129], v[128:129], v[132:133]
	buffer_store_dword v129, off, s[0:3], 0 offset:244
	buffer_store_dword v128, off, s[0:3], 0 offset:240
.LBB126_129:
	s_or_b64 exec, exec, s[4:5]
	s_waitcnt lgkmcnt(0)
	; wave barrier
	buffer_load_dword v128, off, s[0:3], 0 offset:248
	buffer_load_dword v129, off, s[0:3], 0 offset:252
	v_cmp_gt_u32_e32 vcc, 31, v0
	s_waitcnt vmcnt(0)
	ds_write_b64 v130, v[128:129]
	s_waitcnt lgkmcnt(0)
	; wave barrier
	s_waitcnt lgkmcnt(0)
	s_and_saveexec_b64 s[4:5], vcc
	s_cbranch_execz .LBB126_133
; %bb.130:
	v_add_u32_e32 v132, -1, v0
	v_or_b32_e32 v133, 0x200, v1
	v_add_u32_e32 v134, 0, v1
	s_mov_b64 s[6:7], 0
	v_pk_mov_b32 v[128:129], 0, 0
.LBB126_131:                            ; =>This Inner Loop Header: Depth=1
	buffer_load_dword v136, v134, s[0:3], 0 offen
	buffer_load_dword v137, v134, s[0:3], 0 offen offset:4
	ds_read_b64 v[138:139], v133
	v_add_u32_e32 v132, 1, v132
	v_cmp_lt_u32_e32 vcc, 29, v132
	v_add_u32_e32 v133, 8, v133
	v_add_u32_e32 v134, 8, v134
	s_or_b64 s[6:7], vcc, s[6:7]
	s_waitcnt vmcnt(0) lgkmcnt(0)
	v_fmac_f64_e32 v[128:129], v[136:137], v[138:139]
	s_andn2_b64 exec, exec, s[6:7]
	s_cbranch_execnz .LBB126_131
; %bb.132:
	s_or_b64 exec, exec, s[6:7]
	v_mov_b32_e32 v132, 0
	ds_read_b64 v[132:133], v132 offset:248
	s_waitcnt lgkmcnt(0)
	v_mul_f64 v[128:129], v[128:129], v[132:133]
	buffer_store_dword v129, off, s[0:3], 0 offset:252
	buffer_store_dword v128, off, s[0:3], 0 offset:248
.LBB126_133:
	s_or_b64 exec, exec, s[4:5]
	s_waitcnt lgkmcnt(0)
	; wave barrier
	buffer_load_dword v128, off, s[0:3], 0 offset:256
	buffer_load_dword v129, off, s[0:3], 0 offset:260
	v_cmp_gt_u32_e32 vcc, 32, v0
	s_waitcnt vmcnt(0)
	ds_write_b64 v130, v[128:129]
	s_waitcnt lgkmcnt(0)
	; wave barrier
	s_waitcnt lgkmcnt(0)
	s_and_saveexec_b64 s[4:5], vcc
	s_cbranch_execz .LBB126_137
; %bb.134:
	v_add_u32_e32 v132, -1, v0
	v_or_b32_e32 v133, 0x200, v1
	v_add_u32_e32 v134, 0, v1
	s_mov_b64 s[6:7], 0
	v_pk_mov_b32 v[128:129], 0, 0
.LBB126_135:                            ; =>This Inner Loop Header: Depth=1
	buffer_load_dword v136, v134, s[0:3], 0 offen
	buffer_load_dword v137, v134, s[0:3], 0 offen offset:4
	ds_read_b64 v[138:139], v133
	v_add_u32_e32 v132, 1, v132
	v_cmp_lt_u32_e32 vcc, 30, v132
	v_add_u32_e32 v133, 8, v133
	v_add_u32_e32 v134, 8, v134
	s_or_b64 s[6:7], vcc, s[6:7]
	s_waitcnt vmcnt(0) lgkmcnt(0)
	v_fmac_f64_e32 v[128:129], v[136:137], v[138:139]
	s_andn2_b64 exec, exec, s[6:7]
	s_cbranch_execnz .LBB126_135
; %bb.136:
	s_or_b64 exec, exec, s[6:7]
	v_mov_b32_e32 v132, 0
	ds_read_b64 v[132:133], v132 offset:256
	s_waitcnt lgkmcnt(0)
	v_mul_f64 v[128:129], v[128:129], v[132:133]
	buffer_store_dword v129, off, s[0:3], 0 offset:260
	buffer_store_dword v128, off, s[0:3], 0 offset:256
.LBB126_137:
	s_or_b64 exec, exec, s[4:5]
	s_waitcnt lgkmcnt(0)
	; wave barrier
	buffer_load_dword v128, off, s[0:3], 0 offset:264
	buffer_load_dword v129, off, s[0:3], 0 offset:268
	v_cmp_gt_u32_e32 vcc, 33, v0
	s_waitcnt vmcnt(0)
	ds_write_b64 v130, v[128:129]
	s_waitcnt lgkmcnt(0)
	; wave barrier
	s_waitcnt lgkmcnt(0)
	s_and_saveexec_b64 s[4:5], vcc
	s_cbranch_execz .LBB126_141
; %bb.138:
	v_add_u32_e32 v132, -1, v0
	v_or_b32_e32 v133, 0x200, v1
	v_add_u32_e32 v134, 0, v1
	s_mov_b64 s[6:7], 0
	v_pk_mov_b32 v[128:129], 0, 0
.LBB126_139:                            ; =>This Inner Loop Header: Depth=1
	buffer_load_dword v136, v134, s[0:3], 0 offen
	buffer_load_dword v137, v134, s[0:3], 0 offen offset:4
	ds_read_b64 v[138:139], v133
	v_add_u32_e32 v132, 1, v132
	v_cmp_lt_u32_e32 vcc, 31, v132
	v_add_u32_e32 v133, 8, v133
	v_add_u32_e32 v134, 8, v134
	s_or_b64 s[6:7], vcc, s[6:7]
	s_waitcnt vmcnt(0) lgkmcnt(0)
	v_fmac_f64_e32 v[128:129], v[136:137], v[138:139]
	s_andn2_b64 exec, exec, s[6:7]
	s_cbranch_execnz .LBB126_139
; %bb.140:
	s_or_b64 exec, exec, s[6:7]
	v_mov_b32_e32 v132, 0
	ds_read_b64 v[132:133], v132 offset:264
	s_waitcnt lgkmcnt(0)
	v_mul_f64 v[128:129], v[128:129], v[132:133]
	buffer_store_dword v129, off, s[0:3], 0 offset:268
	buffer_store_dword v128, off, s[0:3], 0 offset:264
.LBB126_141:
	s_or_b64 exec, exec, s[4:5]
	s_waitcnt lgkmcnt(0)
	; wave barrier
	buffer_load_dword v128, off, s[0:3], 0 offset:272
	buffer_load_dword v129, off, s[0:3], 0 offset:276
	v_cmp_gt_u32_e32 vcc, 34, v0
	s_waitcnt vmcnt(0)
	ds_write_b64 v130, v[128:129]
	s_waitcnt lgkmcnt(0)
	; wave barrier
	s_waitcnt lgkmcnt(0)
	s_and_saveexec_b64 s[4:5], vcc
	s_cbranch_execz .LBB126_145
; %bb.142:
	v_add_u32_e32 v132, -1, v0
	v_or_b32_e32 v133, 0x200, v1
	v_add_u32_e32 v134, 0, v1
	s_mov_b64 s[6:7], 0
	v_pk_mov_b32 v[128:129], 0, 0
.LBB126_143:                            ; =>This Inner Loop Header: Depth=1
	buffer_load_dword v136, v134, s[0:3], 0 offen
	buffer_load_dword v137, v134, s[0:3], 0 offen offset:4
	ds_read_b64 v[138:139], v133
	v_add_u32_e32 v132, 1, v132
	v_cmp_lt_u32_e32 vcc, 32, v132
	v_add_u32_e32 v133, 8, v133
	v_add_u32_e32 v134, 8, v134
	s_or_b64 s[6:7], vcc, s[6:7]
	s_waitcnt vmcnt(0) lgkmcnt(0)
	v_fmac_f64_e32 v[128:129], v[136:137], v[138:139]
	s_andn2_b64 exec, exec, s[6:7]
	s_cbranch_execnz .LBB126_143
; %bb.144:
	s_or_b64 exec, exec, s[6:7]
	v_mov_b32_e32 v132, 0
	ds_read_b64 v[132:133], v132 offset:272
	s_waitcnt lgkmcnt(0)
	v_mul_f64 v[128:129], v[128:129], v[132:133]
	buffer_store_dword v129, off, s[0:3], 0 offset:276
	buffer_store_dword v128, off, s[0:3], 0 offset:272
.LBB126_145:
	s_or_b64 exec, exec, s[4:5]
	s_waitcnt lgkmcnt(0)
	; wave barrier
	buffer_load_dword v128, off, s[0:3], 0 offset:280
	buffer_load_dword v129, off, s[0:3], 0 offset:284
	v_cmp_gt_u32_e32 vcc, 35, v0
	s_waitcnt vmcnt(0)
	ds_write_b64 v130, v[128:129]
	s_waitcnt lgkmcnt(0)
	; wave barrier
	s_waitcnt lgkmcnt(0)
	s_and_saveexec_b64 s[4:5], vcc
	s_cbranch_execz .LBB126_149
; %bb.146:
	v_add_u32_e32 v132, -1, v0
	v_or_b32_e32 v133, 0x200, v1
	v_add_u32_e32 v134, 0, v1
	s_mov_b64 s[6:7], 0
	v_pk_mov_b32 v[128:129], 0, 0
.LBB126_147:                            ; =>This Inner Loop Header: Depth=1
	buffer_load_dword v136, v134, s[0:3], 0 offen
	buffer_load_dword v137, v134, s[0:3], 0 offen offset:4
	ds_read_b64 v[138:139], v133
	v_add_u32_e32 v132, 1, v132
	v_cmp_lt_u32_e32 vcc, 33, v132
	v_add_u32_e32 v133, 8, v133
	v_add_u32_e32 v134, 8, v134
	s_or_b64 s[6:7], vcc, s[6:7]
	s_waitcnt vmcnt(0) lgkmcnt(0)
	v_fmac_f64_e32 v[128:129], v[136:137], v[138:139]
	s_andn2_b64 exec, exec, s[6:7]
	s_cbranch_execnz .LBB126_147
; %bb.148:
	s_or_b64 exec, exec, s[6:7]
	v_mov_b32_e32 v132, 0
	ds_read_b64 v[132:133], v132 offset:280
	s_waitcnt lgkmcnt(0)
	v_mul_f64 v[128:129], v[128:129], v[132:133]
	buffer_store_dword v129, off, s[0:3], 0 offset:284
	buffer_store_dword v128, off, s[0:3], 0 offset:280
.LBB126_149:
	s_or_b64 exec, exec, s[4:5]
	s_waitcnt lgkmcnt(0)
	; wave barrier
	buffer_load_dword v128, off, s[0:3], 0 offset:288
	buffer_load_dword v129, off, s[0:3], 0 offset:292
	v_cmp_gt_u32_e32 vcc, 36, v0
	s_waitcnt vmcnt(0)
	ds_write_b64 v130, v[128:129]
	s_waitcnt lgkmcnt(0)
	; wave barrier
	s_waitcnt lgkmcnt(0)
	s_and_saveexec_b64 s[4:5], vcc
	s_cbranch_execz .LBB126_153
; %bb.150:
	v_add_u32_e32 v132, -1, v0
	v_or_b32_e32 v133, 0x200, v1
	v_add_u32_e32 v134, 0, v1
	s_mov_b64 s[6:7], 0
	v_pk_mov_b32 v[128:129], 0, 0
.LBB126_151:                            ; =>This Inner Loop Header: Depth=1
	buffer_load_dword v136, v134, s[0:3], 0 offen
	buffer_load_dword v137, v134, s[0:3], 0 offen offset:4
	ds_read_b64 v[138:139], v133
	v_add_u32_e32 v132, 1, v132
	v_cmp_lt_u32_e32 vcc, 34, v132
	v_add_u32_e32 v133, 8, v133
	v_add_u32_e32 v134, 8, v134
	s_or_b64 s[6:7], vcc, s[6:7]
	s_waitcnt vmcnt(0) lgkmcnt(0)
	v_fmac_f64_e32 v[128:129], v[136:137], v[138:139]
	s_andn2_b64 exec, exec, s[6:7]
	s_cbranch_execnz .LBB126_151
; %bb.152:
	s_or_b64 exec, exec, s[6:7]
	v_mov_b32_e32 v132, 0
	ds_read_b64 v[132:133], v132 offset:288
	s_waitcnt lgkmcnt(0)
	v_mul_f64 v[128:129], v[128:129], v[132:133]
	buffer_store_dword v129, off, s[0:3], 0 offset:292
	buffer_store_dword v128, off, s[0:3], 0 offset:288
.LBB126_153:
	s_or_b64 exec, exec, s[4:5]
	s_waitcnt lgkmcnt(0)
	; wave barrier
	buffer_load_dword v128, off, s[0:3], 0 offset:296
	buffer_load_dword v129, off, s[0:3], 0 offset:300
	v_cmp_gt_u32_e32 vcc, 37, v0
	s_waitcnt vmcnt(0)
	ds_write_b64 v130, v[128:129]
	s_waitcnt lgkmcnt(0)
	; wave barrier
	s_waitcnt lgkmcnt(0)
	s_and_saveexec_b64 s[4:5], vcc
	s_cbranch_execz .LBB126_157
; %bb.154:
	v_add_u32_e32 v132, -1, v0
	v_or_b32_e32 v133, 0x200, v1
	v_add_u32_e32 v134, 0, v1
	s_mov_b64 s[6:7], 0
	v_pk_mov_b32 v[128:129], 0, 0
.LBB126_155:                            ; =>This Inner Loop Header: Depth=1
	buffer_load_dword v136, v134, s[0:3], 0 offen
	buffer_load_dword v137, v134, s[0:3], 0 offen offset:4
	ds_read_b64 v[138:139], v133
	v_add_u32_e32 v132, 1, v132
	v_cmp_lt_u32_e32 vcc, 35, v132
	v_add_u32_e32 v133, 8, v133
	v_add_u32_e32 v134, 8, v134
	s_or_b64 s[6:7], vcc, s[6:7]
	s_waitcnt vmcnt(0) lgkmcnt(0)
	v_fmac_f64_e32 v[128:129], v[136:137], v[138:139]
	s_andn2_b64 exec, exec, s[6:7]
	s_cbranch_execnz .LBB126_155
; %bb.156:
	s_or_b64 exec, exec, s[6:7]
	v_mov_b32_e32 v132, 0
	ds_read_b64 v[132:133], v132 offset:296
	s_waitcnt lgkmcnt(0)
	v_mul_f64 v[128:129], v[128:129], v[132:133]
	buffer_store_dword v129, off, s[0:3], 0 offset:300
	buffer_store_dword v128, off, s[0:3], 0 offset:296
.LBB126_157:
	s_or_b64 exec, exec, s[4:5]
	s_waitcnt lgkmcnt(0)
	; wave barrier
	buffer_load_dword v128, off, s[0:3], 0 offset:304
	buffer_load_dword v129, off, s[0:3], 0 offset:308
	v_cmp_gt_u32_e32 vcc, 38, v0
	s_waitcnt vmcnt(0)
	ds_write_b64 v130, v[128:129]
	s_waitcnt lgkmcnt(0)
	; wave barrier
	s_waitcnt lgkmcnt(0)
	s_and_saveexec_b64 s[4:5], vcc
	s_cbranch_execz .LBB126_161
; %bb.158:
	v_add_u32_e32 v132, -1, v0
	v_or_b32_e32 v133, 0x200, v1
	v_add_u32_e32 v134, 0, v1
	s_mov_b64 s[6:7], 0
	v_pk_mov_b32 v[128:129], 0, 0
.LBB126_159:                            ; =>This Inner Loop Header: Depth=1
	buffer_load_dword v136, v134, s[0:3], 0 offen
	buffer_load_dword v137, v134, s[0:3], 0 offen offset:4
	ds_read_b64 v[138:139], v133
	v_add_u32_e32 v132, 1, v132
	v_cmp_lt_u32_e32 vcc, 36, v132
	v_add_u32_e32 v133, 8, v133
	v_add_u32_e32 v134, 8, v134
	s_or_b64 s[6:7], vcc, s[6:7]
	s_waitcnt vmcnt(0) lgkmcnt(0)
	v_fmac_f64_e32 v[128:129], v[136:137], v[138:139]
	s_andn2_b64 exec, exec, s[6:7]
	s_cbranch_execnz .LBB126_159
; %bb.160:
	s_or_b64 exec, exec, s[6:7]
	v_mov_b32_e32 v132, 0
	ds_read_b64 v[132:133], v132 offset:304
	s_waitcnt lgkmcnt(0)
	v_mul_f64 v[128:129], v[128:129], v[132:133]
	buffer_store_dword v129, off, s[0:3], 0 offset:308
	buffer_store_dword v128, off, s[0:3], 0 offset:304
.LBB126_161:
	s_or_b64 exec, exec, s[4:5]
	s_waitcnt lgkmcnt(0)
	; wave barrier
	buffer_load_dword v128, off, s[0:3], 0 offset:312
	buffer_load_dword v129, off, s[0:3], 0 offset:316
	v_cmp_gt_u32_e32 vcc, 39, v0
	s_waitcnt vmcnt(0)
	ds_write_b64 v130, v[128:129]
	s_waitcnt lgkmcnt(0)
	; wave barrier
	s_waitcnt lgkmcnt(0)
	s_and_saveexec_b64 s[4:5], vcc
	s_cbranch_execz .LBB126_165
; %bb.162:
	v_add_u32_e32 v132, -1, v0
	v_or_b32_e32 v133, 0x200, v1
	v_add_u32_e32 v134, 0, v1
	s_mov_b64 s[6:7], 0
	v_pk_mov_b32 v[128:129], 0, 0
.LBB126_163:                            ; =>This Inner Loop Header: Depth=1
	buffer_load_dword v136, v134, s[0:3], 0 offen
	buffer_load_dword v137, v134, s[0:3], 0 offen offset:4
	ds_read_b64 v[138:139], v133
	v_add_u32_e32 v132, 1, v132
	v_cmp_lt_u32_e32 vcc, 37, v132
	v_add_u32_e32 v133, 8, v133
	v_add_u32_e32 v134, 8, v134
	s_or_b64 s[6:7], vcc, s[6:7]
	s_waitcnt vmcnt(0) lgkmcnt(0)
	v_fmac_f64_e32 v[128:129], v[136:137], v[138:139]
	s_andn2_b64 exec, exec, s[6:7]
	s_cbranch_execnz .LBB126_163
; %bb.164:
	s_or_b64 exec, exec, s[6:7]
	v_mov_b32_e32 v132, 0
	ds_read_b64 v[132:133], v132 offset:312
	s_waitcnt lgkmcnt(0)
	v_mul_f64 v[128:129], v[128:129], v[132:133]
	buffer_store_dword v129, off, s[0:3], 0 offset:316
	buffer_store_dword v128, off, s[0:3], 0 offset:312
.LBB126_165:
	s_or_b64 exec, exec, s[4:5]
	s_waitcnt lgkmcnt(0)
	; wave barrier
	buffer_load_dword v128, off, s[0:3], 0 offset:320
	buffer_load_dword v129, off, s[0:3], 0 offset:324
	v_cmp_gt_u32_e32 vcc, 40, v0
	s_waitcnt vmcnt(0)
	ds_write_b64 v130, v[128:129]
	s_waitcnt lgkmcnt(0)
	; wave barrier
	s_waitcnt lgkmcnt(0)
	s_and_saveexec_b64 s[4:5], vcc
	s_cbranch_execz .LBB126_169
; %bb.166:
	v_add_u32_e32 v132, -1, v0
	v_or_b32_e32 v133, 0x200, v1
	v_add_u32_e32 v134, 0, v1
	s_mov_b64 s[6:7], 0
	v_pk_mov_b32 v[128:129], 0, 0
.LBB126_167:                            ; =>This Inner Loop Header: Depth=1
	buffer_load_dword v136, v134, s[0:3], 0 offen
	buffer_load_dword v137, v134, s[0:3], 0 offen offset:4
	ds_read_b64 v[138:139], v133
	v_add_u32_e32 v132, 1, v132
	v_cmp_lt_u32_e32 vcc, 38, v132
	v_add_u32_e32 v133, 8, v133
	v_add_u32_e32 v134, 8, v134
	s_or_b64 s[6:7], vcc, s[6:7]
	s_waitcnt vmcnt(0) lgkmcnt(0)
	v_fmac_f64_e32 v[128:129], v[136:137], v[138:139]
	s_andn2_b64 exec, exec, s[6:7]
	s_cbranch_execnz .LBB126_167
; %bb.168:
	s_or_b64 exec, exec, s[6:7]
	v_mov_b32_e32 v132, 0
	ds_read_b64 v[132:133], v132 offset:320
	s_waitcnt lgkmcnt(0)
	v_mul_f64 v[128:129], v[128:129], v[132:133]
	buffer_store_dword v129, off, s[0:3], 0 offset:324
	buffer_store_dword v128, off, s[0:3], 0 offset:320
.LBB126_169:
	s_or_b64 exec, exec, s[4:5]
	s_waitcnt lgkmcnt(0)
	; wave barrier
	buffer_load_dword v128, off, s[0:3], 0 offset:328
	buffer_load_dword v129, off, s[0:3], 0 offset:332
	v_cmp_gt_u32_e32 vcc, 41, v0
	s_waitcnt vmcnt(0)
	ds_write_b64 v130, v[128:129]
	s_waitcnt lgkmcnt(0)
	; wave barrier
	s_waitcnt lgkmcnt(0)
	s_and_saveexec_b64 s[4:5], vcc
	s_cbranch_execz .LBB126_173
; %bb.170:
	v_add_u32_e32 v132, -1, v0
	v_or_b32_e32 v133, 0x200, v1
	v_add_u32_e32 v134, 0, v1
	s_mov_b64 s[6:7], 0
	v_pk_mov_b32 v[128:129], 0, 0
.LBB126_171:                            ; =>This Inner Loop Header: Depth=1
	buffer_load_dword v136, v134, s[0:3], 0 offen
	buffer_load_dword v137, v134, s[0:3], 0 offen offset:4
	ds_read_b64 v[138:139], v133
	v_add_u32_e32 v132, 1, v132
	v_cmp_lt_u32_e32 vcc, 39, v132
	v_add_u32_e32 v133, 8, v133
	v_add_u32_e32 v134, 8, v134
	s_or_b64 s[6:7], vcc, s[6:7]
	s_waitcnt vmcnt(0) lgkmcnt(0)
	v_fmac_f64_e32 v[128:129], v[136:137], v[138:139]
	s_andn2_b64 exec, exec, s[6:7]
	s_cbranch_execnz .LBB126_171
; %bb.172:
	s_or_b64 exec, exec, s[6:7]
	v_mov_b32_e32 v132, 0
	ds_read_b64 v[132:133], v132 offset:328
	s_waitcnt lgkmcnt(0)
	v_mul_f64 v[128:129], v[128:129], v[132:133]
	buffer_store_dword v129, off, s[0:3], 0 offset:332
	buffer_store_dword v128, off, s[0:3], 0 offset:328
.LBB126_173:
	s_or_b64 exec, exec, s[4:5]
	s_waitcnt lgkmcnt(0)
	; wave barrier
	buffer_load_dword v128, off, s[0:3], 0 offset:336
	buffer_load_dword v129, off, s[0:3], 0 offset:340
	v_cmp_gt_u32_e32 vcc, 42, v0
	s_waitcnt vmcnt(0)
	ds_write_b64 v130, v[128:129]
	s_waitcnt lgkmcnt(0)
	; wave barrier
	s_waitcnt lgkmcnt(0)
	s_and_saveexec_b64 s[4:5], vcc
	s_cbranch_execz .LBB126_177
; %bb.174:
	v_add_u32_e32 v132, -1, v0
	v_or_b32_e32 v133, 0x200, v1
	v_add_u32_e32 v134, 0, v1
	s_mov_b64 s[6:7], 0
	v_pk_mov_b32 v[128:129], 0, 0
.LBB126_175:                            ; =>This Inner Loop Header: Depth=1
	buffer_load_dword v136, v134, s[0:3], 0 offen
	buffer_load_dword v137, v134, s[0:3], 0 offen offset:4
	ds_read_b64 v[138:139], v133
	v_add_u32_e32 v132, 1, v132
	v_cmp_lt_u32_e32 vcc, 40, v132
	v_add_u32_e32 v133, 8, v133
	v_add_u32_e32 v134, 8, v134
	s_or_b64 s[6:7], vcc, s[6:7]
	s_waitcnt vmcnt(0) lgkmcnt(0)
	v_fmac_f64_e32 v[128:129], v[136:137], v[138:139]
	s_andn2_b64 exec, exec, s[6:7]
	s_cbranch_execnz .LBB126_175
; %bb.176:
	s_or_b64 exec, exec, s[6:7]
	v_mov_b32_e32 v132, 0
	ds_read_b64 v[132:133], v132 offset:336
	s_waitcnt lgkmcnt(0)
	v_mul_f64 v[128:129], v[128:129], v[132:133]
	buffer_store_dword v129, off, s[0:3], 0 offset:340
	buffer_store_dword v128, off, s[0:3], 0 offset:336
.LBB126_177:
	s_or_b64 exec, exec, s[4:5]
	s_waitcnt lgkmcnt(0)
	; wave barrier
	buffer_load_dword v128, off, s[0:3], 0 offset:344
	buffer_load_dword v129, off, s[0:3], 0 offset:348
	v_cmp_gt_u32_e32 vcc, 43, v0
	s_waitcnt vmcnt(0)
	ds_write_b64 v130, v[128:129]
	s_waitcnt lgkmcnt(0)
	; wave barrier
	s_waitcnt lgkmcnt(0)
	s_and_saveexec_b64 s[4:5], vcc
	s_cbranch_execz .LBB126_181
; %bb.178:
	v_add_u32_e32 v132, -1, v0
	v_or_b32_e32 v133, 0x200, v1
	v_add_u32_e32 v134, 0, v1
	s_mov_b64 s[6:7], 0
	v_pk_mov_b32 v[128:129], 0, 0
.LBB126_179:                            ; =>This Inner Loop Header: Depth=1
	buffer_load_dword v136, v134, s[0:3], 0 offen
	buffer_load_dword v137, v134, s[0:3], 0 offen offset:4
	ds_read_b64 v[138:139], v133
	v_add_u32_e32 v132, 1, v132
	v_cmp_lt_u32_e32 vcc, 41, v132
	v_add_u32_e32 v133, 8, v133
	v_add_u32_e32 v134, 8, v134
	s_or_b64 s[6:7], vcc, s[6:7]
	s_waitcnt vmcnt(0) lgkmcnt(0)
	v_fmac_f64_e32 v[128:129], v[136:137], v[138:139]
	s_andn2_b64 exec, exec, s[6:7]
	s_cbranch_execnz .LBB126_179
; %bb.180:
	s_or_b64 exec, exec, s[6:7]
	v_mov_b32_e32 v132, 0
	ds_read_b64 v[132:133], v132 offset:344
	s_waitcnt lgkmcnt(0)
	v_mul_f64 v[128:129], v[128:129], v[132:133]
	buffer_store_dword v129, off, s[0:3], 0 offset:348
	buffer_store_dword v128, off, s[0:3], 0 offset:344
.LBB126_181:
	s_or_b64 exec, exec, s[4:5]
	s_waitcnt lgkmcnt(0)
	; wave barrier
	buffer_load_dword v128, off, s[0:3], 0 offset:352
	buffer_load_dword v129, off, s[0:3], 0 offset:356
	v_cmp_gt_u32_e32 vcc, 44, v0
	s_waitcnt vmcnt(0)
	ds_write_b64 v130, v[128:129]
	s_waitcnt lgkmcnt(0)
	; wave barrier
	s_waitcnt lgkmcnt(0)
	s_and_saveexec_b64 s[4:5], vcc
	s_cbranch_execz .LBB126_185
; %bb.182:
	v_add_u32_e32 v132, -1, v0
	v_or_b32_e32 v133, 0x200, v1
	v_add_u32_e32 v134, 0, v1
	s_mov_b64 s[6:7], 0
	v_pk_mov_b32 v[128:129], 0, 0
.LBB126_183:                            ; =>This Inner Loop Header: Depth=1
	buffer_load_dword v136, v134, s[0:3], 0 offen
	buffer_load_dword v137, v134, s[0:3], 0 offen offset:4
	ds_read_b64 v[138:139], v133
	v_add_u32_e32 v132, 1, v132
	v_cmp_lt_u32_e32 vcc, 42, v132
	v_add_u32_e32 v133, 8, v133
	v_add_u32_e32 v134, 8, v134
	s_or_b64 s[6:7], vcc, s[6:7]
	s_waitcnt vmcnt(0) lgkmcnt(0)
	v_fmac_f64_e32 v[128:129], v[136:137], v[138:139]
	s_andn2_b64 exec, exec, s[6:7]
	s_cbranch_execnz .LBB126_183
; %bb.184:
	s_or_b64 exec, exec, s[6:7]
	v_mov_b32_e32 v132, 0
	ds_read_b64 v[132:133], v132 offset:352
	s_waitcnt lgkmcnt(0)
	v_mul_f64 v[128:129], v[128:129], v[132:133]
	buffer_store_dword v129, off, s[0:3], 0 offset:356
	buffer_store_dword v128, off, s[0:3], 0 offset:352
.LBB126_185:
	s_or_b64 exec, exec, s[4:5]
	s_waitcnt lgkmcnt(0)
	; wave barrier
	buffer_load_dword v128, off, s[0:3], 0 offset:360
	buffer_load_dword v129, off, s[0:3], 0 offset:364
	v_cmp_gt_u32_e32 vcc, 45, v0
	s_waitcnt vmcnt(0)
	ds_write_b64 v130, v[128:129]
	s_waitcnt lgkmcnt(0)
	; wave barrier
	s_waitcnt lgkmcnt(0)
	s_and_saveexec_b64 s[4:5], vcc
	s_cbranch_execz .LBB126_189
; %bb.186:
	v_add_u32_e32 v132, -1, v0
	v_or_b32_e32 v133, 0x200, v1
	v_add_u32_e32 v134, 0, v1
	s_mov_b64 s[6:7], 0
	v_pk_mov_b32 v[128:129], 0, 0
.LBB126_187:                            ; =>This Inner Loop Header: Depth=1
	buffer_load_dword v136, v134, s[0:3], 0 offen
	buffer_load_dword v137, v134, s[0:3], 0 offen offset:4
	ds_read_b64 v[138:139], v133
	v_add_u32_e32 v132, 1, v132
	v_cmp_lt_u32_e32 vcc, 43, v132
	v_add_u32_e32 v133, 8, v133
	v_add_u32_e32 v134, 8, v134
	s_or_b64 s[6:7], vcc, s[6:7]
	s_waitcnt vmcnt(0) lgkmcnt(0)
	v_fmac_f64_e32 v[128:129], v[136:137], v[138:139]
	s_andn2_b64 exec, exec, s[6:7]
	s_cbranch_execnz .LBB126_187
; %bb.188:
	s_or_b64 exec, exec, s[6:7]
	v_mov_b32_e32 v132, 0
	ds_read_b64 v[132:133], v132 offset:360
	s_waitcnt lgkmcnt(0)
	v_mul_f64 v[128:129], v[128:129], v[132:133]
	buffer_store_dword v129, off, s[0:3], 0 offset:364
	buffer_store_dword v128, off, s[0:3], 0 offset:360
.LBB126_189:
	s_or_b64 exec, exec, s[4:5]
	s_waitcnt lgkmcnt(0)
	; wave barrier
	buffer_load_dword v128, off, s[0:3], 0 offset:368
	buffer_load_dword v129, off, s[0:3], 0 offset:372
	v_cmp_gt_u32_e32 vcc, 46, v0
	s_waitcnt vmcnt(0)
	ds_write_b64 v130, v[128:129]
	s_waitcnt lgkmcnt(0)
	; wave barrier
	s_waitcnt lgkmcnt(0)
	s_and_saveexec_b64 s[4:5], vcc
	s_cbranch_execz .LBB126_193
; %bb.190:
	v_add_u32_e32 v132, -1, v0
	v_or_b32_e32 v133, 0x200, v1
	v_add_u32_e32 v134, 0, v1
	s_mov_b64 s[6:7], 0
	v_pk_mov_b32 v[128:129], 0, 0
.LBB126_191:                            ; =>This Inner Loop Header: Depth=1
	buffer_load_dword v136, v134, s[0:3], 0 offen
	buffer_load_dword v137, v134, s[0:3], 0 offen offset:4
	ds_read_b64 v[138:139], v133
	v_add_u32_e32 v132, 1, v132
	v_cmp_lt_u32_e32 vcc, 44, v132
	v_add_u32_e32 v133, 8, v133
	v_add_u32_e32 v134, 8, v134
	s_or_b64 s[6:7], vcc, s[6:7]
	s_waitcnt vmcnt(0) lgkmcnt(0)
	v_fmac_f64_e32 v[128:129], v[136:137], v[138:139]
	s_andn2_b64 exec, exec, s[6:7]
	s_cbranch_execnz .LBB126_191
; %bb.192:
	s_or_b64 exec, exec, s[6:7]
	v_mov_b32_e32 v132, 0
	ds_read_b64 v[132:133], v132 offset:368
	s_waitcnt lgkmcnt(0)
	v_mul_f64 v[128:129], v[128:129], v[132:133]
	buffer_store_dword v129, off, s[0:3], 0 offset:372
	buffer_store_dword v128, off, s[0:3], 0 offset:368
.LBB126_193:
	s_or_b64 exec, exec, s[4:5]
	s_waitcnt lgkmcnt(0)
	; wave barrier
	buffer_load_dword v128, off, s[0:3], 0 offset:376
	buffer_load_dword v129, off, s[0:3], 0 offset:380
	v_cmp_gt_u32_e32 vcc, 47, v0
	s_waitcnt vmcnt(0)
	ds_write_b64 v130, v[128:129]
	s_waitcnt lgkmcnt(0)
	; wave barrier
	s_waitcnt lgkmcnt(0)
	s_and_saveexec_b64 s[4:5], vcc
	s_cbranch_execz .LBB126_197
; %bb.194:
	v_add_u32_e32 v132, -1, v0
	v_or_b32_e32 v133, 0x200, v1
	v_add_u32_e32 v134, 0, v1
	s_mov_b64 s[6:7], 0
	v_pk_mov_b32 v[128:129], 0, 0
.LBB126_195:                            ; =>This Inner Loop Header: Depth=1
	buffer_load_dword v136, v134, s[0:3], 0 offen
	buffer_load_dword v137, v134, s[0:3], 0 offen offset:4
	ds_read_b64 v[138:139], v133
	v_add_u32_e32 v132, 1, v132
	v_cmp_lt_u32_e32 vcc, 45, v132
	v_add_u32_e32 v133, 8, v133
	v_add_u32_e32 v134, 8, v134
	s_or_b64 s[6:7], vcc, s[6:7]
	s_waitcnt vmcnt(0) lgkmcnt(0)
	v_fmac_f64_e32 v[128:129], v[136:137], v[138:139]
	s_andn2_b64 exec, exec, s[6:7]
	s_cbranch_execnz .LBB126_195
; %bb.196:
	s_or_b64 exec, exec, s[6:7]
	v_mov_b32_e32 v132, 0
	ds_read_b64 v[132:133], v132 offset:376
	s_waitcnt lgkmcnt(0)
	v_mul_f64 v[128:129], v[128:129], v[132:133]
	buffer_store_dword v129, off, s[0:3], 0 offset:380
	buffer_store_dword v128, off, s[0:3], 0 offset:376
.LBB126_197:
	s_or_b64 exec, exec, s[4:5]
	s_waitcnt lgkmcnt(0)
	; wave barrier
	buffer_load_dword v128, off, s[0:3], 0 offset:384
	buffer_load_dword v129, off, s[0:3], 0 offset:388
	v_cmp_gt_u32_e32 vcc, 48, v0
	s_waitcnt vmcnt(0)
	ds_write_b64 v130, v[128:129]
	s_waitcnt lgkmcnt(0)
	; wave barrier
	s_waitcnt lgkmcnt(0)
	s_and_saveexec_b64 s[4:5], vcc
	s_cbranch_execz .LBB126_201
; %bb.198:
	v_add_u32_e32 v132, -1, v0
	v_or_b32_e32 v133, 0x200, v1
	v_add_u32_e32 v134, 0, v1
	s_mov_b64 s[6:7], 0
	v_pk_mov_b32 v[128:129], 0, 0
.LBB126_199:                            ; =>This Inner Loop Header: Depth=1
	buffer_load_dword v136, v134, s[0:3], 0 offen
	buffer_load_dword v137, v134, s[0:3], 0 offen offset:4
	ds_read_b64 v[138:139], v133
	v_add_u32_e32 v132, 1, v132
	v_cmp_lt_u32_e32 vcc, 46, v132
	v_add_u32_e32 v133, 8, v133
	v_add_u32_e32 v134, 8, v134
	s_or_b64 s[6:7], vcc, s[6:7]
	s_waitcnt vmcnt(0) lgkmcnt(0)
	v_fmac_f64_e32 v[128:129], v[136:137], v[138:139]
	s_andn2_b64 exec, exec, s[6:7]
	s_cbranch_execnz .LBB126_199
; %bb.200:
	s_or_b64 exec, exec, s[6:7]
	v_mov_b32_e32 v132, 0
	ds_read_b64 v[132:133], v132 offset:384
	s_waitcnt lgkmcnt(0)
	v_mul_f64 v[128:129], v[128:129], v[132:133]
	buffer_store_dword v129, off, s[0:3], 0 offset:388
	buffer_store_dword v128, off, s[0:3], 0 offset:384
.LBB126_201:
	s_or_b64 exec, exec, s[4:5]
	s_waitcnt lgkmcnt(0)
	; wave barrier
	buffer_load_dword v128, off, s[0:3], 0 offset:392
	buffer_load_dword v129, off, s[0:3], 0 offset:396
	v_cmp_gt_u32_e32 vcc, 49, v0
	s_waitcnt vmcnt(0)
	ds_write_b64 v130, v[128:129]
	s_waitcnt lgkmcnt(0)
	; wave barrier
	s_waitcnt lgkmcnt(0)
	s_and_saveexec_b64 s[4:5], vcc
	s_cbranch_execz .LBB126_205
; %bb.202:
	v_add_u32_e32 v132, -1, v0
	v_or_b32_e32 v133, 0x200, v1
	v_add_u32_e32 v134, 0, v1
	s_mov_b64 s[6:7], 0
	v_pk_mov_b32 v[128:129], 0, 0
.LBB126_203:                            ; =>This Inner Loop Header: Depth=1
	buffer_load_dword v136, v134, s[0:3], 0 offen
	buffer_load_dword v137, v134, s[0:3], 0 offen offset:4
	ds_read_b64 v[138:139], v133
	v_add_u32_e32 v132, 1, v132
	v_cmp_lt_u32_e32 vcc, 47, v132
	v_add_u32_e32 v133, 8, v133
	v_add_u32_e32 v134, 8, v134
	s_or_b64 s[6:7], vcc, s[6:7]
	s_waitcnt vmcnt(0) lgkmcnt(0)
	v_fmac_f64_e32 v[128:129], v[136:137], v[138:139]
	s_andn2_b64 exec, exec, s[6:7]
	s_cbranch_execnz .LBB126_203
; %bb.204:
	s_or_b64 exec, exec, s[6:7]
	v_mov_b32_e32 v132, 0
	ds_read_b64 v[132:133], v132 offset:392
	s_waitcnt lgkmcnt(0)
	v_mul_f64 v[128:129], v[128:129], v[132:133]
	buffer_store_dword v129, off, s[0:3], 0 offset:396
	buffer_store_dword v128, off, s[0:3], 0 offset:392
.LBB126_205:
	s_or_b64 exec, exec, s[4:5]
	s_waitcnt lgkmcnt(0)
	; wave barrier
	buffer_load_dword v128, off, s[0:3], 0 offset:400
	buffer_load_dword v129, off, s[0:3], 0 offset:404
	v_cmp_gt_u32_e32 vcc, 50, v0
	s_waitcnt vmcnt(0)
	ds_write_b64 v130, v[128:129]
	s_waitcnt lgkmcnt(0)
	; wave barrier
	s_waitcnt lgkmcnt(0)
	s_and_saveexec_b64 s[4:5], vcc
	s_cbranch_execz .LBB126_209
; %bb.206:
	v_add_u32_e32 v132, -1, v0
	v_or_b32_e32 v133, 0x200, v1
	v_add_u32_e32 v134, 0, v1
	s_mov_b64 s[6:7], 0
	v_pk_mov_b32 v[128:129], 0, 0
.LBB126_207:                            ; =>This Inner Loop Header: Depth=1
	buffer_load_dword v136, v134, s[0:3], 0 offen
	buffer_load_dword v137, v134, s[0:3], 0 offen offset:4
	ds_read_b64 v[138:139], v133
	v_add_u32_e32 v132, 1, v132
	v_cmp_lt_u32_e32 vcc, 48, v132
	v_add_u32_e32 v133, 8, v133
	v_add_u32_e32 v134, 8, v134
	s_or_b64 s[6:7], vcc, s[6:7]
	s_waitcnt vmcnt(0) lgkmcnt(0)
	v_fmac_f64_e32 v[128:129], v[136:137], v[138:139]
	s_andn2_b64 exec, exec, s[6:7]
	s_cbranch_execnz .LBB126_207
; %bb.208:
	s_or_b64 exec, exec, s[6:7]
	v_mov_b32_e32 v132, 0
	ds_read_b64 v[132:133], v132 offset:400
	s_waitcnt lgkmcnt(0)
	v_mul_f64 v[128:129], v[128:129], v[132:133]
	buffer_store_dword v129, off, s[0:3], 0 offset:404
	buffer_store_dword v128, off, s[0:3], 0 offset:400
.LBB126_209:
	s_or_b64 exec, exec, s[4:5]
	s_waitcnt lgkmcnt(0)
	; wave barrier
	buffer_load_dword v128, off, s[0:3], 0 offset:408
	buffer_load_dword v129, off, s[0:3], 0 offset:412
	v_cmp_gt_u32_e32 vcc, 51, v0
	s_waitcnt vmcnt(0)
	ds_write_b64 v130, v[128:129]
	s_waitcnt lgkmcnt(0)
	; wave barrier
	s_waitcnt lgkmcnt(0)
	s_and_saveexec_b64 s[4:5], vcc
	s_cbranch_execz .LBB126_213
; %bb.210:
	v_add_u32_e32 v132, -1, v0
	v_or_b32_e32 v133, 0x200, v1
	v_add_u32_e32 v134, 0, v1
	s_mov_b64 s[6:7], 0
	v_pk_mov_b32 v[128:129], 0, 0
.LBB126_211:                            ; =>This Inner Loop Header: Depth=1
	buffer_load_dword v136, v134, s[0:3], 0 offen
	buffer_load_dword v137, v134, s[0:3], 0 offen offset:4
	ds_read_b64 v[138:139], v133
	v_add_u32_e32 v132, 1, v132
	v_cmp_lt_u32_e32 vcc, 49, v132
	v_add_u32_e32 v133, 8, v133
	v_add_u32_e32 v134, 8, v134
	s_or_b64 s[6:7], vcc, s[6:7]
	s_waitcnt vmcnt(0) lgkmcnt(0)
	v_fmac_f64_e32 v[128:129], v[136:137], v[138:139]
	s_andn2_b64 exec, exec, s[6:7]
	s_cbranch_execnz .LBB126_211
; %bb.212:
	s_or_b64 exec, exec, s[6:7]
	v_mov_b32_e32 v132, 0
	ds_read_b64 v[132:133], v132 offset:408
	s_waitcnt lgkmcnt(0)
	v_mul_f64 v[128:129], v[128:129], v[132:133]
	buffer_store_dword v129, off, s[0:3], 0 offset:412
	buffer_store_dword v128, off, s[0:3], 0 offset:408
.LBB126_213:
	s_or_b64 exec, exec, s[4:5]
	s_waitcnt lgkmcnt(0)
	; wave barrier
	buffer_load_dword v128, off, s[0:3], 0 offset:416
	buffer_load_dword v129, off, s[0:3], 0 offset:420
	v_cmp_gt_u32_e32 vcc, 52, v0
	s_waitcnt vmcnt(0)
	ds_write_b64 v130, v[128:129]
	s_waitcnt lgkmcnt(0)
	; wave barrier
	s_waitcnt lgkmcnt(0)
	s_and_saveexec_b64 s[4:5], vcc
	s_cbranch_execz .LBB126_217
; %bb.214:
	v_add_u32_e32 v132, -1, v0
	v_or_b32_e32 v133, 0x200, v1
	v_add_u32_e32 v134, 0, v1
	s_mov_b64 s[6:7], 0
	v_pk_mov_b32 v[128:129], 0, 0
.LBB126_215:                            ; =>This Inner Loop Header: Depth=1
	buffer_load_dword v136, v134, s[0:3], 0 offen
	buffer_load_dword v137, v134, s[0:3], 0 offen offset:4
	ds_read_b64 v[138:139], v133
	v_add_u32_e32 v132, 1, v132
	v_cmp_lt_u32_e32 vcc, 50, v132
	v_add_u32_e32 v133, 8, v133
	v_add_u32_e32 v134, 8, v134
	s_or_b64 s[6:7], vcc, s[6:7]
	s_waitcnt vmcnt(0) lgkmcnt(0)
	v_fmac_f64_e32 v[128:129], v[136:137], v[138:139]
	s_andn2_b64 exec, exec, s[6:7]
	s_cbranch_execnz .LBB126_215
; %bb.216:
	s_or_b64 exec, exec, s[6:7]
	v_mov_b32_e32 v132, 0
	ds_read_b64 v[132:133], v132 offset:416
	s_waitcnt lgkmcnt(0)
	v_mul_f64 v[128:129], v[128:129], v[132:133]
	buffer_store_dword v129, off, s[0:3], 0 offset:420
	buffer_store_dword v128, off, s[0:3], 0 offset:416
.LBB126_217:
	s_or_b64 exec, exec, s[4:5]
	s_waitcnt lgkmcnt(0)
	; wave barrier
	buffer_load_dword v128, off, s[0:3], 0 offset:424
	buffer_load_dword v129, off, s[0:3], 0 offset:428
	v_cmp_gt_u32_e32 vcc, 53, v0
	s_waitcnt vmcnt(0)
	ds_write_b64 v130, v[128:129]
	s_waitcnt lgkmcnt(0)
	; wave barrier
	s_waitcnt lgkmcnt(0)
	s_and_saveexec_b64 s[4:5], vcc
	s_cbranch_execz .LBB126_221
; %bb.218:
	v_add_u32_e32 v132, -1, v0
	v_or_b32_e32 v133, 0x200, v1
	v_add_u32_e32 v134, 0, v1
	s_mov_b64 s[6:7], 0
	v_pk_mov_b32 v[128:129], 0, 0
.LBB126_219:                            ; =>This Inner Loop Header: Depth=1
	buffer_load_dword v136, v134, s[0:3], 0 offen
	buffer_load_dword v137, v134, s[0:3], 0 offen offset:4
	ds_read_b64 v[138:139], v133
	v_add_u32_e32 v132, 1, v132
	v_cmp_lt_u32_e32 vcc, 51, v132
	v_add_u32_e32 v133, 8, v133
	v_add_u32_e32 v134, 8, v134
	s_or_b64 s[6:7], vcc, s[6:7]
	s_waitcnt vmcnt(0) lgkmcnt(0)
	v_fmac_f64_e32 v[128:129], v[136:137], v[138:139]
	s_andn2_b64 exec, exec, s[6:7]
	s_cbranch_execnz .LBB126_219
; %bb.220:
	s_or_b64 exec, exec, s[6:7]
	v_mov_b32_e32 v132, 0
	ds_read_b64 v[132:133], v132 offset:424
	s_waitcnt lgkmcnt(0)
	v_mul_f64 v[128:129], v[128:129], v[132:133]
	buffer_store_dword v129, off, s[0:3], 0 offset:428
	buffer_store_dword v128, off, s[0:3], 0 offset:424
.LBB126_221:
	s_or_b64 exec, exec, s[4:5]
	s_waitcnt lgkmcnt(0)
	; wave barrier
	buffer_load_dword v128, off, s[0:3], 0 offset:432
	buffer_load_dword v129, off, s[0:3], 0 offset:436
	v_cmp_gt_u32_e32 vcc, 54, v0
	s_waitcnt vmcnt(0)
	ds_write_b64 v130, v[128:129]
	s_waitcnt lgkmcnt(0)
	; wave barrier
	s_waitcnt lgkmcnt(0)
	s_and_saveexec_b64 s[4:5], vcc
	s_cbranch_execz .LBB126_225
; %bb.222:
	v_add_u32_e32 v132, -1, v0
	v_or_b32_e32 v133, 0x200, v1
	v_add_u32_e32 v134, 0, v1
	s_mov_b64 s[6:7], 0
	v_pk_mov_b32 v[128:129], 0, 0
.LBB126_223:                            ; =>This Inner Loop Header: Depth=1
	buffer_load_dword v136, v134, s[0:3], 0 offen
	buffer_load_dword v137, v134, s[0:3], 0 offen offset:4
	ds_read_b64 v[138:139], v133
	v_add_u32_e32 v132, 1, v132
	v_cmp_lt_u32_e32 vcc, 52, v132
	v_add_u32_e32 v133, 8, v133
	v_add_u32_e32 v134, 8, v134
	s_or_b64 s[6:7], vcc, s[6:7]
	s_waitcnt vmcnt(0) lgkmcnt(0)
	v_fmac_f64_e32 v[128:129], v[136:137], v[138:139]
	s_andn2_b64 exec, exec, s[6:7]
	s_cbranch_execnz .LBB126_223
; %bb.224:
	s_or_b64 exec, exec, s[6:7]
	v_mov_b32_e32 v132, 0
	ds_read_b64 v[132:133], v132 offset:432
	s_waitcnt lgkmcnt(0)
	v_mul_f64 v[128:129], v[128:129], v[132:133]
	buffer_store_dword v129, off, s[0:3], 0 offset:436
	buffer_store_dword v128, off, s[0:3], 0 offset:432
.LBB126_225:
	s_or_b64 exec, exec, s[4:5]
	s_waitcnt lgkmcnt(0)
	; wave barrier
	buffer_load_dword v128, off, s[0:3], 0 offset:440
	buffer_load_dword v129, off, s[0:3], 0 offset:444
	v_cmp_gt_u32_e32 vcc, 55, v0
	s_waitcnt vmcnt(0)
	ds_write_b64 v130, v[128:129]
	s_waitcnt lgkmcnt(0)
	; wave barrier
	s_waitcnt lgkmcnt(0)
	s_and_saveexec_b64 s[4:5], vcc
	s_cbranch_execz .LBB126_229
; %bb.226:
	v_add_u32_e32 v132, -1, v0
	v_or_b32_e32 v133, 0x200, v1
	v_add_u32_e32 v134, 0, v1
	s_mov_b64 s[6:7], 0
	v_pk_mov_b32 v[128:129], 0, 0
.LBB126_227:                            ; =>This Inner Loop Header: Depth=1
	buffer_load_dword v136, v134, s[0:3], 0 offen
	buffer_load_dword v137, v134, s[0:3], 0 offen offset:4
	ds_read_b64 v[138:139], v133
	v_add_u32_e32 v132, 1, v132
	v_cmp_lt_u32_e32 vcc, 53, v132
	v_add_u32_e32 v133, 8, v133
	v_add_u32_e32 v134, 8, v134
	s_or_b64 s[6:7], vcc, s[6:7]
	s_waitcnt vmcnt(0) lgkmcnt(0)
	v_fmac_f64_e32 v[128:129], v[136:137], v[138:139]
	s_andn2_b64 exec, exec, s[6:7]
	s_cbranch_execnz .LBB126_227
; %bb.228:
	s_or_b64 exec, exec, s[6:7]
	v_mov_b32_e32 v132, 0
	ds_read_b64 v[132:133], v132 offset:440
	s_waitcnt lgkmcnt(0)
	v_mul_f64 v[128:129], v[128:129], v[132:133]
	buffer_store_dword v129, off, s[0:3], 0 offset:444
	buffer_store_dword v128, off, s[0:3], 0 offset:440
.LBB126_229:
	s_or_b64 exec, exec, s[4:5]
	s_waitcnt lgkmcnt(0)
	; wave barrier
	buffer_load_dword v128, off, s[0:3], 0 offset:448
	buffer_load_dword v129, off, s[0:3], 0 offset:452
	v_cmp_gt_u32_e32 vcc, 56, v0
	s_waitcnt vmcnt(0)
	ds_write_b64 v130, v[128:129]
	s_waitcnt lgkmcnt(0)
	; wave barrier
	s_waitcnt lgkmcnt(0)
	s_and_saveexec_b64 s[4:5], vcc
	s_cbranch_execz .LBB126_233
; %bb.230:
	v_add_u32_e32 v132, -1, v0
	v_or_b32_e32 v133, 0x200, v1
	v_add_u32_e32 v134, 0, v1
	s_mov_b64 s[6:7], 0
	v_pk_mov_b32 v[128:129], 0, 0
.LBB126_231:                            ; =>This Inner Loop Header: Depth=1
	buffer_load_dword v136, v134, s[0:3], 0 offen
	buffer_load_dword v137, v134, s[0:3], 0 offen offset:4
	ds_read_b64 v[138:139], v133
	v_add_u32_e32 v132, 1, v132
	v_cmp_lt_u32_e32 vcc, 54, v132
	v_add_u32_e32 v133, 8, v133
	v_add_u32_e32 v134, 8, v134
	s_or_b64 s[6:7], vcc, s[6:7]
	s_waitcnt vmcnt(0) lgkmcnt(0)
	v_fmac_f64_e32 v[128:129], v[136:137], v[138:139]
	s_andn2_b64 exec, exec, s[6:7]
	s_cbranch_execnz .LBB126_231
; %bb.232:
	s_or_b64 exec, exec, s[6:7]
	v_mov_b32_e32 v132, 0
	ds_read_b64 v[132:133], v132 offset:448
	s_waitcnt lgkmcnt(0)
	v_mul_f64 v[128:129], v[128:129], v[132:133]
	buffer_store_dword v129, off, s[0:3], 0 offset:452
	buffer_store_dword v128, off, s[0:3], 0 offset:448
.LBB126_233:
	s_or_b64 exec, exec, s[4:5]
	s_waitcnt lgkmcnt(0)
	; wave barrier
	buffer_load_dword v128, off, s[0:3], 0 offset:456
	buffer_load_dword v129, off, s[0:3], 0 offset:460
	v_cmp_gt_u32_e32 vcc, 57, v0
	s_waitcnt vmcnt(0)
	ds_write_b64 v130, v[128:129]
	s_waitcnt lgkmcnt(0)
	; wave barrier
	s_waitcnt lgkmcnt(0)
	s_and_saveexec_b64 s[4:5], vcc
	s_cbranch_execz .LBB126_237
; %bb.234:
	v_add_u32_e32 v132, -1, v0
	v_or_b32_e32 v133, 0x200, v1
	v_add_u32_e32 v134, 0, v1
	s_mov_b64 s[6:7], 0
	v_pk_mov_b32 v[128:129], 0, 0
.LBB126_235:                            ; =>This Inner Loop Header: Depth=1
	buffer_load_dword v136, v134, s[0:3], 0 offen
	buffer_load_dword v137, v134, s[0:3], 0 offen offset:4
	ds_read_b64 v[138:139], v133
	v_add_u32_e32 v132, 1, v132
	v_cmp_lt_u32_e32 vcc, 55, v132
	v_add_u32_e32 v133, 8, v133
	v_add_u32_e32 v134, 8, v134
	s_or_b64 s[6:7], vcc, s[6:7]
	s_waitcnt vmcnt(0) lgkmcnt(0)
	v_fmac_f64_e32 v[128:129], v[136:137], v[138:139]
	s_andn2_b64 exec, exec, s[6:7]
	s_cbranch_execnz .LBB126_235
; %bb.236:
	s_or_b64 exec, exec, s[6:7]
	v_mov_b32_e32 v132, 0
	ds_read_b64 v[132:133], v132 offset:456
	s_waitcnt lgkmcnt(0)
	v_mul_f64 v[128:129], v[128:129], v[132:133]
	buffer_store_dword v129, off, s[0:3], 0 offset:460
	buffer_store_dword v128, off, s[0:3], 0 offset:456
.LBB126_237:
	s_or_b64 exec, exec, s[4:5]
	s_waitcnt lgkmcnt(0)
	; wave barrier
	buffer_load_dword v128, off, s[0:3], 0 offset:464
	buffer_load_dword v129, off, s[0:3], 0 offset:468
	v_cmp_gt_u32_e32 vcc, 58, v0
	s_waitcnt vmcnt(0)
	ds_write_b64 v130, v[128:129]
	s_waitcnt lgkmcnt(0)
	; wave barrier
	s_waitcnt lgkmcnt(0)
	s_and_saveexec_b64 s[4:5], vcc
	s_cbranch_execz .LBB126_241
; %bb.238:
	v_add_u32_e32 v132, -1, v0
	v_or_b32_e32 v133, 0x200, v1
	v_add_u32_e32 v134, 0, v1
	s_mov_b64 s[6:7], 0
	v_pk_mov_b32 v[128:129], 0, 0
.LBB126_239:                            ; =>This Inner Loop Header: Depth=1
	buffer_load_dword v136, v134, s[0:3], 0 offen
	buffer_load_dword v137, v134, s[0:3], 0 offen offset:4
	ds_read_b64 v[138:139], v133
	v_add_u32_e32 v132, 1, v132
	v_cmp_lt_u32_e32 vcc, 56, v132
	v_add_u32_e32 v133, 8, v133
	v_add_u32_e32 v134, 8, v134
	s_or_b64 s[6:7], vcc, s[6:7]
	s_waitcnt vmcnt(0) lgkmcnt(0)
	v_fmac_f64_e32 v[128:129], v[136:137], v[138:139]
	s_andn2_b64 exec, exec, s[6:7]
	s_cbranch_execnz .LBB126_239
; %bb.240:
	s_or_b64 exec, exec, s[6:7]
	v_mov_b32_e32 v132, 0
	ds_read_b64 v[132:133], v132 offset:464
	s_waitcnt lgkmcnt(0)
	v_mul_f64 v[128:129], v[128:129], v[132:133]
	buffer_store_dword v129, off, s[0:3], 0 offset:468
	buffer_store_dword v128, off, s[0:3], 0 offset:464
.LBB126_241:
	s_or_b64 exec, exec, s[4:5]
	s_waitcnt lgkmcnt(0)
	; wave barrier
	buffer_load_dword v128, off, s[0:3], 0 offset:472
	buffer_load_dword v129, off, s[0:3], 0 offset:476
	v_cmp_gt_u32_e32 vcc, 59, v0
	s_waitcnt vmcnt(0)
	ds_write_b64 v130, v[128:129]
	s_waitcnt lgkmcnt(0)
	; wave barrier
	s_waitcnt lgkmcnt(0)
	s_and_saveexec_b64 s[4:5], vcc
	s_cbranch_execz .LBB126_245
; %bb.242:
	v_add_u32_e32 v132, -1, v0
	v_or_b32_e32 v133, 0x200, v1
	v_add_u32_e32 v134, 0, v1
	s_mov_b64 s[6:7], 0
	v_pk_mov_b32 v[128:129], 0, 0
.LBB126_243:                            ; =>This Inner Loop Header: Depth=1
	buffer_load_dword v136, v134, s[0:3], 0 offen
	buffer_load_dword v137, v134, s[0:3], 0 offen offset:4
	ds_read_b64 v[138:139], v133
	v_add_u32_e32 v132, 1, v132
	v_cmp_lt_u32_e32 vcc, 57, v132
	v_add_u32_e32 v133, 8, v133
	v_add_u32_e32 v134, 8, v134
	s_or_b64 s[6:7], vcc, s[6:7]
	s_waitcnt vmcnt(0) lgkmcnt(0)
	v_fmac_f64_e32 v[128:129], v[136:137], v[138:139]
	s_andn2_b64 exec, exec, s[6:7]
	s_cbranch_execnz .LBB126_243
; %bb.244:
	s_or_b64 exec, exec, s[6:7]
	v_mov_b32_e32 v132, 0
	ds_read_b64 v[132:133], v132 offset:472
	s_waitcnt lgkmcnt(0)
	v_mul_f64 v[128:129], v[128:129], v[132:133]
	buffer_store_dword v129, off, s[0:3], 0 offset:476
	buffer_store_dword v128, off, s[0:3], 0 offset:472
.LBB126_245:
	s_or_b64 exec, exec, s[4:5]
	s_waitcnt lgkmcnt(0)
	; wave barrier
	buffer_load_dword v128, off, s[0:3], 0 offset:480
	buffer_load_dword v129, off, s[0:3], 0 offset:484
	v_cmp_gt_u32_e32 vcc, 60, v0
	s_waitcnt vmcnt(0)
	ds_write_b64 v130, v[128:129]
	s_waitcnt lgkmcnt(0)
	; wave barrier
	s_waitcnt lgkmcnt(0)
	s_and_saveexec_b64 s[4:5], vcc
	s_cbranch_execz .LBB126_249
; %bb.246:
	v_add_u32_e32 v132, -1, v0
	v_or_b32_e32 v133, 0x200, v1
	v_add_u32_e32 v134, 0, v1
	s_mov_b64 s[6:7], 0
	v_pk_mov_b32 v[128:129], 0, 0
.LBB126_247:                            ; =>This Inner Loop Header: Depth=1
	buffer_load_dword v136, v134, s[0:3], 0 offen
	buffer_load_dword v137, v134, s[0:3], 0 offen offset:4
	ds_read_b64 v[138:139], v133
	v_add_u32_e32 v132, 1, v132
	v_cmp_lt_u32_e32 vcc, 58, v132
	v_add_u32_e32 v133, 8, v133
	v_add_u32_e32 v134, 8, v134
	s_or_b64 s[6:7], vcc, s[6:7]
	s_waitcnt vmcnt(0) lgkmcnt(0)
	v_fmac_f64_e32 v[128:129], v[136:137], v[138:139]
	s_andn2_b64 exec, exec, s[6:7]
	s_cbranch_execnz .LBB126_247
; %bb.248:
	s_or_b64 exec, exec, s[6:7]
	v_mov_b32_e32 v132, 0
	ds_read_b64 v[132:133], v132 offset:480
	s_waitcnt lgkmcnt(0)
	v_mul_f64 v[128:129], v[128:129], v[132:133]
	buffer_store_dword v129, off, s[0:3], 0 offset:484
	buffer_store_dword v128, off, s[0:3], 0 offset:480
.LBB126_249:
	s_or_b64 exec, exec, s[4:5]
	s_waitcnt lgkmcnt(0)
	; wave barrier
	buffer_load_dword v128, off, s[0:3], 0 offset:488
	buffer_load_dword v129, off, s[0:3], 0 offset:492
	v_cmp_gt_u32_e32 vcc, 61, v0
	s_waitcnt vmcnt(0)
	ds_write_b64 v130, v[128:129]
	s_waitcnt lgkmcnt(0)
	; wave barrier
	s_waitcnt lgkmcnt(0)
	s_and_saveexec_b64 s[4:5], vcc
	s_cbranch_execz .LBB126_253
; %bb.250:
	v_add_u32_e32 v132, -1, v0
	v_or_b32_e32 v133, 0x200, v1
	v_add_u32_e32 v134, 0, v1
	s_mov_b64 s[6:7], 0
	v_pk_mov_b32 v[128:129], 0, 0
.LBB126_251:                            ; =>This Inner Loop Header: Depth=1
	buffer_load_dword v136, v134, s[0:3], 0 offen
	buffer_load_dword v137, v134, s[0:3], 0 offen offset:4
	ds_read_b64 v[138:139], v133
	v_add_u32_e32 v132, 1, v132
	v_cmp_lt_u32_e32 vcc, 59, v132
	v_add_u32_e32 v133, 8, v133
	v_add_u32_e32 v134, 8, v134
	s_or_b64 s[6:7], vcc, s[6:7]
	s_waitcnt vmcnt(0) lgkmcnt(0)
	v_fmac_f64_e32 v[128:129], v[136:137], v[138:139]
	s_andn2_b64 exec, exec, s[6:7]
	s_cbranch_execnz .LBB126_251
; %bb.252:
	s_or_b64 exec, exec, s[6:7]
	v_mov_b32_e32 v132, 0
	ds_read_b64 v[132:133], v132 offset:488
	s_waitcnt lgkmcnt(0)
	v_mul_f64 v[128:129], v[128:129], v[132:133]
	buffer_store_dword v129, off, s[0:3], 0 offset:492
	buffer_store_dword v128, off, s[0:3], 0 offset:488
.LBB126_253:
	s_or_b64 exec, exec, s[4:5]
	s_waitcnt lgkmcnt(0)
	; wave barrier
	buffer_load_dword v128, off, s[0:3], 0 offset:496
	buffer_load_dword v129, off, s[0:3], 0 offset:500
	v_cmp_ne_u32_e32 vcc, 62, v0
	s_waitcnt vmcnt(0)
	ds_write_b64 v130, v[128:129]
	s_waitcnt lgkmcnt(0)
	; wave barrier
	s_waitcnt lgkmcnt(0)
	s_and_saveexec_b64 s[4:5], vcc
	s_cbranch_execz .LBB126_257
; %bb.254:
	v_or_b32_e32 v130, 0x200, v1
	v_add_u32_e32 v1, 0, v1
	s_mov_b64 s[6:7], 0
	v_pk_mov_b32 v[128:129], 0, 0
.LBB126_255:                            ; =>This Inner Loop Header: Depth=1
	buffer_load_dword v132, v1, s[0:3], 0 offen
	buffer_load_dword v133, v1, s[0:3], 0 offen offset:4
	ds_read_b64 v[134:135], v130
	v_add_u32_e32 v131, 1, v131
	v_cmp_lt_u32_e32 vcc, 60, v131
	v_add_u32_e32 v130, 8, v130
	v_add_u32_e32 v1, 8, v1
	s_or_b64 s[6:7], vcc, s[6:7]
	s_waitcnt vmcnt(0) lgkmcnt(0)
	v_fmac_f64_e32 v[128:129], v[132:133], v[134:135]
	s_andn2_b64 exec, exec, s[6:7]
	s_cbranch_execnz .LBB126_255
; %bb.256:
	s_or_b64 exec, exec, s[6:7]
	v_mov_b32_e32 v1, 0
	ds_read_b64 v[130:131], v1 offset:496
	s_waitcnt lgkmcnt(0)
	v_mul_f64 v[128:129], v[128:129], v[130:131]
	buffer_store_dword v129, off, s[0:3], 0 offset:500
	buffer_store_dword v128, off, s[0:3], 0 offset:496
.LBB126_257:
	s_or_b64 exec, exec, s[4:5]
	s_mov_b64 s[6:7], -1
	s_waitcnt lgkmcnt(0)
	; wave barrier
.LBB126_258:
	s_and_b64 vcc, exec, s[6:7]
	s_cbranch_vccz .LBB126_260
; %bb.259:
	s_lshl_b64 s[4:5], s[8:9], 2
	s_add_u32 s4, s14, s4
	s_addc_u32 s5, s15, s5
	v_mov_b32_e32 v1, 0
	global_load_dword v1, v1, s[4:5]
	s_waitcnt vmcnt(0)
	v_cmp_ne_u32_e32 vcc, 0, v1
	s_cbranch_vccz .LBB126_261
.LBB126_260:
	s_endpgm
.LBB126_261:
	v_mov_b32_e32 v1, 0x200
	v_lshl_or_b32 v1, v0, 3, v1
	v_cmp_eq_u32_e32 vcc, 62, v0
	s_and_saveexec_b64 s[4:5], vcc
	s_cbranch_execz .LBB126_263
; %bb.262:
	buffer_load_dword v128, off, s[0:3], 0 offset:488
	buffer_load_dword v129, off, s[0:3], 0 offset:492
	v_mov_b32_e32 v130, 0
	buffer_store_dword v130, off, s[0:3], 0 offset:488
	buffer_store_dword v130, off, s[0:3], 0 offset:492
	s_waitcnt vmcnt(2)
	ds_write_b64 v1, v[128:129]
.LBB126_263:
	s_or_b64 exec, exec, s[4:5]
	s_waitcnt lgkmcnt(0)
	; wave barrier
	s_waitcnt lgkmcnt(0)
	buffer_load_dword v130, off, s[0:3], 0 offset:496
	buffer_load_dword v131, off, s[0:3], 0 offset:500
	buffer_load_dword v132, off, s[0:3], 0 offset:488
	buffer_load_dword v133, off, s[0:3], 0 offset:492
	v_mov_b32_e32 v128, 0
	ds_read_b64 v[134:135], v128 offset:1008
	v_cmp_lt_u32_e32 vcc, 60, v0
	s_waitcnt vmcnt(2) lgkmcnt(0)
	v_fma_f64 v[130:131], v[130:131], v[134:135], 0
	s_waitcnt vmcnt(0)
	v_add_f64 v[130:131], v[132:133], -v[130:131]
	buffer_store_dword v130, off, s[0:3], 0 offset:488
	buffer_store_dword v131, off, s[0:3], 0 offset:492
	s_and_saveexec_b64 s[4:5], vcc
	s_cbranch_execz .LBB126_265
; %bb.264:
	buffer_load_dword v130, off, s[0:3], 0 offset:480
	buffer_load_dword v131, off, s[0:3], 0 offset:484
	s_waitcnt vmcnt(0)
	ds_write_b64 v1, v[130:131]
	buffer_store_dword v128, off, s[0:3], 0 offset:480
	buffer_store_dword v128, off, s[0:3], 0 offset:484
.LBB126_265:
	s_or_b64 exec, exec, s[4:5]
	s_waitcnt lgkmcnt(0)
	; wave barrier
	s_waitcnt lgkmcnt(0)
	buffer_load_dword v132, off, s[0:3], 0 offset:488
	buffer_load_dword v133, off, s[0:3], 0 offset:492
	;; [unrolled: 1-line block ×6, first 2 shown]
	ds_read2_b64 v[128:131], v128 offset0:125 offset1:126
	v_cmp_lt_u32_e32 vcc, 59, v0
	s_waitcnt vmcnt(4) lgkmcnt(0)
	v_fma_f64 v[128:129], v[132:133], v[128:129], 0
	s_waitcnt vmcnt(2)
	v_fmac_f64_e32 v[128:129], v[134:135], v[130:131]
	s_waitcnt vmcnt(0)
	v_add_f64 v[128:129], v[136:137], -v[128:129]
	buffer_store_dword v128, off, s[0:3], 0 offset:480
	buffer_store_dword v129, off, s[0:3], 0 offset:484
	s_and_saveexec_b64 s[4:5], vcc
	s_cbranch_execz .LBB126_267
; %bb.266:
	buffer_load_dword v128, off, s[0:3], 0 offset:472
	buffer_load_dword v129, off, s[0:3], 0 offset:476
	v_mov_b32_e32 v130, 0
	buffer_store_dword v130, off, s[0:3], 0 offset:472
	buffer_store_dword v130, off, s[0:3], 0 offset:476
	s_waitcnt vmcnt(2)
	ds_write_b64 v1, v[128:129]
.LBB126_267:
	s_or_b64 exec, exec, s[4:5]
	s_waitcnt lgkmcnt(0)
	; wave barrier
	s_waitcnt lgkmcnt(0)
	buffer_load_dword v134, off, s[0:3], 0 offset:480
	buffer_load_dword v135, off, s[0:3], 0 offset:484
	;; [unrolled: 1-line block ×8, first 2 shown]
	v_mov_b32_e32 v128, 0
	ds_read_b128 v[130:133], v128 offset:992
	ds_read_b64 v[142:143], v128 offset:1008
	v_cmp_lt_u32_e32 vcc, 58, v0
	s_waitcnt vmcnt(6) lgkmcnt(1)
	v_fma_f64 v[130:131], v[134:135], v[130:131], 0
	s_waitcnt vmcnt(4)
	v_fmac_f64_e32 v[130:131], v[136:137], v[132:133]
	s_waitcnt vmcnt(2) lgkmcnt(0)
	v_fmac_f64_e32 v[130:131], v[138:139], v[142:143]
	s_waitcnt vmcnt(0)
	v_add_f64 v[130:131], v[140:141], -v[130:131]
	buffer_store_dword v130, off, s[0:3], 0 offset:472
	buffer_store_dword v131, off, s[0:3], 0 offset:476
	s_and_saveexec_b64 s[4:5], vcc
	s_cbranch_execz .LBB126_269
; %bb.268:
	buffer_load_dword v130, off, s[0:3], 0 offset:464
	buffer_load_dword v131, off, s[0:3], 0 offset:468
	s_waitcnt vmcnt(0)
	ds_write_b64 v1, v[130:131]
	buffer_store_dword v128, off, s[0:3], 0 offset:464
	buffer_store_dword v128, off, s[0:3], 0 offset:468
.LBB126_269:
	s_or_b64 exec, exec, s[4:5]
	s_waitcnt lgkmcnt(0)
	; wave barrier
	s_waitcnt lgkmcnt(0)
	buffer_load_dword v138, off, s[0:3], 0 offset:472
	buffer_load_dword v139, off, s[0:3], 0 offset:476
	;; [unrolled: 1-line block ×10, first 2 shown]
	ds_read2_b64 v[130:133], v128 offset0:123 offset1:124
	ds_read2_b64 v[134:137], v128 offset0:125 offset1:126
	v_cmp_lt_u32_e32 vcc, 57, v0
	s_waitcnt vmcnt(8) lgkmcnt(1)
	v_fma_f64 v[128:129], v[138:139], v[130:131], 0
	s_waitcnt vmcnt(6)
	v_fmac_f64_e32 v[128:129], v[140:141], v[132:133]
	s_waitcnt vmcnt(4) lgkmcnt(0)
	v_fmac_f64_e32 v[128:129], v[142:143], v[134:135]
	s_waitcnt vmcnt(2)
	v_fmac_f64_e32 v[128:129], v[144:145], v[136:137]
	s_waitcnt vmcnt(0)
	v_add_f64 v[128:129], v[146:147], -v[128:129]
	buffer_store_dword v128, off, s[0:3], 0 offset:464
	buffer_store_dword v129, off, s[0:3], 0 offset:468
	s_and_saveexec_b64 s[4:5], vcc
	s_cbranch_execz .LBB126_271
; %bb.270:
	buffer_load_dword v128, off, s[0:3], 0 offset:456
	buffer_load_dword v129, off, s[0:3], 0 offset:460
	v_mov_b32_e32 v130, 0
	buffer_store_dword v130, off, s[0:3], 0 offset:456
	buffer_store_dword v130, off, s[0:3], 0 offset:460
	s_waitcnt vmcnt(2)
	ds_write_b64 v1, v[128:129]
.LBB126_271:
	s_or_b64 exec, exec, s[4:5]
	s_waitcnt lgkmcnt(0)
	; wave barrier
	s_waitcnt lgkmcnt(0)
	buffer_load_dword v138, off, s[0:3], 0 offset:464
	buffer_load_dword v139, off, s[0:3], 0 offset:468
	;; [unrolled: 1-line block ×12, first 2 shown]
	v_mov_b32_e32 v128, 0
	ds_read_b128 v[130:133], v128 offset:976
	ds_read_b128 v[134:137], v128 offset:992
	ds_read_b64 v[150:151], v128 offset:1008
	v_cmp_lt_u32_e32 vcc, 56, v0
	s_waitcnt vmcnt(10) lgkmcnt(2)
	v_fma_f64 v[130:131], v[138:139], v[130:131], 0
	s_waitcnt vmcnt(8)
	v_fmac_f64_e32 v[130:131], v[140:141], v[132:133]
	s_waitcnt vmcnt(6) lgkmcnt(1)
	v_fmac_f64_e32 v[130:131], v[142:143], v[134:135]
	s_waitcnt vmcnt(4)
	v_fmac_f64_e32 v[130:131], v[144:145], v[136:137]
	s_waitcnt vmcnt(2) lgkmcnt(0)
	v_fmac_f64_e32 v[130:131], v[146:147], v[150:151]
	s_waitcnt vmcnt(0)
	v_add_f64 v[130:131], v[148:149], -v[130:131]
	buffer_store_dword v130, off, s[0:3], 0 offset:456
	buffer_store_dword v131, off, s[0:3], 0 offset:460
	s_and_saveexec_b64 s[4:5], vcc
	s_cbranch_execz .LBB126_273
; %bb.272:
	buffer_load_dword v130, off, s[0:3], 0 offset:448
	buffer_load_dword v131, off, s[0:3], 0 offset:452
	s_waitcnt vmcnt(0)
	ds_write_b64 v1, v[130:131]
	buffer_store_dword v128, off, s[0:3], 0 offset:448
	buffer_store_dword v128, off, s[0:3], 0 offset:452
.LBB126_273:
	s_or_b64 exec, exec, s[4:5]
	s_waitcnt lgkmcnt(0)
	; wave barrier
	s_waitcnt lgkmcnt(0)
	buffer_load_dword v142, off, s[0:3], 0 offset:456
	buffer_load_dword v143, off, s[0:3], 0 offset:460
	;; [unrolled: 1-line block ×14, first 2 shown]
	ds_read2_b64 v[130:133], v128 offset0:121 offset1:122
	ds_read2_b64 v[134:137], v128 offset0:123 offset1:124
	;; [unrolled: 1-line block ×3, first 2 shown]
	v_cmp_lt_u32_e32 vcc, 55, v0
	s_waitcnt vmcnt(12) lgkmcnt(2)
	v_fma_f64 v[128:129], v[142:143], v[130:131], 0
	s_waitcnt vmcnt(10)
	v_fmac_f64_e32 v[128:129], v[144:145], v[132:133]
	s_waitcnt vmcnt(8) lgkmcnt(1)
	v_fmac_f64_e32 v[128:129], v[146:147], v[134:135]
	s_waitcnt vmcnt(6)
	v_fmac_f64_e32 v[128:129], v[148:149], v[136:137]
	s_waitcnt vmcnt(4) lgkmcnt(0)
	v_fmac_f64_e32 v[128:129], v[150:151], v[138:139]
	s_waitcnt vmcnt(2)
	v_fmac_f64_e32 v[128:129], v[152:153], v[140:141]
	s_waitcnt vmcnt(0)
	v_add_f64 v[128:129], v[154:155], -v[128:129]
	buffer_store_dword v128, off, s[0:3], 0 offset:448
	buffer_store_dword v129, off, s[0:3], 0 offset:452
	s_and_saveexec_b64 s[4:5], vcc
	s_cbranch_execz .LBB126_275
; %bb.274:
	buffer_load_dword v128, off, s[0:3], 0 offset:440
	buffer_load_dword v129, off, s[0:3], 0 offset:444
	v_mov_b32_e32 v130, 0
	buffer_store_dword v130, off, s[0:3], 0 offset:440
	buffer_store_dword v130, off, s[0:3], 0 offset:444
	s_waitcnt vmcnt(2)
	ds_write_b64 v1, v[128:129]
.LBB126_275:
	s_or_b64 exec, exec, s[4:5]
	s_waitcnt lgkmcnt(0)
	; wave barrier
	s_waitcnt lgkmcnt(0)
	buffer_load_dword v142, off, s[0:3], 0 offset:448
	buffer_load_dword v143, off, s[0:3], 0 offset:452
	;; [unrolled: 1-line block ×16, first 2 shown]
	v_mov_b32_e32 v128, 0
	ds_read_b128 v[130:133], v128 offset:960
	ds_read_b128 v[134:137], v128 offset:976
	;; [unrolled: 1-line block ×3, first 2 shown]
	ds_read_b64 v[158:159], v128 offset:1008
	v_cmp_lt_u32_e32 vcc, 54, v0
	s_waitcnt vmcnt(14) lgkmcnt(3)
	v_fma_f64 v[130:131], v[142:143], v[130:131], 0
	s_waitcnt vmcnt(12)
	v_fmac_f64_e32 v[130:131], v[144:145], v[132:133]
	s_waitcnt vmcnt(10) lgkmcnt(2)
	v_fmac_f64_e32 v[130:131], v[146:147], v[134:135]
	s_waitcnt vmcnt(8)
	v_fmac_f64_e32 v[130:131], v[148:149], v[136:137]
	s_waitcnt vmcnt(6) lgkmcnt(1)
	v_fmac_f64_e32 v[130:131], v[150:151], v[138:139]
	;; [unrolled: 4-line block ×3, first 2 shown]
	s_waitcnt vmcnt(0)
	v_add_f64 v[130:131], v[156:157], -v[130:131]
	buffer_store_dword v130, off, s[0:3], 0 offset:440
	buffer_store_dword v131, off, s[0:3], 0 offset:444
	s_and_saveexec_b64 s[4:5], vcc
	s_cbranch_execz .LBB126_277
; %bb.276:
	buffer_load_dword v130, off, s[0:3], 0 offset:432
	buffer_load_dword v131, off, s[0:3], 0 offset:436
	s_waitcnt vmcnt(0)
	ds_write_b64 v1, v[130:131]
	buffer_store_dword v128, off, s[0:3], 0 offset:432
	buffer_store_dword v128, off, s[0:3], 0 offset:436
.LBB126_277:
	s_or_b64 exec, exec, s[4:5]
	s_waitcnt lgkmcnt(0)
	; wave barrier
	s_waitcnt lgkmcnt(0)
	buffer_load_dword v146, off, s[0:3], 0 offset:440
	buffer_load_dword v147, off, s[0:3], 0 offset:444
	;; [unrolled: 1-line block ×18, first 2 shown]
	ds_read2_b64 v[130:133], v128 offset0:119 offset1:120
	ds_read2_b64 v[134:137], v128 offset0:121 offset1:122
	;; [unrolled: 1-line block ×4, first 2 shown]
	v_cmp_lt_u32_e32 vcc, 53, v0
	s_waitcnt vmcnt(16) lgkmcnt(3)
	v_fma_f64 v[128:129], v[146:147], v[130:131], 0
	s_waitcnt vmcnt(14)
	v_fmac_f64_e32 v[128:129], v[148:149], v[132:133]
	s_waitcnt vmcnt(12) lgkmcnt(2)
	v_fmac_f64_e32 v[128:129], v[150:151], v[134:135]
	s_waitcnt vmcnt(10)
	v_fmac_f64_e32 v[128:129], v[152:153], v[136:137]
	s_waitcnt vmcnt(8) lgkmcnt(1)
	v_fmac_f64_e32 v[128:129], v[154:155], v[138:139]
	;; [unrolled: 4-line block ×3, first 2 shown]
	s_waitcnt vmcnt(2)
	v_fmac_f64_e32 v[128:129], v[160:161], v[144:145]
	s_waitcnt vmcnt(0)
	v_add_f64 v[128:129], v[162:163], -v[128:129]
	buffer_store_dword v128, off, s[0:3], 0 offset:432
	buffer_store_dword v129, off, s[0:3], 0 offset:436
	s_and_saveexec_b64 s[4:5], vcc
	s_cbranch_execz .LBB126_279
; %bb.278:
	buffer_load_dword v128, off, s[0:3], 0 offset:424
	buffer_load_dword v129, off, s[0:3], 0 offset:428
	v_mov_b32_e32 v130, 0
	buffer_store_dword v130, off, s[0:3], 0 offset:424
	buffer_store_dword v130, off, s[0:3], 0 offset:428
	s_waitcnt vmcnt(2)
	ds_write_b64 v1, v[128:129]
.LBB126_279:
	s_or_b64 exec, exec, s[4:5]
	s_waitcnt lgkmcnt(0)
	; wave barrier
	s_waitcnt lgkmcnt(0)
	buffer_load_dword v146, off, s[0:3], 0 offset:424
	buffer_load_dword v147, off, s[0:3], 0 offset:428
	;; [unrolled: 1-line block ×16, first 2 shown]
	v_mov_b32_e32 v128, 0
	ds_read_b128 v[130:133], v128 offset:944
	ds_read_b128 v[134:137], v128 offset:960
	;; [unrolled: 1-line block ×4, first 2 shown]
	v_cmp_lt_u32_e32 vcc, 52, v0
	s_waitcnt vmcnt(12) lgkmcnt(3)
	v_fma_f64 v[130:131], v[148:149], v[130:131], 0
	s_waitcnt vmcnt(10)
	v_fmac_f64_e32 v[130:131], v[150:151], v[132:133]
	buffer_load_dword v133, off, s[0:3], 0 offset:492
	buffer_load_dword v132, off, s[0:3], 0 offset:488
	s_waitcnt vmcnt(10) lgkmcnt(2)
	v_fmac_f64_e32 v[130:131], v[152:153], v[134:135]
	s_waitcnt vmcnt(8)
	v_fmac_f64_e32 v[130:131], v[154:155], v[136:137]
	s_waitcnt vmcnt(6) lgkmcnt(1)
	v_fmac_f64_e32 v[130:131], v[156:157], v[138:139]
	s_waitcnt vmcnt(4)
	v_fmac_f64_e32 v[130:131], v[158:159], v[140:141]
	;; [unrolled: 4-line block ×3, first 2 shown]
	buffer_load_dword v133, off, s[0:3], 0 offset:500
	buffer_load_dword v132, off, s[0:3], 0 offset:496
	ds_read_b64 v[134:135], v128 offset:1008
	s_waitcnt vmcnt(0) lgkmcnt(0)
	v_fmac_f64_e32 v[130:131], v[132:133], v[134:135]
	v_add_f64 v[130:131], v[146:147], -v[130:131]
	buffer_store_dword v130, off, s[0:3], 0 offset:424
	buffer_store_dword v131, off, s[0:3], 0 offset:428
	s_and_saveexec_b64 s[4:5], vcc
	s_cbranch_execz .LBB126_281
; %bb.280:
	buffer_load_dword v130, off, s[0:3], 0 offset:416
	buffer_load_dword v131, off, s[0:3], 0 offset:420
	s_waitcnt vmcnt(0)
	ds_write_b64 v1, v[130:131]
	buffer_store_dword v128, off, s[0:3], 0 offset:416
	buffer_store_dword v128, off, s[0:3], 0 offset:420
.LBB126_281:
	s_or_b64 exec, exec, s[4:5]
	s_waitcnt lgkmcnt(0)
	; wave barrier
	s_waitcnt lgkmcnt(0)
	buffer_load_dword v134, off, s[0:3], 0 offset:416
	buffer_load_dword v135, off, s[0:3], 0 offset:420
	;; [unrolled: 1-line block ×16, first 2 shown]
	ds_read2_b64 v[130:133], v128 offset0:117 offset1:118
	v_cmp_lt_u32_e32 vcc, 51, v0
	s_waitcnt vmcnt(12) lgkmcnt(0)
	v_fma_f64 v[136:137], v[136:137], v[130:131], 0
	s_waitcnt vmcnt(10)
	v_fmac_f64_e32 v[136:137], v[138:139], v[132:133]
	ds_read2_b64 v[130:133], v128 offset0:119 offset1:120
	s_waitcnt vmcnt(8) lgkmcnt(0)
	v_fmac_f64_e32 v[136:137], v[140:141], v[130:131]
	s_waitcnt vmcnt(6)
	v_fmac_f64_e32 v[136:137], v[142:143], v[132:133]
	ds_read2_b64 v[130:133], v128 offset0:121 offset1:122
	s_waitcnt vmcnt(4) lgkmcnt(0)
	v_fmac_f64_e32 v[136:137], v[144:145], v[130:131]
	;; [unrolled: 5-line block ×3, first 2 shown]
	buffer_load_dword v131, off, s[0:3], 0 offset:484
	buffer_load_dword v130, off, s[0:3], 0 offset:480
	s_waitcnt vmcnt(0)
	v_fmac_f64_e32 v[136:137], v[130:131], v[132:133]
	buffer_load_dword v133, off, s[0:3], 0 offset:492
	buffer_load_dword v132, off, s[0:3], 0 offset:488
	ds_read2_b64 v[128:131], v128 offset0:125 offset1:126
	s_waitcnt vmcnt(0) lgkmcnt(0)
	v_fmac_f64_e32 v[136:137], v[132:133], v[128:129]
	buffer_load_dword v129, off, s[0:3], 0 offset:500
	buffer_load_dword v128, off, s[0:3], 0 offset:496
	s_waitcnt vmcnt(0)
	v_fmac_f64_e32 v[136:137], v[128:129], v[130:131]
	v_add_f64 v[128:129], v[134:135], -v[136:137]
	buffer_store_dword v128, off, s[0:3], 0 offset:416
	buffer_store_dword v129, off, s[0:3], 0 offset:420
	s_and_saveexec_b64 s[4:5], vcc
	s_cbranch_execz .LBB126_283
; %bb.282:
	buffer_load_dword v128, off, s[0:3], 0 offset:408
	buffer_load_dword v129, off, s[0:3], 0 offset:412
	v_mov_b32_e32 v130, 0
	buffer_store_dword v130, off, s[0:3], 0 offset:408
	buffer_store_dword v130, off, s[0:3], 0 offset:412
	s_waitcnt vmcnt(2)
	ds_write_b64 v1, v[128:129]
.LBB126_283:
	s_or_b64 exec, exec, s[4:5]
	s_waitcnt lgkmcnt(0)
	; wave barrier
	s_waitcnt lgkmcnt(0)
	buffer_load_dword v146, off, s[0:3], 0 offset:408
	buffer_load_dword v147, off, s[0:3], 0 offset:412
	;; [unrolled: 1-line block ×16, first 2 shown]
	v_mov_b32_e32 v128, 0
	ds_read_b128 v[130:133], v128 offset:928
	ds_read_b128 v[134:137], v128 offset:944
	;; [unrolled: 1-line block ×4, first 2 shown]
	v_cmp_lt_u32_e32 vcc, 50, v0
	s_waitcnt vmcnt(12) lgkmcnt(3)
	v_fma_f64 v[148:149], v[148:149], v[130:131], 0
	buffer_load_dword v131, off, s[0:3], 0 offset:476
	buffer_load_dword v130, off, s[0:3], 0 offset:472
	s_waitcnt vmcnt(12)
	v_fmac_f64_e32 v[148:149], v[150:151], v[132:133]
	s_waitcnt vmcnt(10) lgkmcnt(2)
	v_fmac_f64_e32 v[148:149], v[152:153], v[134:135]
	buffer_load_dword v135, off, s[0:3], 0 offset:484
	buffer_load_dword v134, off, s[0:3], 0 offset:480
	s_waitcnt vmcnt(10)
	v_fmac_f64_e32 v[148:149], v[154:155], v[136:137]
	s_waitcnt vmcnt(8) lgkmcnt(1)
	v_fmac_f64_e32 v[148:149], v[156:157], v[138:139]
	s_waitcnt vmcnt(6)
	v_fmac_f64_e32 v[148:149], v[158:159], v[140:141]
	s_waitcnt vmcnt(4) lgkmcnt(0)
	v_fmac_f64_e32 v[148:149], v[160:161], v[142:143]
	s_waitcnt vmcnt(2)
	v_fmac_f64_e32 v[148:149], v[130:131], v[144:145]
	ds_read_b128 v[130:133], v128 offset:992
	s_waitcnt vmcnt(0) lgkmcnt(0)
	v_fmac_f64_e32 v[148:149], v[134:135], v[130:131]
	buffer_load_dword v131, off, s[0:3], 0 offset:492
	buffer_load_dword v130, off, s[0:3], 0 offset:488
	s_waitcnt vmcnt(0)
	v_fmac_f64_e32 v[148:149], v[130:131], v[132:133]
	buffer_load_dword v131, off, s[0:3], 0 offset:500
	buffer_load_dword v130, off, s[0:3], 0 offset:496
	ds_read_b64 v[132:133], v128 offset:1008
	s_waitcnt vmcnt(0) lgkmcnt(0)
	v_fmac_f64_e32 v[148:149], v[130:131], v[132:133]
	v_add_f64 v[130:131], v[146:147], -v[148:149]
	buffer_store_dword v131, off, s[0:3], 0 offset:412
	buffer_store_dword v130, off, s[0:3], 0 offset:408
	s_and_saveexec_b64 s[4:5], vcc
	s_cbranch_execz .LBB126_285
; %bb.284:
	buffer_load_dword v130, off, s[0:3], 0 offset:400
	buffer_load_dword v131, off, s[0:3], 0 offset:404
	s_waitcnt vmcnt(0)
	ds_write_b64 v1, v[130:131]
	buffer_store_dword v128, off, s[0:3], 0 offset:400
	buffer_store_dword v128, off, s[0:3], 0 offset:404
.LBB126_285:
	s_or_b64 exec, exec, s[4:5]
	s_waitcnt lgkmcnt(0)
	; wave barrier
	s_waitcnt lgkmcnt(0)
	buffer_load_dword v134, off, s[0:3], 0 offset:400
	buffer_load_dword v135, off, s[0:3], 0 offset:404
	;; [unrolled: 1-line block ×16, first 2 shown]
	ds_read2_b64 v[130:133], v128 offset0:115 offset1:116
	v_cmp_lt_u32_e32 vcc, 49, v0
	s_waitcnt vmcnt(12) lgkmcnt(0)
	v_fma_f64 v[136:137], v[136:137], v[130:131], 0
	s_waitcnt vmcnt(10)
	v_fmac_f64_e32 v[136:137], v[138:139], v[132:133]
	ds_read2_b64 v[130:133], v128 offset0:117 offset1:118
	s_waitcnt vmcnt(8) lgkmcnt(0)
	v_fmac_f64_e32 v[136:137], v[140:141], v[130:131]
	s_waitcnt vmcnt(6)
	v_fmac_f64_e32 v[136:137], v[142:143], v[132:133]
	ds_read2_b64 v[130:133], v128 offset0:119 offset1:120
	s_waitcnt vmcnt(4) lgkmcnt(0)
	v_fmac_f64_e32 v[136:137], v[144:145], v[130:131]
	;; [unrolled: 5-line block ×3, first 2 shown]
	buffer_load_dword v131, off, s[0:3], 0 offset:468
	buffer_load_dword v130, off, s[0:3], 0 offset:464
	;; [unrolled: 1-line block ×4, first 2 shown]
	s_waitcnt vmcnt(2)
	v_fmac_f64_e32 v[136:137], v[130:131], v[132:133]
	ds_read2_b64 v[130:133], v128 offset0:123 offset1:124
	s_waitcnt vmcnt(0) lgkmcnt(0)
	v_fmac_f64_e32 v[136:137], v[138:139], v[130:131]
	buffer_load_dword v131, off, s[0:3], 0 offset:484
	buffer_load_dword v130, off, s[0:3], 0 offset:480
	s_waitcnt vmcnt(0)
	v_fmac_f64_e32 v[136:137], v[130:131], v[132:133]
	buffer_load_dword v133, off, s[0:3], 0 offset:492
	buffer_load_dword v132, off, s[0:3], 0 offset:488
	ds_read2_b64 v[128:131], v128 offset0:125 offset1:126
	s_waitcnt vmcnt(0) lgkmcnt(0)
	v_fmac_f64_e32 v[136:137], v[132:133], v[128:129]
	buffer_load_dword v129, off, s[0:3], 0 offset:500
	buffer_load_dword v128, off, s[0:3], 0 offset:496
	s_waitcnt vmcnt(0)
	v_fmac_f64_e32 v[136:137], v[128:129], v[130:131]
	v_add_f64 v[128:129], v[134:135], -v[136:137]
	buffer_store_dword v129, off, s[0:3], 0 offset:404
	buffer_store_dword v128, off, s[0:3], 0 offset:400
	s_and_saveexec_b64 s[4:5], vcc
	s_cbranch_execz .LBB126_287
; %bb.286:
	buffer_load_dword v128, off, s[0:3], 0 offset:392
	buffer_load_dword v129, off, s[0:3], 0 offset:396
	v_mov_b32_e32 v130, 0
	buffer_store_dword v130, off, s[0:3], 0 offset:392
	buffer_store_dword v130, off, s[0:3], 0 offset:396
	s_waitcnt vmcnt(2)
	ds_write_b64 v1, v[128:129]
.LBB126_287:
	s_or_b64 exec, exec, s[4:5]
	s_waitcnt lgkmcnt(0)
	; wave barrier
	s_waitcnt lgkmcnt(0)
	buffer_load_dword v146, off, s[0:3], 0 offset:392
	buffer_load_dword v147, off, s[0:3], 0 offset:396
	;; [unrolled: 1-line block ×16, first 2 shown]
	v_mov_b32_e32 v128, 0
	ds_read_b128 v[130:133], v128 offset:912
	ds_read_b128 v[134:137], v128 offset:928
	;; [unrolled: 1-line block ×4, first 2 shown]
	v_cmp_lt_u32_e32 vcc, 48, v0
	s_waitcnt vmcnt(12) lgkmcnt(3)
	v_fma_f64 v[148:149], v[148:149], v[130:131], 0
	buffer_load_dword v131, off, s[0:3], 0 offset:460
	buffer_load_dword v130, off, s[0:3], 0 offset:456
	s_waitcnt vmcnt(12)
	v_fmac_f64_e32 v[148:149], v[150:151], v[132:133]
	s_waitcnt vmcnt(10) lgkmcnt(2)
	v_fmac_f64_e32 v[148:149], v[152:153], v[134:135]
	buffer_load_dword v135, off, s[0:3], 0 offset:468
	buffer_load_dword v134, off, s[0:3], 0 offset:464
	s_waitcnt vmcnt(10)
	v_fmac_f64_e32 v[148:149], v[154:155], v[136:137]
	s_waitcnt vmcnt(8) lgkmcnt(1)
	v_fmac_f64_e32 v[148:149], v[156:157], v[138:139]
	s_waitcnt vmcnt(6)
	v_fmac_f64_e32 v[148:149], v[158:159], v[140:141]
	s_waitcnt vmcnt(4) lgkmcnt(0)
	v_fmac_f64_e32 v[148:149], v[160:161], v[142:143]
	s_waitcnt vmcnt(2)
	v_fmac_f64_e32 v[148:149], v[130:131], v[144:145]
	ds_read_b128 v[130:133], v128 offset:976
	s_waitcnt vmcnt(0) lgkmcnt(0)
	v_fmac_f64_e32 v[148:149], v[134:135], v[130:131]
	buffer_load_dword v131, off, s[0:3], 0 offset:476
	buffer_load_dword v130, off, s[0:3], 0 offset:472
	;; [unrolled: 1-line block ×4, first 2 shown]
	s_waitcnt vmcnt(2)
	v_fmac_f64_e32 v[148:149], v[130:131], v[132:133]
	ds_read_b128 v[130:133], v128 offset:992
	s_waitcnt vmcnt(0) lgkmcnt(0)
	v_fmac_f64_e32 v[148:149], v[134:135], v[130:131]
	buffer_load_dword v131, off, s[0:3], 0 offset:492
	buffer_load_dword v130, off, s[0:3], 0 offset:488
	s_waitcnt vmcnt(0)
	v_fmac_f64_e32 v[148:149], v[130:131], v[132:133]
	buffer_load_dword v131, off, s[0:3], 0 offset:500
	buffer_load_dword v130, off, s[0:3], 0 offset:496
	ds_read_b64 v[132:133], v128 offset:1008
	s_waitcnt vmcnt(0) lgkmcnt(0)
	v_fmac_f64_e32 v[148:149], v[130:131], v[132:133]
	v_add_f64 v[130:131], v[146:147], -v[148:149]
	buffer_store_dword v131, off, s[0:3], 0 offset:396
	buffer_store_dword v130, off, s[0:3], 0 offset:392
	s_and_saveexec_b64 s[4:5], vcc
	s_cbranch_execz .LBB126_289
; %bb.288:
	buffer_load_dword v130, off, s[0:3], 0 offset:384
	buffer_load_dword v131, off, s[0:3], 0 offset:388
	s_waitcnt vmcnt(0)
	ds_write_b64 v1, v[130:131]
	buffer_store_dword v128, off, s[0:3], 0 offset:384
	buffer_store_dword v128, off, s[0:3], 0 offset:388
.LBB126_289:
	s_or_b64 exec, exec, s[4:5]
	s_waitcnt lgkmcnt(0)
	; wave barrier
	s_waitcnt lgkmcnt(0)
	buffer_load_dword v134, off, s[0:3], 0 offset:384
	buffer_load_dword v135, off, s[0:3], 0 offset:388
	;; [unrolled: 1-line block ×16, first 2 shown]
	ds_read2_b64 v[130:133], v128 offset0:113 offset1:114
	v_cmp_lt_u32_e32 vcc, 47, v0
	s_waitcnt vmcnt(12) lgkmcnt(0)
	v_fma_f64 v[136:137], v[136:137], v[130:131], 0
	s_waitcnt vmcnt(10)
	v_fmac_f64_e32 v[136:137], v[138:139], v[132:133]
	ds_read2_b64 v[130:133], v128 offset0:115 offset1:116
	s_waitcnt vmcnt(8) lgkmcnt(0)
	v_fmac_f64_e32 v[136:137], v[140:141], v[130:131]
	s_waitcnt vmcnt(6)
	v_fmac_f64_e32 v[136:137], v[142:143], v[132:133]
	ds_read2_b64 v[130:133], v128 offset0:117 offset1:118
	s_waitcnt vmcnt(4) lgkmcnt(0)
	v_fmac_f64_e32 v[136:137], v[144:145], v[130:131]
	;; [unrolled: 5-line block ×3, first 2 shown]
	buffer_load_dword v131, off, s[0:3], 0 offset:452
	buffer_load_dword v130, off, s[0:3], 0 offset:448
	;; [unrolled: 1-line block ×4, first 2 shown]
	s_waitcnt vmcnt(2)
	v_fmac_f64_e32 v[136:137], v[130:131], v[132:133]
	ds_read2_b64 v[130:133], v128 offset0:121 offset1:122
	s_waitcnt vmcnt(0) lgkmcnt(0)
	v_fmac_f64_e32 v[136:137], v[138:139], v[130:131]
	buffer_load_dword v131, off, s[0:3], 0 offset:468
	buffer_load_dword v130, off, s[0:3], 0 offset:464
	buffer_load_dword v139, off, s[0:3], 0 offset:476
	buffer_load_dword v138, off, s[0:3], 0 offset:472
	s_waitcnt vmcnt(2)
	v_fmac_f64_e32 v[136:137], v[130:131], v[132:133]
	ds_read2_b64 v[130:133], v128 offset0:123 offset1:124
	s_waitcnt vmcnt(0) lgkmcnt(0)
	v_fmac_f64_e32 v[136:137], v[138:139], v[130:131]
	buffer_load_dword v131, off, s[0:3], 0 offset:484
	buffer_load_dword v130, off, s[0:3], 0 offset:480
	s_waitcnt vmcnt(0)
	v_fmac_f64_e32 v[136:137], v[130:131], v[132:133]
	buffer_load_dword v133, off, s[0:3], 0 offset:492
	buffer_load_dword v132, off, s[0:3], 0 offset:488
	ds_read2_b64 v[128:131], v128 offset0:125 offset1:126
	s_waitcnt vmcnt(0) lgkmcnt(0)
	v_fmac_f64_e32 v[136:137], v[132:133], v[128:129]
	buffer_load_dword v129, off, s[0:3], 0 offset:500
	buffer_load_dword v128, off, s[0:3], 0 offset:496
	s_waitcnt vmcnt(0)
	v_fmac_f64_e32 v[136:137], v[128:129], v[130:131]
	v_add_f64 v[128:129], v[134:135], -v[136:137]
	buffer_store_dword v129, off, s[0:3], 0 offset:388
	buffer_store_dword v128, off, s[0:3], 0 offset:384
	s_and_saveexec_b64 s[4:5], vcc
	s_cbranch_execz .LBB126_291
; %bb.290:
	buffer_load_dword v128, off, s[0:3], 0 offset:376
	buffer_load_dword v129, off, s[0:3], 0 offset:380
	v_mov_b32_e32 v130, 0
	buffer_store_dword v130, off, s[0:3], 0 offset:376
	buffer_store_dword v130, off, s[0:3], 0 offset:380
	s_waitcnt vmcnt(2)
	ds_write_b64 v1, v[128:129]
.LBB126_291:
	s_or_b64 exec, exec, s[4:5]
	s_waitcnt lgkmcnt(0)
	; wave barrier
	s_waitcnt lgkmcnt(0)
	buffer_load_dword v146, off, s[0:3], 0 offset:376
	buffer_load_dword v147, off, s[0:3], 0 offset:380
	;; [unrolled: 1-line block ×16, first 2 shown]
	v_mov_b32_e32 v128, 0
	ds_read_b128 v[130:133], v128 offset:896
	ds_read_b128 v[134:137], v128 offset:912
	;; [unrolled: 1-line block ×4, first 2 shown]
	v_cmp_lt_u32_e32 vcc, 46, v0
	s_waitcnt vmcnt(12) lgkmcnt(3)
	v_fma_f64 v[148:149], v[148:149], v[130:131], 0
	buffer_load_dword v131, off, s[0:3], 0 offset:444
	buffer_load_dword v130, off, s[0:3], 0 offset:440
	s_waitcnt vmcnt(12)
	v_fmac_f64_e32 v[148:149], v[150:151], v[132:133]
	s_waitcnt vmcnt(10) lgkmcnt(2)
	v_fmac_f64_e32 v[148:149], v[152:153], v[134:135]
	buffer_load_dword v135, off, s[0:3], 0 offset:452
	buffer_load_dword v134, off, s[0:3], 0 offset:448
	s_waitcnt vmcnt(10)
	v_fmac_f64_e32 v[148:149], v[154:155], v[136:137]
	s_waitcnt vmcnt(8) lgkmcnt(1)
	v_fmac_f64_e32 v[148:149], v[156:157], v[138:139]
	s_waitcnt vmcnt(6)
	v_fmac_f64_e32 v[148:149], v[158:159], v[140:141]
	s_waitcnt vmcnt(4) lgkmcnt(0)
	v_fmac_f64_e32 v[148:149], v[160:161], v[142:143]
	s_waitcnt vmcnt(2)
	v_fmac_f64_e32 v[148:149], v[130:131], v[144:145]
	ds_read_b128 v[130:133], v128 offset:960
	s_waitcnt vmcnt(0) lgkmcnt(0)
	v_fmac_f64_e32 v[148:149], v[134:135], v[130:131]
	buffer_load_dword v131, off, s[0:3], 0 offset:460
	buffer_load_dword v130, off, s[0:3], 0 offset:456
	;; [unrolled: 1-line block ×4, first 2 shown]
	s_waitcnt vmcnt(2)
	v_fmac_f64_e32 v[148:149], v[130:131], v[132:133]
	ds_read_b128 v[130:133], v128 offset:976
	s_waitcnt vmcnt(0) lgkmcnt(0)
	v_fmac_f64_e32 v[148:149], v[134:135], v[130:131]
	buffer_load_dword v131, off, s[0:3], 0 offset:476
	buffer_load_dword v130, off, s[0:3], 0 offset:472
	;; [unrolled: 1-line block ×4, first 2 shown]
	s_waitcnt vmcnt(2)
	v_fmac_f64_e32 v[148:149], v[130:131], v[132:133]
	ds_read_b128 v[130:133], v128 offset:992
	s_waitcnt vmcnt(0) lgkmcnt(0)
	v_fmac_f64_e32 v[148:149], v[134:135], v[130:131]
	buffer_load_dword v131, off, s[0:3], 0 offset:492
	buffer_load_dword v130, off, s[0:3], 0 offset:488
	s_waitcnt vmcnt(0)
	v_fmac_f64_e32 v[148:149], v[130:131], v[132:133]
	buffer_load_dword v131, off, s[0:3], 0 offset:500
	buffer_load_dword v130, off, s[0:3], 0 offset:496
	ds_read_b64 v[132:133], v128 offset:1008
	s_waitcnt vmcnt(0) lgkmcnt(0)
	v_fmac_f64_e32 v[148:149], v[130:131], v[132:133]
	v_add_f64 v[130:131], v[146:147], -v[148:149]
	buffer_store_dword v131, off, s[0:3], 0 offset:380
	buffer_store_dword v130, off, s[0:3], 0 offset:376
	s_and_saveexec_b64 s[4:5], vcc
	s_cbranch_execz .LBB126_293
; %bb.292:
	buffer_load_dword v130, off, s[0:3], 0 offset:368
	buffer_load_dword v131, off, s[0:3], 0 offset:372
	s_waitcnt vmcnt(0)
	ds_write_b64 v1, v[130:131]
	buffer_store_dword v128, off, s[0:3], 0 offset:368
	buffer_store_dword v128, off, s[0:3], 0 offset:372
.LBB126_293:
	s_or_b64 exec, exec, s[4:5]
	s_waitcnt lgkmcnt(0)
	; wave barrier
	s_waitcnt lgkmcnt(0)
	buffer_load_dword v134, off, s[0:3], 0 offset:368
	buffer_load_dword v135, off, s[0:3], 0 offset:372
	;; [unrolled: 1-line block ×16, first 2 shown]
	ds_read2_b64 v[130:133], v128 offset0:111 offset1:112
	v_cmp_lt_u32_e32 vcc, 45, v0
	s_waitcnt vmcnt(12) lgkmcnt(0)
	v_fma_f64 v[136:137], v[136:137], v[130:131], 0
	s_waitcnt vmcnt(10)
	v_fmac_f64_e32 v[136:137], v[138:139], v[132:133]
	ds_read2_b64 v[130:133], v128 offset0:113 offset1:114
	s_waitcnt vmcnt(8) lgkmcnt(0)
	v_fmac_f64_e32 v[136:137], v[140:141], v[130:131]
	s_waitcnt vmcnt(6)
	v_fmac_f64_e32 v[136:137], v[142:143], v[132:133]
	ds_read2_b64 v[130:133], v128 offset0:115 offset1:116
	s_waitcnt vmcnt(4) lgkmcnt(0)
	v_fmac_f64_e32 v[136:137], v[144:145], v[130:131]
	;; [unrolled: 5-line block ×3, first 2 shown]
	buffer_load_dword v131, off, s[0:3], 0 offset:436
	buffer_load_dword v130, off, s[0:3], 0 offset:432
	buffer_load_dword v139, off, s[0:3], 0 offset:444
	buffer_load_dword v138, off, s[0:3], 0 offset:440
	s_waitcnt vmcnt(2)
	v_fmac_f64_e32 v[136:137], v[130:131], v[132:133]
	ds_read2_b64 v[130:133], v128 offset0:119 offset1:120
	s_waitcnt vmcnt(0) lgkmcnt(0)
	v_fmac_f64_e32 v[136:137], v[138:139], v[130:131]
	buffer_load_dword v131, off, s[0:3], 0 offset:452
	buffer_load_dword v130, off, s[0:3], 0 offset:448
	buffer_load_dword v139, off, s[0:3], 0 offset:460
	buffer_load_dword v138, off, s[0:3], 0 offset:456
	s_waitcnt vmcnt(2)
	v_fmac_f64_e32 v[136:137], v[130:131], v[132:133]
	ds_read2_b64 v[130:133], v128 offset0:121 offset1:122
	s_waitcnt vmcnt(0) lgkmcnt(0)
	v_fmac_f64_e32 v[136:137], v[138:139], v[130:131]
	;; [unrolled: 9-line block ×3, first 2 shown]
	buffer_load_dword v131, off, s[0:3], 0 offset:484
	buffer_load_dword v130, off, s[0:3], 0 offset:480
	s_waitcnt vmcnt(0)
	v_fmac_f64_e32 v[136:137], v[130:131], v[132:133]
	buffer_load_dword v133, off, s[0:3], 0 offset:492
	buffer_load_dword v132, off, s[0:3], 0 offset:488
	ds_read2_b64 v[128:131], v128 offset0:125 offset1:126
	s_waitcnt vmcnt(0) lgkmcnt(0)
	v_fmac_f64_e32 v[136:137], v[132:133], v[128:129]
	buffer_load_dword v129, off, s[0:3], 0 offset:500
	buffer_load_dword v128, off, s[0:3], 0 offset:496
	s_waitcnt vmcnt(0)
	v_fmac_f64_e32 v[136:137], v[128:129], v[130:131]
	v_add_f64 v[128:129], v[134:135], -v[136:137]
	buffer_store_dword v129, off, s[0:3], 0 offset:372
	buffer_store_dword v128, off, s[0:3], 0 offset:368
	s_and_saveexec_b64 s[4:5], vcc
	s_cbranch_execz .LBB126_295
; %bb.294:
	buffer_load_dword v128, off, s[0:3], 0 offset:360
	buffer_load_dword v129, off, s[0:3], 0 offset:364
	v_mov_b32_e32 v130, 0
	buffer_store_dword v130, off, s[0:3], 0 offset:360
	buffer_store_dword v130, off, s[0:3], 0 offset:364
	s_waitcnt vmcnt(2)
	ds_write_b64 v1, v[128:129]
.LBB126_295:
	s_or_b64 exec, exec, s[4:5]
	s_waitcnt lgkmcnt(0)
	; wave barrier
	s_waitcnt lgkmcnt(0)
	buffer_load_dword v128, off, s[0:3], 0 offset:360
	buffer_load_dword v129, off, s[0:3], 0 offset:364
	;; [unrolled: 1-line block ×16, first 2 shown]
	v_mov_b32_e32 v132, 0
	ds_read_b128 v[134:137], v132 offset:880
	ds_read_b128 v[138:141], v132 offset:896
	;; [unrolled: 1-line block ×4, first 2 shown]
	v_cmp_lt_u32_e32 vcc, 44, v0
	s_waitcnt vmcnt(12) lgkmcnt(3)
	v_fma_f64 v[130:131], v[130:131], v[134:135], 0
	buffer_load_dword v135, off, s[0:3], 0 offset:428
	buffer_load_dword v134, off, s[0:3], 0 offset:424
	s_waitcnt vmcnt(12)
	v_fmac_f64_e32 v[130:131], v[150:151], v[136:137]
	s_waitcnt vmcnt(10) lgkmcnt(2)
	v_fmac_f64_e32 v[130:131], v[152:153], v[138:139]
	buffer_load_dword v139, off, s[0:3], 0 offset:436
	buffer_load_dword v138, off, s[0:3], 0 offset:432
	s_waitcnt vmcnt(10)
	v_fmac_f64_e32 v[130:131], v[154:155], v[140:141]
	s_waitcnt vmcnt(8) lgkmcnt(1)
	v_fmac_f64_e32 v[130:131], v[156:157], v[142:143]
	s_waitcnt vmcnt(6)
	v_fmac_f64_e32 v[130:131], v[158:159], v[144:145]
	s_waitcnt vmcnt(4) lgkmcnt(0)
	v_fmac_f64_e32 v[130:131], v[160:161], v[146:147]
	s_waitcnt vmcnt(2)
	v_fmac_f64_e32 v[130:131], v[134:135], v[148:149]
	ds_read_b128 v[134:137], v132 offset:944
	s_waitcnt vmcnt(0) lgkmcnt(0)
	v_fmac_f64_e32 v[130:131], v[138:139], v[134:135]
	buffer_load_dword v135, off, s[0:3], 0 offset:444
	buffer_load_dword v134, off, s[0:3], 0 offset:440
	buffer_load_dword v139, off, s[0:3], 0 offset:452
	buffer_load_dword v138, off, s[0:3], 0 offset:448
	s_waitcnt vmcnt(2)
	v_fmac_f64_e32 v[130:131], v[134:135], v[136:137]
	ds_read_b128 v[134:137], v132 offset:960
	s_waitcnt vmcnt(0) lgkmcnt(0)
	v_fmac_f64_e32 v[130:131], v[138:139], v[134:135]
	buffer_load_dword v135, off, s[0:3], 0 offset:460
	buffer_load_dword v134, off, s[0:3], 0 offset:456
	buffer_load_dword v139, off, s[0:3], 0 offset:468
	buffer_load_dword v138, off, s[0:3], 0 offset:464
	;; [unrolled: 9-line block ×3, first 2 shown]
	s_waitcnt vmcnt(2)
	v_fmac_f64_e32 v[130:131], v[134:135], v[136:137]
	ds_read_b128 v[134:137], v132 offset:992
	s_waitcnt vmcnt(0) lgkmcnt(0)
	v_fmac_f64_e32 v[130:131], v[138:139], v[134:135]
	buffer_load_dword v135, off, s[0:3], 0 offset:492
	buffer_load_dword v134, off, s[0:3], 0 offset:488
	s_waitcnt vmcnt(0)
	v_fmac_f64_e32 v[130:131], v[134:135], v[136:137]
	buffer_load_dword v135, off, s[0:3], 0 offset:500
	buffer_load_dword v134, off, s[0:3], 0 offset:496
	ds_read_b64 v[136:137], v132 offset:1008
	s_waitcnt vmcnt(0) lgkmcnt(0)
	v_fmac_f64_e32 v[130:131], v[134:135], v[136:137]
	v_add_f64 v[128:129], v[128:129], -v[130:131]
	buffer_store_dword v129, off, s[0:3], 0 offset:364
	buffer_store_dword v128, off, s[0:3], 0 offset:360
	s_and_saveexec_b64 s[4:5], vcc
	s_cbranch_execz .LBB126_297
; %bb.296:
	buffer_load_dword v128, off, s[0:3], 0 offset:352
	buffer_load_dword v129, off, s[0:3], 0 offset:356
	s_waitcnt vmcnt(0)
	ds_write_b64 v1, v[128:129]
	buffer_store_dword v132, off, s[0:3], 0 offset:352
	buffer_store_dword v132, off, s[0:3], 0 offset:356
.LBB126_297:
	s_or_b64 exec, exec, s[4:5]
	s_waitcnt lgkmcnt(0)
	; wave barrier
	s_waitcnt lgkmcnt(0)
	buffer_load_dword v128, off, s[0:3], 0 offset:352
	buffer_load_dword v129, off, s[0:3], 0 offset:356
	;; [unrolled: 1-line block ×16, first 2 shown]
	ds_read2_b64 v[134:137], v132 offset0:109 offset1:110
	v_cmp_lt_u32_e32 vcc, 43, v0
	s_waitcnt vmcnt(12) lgkmcnt(0)
	v_fma_f64 v[130:131], v[130:131], v[134:135], 0
	s_waitcnt vmcnt(10)
	v_fmac_f64_e32 v[130:131], v[138:139], v[136:137]
	ds_read2_b64 v[134:137], v132 offset0:111 offset1:112
	s_waitcnt vmcnt(8) lgkmcnt(0)
	v_fmac_f64_e32 v[130:131], v[140:141], v[134:135]
	s_waitcnt vmcnt(6)
	v_fmac_f64_e32 v[130:131], v[142:143], v[136:137]
	ds_read2_b64 v[134:137], v132 offset0:113 offset1:114
	s_waitcnt vmcnt(4) lgkmcnt(0)
	v_fmac_f64_e32 v[130:131], v[144:145], v[134:135]
	;; [unrolled: 5-line block ×3, first 2 shown]
	buffer_load_dword v135, off, s[0:3], 0 offset:420
	buffer_load_dword v134, off, s[0:3], 0 offset:416
	buffer_load_dword v139, off, s[0:3], 0 offset:428
	buffer_load_dword v138, off, s[0:3], 0 offset:424
	s_waitcnt vmcnt(2)
	v_fmac_f64_e32 v[130:131], v[134:135], v[136:137]
	ds_read2_b64 v[134:137], v132 offset0:117 offset1:118
	s_waitcnt vmcnt(0) lgkmcnt(0)
	v_fmac_f64_e32 v[130:131], v[138:139], v[134:135]
	buffer_load_dword v135, off, s[0:3], 0 offset:436
	buffer_load_dword v134, off, s[0:3], 0 offset:432
	buffer_load_dword v139, off, s[0:3], 0 offset:444
	buffer_load_dword v138, off, s[0:3], 0 offset:440
	s_waitcnt vmcnt(2)
	v_fmac_f64_e32 v[130:131], v[134:135], v[136:137]
	ds_read2_b64 v[134:137], v132 offset0:119 offset1:120
	s_waitcnt vmcnt(0) lgkmcnt(0)
	v_fmac_f64_e32 v[130:131], v[138:139], v[134:135]
	;; [unrolled: 9-line block ×4, first 2 shown]
	buffer_load_dword v135, off, s[0:3], 0 offset:484
	buffer_load_dword v134, off, s[0:3], 0 offset:480
	s_waitcnt vmcnt(0)
	v_fmac_f64_e32 v[130:131], v[134:135], v[136:137]
	buffer_load_dword v137, off, s[0:3], 0 offset:492
	buffer_load_dword v136, off, s[0:3], 0 offset:488
	ds_read2_b64 v[132:135], v132 offset0:125 offset1:126
	s_waitcnt vmcnt(0) lgkmcnt(0)
	v_fmac_f64_e32 v[130:131], v[136:137], v[132:133]
	buffer_load_dword v133, off, s[0:3], 0 offset:500
	buffer_load_dword v132, off, s[0:3], 0 offset:496
	s_waitcnt vmcnt(0)
	v_fmac_f64_e32 v[130:131], v[132:133], v[134:135]
	v_add_f64 v[128:129], v[128:129], -v[130:131]
	buffer_store_dword v129, off, s[0:3], 0 offset:356
	buffer_store_dword v128, off, s[0:3], 0 offset:352
	s_and_saveexec_b64 s[4:5], vcc
	s_cbranch_execz .LBB126_299
; %bb.298:
	buffer_load_dword v128, off, s[0:3], 0 offset:344
	buffer_load_dword v129, off, s[0:3], 0 offset:348
	v_mov_b32_e32 v130, 0
	buffer_store_dword v130, off, s[0:3], 0 offset:344
	buffer_store_dword v130, off, s[0:3], 0 offset:348
	s_waitcnt vmcnt(2)
	ds_write_b64 v1, v[128:129]
.LBB126_299:
	s_or_b64 exec, exec, s[4:5]
	s_waitcnt lgkmcnt(0)
	; wave barrier
	s_waitcnt lgkmcnt(0)
	buffer_load_dword v128, off, s[0:3], 0 offset:344
	buffer_load_dword v129, off, s[0:3], 0 offset:348
	buffer_load_dword v130, off, s[0:3], 0 offset:352
	buffer_load_dword v131, off, s[0:3], 0 offset:356
	buffer_load_dword v150, off, s[0:3], 0 offset:360
	buffer_load_dword v151, off, s[0:3], 0 offset:364
	buffer_load_dword v152, off, s[0:3], 0 offset:368
	buffer_load_dword v153, off, s[0:3], 0 offset:372
	buffer_load_dword v154, off, s[0:3], 0 offset:376
	buffer_load_dword v155, off, s[0:3], 0 offset:380
	buffer_load_dword v156, off, s[0:3], 0 offset:384
	buffer_load_dword v157, off, s[0:3], 0 offset:388
	buffer_load_dword v158, off, s[0:3], 0 offset:392
	buffer_load_dword v159, off, s[0:3], 0 offset:396
	buffer_load_dword v160, off, s[0:3], 0 offset:400
	buffer_load_dword v161, off, s[0:3], 0 offset:404
	v_mov_b32_e32 v132, 0
	ds_read_b128 v[134:137], v132 offset:864
	ds_read_b128 v[138:141], v132 offset:880
	;; [unrolled: 1-line block ×4, first 2 shown]
	v_cmp_lt_u32_e32 vcc, 42, v0
	s_waitcnt vmcnt(12) lgkmcnt(3)
	v_fma_f64 v[130:131], v[130:131], v[134:135], 0
	buffer_load_dword v135, off, s[0:3], 0 offset:412
	buffer_load_dword v134, off, s[0:3], 0 offset:408
	s_waitcnt vmcnt(12)
	v_fmac_f64_e32 v[130:131], v[150:151], v[136:137]
	s_waitcnt vmcnt(10) lgkmcnt(2)
	v_fmac_f64_e32 v[130:131], v[152:153], v[138:139]
	buffer_load_dword v139, off, s[0:3], 0 offset:420
	buffer_load_dword v138, off, s[0:3], 0 offset:416
	s_waitcnt vmcnt(10)
	v_fmac_f64_e32 v[130:131], v[154:155], v[140:141]
	s_waitcnt vmcnt(8) lgkmcnt(1)
	v_fmac_f64_e32 v[130:131], v[156:157], v[142:143]
	s_waitcnt vmcnt(6)
	v_fmac_f64_e32 v[130:131], v[158:159], v[144:145]
	s_waitcnt vmcnt(4) lgkmcnt(0)
	v_fmac_f64_e32 v[130:131], v[160:161], v[146:147]
	s_waitcnt vmcnt(2)
	v_fmac_f64_e32 v[130:131], v[134:135], v[148:149]
	ds_read_b128 v[134:137], v132 offset:928
	s_waitcnt vmcnt(0) lgkmcnt(0)
	v_fmac_f64_e32 v[130:131], v[138:139], v[134:135]
	buffer_load_dword v135, off, s[0:3], 0 offset:428
	buffer_load_dword v134, off, s[0:3], 0 offset:424
	buffer_load_dword v139, off, s[0:3], 0 offset:436
	buffer_load_dword v138, off, s[0:3], 0 offset:432
	s_waitcnt vmcnt(2)
	v_fmac_f64_e32 v[130:131], v[134:135], v[136:137]
	ds_read_b128 v[134:137], v132 offset:944
	s_waitcnt vmcnt(0) lgkmcnt(0)
	v_fmac_f64_e32 v[130:131], v[138:139], v[134:135]
	buffer_load_dword v135, off, s[0:3], 0 offset:444
	buffer_load_dword v134, off, s[0:3], 0 offset:440
	buffer_load_dword v139, off, s[0:3], 0 offset:452
	buffer_load_dword v138, off, s[0:3], 0 offset:448
	;; [unrolled: 9-line block ×4, first 2 shown]
	s_waitcnt vmcnt(2)
	v_fmac_f64_e32 v[130:131], v[134:135], v[136:137]
	ds_read_b128 v[134:137], v132 offset:992
	s_waitcnt vmcnt(0) lgkmcnt(0)
	v_fmac_f64_e32 v[130:131], v[138:139], v[134:135]
	buffer_load_dword v135, off, s[0:3], 0 offset:492
	buffer_load_dword v134, off, s[0:3], 0 offset:488
	s_waitcnt vmcnt(0)
	v_fmac_f64_e32 v[130:131], v[134:135], v[136:137]
	buffer_load_dword v135, off, s[0:3], 0 offset:500
	buffer_load_dword v134, off, s[0:3], 0 offset:496
	ds_read_b64 v[136:137], v132 offset:1008
	s_waitcnt vmcnt(0) lgkmcnt(0)
	v_fmac_f64_e32 v[130:131], v[134:135], v[136:137]
	v_add_f64 v[128:129], v[128:129], -v[130:131]
	buffer_store_dword v129, off, s[0:3], 0 offset:348
	buffer_store_dword v128, off, s[0:3], 0 offset:344
	s_and_saveexec_b64 s[4:5], vcc
	s_cbranch_execz .LBB126_301
; %bb.300:
	buffer_load_dword v128, off, s[0:3], 0 offset:336
	buffer_load_dword v129, off, s[0:3], 0 offset:340
	s_waitcnt vmcnt(0)
	ds_write_b64 v1, v[128:129]
	buffer_store_dword v132, off, s[0:3], 0 offset:336
	buffer_store_dword v132, off, s[0:3], 0 offset:340
.LBB126_301:
	s_or_b64 exec, exec, s[4:5]
	s_waitcnt lgkmcnt(0)
	; wave barrier
	s_waitcnt lgkmcnt(0)
	buffer_load_dword v128, off, s[0:3], 0 offset:336
	buffer_load_dword v129, off, s[0:3], 0 offset:340
	;; [unrolled: 1-line block ×16, first 2 shown]
	ds_read2_b64 v[134:137], v132 offset0:107 offset1:108
	v_cmp_lt_u32_e32 vcc, 41, v0
	s_waitcnt vmcnt(12) lgkmcnt(0)
	v_fma_f64 v[130:131], v[130:131], v[134:135], 0
	s_waitcnt vmcnt(10)
	v_fmac_f64_e32 v[130:131], v[138:139], v[136:137]
	ds_read2_b64 v[134:137], v132 offset0:109 offset1:110
	s_waitcnt vmcnt(8) lgkmcnt(0)
	v_fmac_f64_e32 v[130:131], v[140:141], v[134:135]
	s_waitcnt vmcnt(6)
	v_fmac_f64_e32 v[130:131], v[142:143], v[136:137]
	ds_read2_b64 v[134:137], v132 offset0:111 offset1:112
	s_waitcnt vmcnt(4) lgkmcnt(0)
	v_fmac_f64_e32 v[130:131], v[144:145], v[134:135]
	;; [unrolled: 5-line block ×3, first 2 shown]
	buffer_load_dword v135, off, s[0:3], 0 offset:404
	buffer_load_dword v134, off, s[0:3], 0 offset:400
	buffer_load_dword v139, off, s[0:3], 0 offset:412
	buffer_load_dword v138, off, s[0:3], 0 offset:408
	s_waitcnt vmcnt(2)
	v_fmac_f64_e32 v[130:131], v[134:135], v[136:137]
	ds_read2_b64 v[134:137], v132 offset0:115 offset1:116
	s_waitcnt vmcnt(0) lgkmcnt(0)
	v_fmac_f64_e32 v[130:131], v[138:139], v[134:135]
	buffer_load_dword v135, off, s[0:3], 0 offset:420
	buffer_load_dword v134, off, s[0:3], 0 offset:416
	buffer_load_dword v139, off, s[0:3], 0 offset:428
	buffer_load_dword v138, off, s[0:3], 0 offset:424
	s_waitcnt vmcnt(2)
	v_fmac_f64_e32 v[130:131], v[134:135], v[136:137]
	ds_read2_b64 v[134:137], v132 offset0:117 offset1:118
	s_waitcnt vmcnt(0) lgkmcnt(0)
	v_fmac_f64_e32 v[130:131], v[138:139], v[134:135]
	buffer_load_dword v135, off, s[0:3], 0 offset:436
	buffer_load_dword v134, off, s[0:3], 0 offset:432
	buffer_load_dword v139, off, s[0:3], 0 offset:444
	buffer_load_dword v138, off, s[0:3], 0 offset:440
	s_waitcnt vmcnt(2)
	v_fmac_f64_e32 v[130:131], v[134:135], v[136:137]
	ds_read2_b64 v[134:137], v132 offset0:119 offset1:120
	s_waitcnt vmcnt(0) lgkmcnt(0)
	v_fmac_f64_e32 v[130:131], v[138:139], v[134:135]
	buffer_load_dword v135, off, s[0:3], 0 offset:452
	buffer_load_dword v134, off, s[0:3], 0 offset:448
	buffer_load_dword v139, off, s[0:3], 0 offset:460
	buffer_load_dword v138, off, s[0:3], 0 offset:456
	s_waitcnt vmcnt(2)
	v_fmac_f64_e32 v[130:131], v[134:135], v[136:137]
	ds_read2_b64 v[134:137], v132 offset0:121 offset1:122
	s_waitcnt vmcnt(0) lgkmcnt(0)
	v_fmac_f64_e32 v[130:131], v[138:139], v[134:135]
	buffer_load_dword v135, off, s[0:3], 0 offset:468
	buffer_load_dword v134, off, s[0:3], 0 offset:464
	buffer_load_dword v139, off, s[0:3], 0 offset:476
	buffer_load_dword v138, off, s[0:3], 0 offset:472
	s_waitcnt vmcnt(2)
	v_fmac_f64_e32 v[130:131], v[134:135], v[136:137]
	ds_read2_b64 v[134:137], v132 offset0:123 offset1:124
	s_waitcnt vmcnt(0) lgkmcnt(0)
	v_fmac_f64_e32 v[130:131], v[138:139], v[134:135]
	buffer_load_dword v135, off, s[0:3], 0 offset:484
	buffer_load_dword v134, off, s[0:3], 0 offset:480
	s_waitcnt vmcnt(0)
	v_fmac_f64_e32 v[130:131], v[134:135], v[136:137]
	buffer_load_dword v137, off, s[0:3], 0 offset:492
	buffer_load_dword v136, off, s[0:3], 0 offset:488
	ds_read2_b64 v[132:135], v132 offset0:125 offset1:126
	s_waitcnt vmcnt(0) lgkmcnt(0)
	v_fmac_f64_e32 v[130:131], v[136:137], v[132:133]
	buffer_load_dword v133, off, s[0:3], 0 offset:500
	buffer_load_dword v132, off, s[0:3], 0 offset:496
	s_waitcnt vmcnt(0)
	v_fmac_f64_e32 v[130:131], v[132:133], v[134:135]
	v_add_f64 v[128:129], v[128:129], -v[130:131]
	buffer_store_dword v129, off, s[0:3], 0 offset:340
	buffer_store_dword v128, off, s[0:3], 0 offset:336
	s_and_saveexec_b64 s[4:5], vcc
	s_cbranch_execz .LBB126_303
; %bb.302:
	buffer_load_dword v128, off, s[0:3], 0 offset:328
	buffer_load_dword v129, off, s[0:3], 0 offset:332
	v_mov_b32_e32 v130, 0
	buffer_store_dword v130, off, s[0:3], 0 offset:328
	buffer_store_dword v130, off, s[0:3], 0 offset:332
	s_waitcnt vmcnt(2)
	ds_write_b64 v1, v[128:129]
.LBB126_303:
	s_or_b64 exec, exec, s[4:5]
	s_waitcnt lgkmcnt(0)
	; wave barrier
	s_waitcnt lgkmcnt(0)
	buffer_load_dword v128, off, s[0:3], 0 offset:328
	buffer_load_dword v129, off, s[0:3], 0 offset:332
	buffer_load_dword v130, off, s[0:3], 0 offset:336
	buffer_load_dword v131, off, s[0:3], 0 offset:340
	buffer_load_dword v150, off, s[0:3], 0 offset:344
	buffer_load_dword v151, off, s[0:3], 0 offset:348
	buffer_load_dword v152, off, s[0:3], 0 offset:352
	buffer_load_dword v153, off, s[0:3], 0 offset:356
	buffer_load_dword v154, off, s[0:3], 0 offset:360
	buffer_load_dword v155, off, s[0:3], 0 offset:364
	buffer_load_dword v156, off, s[0:3], 0 offset:368
	buffer_load_dword v157, off, s[0:3], 0 offset:372
	buffer_load_dword v158, off, s[0:3], 0 offset:376
	buffer_load_dword v159, off, s[0:3], 0 offset:380
	buffer_load_dword v160, off, s[0:3], 0 offset:384
	buffer_load_dword v161, off, s[0:3], 0 offset:388
	v_mov_b32_e32 v132, 0
	ds_read_b128 v[134:137], v132 offset:848
	ds_read_b128 v[138:141], v132 offset:864
	;; [unrolled: 1-line block ×4, first 2 shown]
	v_cmp_lt_u32_e32 vcc, 40, v0
	s_waitcnt vmcnt(12) lgkmcnt(3)
	v_fma_f64 v[130:131], v[130:131], v[134:135], 0
	buffer_load_dword v135, off, s[0:3], 0 offset:396
	buffer_load_dword v134, off, s[0:3], 0 offset:392
	s_waitcnt vmcnt(12)
	v_fmac_f64_e32 v[130:131], v[150:151], v[136:137]
	s_waitcnt vmcnt(10) lgkmcnt(2)
	v_fmac_f64_e32 v[130:131], v[152:153], v[138:139]
	buffer_load_dword v139, off, s[0:3], 0 offset:404
	buffer_load_dword v138, off, s[0:3], 0 offset:400
	s_waitcnt vmcnt(10)
	v_fmac_f64_e32 v[130:131], v[154:155], v[140:141]
	s_waitcnt vmcnt(8) lgkmcnt(1)
	v_fmac_f64_e32 v[130:131], v[156:157], v[142:143]
	s_waitcnt vmcnt(6)
	v_fmac_f64_e32 v[130:131], v[158:159], v[144:145]
	s_waitcnt vmcnt(4) lgkmcnt(0)
	v_fmac_f64_e32 v[130:131], v[160:161], v[146:147]
	s_waitcnt vmcnt(2)
	v_fmac_f64_e32 v[130:131], v[134:135], v[148:149]
	ds_read_b128 v[134:137], v132 offset:912
	s_waitcnt vmcnt(0) lgkmcnt(0)
	v_fmac_f64_e32 v[130:131], v[138:139], v[134:135]
	buffer_load_dword v135, off, s[0:3], 0 offset:412
	buffer_load_dword v134, off, s[0:3], 0 offset:408
	buffer_load_dword v139, off, s[0:3], 0 offset:420
	buffer_load_dword v138, off, s[0:3], 0 offset:416
	s_waitcnt vmcnt(2)
	v_fmac_f64_e32 v[130:131], v[134:135], v[136:137]
	ds_read_b128 v[134:137], v132 offset:928
	s_waitcnt vmcnt(0) lgkmcnt(0)
	v_fmac_f64_e32 v[130:131], v[138:139], v[134:135]
	buffer_load_dword v135, off, s[0:3], 0 offset:428
	buffer_load_dword v134, off, s[0:3], 0 offset:424
	buffer_load_dword v139, off, s[0:3], 0 offset:436
	buffer_load_dword v138, off, s[0:3], 0 offset:432
	;; [unrolled: 9-line block ×5, first 2 shown]
	s_waitcnt vmcnt(2)
	v_fmac_f64_e32 v[130:131], v[134:135], v[136:137]
	ds_read_b128 v[134:137], v132 offset:992
	s_waitcnt vmcnt(0) lgkmcnt(0)
	v_fmac_f64_e32 v[130:131], v[138:139], v[134:135]
	buffer_load_dword v135, off, s[0:3], 0 offset:492
	buffer_load_dword v134, off, s[0:3], 0 offset:488
	s_waitcnt vmcnt(0)
	v_fmac_f64_e32 v[130:131], v[134:135], v[136:137]
	buffer_load_dword v135, off, s[0:3], 0 offset:500
	buffer_load_dword v134, off, s[0:3], 0 offset:496
	ds_read_b64 v[136:137], v132 offset:1008
	s_waitcnt vmcnt(0) lgkmcnt(0)
	v_fmac_f64_e32 v[130:131], v[134:135], v[136:137]
	v_add_f64 v[128:129], v[128:129], -v[130:131]
	buffer_store_dword v129, off, s[0:3], 0 offset:332
	buffer_store_dword v128, off, s[0:3], 0 offset:328
	s_and_saveexec_b64 s[4:5], vcc
	s_cbranch_execz .LBB126_305
; %bb.304:
	buffer_load_dword v128, off, s[0:3], 0 offset:320
	buffer_load_dword v129, off, s[0:3], 0 offset:324
	s_waitcnt vmcnt(0)
	ds_write_b64 v1, v[128:129]
	buffer_store_dword v132, off, s[0:3], 0 offset:320
	buffer_store_dword v132, off, s[0:3], 0 offset:324
.LBB126_305:
	s_or_b64 exec, exec, s[4:5]
	s_waitcnt lgkmcnt(0)
	; wave barrier
	s_waitcnt lgkmcnt(0)
	buffer_load_dword v128, off, s[0:3], 0 offset:320
	buffer_load_dword v129, off, s[0:3], 0 offset:324
	;; [unrolled: 1-line block ×16, first 2 shown]
	ds_read2_b64 v[134:137], v132 offset0:105 offset1:106
	v_cmp_lt_u32_e32 vcc, 39, v0
	s_waitcnt vmcnt(12) lgkmcnt(0)
	v_fma_f64 v[130:131], v[130:131], v[134:135], 0
	s_waitcnt vmcnt(10)
	v_fmac_f64_e32 v[130:131], v[138:139], v[136:137]
	ds_read2_b64 v[134:137], v132 offset0:107 offset1:108
	s_waitcnt vmcnt(8) lgkmcnt(0)
	v_fmac_f64_e32 v[130:131], v[140:141], v[134:135]
	s_waitcnt vmcnt(6)
	v_fmac_f64_e32 v[130:131], v[142:143], v[136:137]
	ds_read2_b64 v[134:137], v132 offset0:109 offset1:110
	s_waitcnt vmcnt(4) lgkmcnt(0)
	v_fmac_f64_e32 v[130:131], v[144:145], v[134:135]
	;; [unrolled: 5-line block ×3, first 2 shown]
	buffer_load_dword v135, off, s[0:3], 0 offset:388
	buffer_load_dword v134, off, s[0:3], 0 offset:384
	buffer_load_dword v139, off, s[0:3], 0 offset:396
	buffer_load_dword v138, off, s[0:3], 0 offset:392
	s_waitcnt vmcnt(2)
	v_fmac_f64_e32 v[130:131], v[134:135], v[136:137]
	ds_read2_b64 v[134:137], v132 offset0:113 offset1:114
	s_waitcnt vmcnt(0) lgkmcnt(0)
	v_fmac_f64_e32 v[130:131], v[138:139], v[134:135]
	buffer_load_dword v135, off, s[0:3], 0 offset:404
	buffer_load_dword v134, off, s[0:3], 0 offset:400
	buffer_load_dword v139, off, s[0:3], 0 offset:412
	buffer_load_dword v138, off, s[0:3], 0 offset:408
	s_waitcnt vmcnt(2)
	v_fmac_f64_e32 v[130:131], v[134:135], v[136:137]
	ds_read2_b64 v[134:137], v132 offset0:115 offset1:116
	s_waitcnt vmcnt(0) lgkmcnt(0)
	v_fmac_f64_e32 v[130:131], v[138:139], v[134:135]
	;; [unrolled: 9-line block ×6, first 2 shown]
	buffer_load_dword v135, off, s[0:3], 0 offset:484
	buffer_load_dword v134, off, s[0:3], 0 offset:480
	s_waitcnt vmcnt(0)
	v_fmac_f64_e32 v[130:131], v[134:135], v[136:137]
	buffer_load_dword v137, off, s[0:3], 0 offset:492
	buffer_load_dword v136, off, s[0:3], 0 offset:488
	ds_read2_b64 v[132:135], v132 offset0:125 offset1:126
	s_waitcnt vmcnt(0) lgkmcnt(0)
	v_fmac_f64_e32 v[130:131], v[136:137], v[132:133]
	buffer_load_dword v133, off, s[0:3], 0 offset:500
	buffer_load_dword v132, off, s[0:3], 0 offset:496
	s_waitcnt vmcnt(0)
	v_fmac_f64_e32 v[130:131], v[132:133], v[134:135]
	v_add_f64 v[128:129], v[128:129], -v[130:131]
	buffer_store_dword v129, off, s[0:3], 0 offset:324
	buffer_store_dword v128, off, s[0:3], 0 offset:320
	s_and_saveexec_b64 s[4:5], vcc
	s_cbranch_execz .LBB126_307
; %bb.306:
	buffer_load_dword v128, off, s[0:3], 0 offset:312
	buffer_load_dword v129, off, s[0:3], 0 offset:316
	v_mov_b32_e32 v130, 0
	buffer_store_dword v130, off, s[0:3], 0 offset:312
	buffer_store_dword v130, off, s[0:3], 0 offset:316
	s_waitcnt vmcnt(2)
	ds_write_b64 v1, v[128:129]
.LBB126_307:
	s_or_b64 exec, exec, s[4:5]
	s_waitcnt lgkmcnt(0)
	; wave barrier
	s_waitcnt lgkmcnt(0)
	buffer_load_dword v128, off, s[0:3], 0 offset:312
	buffer_load_dword v129, off, s[0:3], 0 offset:316
	;; [unrolled: 1-line block ×16, first 2 shown]
	v_mov_b32_e32 v132, 0
	ds_read_b128 v[134:137], v132 offset:832
	ds_read_b128 v[138:141], v132 offset:848
	;; [unrolled: 1-line block ×4, first 2 shown]
	v_cmp_lt_u32_e32 vcc, 38, v0
	s_waitcnt vmcnt(12) lgkmcnt(3)
	v_fma_f64 v[130:131], v[130:131], v[134:135], 0
	buffer_load_dword v135, off, s[0:3], 0 offset:380
	buffer_load_dword v134, off, s[0:3], 0 offset:376
	s_waitcnt vmcnt(12)
	v_fmac_f64_e32 v[130:131], v[150:151], v[136:137]
	s_waitcnt vmcnt(10) lgkmcnt(2)
	v_fmac_f64_e32 v[130:131], v[152:153], v[138:139]
	buffer_load_dword v139, off, s[0:3], 0 offset:388
	buffer_load_dword v138, off, s[0:3], 0 offset:384
	s_waitcnt vmcnt(10)
	v_fmac_f64_e32 v[130:131], v[154:155], v[140:141]
	s_waitcnt vmcnt(8) lgkmcnt(1)
	v_fmac_f64_e32 v[130:131], v[156:157], v[142:143]
	s_waitcnt vmcnt(6)
	v_fmac_f64_e32 v[130:131], v[158:159], v[144:145]
	s_waitcnt vmcnt(4) lgkmcnt(0)
	v_fmac_f64_e32 v[130:131], v[160:161], v[146:147]
	s_waitcnt vmcnt(2)
	v_fmac_f64_e32 v[130:131], v[134:135], v[148:149]
	ds_read_b128 v[134:137], v132 offset:896
	s_waitcnt vmcnt(0) lgkmcnt(0)
	v_fmac_f64_e32 v[130:131], v[138:139], v[134:135]
	buffer_load_dword v135, off, s[0:3], 0 offset:396
	buffer_load_dword v134, off, s[0:3], 0 offset:392
	buffer_load_dword v139, off, s[0:3], 0 offset:404
	buffer_load_dword v138, off, s[0:3], 0 offset:400
	s_waitcnt vmcnt(2)
	v_fmac_f64_e32 v[130:131], v[134:135], v[136:137]
	ds_read_b128 v[134:137], v132 offset:912
	s_waitcnt vmcnt(0) lgkmcnt(0)
	v_fmac_f64_e32 v[130:131], v[138:139], v[134:135]
	buffer_load_dword v135, off, s[0:3], 0 offset:412
	buffer_load_dword v134, off, s[0:3], 0 offset:408
	buffer_load_dword v139, off, s[0:3], 0 offset:420
	buffer_load_dword v138, off, s[0:3], 0 offset:416
	;; [unrolled: 9-line block ×6, first 2 shown]
	s_waitcnt vmcnt(2)
	v_fmac_f64_e32 v[130:131], v[134:135], v[136:137]
	ds_read_b128 v[134:137], v132 offset:992
	s_waitcnt vmcnt(0) lgkmcnt(0)
	v_fmac_f64_e32 v[130:131], v[138:139], v[134:135]
	buffer_load_dword v135, off, s[0:3], 0 offset:492
	buffer_load_dword v134, off, s[0:3], 0 offset:488
	s_waitcnt vmcnt(0)
	v_fmac_f64_e32 v[130:131], v[134:135], v[136:137]
	buffer_load_dword v135, off, s[0:3], 0 offset:500
	buffer_load_dword v134, off, s[0:3], 0 offset:496
	ds_read_b64 v[136:137], v132 offset:1008
	s_waitcnt vmcnt(0) lgkmcnt(0)
	v_fmac_f64_e32 v[130:131], v[134:135], v[136:137]
	v_add_f64 v[128:129], v[128:129], -v[130:131]
	buffer_store_dword v129, off, s[0:3], 0 offset:316
	buffer_store_dword v128, off, s[0:3], 0 offset:312
	s_and_saveexec_b64 s[4:5], vcc
	s_cbranch_execz .LBB126_309
; %bb.308:
	buffer_load_dword v128, off, s[0:3], 0 offset:304
	buffer_load_dword v129, off, s[0:3], 0 offset:308
	s_waitcnt vmcnt(0)
	ds_write_b64 v1, v[128:129]
	buffer_store_dword v132, off, s[0:3], 0 offset:304
	buffer_store_dword v132, off, s[0:3], 0 offset:308
.LBB126_309:
	s_or_b64 exec, exec, s[4:5]
	s_waitcnt lgkmcnt(0)
	; wave barrier
	s_waitcnt lgkmcnt(0)
	buffer_load_dword v128, off, s[0:3], 0 offset:304
	buffer_load_dword v129, off, s[0:3], 0 offset:308
	;; [unrolled: 1-line block ×16, first 2 shown]
	ds_read2_b64 v[134:137], v132 offset0:103 offset1:104
	v_cmp_lt_u32_e32 vcc, 37, v0
	s_waitcnt vmcnt(12) lgkmcnt(0)
	v_fma_f64 v[130:131], v[130:131], v[134:135], 0
	s_waitcnt vmcnt(10)
	v_fmac_f64_e32 v[130:131], v[138:139], v[136:137]
	ds_read2_b64 v[134:137], v132 offset0:105 offset1:106
	s_waitcnt vmcnt(8) lgkmcnt(0)
	v_fmac_f64_e32 v[130:131], v[140:141], v[134:135]
	s_waitcnt vmcnt(6)
	v_fmac_f64_e32 v[130:131], v[142:143], v[136:137]
	ds_read2_b64 v[134:137], v132 offset0:107 offset1:108
	s_waitcnt vmcnt(4) lgkmcnt(0)
	v_fmac_f64_e32 v[130:131], v[144:145], v[134:135]
	;; [unrolled: 5-line block ×3, first 2 shown]
	buffer_load_dword v135, off, s[0:3], 0 offset:372
	buffer_load_dword v134, off, s[0:3], 0 offset:368
	buffer_load_dword v139, off, s[0:3], 0 offset:380
	buffer_load_dword v138, off, s[0:3], 0 offset:376
	s_waitcnt vmcnt(2)
	v_fmac_f64_e32 v[130:131], v[134:135], v[136:137]
	ds_read2_b64 v[134:137], v132 offset0:111 offset1:112
	s_waitcnt vmcnt(0) lgkmcnt(0)
	v_fmac_f64_e32 v[130:131], v[138:139], v[134:135]
	buffer_load_dword v135, off, s[0:3], 0 offset:388
	buffer_load_dword v134, off, s[0:3], 0 offset:384
	buffer_load_dword v139, off, s[0:3], 0 offset:396
	buffer_load_dword v138, off, s[0:3], 0 offset:392
	s_waitcnt vmcnt(2)
	v_fmac_f64_e32 v[130:131], v[134:135], v[136:137]
	ds_read2_b64 v[134:137], v132 offset0:113 offset1:114
	s_waitcnt vmcnt(0) lgkmcnt(0)
	v_fmac_f64_e32 v[130:131], v[138:139], v[134:135]
	;; [unrolled: 9-line block ×7, first 2 shown]
	buffer_load_dword v135, off, s[0:3], 0 offset:484
	buffer_load_dword v134, off, s[0:3], 0 offset:480
	s_waitcnt vmcnt(0)
	v_fmac_f64_e32 v[130:131], v[134:135], v[136:137]
	buffer_load_dword v137, off, s[0:3], 0 offset:492
	buffer_load_dword v136, off, s[0:3], 0 offset:488
	ds_read2_b64 v[132:135], v132 offset0:125 offset1:126
	s_waitcnt vmcnt(0) lgkmcnt(0)
	v_fmac_f64_e32 v[130:131], v[136:137], v[132:133]
	buffer_load_dword v133, off, s[0:3], 0 offset:500
	buffer_load_dword v132, off, s[0:3], 0 offset:496
	s_waitcnt vmcnt(0)
	v_fmac_f64_e32 v[130:131], v[132:133], v[134:135]
	v_add_f64 v[128:129], v[128:129], -v[130:131]
	buffer_store_dword v129, off, s[0:3], 0 offset:308
	buffer_store_dword v128, off, s[0:3], 0 offset:304
	s_and_saveexec_b64 s[4:5], vcc
	s_cbranch_execz .LBB126_311
; %bb.310:
	buffer_load_dword v128, off, s[0:3], 0 offset:296
	buffer_load_dword v129, off, s[0:3], 0 offset:300
	v_mov_b32_e32 v130, 0
	buffer_store_dword v130, off, s[0:3], 0 offset:296
	buffer_store_dword v130, off, s[0:3], 0 offset:300
	s_waitcnt vmcnt(2)
	ds_write_b64 v1, v[128:129]
.LBB126_311:
	s_or_b64 exec, exec, s[4:5]
	s_waitcnt lgkmcnt(0)
	; wave barrier
	s_waitcnt lgkmcnt(0)
	buffer_load_dword v128, off, s[0:3], 0 offset:296
	buffer_load_dword v129, off, s[0:3], 0 offset:300
	buffer_load_dword v130, off, s[0:3], 0 offset:304
	buffer_load_dword v131, off, s[0:3], 0 offset:308
	buffer_load_dword v150, off, s[0:3], 0 offset:312
	buffer_load_dword v151, off, s[0:3], 0 offset:316
	buffer_load_dword v152, off, s[0:3], 0 offset:320
	buffer_load_dword v153, off, s[0:3], 0 offset:324
	buffer_load_dword v154, off, s[0:3], 0 offset:328
	buffer_load_dword v155, off, s[0:3], 0 offset:332
	buffer_load_dword v156, off, s[0:3], 0 offset:336
	buffer_load_dword v157, off, s[0:3], 0 offset:340
	buffer_load_dword v158, off, s[0:3], 0 offset:344
	buffer_load_dword v159, off, s[0:3], 0 offset:348
	buffer_load_dword v160, off, s[0:3], 0 offset:352
	buffer_load_dword v161, off, s[0:3], 0 offset:356
	v_mov_b32_e32 v132, 0
	ds_read_b128 v[134:137], v132 offset:816
	ds_read_b128 v[138:141], v132 offset:832
	;; [unrolled: 1-line block ×4, first 2 shown]
	v_cmp_lt_u32_e32 vcc, 36, v0
	s_waitcnt vmcnt(12) lgkmcnt(3)
	v_fma_f64 v[130:131], v[130:131], v[134:135], 0
	buffer_load_dword v135, off, s[0:3], 0 offset:364
	buffer_load_dword v134, off, s[0:3], 0 offset:360
	s_waitcnt vmcnt(12)
	v_fmac_f64_e32 v[130:131], v[150:151], v[136:137]
	s_waitcnt vmcnt(10) lgkmcnt(2)
	v_fmac_f64_e32 v[130:131], v[152:153], v[138:139]
	buffer_load_dword v139, off, s[0:3], 0 offset:372
	buffer_load_dword v138, off, s[0:3], 0 offset:368
	s_waitcnt vmcnt(10)
	v_fmac_f64_e32 v[130:131], v[154:155], v[140:141]
	s_waitcnt vmcnt(8) lgkmcnt(1)
	v_fmac_f64_e32 v[130:131], v[156:157], v[142:143]
	s_waitcnt vmcnt(6)
	v_fmac_f64_e32 v[130:131], v[158:159], v[144:145]
	s_waitcnt vmcnt(4) lgkmcnt(0)
	v_fmac_f64_e32 v[130:131], v[160:161], v[146:147]
	s_waitcnt vmcnt(2)
	v_fmac_f64_e32 v[130:131], v[134:135], v[148:149]
	ds_read_b128 v[134:137], v132 offset:880
	s_waitcnt vmcnt(0) lgkmcnt(0)
	v_fmac_f64_e32 v[130:131], v[138:139], v[134:135]
	buffer_load_dword v135, off, s[0:3], 0 offset:380
	buffer_load_dword v134, off, s[0:3], 0 offset:376
	buffer_load_dword v139, off, s[0:3], 0 offset:388
	buffer_load_dword v138, off, s[0:3], 0 offset:384
	s_waitcnt vmcnt(2)
	v_fmac_f64_e32 v[130:131], v[134:135], v[136:137]
	ds_read_b128 v[134:137], v132 offset:896
	s_waitcnt vmcnt(0) lgkmcnt(0)
	v_fmac_f64_e32 v[130:131], v[138:139], v[134:135]
	buffer_load_dword v135, off, s[0:3], 0 offset:396
	buffer_load_dword v134, off, s[0:3], 0 offset:392
	buffer_load_dword v139, off, s[0:3], 0 offset:404
	buffer_load_dword v138, off, s[0:3], 0 offset:400
	;; [unrolled: 9-line block ×7, first 2 shown]
	s_waitcnt vmcnt(2)
	v_fmac_f64_e32 v[130:131], v[134:135], v[136:137]
	ds_read_b128 v[134:137], v132 offset:992
	s_waitcnt vmcnt(0) lgkmcnt(0)
	v_fmac_f64_e32 v[130:131], v[138:139], v[134:135]
	buffer_load_dword v135, off, s[0:3], 0 offset:492
	buffer_load_dword v134, off, s[0:3], 0 offset:488
	s_waitcnt vmcnt(0)
	v_fmac_f64_e32 v[130:131], v[134:135], v[136:137]
	buffer_load_dword v135, off, s[0:3], 0 offset:500
	buffer_load_dword v134, off, s[0:3], 0 offset:496
	ds_read_b64 v[136:137], v132 offset:1008
	s_waitcnt vmcnt(0) lgkmcnt(0)
	v_fmac_f64_e32 v[130:131], v[134:135], v[136:137]
	v_add_f64 v[128:129], v[128:129], -v[130:131]
	buffer_store_dword v129, off, s[0:3], 0 offset:300
	buffer_store_dword v128, off, s[0:3], 0 offset:296
	s_and_saveexec_b64 s[4:5], vcc
	s_cbranch_execz .LBB126_313
; %bb.312:
	buffer_load_dword v128, off, s[0:3], 0 offset:288
	buffer_load_dword v129, off, s[0:3], 0 offset:292
	s_waitcnt vmcnt(0)
	ds_write_b64 v1, v[128:129]
	buffer_store_dword v132, off, s[0:3], 0 offset:288
	buffer_store_dword v132, off, s[0:3], 0 offset:292
.LBB126_313:
	s_or_b64 exec, exec, s[4:5]
	s_waitcnt lgkmcnt(0)
	; wave barrier
	s_waitcnt lgkmcnt(0)
	buffer_load_dword v128, off, s[0:3], 0 offset:288
	buffer_load_dword v129, off, s[0:3], 0 offset:292
	;; [unrolled: 1-line block ×16, first 2 shown]
	ds_read2_b64 v[134:137], v132 offset0:101 offset1:102
	v_cmp_lt_u32_e32 vcc, 35, v0
	s_waitcnt vmcnt(12) lgkmcnt(0)
	v_fma_f64 v[130:131], v[130:131], v[134:135], 0
	s_waitcnt vmcnt(10)
	v_fmac_f64_e32 v[130:131], v[138:139], v[136:137]
	ds_read2_b64 v[134:137], v132 offset0:103 offset1:104
	s_waitcnt vmcnt(8) lgkmcnt(0)
	v_fmac_f64_e32 v[130:131], v[140:141], v[134:135]
	s_waitcnt vmcnt(6)
	v_fmac_f64_e32 v[130:131], v[142:143], v[136:137]
	ds_read2_b64 v[134:137], v132 offset0:105 offset1:106
	s_waitcnt vmcnt(4) lgkmcnt(0)
	v_fmac_f64_e32 v[130:131], v[144:145], v[134:135]
	;; [unrolled: 5-line block ×3, first 2 shown]
	buffer_load_dword v135, off, s[0:3], 0 offset:356
	buffer_load_dword v134, off, s[0:3], 0 offset:352
	buffer_load_dword v139, off, s[0:3], 0 offset:364
	buffer_load_dword v138, off, s[0:3], 0 offset:360
	s_waitcnt vmcnt(2)
	v_fmac_f64_e32 v[130:131], v[134:135], v[136:137]
	ds_read2_b64 v[134:137], v132 offset0:109 offset1:110
	s_waitcnt vmcnt(0) lgkmcnt(0)
	v_fmac_f64_e32 v[130:131], v[138:139], v[134:135]
	buffer_load_dword v135, off, s[0:3], 0 offset:372
	buffer_load_dword v134, off, s[0:3], 0 offset:368
	buffer_load_dword v139, off, s[0:3], 0 offset:380
	buffer_load_dword v138, off, s[0:3], 0 offset:376
	s_waitcnt vmcnt(2)
	v_fmac_f64_e32 v[130:131], v[134:135], v[136:137]
	ds_read2_b64 v[134:137], v132 offset0:111 offset1:112
	s_waitcnt vmcnt(0) lgkmcnt(0)
	v_fmac_f64_e32 v[130:131], v[138:139], v[134:135]
	;; [unrolled: 9-line block ×8, first 2 shown]
	buffer_load_dword v135, off, s[0:3], 0 offset:484
	buffer_load_dword v134, off, s[0:3], 0 offset:480
	s_waitcnt vmcnt(0)
	v_fmac_f64_e32 v[130:131], v[134:135], v[136:137]
	buffer_load_dword v137, off, s[0:3], 0 offset:492
	buffer_load_dword v136, off, s[0:3], 0 offset:488
	ds_read2_b64 v[132:135], v132 offset0:125 offset1:126
	s_waitcnt vmcnt(0) lgkmcnt(0)
	v_fmac_f64_e32 v[130:131], v[136:137], v[132:133]
	buffer_load_dword v133, off, s[0:3], 0 offset:500
	buffer_load_dword v132, off, s[0:3], 0 offset:496
	s_waitcnt vmcnt(0)
	v_fmac_f64_e32 v[130:131], v[132:133], v[134:135]
	v_add_f64 v[128:129], v[128:129], -v[130:131]
	buffer_store_dword v129, off, s[0:3], 0 offset:292
	buffer_store_dword v128, off, s[0:3], 0 offset:288
	s_and_saveexec_b64 s[4:5], vcc
	s_cbranch_execz .LBB126_315
; %bb.314:
	buffer_load_dword v128, off, s[0:3], 0 offset:280
	buffer_load_dword v129, off, s[0:3], 0 offset:284
	v_mov_b32_e32 v130, 0
	buffer_store_dword v130, off, s[0:3], 0 offset:280
	buffer_store_dword v130, off, s[0:3], 0 offset:284
	s_waitcnt vmcnt(2)
	ds_write_b64 v1, v[128:129]
.LBB126_315:
	s_or_b64 exec, exec, s[4:5]
	s_waitcnt lgkmcnt(0)
	; wave barrier
	s_waitcnt lgkmcnt(0)
	buffer_load_dword v128, off, s[0:3], 0 offset:280
	buffer_load_dword v129, off, s[0:3], 0 offset:284
	;; [unrolled: 1-line block ×16, first 2 shown]
	v_mov_b32_e32 v132, 0
	ds_read_b128 v[134:137], v132 offset:800
	ds_read_b128 v[138:141], v132 offset:816
	;; [unrolled: 1-line block ×4, first 2 shown]
	v_cmp_lt_u32_e32 vcc, 34, v0
	s_waitcnt vmcnt(12) lgkmcnt(3)
	v_fma_f64 v[130:131], v[130:131], v[134:135], 0
	buffer_load_dword v135, off, s[0:3], 0 offset:348
	buffer_load_dword v134, off, s[0:3], 0 offset:344
	s_waitcnt vmcnt(12)
	v_fmac_f64_e32 v[130:131], v[150:151], v[136:137]
	s_waitcnt vmcnt(10) lgkmcnt(2)
	v_fmac_f64_e32 v[130:131], v[152:153], v[138:139]
	buffer_load_dword v139, off, s[0:3], 0 offset:356
	buffer_load_dword v138, off, s[0:3], 0 offset:352
	s_waitcnt vmcnt(10)
	v_fmac_f64_e32 v[130:131], v[154:155], v[140:141]
	s_waitcnt vmcnt(8) lgkmcnt(1)
	v_fmac_f64_e32 v[130:131], v[156:157], v[142:143]
	s_waitcnt vmcnt(6)
	v_fmac_f64_e32 v[130:131], v[158:159], v[144:145]
	s_waitcnt vmcnt(4) lgkmcnt(0)
	v_fmac_f64_e32 v[130:131], v[160:161], v[146:147]
	s_waitcnt vmcnt(2)
	v_fmac_f64_e32 v[130:131], v[134:135], v[148:149]
	ds_read_b128 v[134:137], v132 offset:864
	s_waitcnt vmcnt(0) lgkmcnt(0)
	v_fmac_f64_e32 v[130:131], v[138:139], v[134:135]
	buffer_load_dword v135, off, s[0:3], 0 offset:364
	buffer_load_dword v134, off, s[0:3], 0 offset:360
	buffer_load_dword v139, off, s[0:3], 0 offset:372
	buffer_load_dword v138, off, s[0:3], 0 offset:368
	s_waitcnt vmcnt(2)
	v_fmac_f64_e32 v[130:131], v[134:135], v[136:137]
	ds_read_b128 v[134:137], v132 offset:880
	s_waitcnt vmcnt(0) lgkmcnt(0)
	v_fmac_f64_e32 v[130:131], v[138:139], v[134:135]
	buffer_load_dword v135, off, s[0:3], 0 offset:380
	buffer_load_dword v134, off, s[0:3], 0 offset:376
	buffer_load_dword v139, off, s[0:3], 0 offset:388
	buffer_load_dword v138, off, s[0:3], 0 offset:384
	;; [unrolled: 9-line block ×8, first 2 shown]
	s_waitcnt vmcnt(2)
	v_fmac_f64_e32 v[130:131], v[134:135], v[136:137]
	ds_read_b128 v[134:137], v132 offset:992
	s_waitcnt vmcnt(0) lgkmcnt(0)
	v_fmac_f64_e32 v[130:131], v[138:139], v[134:135]
	buffer_load_dword v135, off, s[0:3], 0 offset:492
	buffer_load_dword v134, off, s[0:3], 0 offset:488
	s_waitcnt vmcnt(0)
	v_fmac_f64_e32 v[130:131], v[134:135], v[136:137]
	buffer_load_dword v135, off, s[0:3], 0 offset:500
	buffer_load_dword v134, off, s[0:3], 0 offset:496
	ds_read_b64 v[136:137], v132 offset:1008
	s_waitcnt vmcnt(0) lgkmcnt(0)
	v_fmac_f64_e32 v[130:131], v[134:135], v[136:137]
	v_add_f64 v[128:129], v[128:129], -v[130:131]
	buffer_store_dword v129, off, s[0:3], 0 offset:284
	buffer_store_dword v128, off, s[0:3], 0 offset:280
	s_and_saveexec_b64 s[4:5], vcc
	s_cbranch_execz .LBB126_317
; %bb.316:
	buffer_load_dword v128, off, s[0:3], 0 offset:272
	buffer_load_dword v129, off, s[0:3], 0 offset:276
	s_waitcnt vmcnt(0)
	ds_write_b64 v1, v[128:129]
	buffer_store_dword v132, off, s[0:3], 0 offset:272
	buffer_store_dword v132, off, s[0:3], 0 offset:276
.LBB126_317:
	s_or_b64 exec, exec, s[4:5]
	s_waitcnt lgkmcnt(0)
	; wave barrier
	s_waitcnt lgkmcnt(0)
	buffer_load_dword v128, off, s[0:3], 0 offset:272
	buffer_load_dword v129, off, s[0:3], 0 offset:276
	;; [unrolled: 1-line block ×16, first 2 shown]
	ds_read2_b64 v[134:137], v132 offset0:99 offset1:100
	v_cmp_lt_u32_e32 vcc, 33, v0
	s_waitcnt vmcnt(12) lgkmcnt(0)
	v_fma_f64 v[130:131], v[130:131], v[134:135], 0
	s_waitcnt vmcnt(10)
	v_fmac_f64_e32 v[130:131], v[138:139], v[136:137]
	ds_read2_b64 v[134:137], v132 offset0:101 offset1:102
	s_waitcnt vmcnt(8) lgkmcnt(0)
	v_fmac_f64_e32 v[130:131], v[140:141], v[134:135]
	s_waitcnt vmcnt(6)
	v_fmac_f64_e32 v[130:131], v[142:143], v[136:137]
	ds_read2_b64 v[134:137], v132 offset0:103 offset1:104
	s_waitcnt vmcnt(4) lgkmcnt(0)
	v_fmac_f64_e32 v[130:131], v[144:145], v[134:135]
	;; [unrolled: 5-line block ×3, first 2 shown]
	buffer_load_dword v135, off, s[0:3], 0 offset:340
	buffer_load_dword v134, off, s[0:3], 0 offset:336
	buffer_load_dword v139, off, s[0:3], 0 offset:348
	buffer_load_dword v138, off, s[0:3], 0 offset:344
	s_waitcnt vmcnt(2)
	v_fmac_f64_e32 v[130:131], v[134:135], v[136:137]
	ds_read2_b64 v[134:137], v132 offset0:107 offset1:108
	s_waitcnt vmcnt(0) lgkmcnt(0)
	v_fmac_f64_e32 v[130:131], v[138:139], v[134:135]
	buffer_load_dword v135, off, s[0:3], 0 offset:356
	buffer_load_dword v134, off, s[0:3], 0 offset:352
	buffer_load_dword v139, off, s[0:3], 0 offset:364
	buffer_load_dword v138, off, s[0:3], 0 offset:360
	s_waitcnt vmcnt(2)
	v_fmac_f64_e32 v[130:131], v[134:135], v[136:137]
	ds_read2_b64 v[134:137], v132 offset0:109 offset1:110
	s_waitcnt vmcnt(0) lgkmcnt(0)
	v_fmac_f64_e32 v[130:131], v[138:139], v[134:135]
	;; [unrolled: 9-line block ×9, first 2 shown]
	buffer_load_dword v135, off, s[0:3], 0 offset:484
	buffer_load_dword v134, off, s[0:3], 0 offset:480
	s_waitcnt vmcnt(0)
	v_fmac_f64_e32 v[130:131], v[134:135], v[136:137]
	buffer_load_dword v137, off, s[0:3], 0 offset:492
	buffer_load_dword v136, off, s[0:3], 0 offset:488
	ds_read2_b64 v[132:135], v132 offset0:125 offset1:126
	s_waitcnt vmcnt(0) lgkmcnt(0)
	v_fmac_f64_e32 v[130:131], v[136:137], v[132:133]
	buffer_load_dword v133, off, s[0:3], 0 offset:500
	buffer_load_dword v132, off, s[0:3], 0 offset:496
	s_waitcnt vmcnt(0)
	v_fmac_f64_e32 v[130:131], v[132:133], v[134:135]
	v_add_f64 v[128:129], v[128:129], -v[130:131]
	buffer_store_dword v129, off, s[0:3], 0 offset:276
	buffer_store_dword v128, off, s[0:3], 0 offset:272
	s_and_saveexec_b64 s[4:5], vcc
	s_cbranch_execz .LBB126_319
; %bb.318:
	buffer_load_dword v128, off, s[0:3], 0 offset:264
	buffer_load_dword v129, off, s[0:3], 0 offset:268
	v_mov_b32_e32 v130, 0
	buffer_store_dword v130, off, s[0:3], 0 offset:264
	buffer_store_dword v130, off, s[0:3], 0 offset:268
	s_waitcnt vmcnt(2)
	ds_write_b64 v1, v[128:129]
.LBB126_319:
	s_or_b64 exec, exec, s[4:5]
	s_waitcnt lgkmcnt(0)
	; wave barrier
	s_waitcnt lgkmcnt(0)
	buffer_load_dword v128, off, s[0:3], 0 offset:264
	buffer_load_dword v129, off, s[0:3], 0 offset:268
	buffer_load_dword v130, off, s[0:3], 0 offset:272
	buffer_load_dword v131, off, s[0:3], 0 offset:276
	buffer_load_dword v150, off, s[0:3], 0 offset:280
	buffer_load_dword v151, off, s[0:3], 0 offset:284
	buffer_load_dword v152, off, s[0:3], 0 offset:288
	buffer_load_dword v153, off, s[0:3], 0 offset:292
	buffer_load_dword v154, off, s[0:3], 0 offset:296
	buffer_load_dword v155, off, s[0:3], 0 offset:300
	buffer_load_dword v156, off, s[0:3], 0 offset:304
	buffer_load_dword v157, off, s[0:3], 0 offset:308
	buffer_load_dword v158, off, s[0:3], 0 offset:312
	buffer_load_dword v159, off, s[0:3], 0 offset:316
	buffer_load_dword v160, off, s[0:3], 0 offset:320
	buffer_load_dword v161, off, s[0:3], 0 offset:324
	v_mov_b32_e32 v132, 0
	ds_read_b128 v[134:137], v132 offset:784
	ds_read_b128 v[138:141], v132 offset:800
	;; [unrolled: 1-line block ×4, first 2 shown]
	v_cmp_lt_u32_e32 vcc, 32, v0
	s_waitcnt vmcnt(12) lgkmcnt(3)
	v_fma_f64 v[130:131], v[130:131], v[134:135], 0
	buffer_load_dword v135, off, s[0:3], 0 offset:332
	buffer_load_dword v134, off, s[0:3], 0 offset:328
	s_waitcnt vmcnt(12)
	v_fmac_f64_e32 v[130:131], v[150:151], v[136:137]
	s_waitcnt vmcnt(10) lgkmcnt(2)
	v_fmac_f64_e32 v[130:131], v[152:153], v[138:139]
	buffer_load_dword v139, off, s[0:3], 0 offset:340
	buffer_load_dword v138, off, s[0:3], 0 offset:336
	s_waitcnt vmcnt(10)
	v_fmac_f64_e32 v[130:131], v[154:155], v[140:141]
	s_waitcnt vmcnt(8) lgkmcnt(1)
	v_fmac_f64_e32 v[130:131], v[156:157], v[142:143]
	s_waitcnt vmcnt(6)
	v_fmac_f64_e32 v[130:131], v[158:159], v[144:145]
	s_waitcnt vmcnt(4) lgkmcnt(0)
	v_fmac_f64_e32 v[130:131], v[160:161], v[146:147]
	s_waitcnt vmcnt(2)
	v_fmac_f64_e32 v[130:131], v[134:135], v[148:149]
	ds_read_b128 v[134:137], v132 offset:848
	s_waitcnt vmcnt(0) lgkmcnt(0)
	v_fmac_f64_e32 v[130:131], v[138:139], v[134:135]
	buffer_load_dword v135, off, s[0:3], 0 offset:348
	buffer_load_dword v134, off, s[0:3], 0 offset:344
	buffer_load_dword v139, off, s[0:3], 0 offset:356
	buffer_load_dword v138, off, s[0:3], 0 offset:352
	s_waitcnt vmcnt(2)
	v_fmac_f64_e32 v[130:131], v[134:135], v[136:137]
	ds_read_b128 v[134:137], v132 offset:864
	s_waitcnt vmcnt(0) lgkmcnt(0)
	v_fmac_f64_e32 v[130:131], v[138:139], v[134:135]
	buffer_load_dword v135, off, s[0:3], 0 offset:364
	buffer_load_dword v134, off, s[0:3], 0 offset:360
	buffer_load_dword v139, off, s[0:3], 0 offset:372
	buffer_load_dword v138, off, s[0:3], 0 offset:368
	;; [unrolled: 9-line block ×9, first 2 shown]
	s_waitcnt vmcnt(2)
	v_fmac_f64_e32 v[130:131], v[134:135], v[136:137]
	ds_read_b128 v[134:137], v132 offset:992
	s_waitcnt vmcnt(0) lgkmcnt(0)
	v_fmac_f64_e32 v[130:131], v[138:139], v[134:135]
	buffer_load_dword v135, off, s[0:3], 0 offset:492
	buffer_load_dword v134, off, s[0:3], 0 offset:488
	s_waitcnt vmcnt(0)
	v_fmac_f64_e32 v[130:131], v[134:135], v[136:137]
	buffer_load_dword v135, off, s[0:3], 0 offset:500
	buffer_load_dword v134, off, s[0:3], 0 offset:496
	ds_read_b64 v[136:137], v132 offset:1008
	s_waitcnt vmcnt(0) lgkmcnt(0)
	v_fmac_f64_e32 v[130:131], v[134:135], v[136:137]
	v_add_f64 v[128:129], v[128:129], -v[130:131]
	buffer_store_dword v129, off, s[0:3], 0 offset:268
	buffer_store_dword v128, off, s[0:3], 0 offset:264
	s_and_saveexec_b64 s[4:5], vcc
	s_cbranch_execz .LBB126_321
; %bb.320:
	buffer_load_dword v128, off, s[0:3], 0 offset:256
	buffer_load_dword v129, off, s[0:3], 0 offset:260
	s_waitcnt vmcnt(0)
	ds_write_b64 v1, v[128:129]
	buffer_store_dword v132, off, s[0:3], 0 offset:256
	buffer_store_dword v132, off, s[0:3], 0 offset:260
.LBB126_321:
	s_or_b64 exec, exec, s[4:5]
	s_waitcnt lgkmcnt(0)
	; wave barrier
	s_waitcnt lgkmcnt(0)
	buffer_load_dword v128, off, s[0:3], 0 offset:256
	buffer_load_dword v129, off, s[0:3], 0 offset:260
	;; [unrolled: 1-line block ×16, first 2 shown]
	ds_read2_b64 v[134:137], v132 offset0:97 offset1:98
	v_cmp_lt_u32_e32 vcc, 31, v0
	s_waitcnt vmcnt(12) lgkmcnt(0)
	v_fma_f64 v[130:131], v[130:131], v[134:135], 0
	s_waitcnt vmcnt(10)
	v_fmac_f64_e32 v[130:131], v[138:139], v[136:137]
	ds_read2_b64 v[134:137], v132 offset0:99 offset1:100
	s_waitcnt vmcnt(8) lgkmcnt(0)
	v_fmac_f64_e32 v[130:131], v[140:141], v[134:135]
	s_waitcnt vmcnt(6)
	v_fmac_f64_e32 v[130:131], v[142:143], v[136:137]
	ds_read2_b64 v[134:137], v132 offset0:101 offset1:102
	s_waitcnt vmcnt(4) lgkmcnt(0)
	v_fmac_f64_e32 v[130:131], v[144:145], v[134:135]
	;; [unrolled: 5-line block ×3, first 2 shown]
	buffer_load_dword v135, off, s[0:3], 0 offset:324
	buffer_load_dword v134, off, s[0:3], 0 offset:320
	buffer_load_dword v139, off, s[0:3], 0 offset:332
	buffer_load_dword v138, off, s[0:3], 0 offset:328
	s_waitcnt vmcnt(2)
	v_fmac_f64_e32 v[130:131], v[134:135], v[136:137]
	ds_read2_b64 v[134:137], v132 offset0:105 offset1:106
	s_waitcnt vmcnt(0) lgkmcnt(0)
	v_fmac_f64_e32 v[130:131], v[138:139], v[134:135]
	buffer_load_dword v135, off, s[0:3], 0 offset:340
	buffer_load_dword v134, off, s[0:3], 0 offset:336
	buffer_load_dword v139, off, s[0:3], 0 offset:348
	buffer_load_dword v138, off, s[0:3], 0 offset:344
	s_waitcnt vmcnt(2)
	v_fmac_f64_e32 v[130:131], v[134:135], v[136:137]
	ds_read2_b64 v[134:137], v132 offset0:107 offset1:108
	s_waitcnt vmcnt(0) lgkmcnt(0)
	v_fmac_f64_e32 v[130:131], v[138:139], v[134:135]
	;; [unrolled: 9-line block ×10, first 2 shown]
	buffer_load_dword v135, off, s[0:3], 0 offset:484
	buffer_load_dword v134, off, s[0:3], 0 offset:480
	s_waitcnt vmcnt(0)
	v_fmac_f64_e32 v[130:131], v[134:135], v[136:137]
	buffer_load_dword v137, off, s[0:3], 0 offset:492
	buffer_load_dword v136, off, s[0:3], 0 offset:488
	ds_read2_b64 v[132:135], v132 offset0:125 offset1:126
	s_waitcnt vmcnt(0) lgkmcnt(0)
	v_fmac_f64_e32 v[130:131], v[136:137], v[132:133]
	buffer_load_dword v133, off, s[0:3], 0 offset:500
	buffer_load_dword v132, off, s[0:3], 0 offset:496
	s_waitcnt vmcnt(0)
	v_fmac_f64_e32 v[130:131], v[132:133], v[134:135]
	v_add_f64 v[128:129], v[128:129], -v[130:131]
	buffer_store_dword v129, off, s[0:3], 0 offset:260
	buffer_store_dword v128, off, s[0:3], 0 offset:256
	s_and_saveexec_b64 s[4:5], vcc
	s_cbranch_execz .LBB126_323
; %bb.322:
	buffer_load_dword v128, off, s[0:3], 0 offset:248
	buffer_load_dword v129, off, s[0:3], 0 offset:252
	v_mov_b32_e32 v130, 0
	buffer_store_dword v130, off, s[0:3], 0 offset:248
	buffer_store_dword v130, off, s[0:3], 0 offset:252
	s_waitcnt vmcnt(2)
	ds_write_b64 v1, v[128:129]
.LBB126_323:
	s_or_b64 exec, exec, s[4:5]
	s_waitcnt lgkmcnt(0)
	; wave barrier
	s_waitcnt lgkmcnt(0)
	buffer_load_dword v128, off, s[0:3], 0 offset:248
	buffer_load_dword v129, off, s[0:3], 0 offset:252
	;; [unrolled: 1-line block ×16, first 2 shown]
	v_mov_b32_e32 v132, 0
	ds_read_b128 v[134:137], v132 offset:768
	ds_read_b128 v[138:141], v132 offset:784
	;; [unrolled: 1-line block ×4, first 2 shown]
	v_cmp_lt_u32_e32 vcc, 30, v0
	s_waitcnt vmcnt(12) lgkmcnt(3)
	v_fma_f64 v[130:131], v[130:131], v[134:135], 0
	buffer_load_dword v135, off, s[0:3], 0 offset:316
	buffer_load_dword v134, off, s[0:3], 0 offset:312
	s_waitcnt vmcnt(12)
	v_fmac_f64_e32 v[130:131], v[150:151], v[136:137]
	s_waitcnt vmcnt(10) lgkmcnt(2)
	v_fmac_f64_e32 v[130:131], v[152:153], v[138:139]
	buffer_load_dword v139, off, s[0:3], 0 offset:324
	buffer_load_dword v138, off, s[0:3], 0 offset:320
	s_waitcnt vmcnt(10)
	v_fmac_f64_e32 v[130:131], v[154:155], v[140:141]
	s_waitcnt vmcnt(8) lgkmcnt(1)
	v_fmac_f64_e32 v[130:131], v[156:157], v[142:143]
	s_waitcnt vmcnt(6)
	v_fmac_f64_e32 v[130:131], v[158:159], v[144:145]
	s_waitcnt vmcnt(4) lgkmcnt(0)
	v_fmac_f64_e32 v[130:131], v[160:161], v[146:147]
	s_waitcnt vmcnt(2)
	v_fmac_f64_e32 v[130:131], v[134:135], v[148:149]
	ds_read_b128 v[134:137], v132 offset:832
	s_waitcnt vmcnt(0) lgkmcnt(0)
	v_fmac_f64_e32 v[130:131], v[138:139], v[134:135]
	buffer_load_dword v135, off, s[0:3], 0 offset:332
	buffer_load_dword v134, off, s[0:3], 0 offset:328
	buffer_load_dword v139, off, s[0:3], 0 offset:340
	buffer_load_dword v138, off, s[0:3], 0 offset:336
	s_waitcnt vmcnt(2)
	v_fmac_f64_e32 v[130:131], v[134:135], v[136:137]
	ds_read_b128 v[134:137], v132 offset:848
	s_waitcnt vmcnt(0) lgkmcnt(0)
	v_fmac_f64_e32 v[130:131], v[138:139], v[134:135]
	buffer_load_dword v135, off, s[0:3], 0 offset:348
	buffer_load_dword v134, off, s[0:3], 0 offset:344
	buffer_load_dword v139, off, s[0:3], 0 offset:356
	buffer_load_dword v138, off, s[0:3], 0 offset:352
	;; [unrolled: 9-line block ×10, first 2 shown]
	s_waitcnt vmcnt(2)
	v_fmac_f64_e32 v[130:131], v[134:135], v[136:137]
	ds_read_b128 v[134:137], v132 offset:992
	s_waitcnt vmcnt(0) lgkmcnt(0)
	v_fmac_f64_e32 v[130:131], v[138:139], v[134:135]
	buffer_load_dword v135, off, s[0:3], 0 offset:492
	buffer_load_dword v134, off, s[0:3], 0 offset:488
	s_waitcnt vmcnt(0)
	v_fmac_f64_e32 v[130:131], v[134:135], v[136:137]
	buffer_load_dword v135, off, s[0:3], 0 offset:500
	buffer_load_dword v134, off, s[0:3], 0 offset:496
	ds_read_b64 v[136:137], v132 offset:1008
	s_waitcnt vmcnt(0) lgkmcnt(0)
	v_fmac_f64_e32 v[130:131], v[134:135], v[136:137]
	v_add_f64 v[128:129], v[128:129], -v[130:131]
	buffer_store_dword v129, off, s[0:3], 0 offset:252
	buffer_store_dword v128, off, s[0:3], 0 offset:248
	s_and_saveexec_b64 s[4:5], vcc
	s_cbranch_execz .LBB126_325
; %bb.324:
	buffer_load_dword v128, off, s[0:3], 0 offset:240
	buffer_load_dword v129, off, s[0:3], 0 offset:244
	s_waitcnt vmcnt(0)
	ds_write_b64 v1, v[128:129]
	buffer_store_dword v132, off, s[0:3], 0 offset:240
	buffer_store_dword v132, off, s[0:3], 0 offset:244
.LBB126_325:
	s_or_b64 exec, exec, s[4:5]
	s_waitcnt lgkmcnt(0)
	; wave barrier
	s_waitcnt lgkmcnt(0)
	buffer_load_dword v128, off, s[0:3], 0 offset:240
	buffer_load_dword v129, off, s[0:3], 0 offset:244
	;; [unrolled: 1-line block ×16, first 2 shown]
	ds_read2_b64 v[134:137], v132 offset0:95 offset1:96
	v_cmp_lt_u32_e32 vcc, 29, v0
	s_waitcnt vmcnt(12) lgkmcnt(0)
	v_fma_f64 v[130:131], v[130:131], v[134:135], 0
	s_waitcnt vmcnt(10)
	v_fmac_f64_e32 v[130:131], v[138:139], v[136:137]
	ds_read2_b64 v[134:137], v132 offset0:97 offset1:98
	s_waitcnt vmcnt(8) lgkmcnt(0)
	v_fmac_f64_e32 v[130:131], v[140:141], v[134:135]
	s_waitcnt vmcnt(6)
	v_fmac_f64_e32 v[130:131], v[142:143], v[136:137]
	ds_read2_b64 v[134:137], v132 offset0:99 offset1:100
	s_waitcnt vmcnt(4) lgkmcnt(0)
	v_fmac_f64_e32 v[130:131], v[144:145], v[134:135]
	;; [unrolled: 5-line block ×3, first 2 shown]
	buffer_load_dword v135, off, s[0:3], 0 offset:308
	buffer_load_dword v134, off, s[0:3], 0 offset:304
	buffer_load_dword v139, off, s[0:3], 0 offset:316
	buffer_load_dword v138, off, s[0:3], 0 offset:312
	s_waitcnt vmcnt(2)
	v_fmac_f64_e32 v[130:131], v[134:135], v[136:137]
	ds_read2_b64 v[134:137], v132 offset0:103 offset1:104
	s_waitcnt vmcnt(0) lgkmcnt(0)
	v_fmac_f64_e32 v[130:131], v[138:139], v[134:135]
	buffer_load_dword v135, off, s[0:3], 0 offset:324
	buffer_load_dword v134, off, s[0:3], 0 offset:320
	buffer_load_dword v139, off, s[0:3], 0 offset:332
	buffer_load_dword v138, off, s[0:3], 0 offset:328
	s_waitcnt vmcnt(2)
	v_fmac_f64_e32 v[130:131], v[134:135], v[136:137]
	ds_read2_b64 v[134:137], v132 offset0:105 offset1:106
	s_waitcnt vmcnt(0) lgkmcnt(0)
	v_fmac_f64_e32 v[130:131], v[138:139], v[134:135]
	;; [unrolled: 9-line block ×11, first 2 shown]
	buffer_load_dword v135, off, s[0:3], 0 offset:484
	buffer_load_dword v134, off, s[0:3], 0 offset:480
	s_waitcnt vmcnt(0)
	v_fmac_f64_e32 v[130:131], v[134:135], v[136:137]
	buffer_load_dword v137, off, s[0:3], 0 offset:492
	buffer_load_dword v136, off, s[0:3], 0 offset:488
	ds_read2_b64 v[132:135], v132 offset0:125 offset1:126
	s_waitcnt vmcnt(0) lgkmcnt(0)
	v_fmac_f64_e32 v[130:131], v[136:137], v[132:133]
	buffer_load_dword v133, off, s[0:3], 0 offset:500
	buffer_load_dword v132, off, s[0:3], 0 offset:496
	s_waitcnt vmcnt(0)
	v_fmac_f64_e32 v[130:131], v[132:133], v[134:135]
	v_add_f64 v[128:129], v[128:129], -v[130:131]
	buffer_store_dword v129, off, s[0:3], 0 offset:244
	buffer_store_dword v128, off, s[0:3], 0 offset:240
	s_and_saveexec_b64 s[4:5], vcc
	s_cbranch_execz .LBB126_327
; %bb.326:
	buffer_load_dword v128, off, s[0:3], 0 offset:232
	buffer_load_dword v129, off, s[0:3], 0 offset:236
	v_mov_b32_e32 v130, 0
	buffer_store_dword v130, off, s[0:3], 0 offset:232
	buffer_store_dword v130, off, s[0:3], 0 offset:236
	s_waitcnt vmcnt(2)
	ds_write_b64 v1, v[128:129]
.LBB126_327:
	s_or_b64 exec, exec, s[4:5]
	s_waitcnt lgkmcnt(0)
	; wave barrier
	s_waitcnt lgkmcnt(0)
	buffer_load_dword v128, off, s[0:3], 0 offset:232
	buffer_load_dword v129, off, s[0:3], 0 offset:236
	;; [unrolled: 1-line block ×16, first 2 shown]
	v_mov_b32_e32 v132, 0
	ds_read_b128 v[134:137], v132 offset:752
	ds_read_b128 v[138:141], v132 offset:768
	;; [unrolled: 1-line block ×4, first 2 shown]
	v_cmp_lt_u32_e32 vcc, 28, v0
	s_waitcnt vmcnt(12) lgkmcnt(3)
	v_fma_f64 v[130:131], v[130:131], v[134:135], 0
	buffer_load_dword v135, off, s[0:3], 0 offset:300
	buffer_load_dword v134, off, s[0:3], 0 offset:296
	s_waitcnt vmcnt(12)
	v_fmac_f64_e32 v[130:131], v[150:151], v[136:137]
	s_waitcnt vmcnt(10) lgkmcnt(2)
	v_fmac_f64_e32 v[130:131], v[152:153], v[138:139]
	buffer_load_dword v139, off, s[0:3], 0 offset:308
	buffer_load_dword v138, off, s[0:3], 0 offset:304
	s_waitcnt vmcnt(10)
	v_fmac_f64_e32 v[130:131], v[154:155], v[140:141]
	s_waitcnt vmcnt(8) lgkmcnt(1)
	v_fmac_f64_e32 v[130:131], v[156:157], v[142:143]
	s_waitcnt vmcnt(6)
	v_fmac_f64_e32 v[130:131], v[158:159], v[144:145]
	s_waitcnt vmcnt(4) lgkmcnt(0)
	v_fmac_f64_e32 v[130:131], v[160:161], v[146:147]
	s_waitcnt vmcnt(2)
	v_fmac_f64_e32 v[130:131], v[134:135], v[148:149]
	ds_read_b128 v[134:137], v132 offset:816
	s_waitcnt vmcnt(0) lgkmcnt(0)
	v_fmac_f64_e32 v[130:131], v[138:139], v[134:135]
	buffer_load_dword v135, off, s[0:3], 0 offset:316
	buffer_load_dword v134, off, s[0:3], 0 offset:312
	buffer_load_dword v139, off, s[0:3], 0 offset:324
	buffer_load_dword v138, off, s[0:3], 0 offset:320
	s_waitcnt vmcnt(2)
	v_fmac_f64_e32 v[130:131], v[134:135], v[136:137]
	ds_read_b128 v[134:137], v132 offset:832
	s_waitcnt vmcnt(0) lgkmcnt(0)
	v_fmac_f64_e32 v[130:131], v[138:139], v[134:135]
	buffer_load_dword v135, off, s[0:3], 0 offset:332
	buffer_load_dword v134, off, s[0:3], 0 offset:328
	buffer_load_dword v139, off, s[0:3], 0 offset:340
	buffer_load_dword v138, off, s[0:3], 0 offset:336
	;; [unrolled: 9-line block ×11, first 2 shown]
	s_waitcnt vmcnt(2)
	v_fmac_f64_e32 v[130:131], v[134:135], v[136:137]
	ds_read_b128 v[134:137], v132 offset:992
	s_waitcnt vmcnt(0) lgkmcnt(0)
	v_fmac_f64_e32 v[130:131], v[138:139], v[134:135]
	buffer_load_dword v135, off, s[0:3], 0 offset:492
	buffer_load_dword v134, off, s[0:3], 0 offset:488
	s_waitcnt vmcnt(0)
	v_fmac_f64_e32 v[130:131], v[134:135], v[136:137]
	buffer_load_dword v135, off, s[0:3], 0 offset:500
	buffer_load_dword v134, off, s[0:3], 0 offset:496
	ds_read_b64 v[136:137], v132 offset:1008
	s_waitcnt vmcnt(0) lgkmcnt(0)
	v_fmac_f64_e32 v[130:131], v[134:135], v[136:137]
	v_add_f64 v[128:129], v[128:129], -v[130:131]
	buffer_store_dword v129, off, s[0:3], 0 offset:236
	buffer_store_dword v128, off, s[0:3], 0 offset:232
	s_and_saveexec_b64 s[4:5], vcc
	s_cbranch_execz .LBB126_329
; %bb.328:
	buffer_load_dword v128, off, s[0:3], 0 offset:224
	buffer_load_dword v129, off, s[0:3], 0 offset:228
	s_waitcnt vmcnt(0)
	ds_write_b64 v1, v[128:129]
	buffer_store_dword v132, off, s[0:3], 0 offset:224
	buffer_store_dword v132, off, s[0:3], 0 offset:228
.LBB126_329:
	s_or_b64 exec, exec, s[4:5]
	s_waitcnt lgkmcnt(0)
	; wave barrier
	s_waitcnt lgkmcnt(0)
	buffer_load_dword v128, off, s[0:3], 0 offset:224
	buffer_load_dword v129, off, s[0:3], 0 offset:228
	;; [unrolled: 1-line block ×16, first 2 shown]
	ds_read2_b64 v[134:137], v132 offset0:93 offset1:94
	v_cmp_lt_u32_e32 vcc, 27, v0
	s_waitcnt vmcnt(12) lgkmcnt(0)
	v_fma_f64 v[130:131], v[130:131], v[134:135], 0
	s_waitcnt vmcnt(10)
	v_fmac_f64_e32 v[130:131], v[138:139], v[136:137]
	ds_read2_b64 v[134:137], v132 offset0:95 offset1:96
	s_waitcnt vmcnt(8) lgkmcnt(0)
	v_fmac_f64_e32 v[130:131], v[140:141], v[134:135]
	s_waitcnt vmcnt(6)
	v_fmac_f64_e32 v[130:131], v[142:143], v[136:137]
	ds_read2_b64 v[134:137], v132 offset0:97 offset1:98
	s_waitcnt vmcnt(4) lgkmcnt(0)
	v_fmac_f64_e32 v[130:131], v[144:145], v[134:135]
	;; [unrolled: 5-line block ×3, first 2 shown]
	buffer_load_dword v135, off, s[0:3], 0 offset:292
	buffer_load_dword v134, off, s[0:3], 0 offset:288
	buffer_load_dword v139, off, s[0:3], 0 offset:300
	buffer_load_dword v138, off, s[0:3], 0 offset:296
	s_waitcnt vmcnt(2)
	v_fmac_f64_e32 v[130:131], v[134:135], v[136:137]
	ds_read2_b64 v[134:137], v132 offset0:101 offset1:102
	s_waitcnt vmcnt(0) lgkmcnt(0)
	v_fmac_f64_e32 v[130:131], v[138:139], v[134:135]
	buffer_load_dword v135, off, s[0:3], 0 offset:308
	buffer_load_dword v134, off, s[0:3], 0 offset:304
	buffer_load_dword v139, off, s[0:3], 0 offset:316
	buffer_load_dword v138, off, s[0:3], 0 offset:312
	s_waitcnt vmcnt(2)
	v_fmac_f64_e32 v[130:131], v[134:135], v[136:137]
	ds_read2_b64 v[134:137], v132 offset0:103 offset1:104
	s_waitcnt vmcnt(0) lgkmcnt(0)
	v_fmac_f64_e32 v[130:131], v[138:139], v[134:135]
	;; [unrolled: 9-line block ×12, first 2 shown]
	buffer_load_dword v135, off, s[0:3], 0 offset:484
	buffer_load_dword v134, off, s[0:3], 0 offset:480
	s_waitcnt vmcnt(0)
	v_fmac_f64_e32 v[130:131], v[134:135], v[136:137]
	buffer_load_dword v137, off, s[0:3], 0 offset:492
	buffer_load_dword v136, off, s[0:3], 0 offset:488
	ds_read2_b64 v[132:135], v132 offset0:125 offset1:126
	s_waitcnt vmcnt(0) lgkmcnt(0)
	v_fmac_f64_e32 v[130:131], v[136:137], v[132:133]
	buffer_load_dword v133, off, s[0:3], 0 offset:500
	buffer_load_dword v132, off, s[0:3], 0 offset:496
	s_waitcnt vmcnt(0)
	v_fmac_f64_e32 v[130:131], v[132:133], v[134:135]
	v_add_f64 v[128:129], v[128:129], -v[130:131]
	buffer_store_dword v129, off, s[0:3], 0 offset:228
	buffer_store_dword v128, off, s[0:3], 0 offset:224
	s_and_saveexec_b64 s[4:5], vcc
	s_cbranch_execz .LBB126_331
; %bb.330:
	buffer_load_dword v128, off, s[0:3], 0 offset:216
	buffer_load_dword v129, off, s[0:3], 0 offset:220
	v_mov_b32_e32 v130, 0
	buffer_store_dword v130, off, s[0:3], 0 offset:216
	buffer_store_dword v130, off, s[0:3], 0 offset:220
	s_waitcnt vmcnt(2)
	ds_write_b64 v1, v[128:129]
.LBB126_331:
	s_or_b64 exec, exec, s[4:5]
	s_waitcnt lgkmcnt(0)
	; wave barrier
	s_waitcnt lgkmcnt(0)
	buffer_load_dword v128, off, s[0:3], 0 offset:216
	buffer_load_dword v129, off, s[0:3], 0 offset:220
	;; [unrolled: 1-line block ×16, first 2 shown]
	v_mov_b32_e32 v132, 0
	ds_read_b128 v[134:137], v132 offset:736
	ds_read_b128 v[138:141], v132 offset:752
	;; [unrolled: 1-line block ×4, first 2 shown]
	v_cmp_lt_u32_e32 vcc, 26, v0
	s_waitcnt vmcnt(12) lgkmcnt(3)
	v_fma_f64 v[130:131], v[130:131], v[134:135], 0
	buffer_load_dword v135, off, s[0:3], 0 offset:284
	buffer_load_dword v134, off, s[0:3], 0 offset:280
	s_waitcnt vmcnt(12)
	v_fmac_f64_e32 v[130:131], v[150:151], v[136:137]
	s_waitcnt vmcnt(10) lgkmcnt(2)
	v_fmac_f64_e32 v[130:131], v[152:153], v[138:139]
	buffer_load_dword v139, off, s[0:3], 0 offset:292
	buffer_load_dword v138, off, s[0:3], 0 offset:288
	s_waitcnt vmcnt(10)
	v_fmac_f64_e32 v[130:131], v[154:155], v[140:141]
	s_waitcnt vmcnt(8) lgkmcnt(1)
	v_fmac_f64_e32 v[130:131], v[156:157], v[142:143]
	s_waitcnt vmcnt(6)
	v_fmac_f64_e32 v[130:131], v[158:159], v[144:145]
	s_waitcnt vmcnt(4) lgkmcnt(0)
	v_fmac_f64_e32 v[130:131], v[160:161], v[146:147]
	s_waitcnt vmcnt(2)
	v_fmac_f64_e32 v[130:131], v[134:135], v[148:149]
	ds_read_b128 v[134:137], v132 offset:800
	s_waitcnt vmcnt(0) lgkmcnt(0)
	v_fmac_f64_e32 v[130:131], v[138:139], v[134:135]
	buffer_load_dword v135, off, s[0:3], 0 offset:300
	buffer_load_dword v134, off, s[0:3], 0 offset:296
	buffer_load_dword v139, off, s[0:3], 0 offset:308
	buffer_load_dword v138, off, s[0:3], 0 offset:304
	s_waitcnt vmcnt(2)
	v_fmac_f64_e32 v[130:131], v[134:135], v[136:137]
	ds_read_b128 v[134:137], v132 offset:816
	s_waitcnt vmcnt(0) lgkmcnt(0)
	v_fmac_f64_e32 v[130:131], v[138:139], v[134:135]
	buffer_load_dword v135, off, s[0:3], 0 offset:316
	buffer_load_dword v134, off, s[0:3], 0 offset:312
	buffer_load_dword v139, off, s[0:3], 0 offset:324
	buffer_load_dword v138, off, s[0:3], 0 offset:320
	;; [unrolled: 9-line block ×12, first 2 shown]
	s_waitcnt vmcnt(2)
	v_fmac_f64_e32 v[130:131], v[134:135], v[136:137]
	ds_read_b128 v[134:137], v132 offset:992
	s_waitcnt vmcnt(0) lgkmcnt(0)
	v_fmac_f64_e32 v[130:131], v[138:139], v[134:135]
	buffer_load_dword v135, off, s[0:3], 0 offset:492
	buffer_load_dword v134, off, s[0:3], 0 offset:488
	s_waitcnt vmcnt(0)
	v_fmac_f64_e32 v[130:131], v[134:135], v[136:137]
	buffer_load_dword v135, off, s[0:3], 0 offset:500
	buffer_load_dword v134, off, s[0:3], 0 offset:496
	ds_read_b64 v[136:137], v132 offset:1008
	s_waitcnt vmcnt(0) lgkmcnt(0)
	v_fmac_f64_e32 v[130:131], v[134:135], v[136:137]
	v_add_f64 v[128:129], v[128:129], -v[130:131]
	buffer_store_dword v129, off, s[0:3], 0 offset:220
	buffer_store_dword v128, off, s[0:3], 0 offset:216
	s_and_saveexec_b64 s[4:5], vcc
	s_cbranch_execz .LBB126_333
; %bb.332:
	buffer_load_dword v128, off, s[0:3], 0 offset:208
	buffer_load_dword v129, off, s[0:3], 0 offset:212
	s_waitcnt vmcnt(0)
	ds_write_b64 v1, v[128:129]
	buffer_store_dword v132, off, s[0:3], 0 offset:208
	buffer_store_dword v132, off, s[0:3], 0 offset:212
.LBB126_333:
	s_or_b64 exec, exec, s[4:5]
	s_waitcnt lgkmcnt(0)
	; wave barrier
	s_waitcnt lgkmcnt(0)
	buffer_load_dword v128, off, s[0:3], 0 offset:208
	buffer_load_dword v129, off, s[0:3], 0 offset:212
	buffer_load_dword v130, off, s[0:3], 0 offset:216
	buffer_load_dword v131, off, s[0:3], 0 offset:220
	buffer_load_dword v138, off, s[0:3], 0 offset:224
	buffer_load_dword v139, off, s[0:3], 0 offset:228
	buffer_load_dword v140, off, s[0:3], 0 offset:232
	buffer_load_dword v141, off, s[0:3], 0 offset:236
	buffer_load_dword v142, off, s[0:3], 0 offset:240
	buffer_load_dword v143, off, s[0:3], 0 offset:244
	buffer_load_dword v144, off, s[0:3], 0 offset:248
	buffer_load_dword v145, off, s[0:3], 0 offset:252
	buffer_load_dword v146, off, s[0:3], 0 offset:256
	buffer_load_dword v147, off, s[0:3], 0 offset:260
	buffer_load_dword v148, off, s[0:3], 0 offset:264
	buffer_load_dword v149, off, s[0:3], 0 offset:268
	ds_read2_b64 v[134:137], v132 offset0:91 offset1:92
	v_cmp_lt_u32_e32 vcc, 25, v0
	s_waitcnt vmcnt(12) lgkmcnt(0)
	v_fma_f64 v[130:131], v[130:131], v[134:135], 0
	s_waitcnt vmcnt(10)
	v_fmac_f64_e32 v[130:131], v[138:139], v[136:137]
	ds_read2_b64 v[134:137], v132 offset0:93 offset1:94
	s_waitcnt vmcnt(8) lgkmcnt(0)
	v_fmac_f64_e32 v[130:131], v[140:141], v[134:135]
	s_waitcnt vmcnt(6)
	v_fmac_f64_e32 v[130:131], v[142:143], v[136:137]
	ds_read2_b64 v[134:137], v132 offset0:95 offset1:96
	s_waitcnt vmcnt(4) lgkmcnt(0)
	v_fmac_f64_e32 v[130:131], v[144:145], v[134:135]
	;; [unrolled: 5-line block ×3, first 2 shown]
	buffer_load_dword v135, off, s[0:3], 0 offset:276
	buffer_load_dword v134, off, s[0:3], 0 offset:272
	buffer_load_dword v139, off, s[0:3], 0 offset:284
	buffer_load_dword v138, off, s[0:3], 0 offset:280
	s_waitcnt vmcnt(2)
	v_fmac_f64_e32 v[130:131], v[134:135], v[136:137]
	ds_read2_b64 v[134:137], v132 offset0:99 offset1:100
	s_waitcnt vmcnt(0) lgkmcnt(0)
	v_fmac_f64_e32 v[130:131], v[138:139], v[134:135]
	buffer_load_dword v135, off, s[0:3], 0 offset:292
	buffer_load_dword v134, off, s[0:3], 0 offset:288
	buffer_load_dword v139, off, s[0:3], 0 offset:300
	buffer_load_dword v138, off, s[0:3], 0 offset:296
	s_waitcnt vmcnt(2)
	v_fmac_f64_e32 v[130:131], v[134:135], v[136:137]
	ds_read2_b64 v[134:137], v132 offset0:101 offset1:102
	s_waitcnt vmcnt(0) lgkmcnt(0)
	v_fmac_f64_e32 v[130:131], v[138:139], v[134:135]
	buffer_load_dword v135, off, s[0:3], 0 offset:308
	buffer_load_dword v134, off, s[0:3], 0 offset:304
	buffer_load_dword v139, off, s[0:3], 0 offset:316
	buffer_load_dword v138, off, s[0:3], 0 offset:312
	s_waitcnt vmcnt(2)
	v_fmac_f64_e32 v[130:131], v[134:135], v[136:137]
	ds_read2_b64 v[134:137], v132 offset0:103 offset1:104
	s_waitcnt vmcnt(0) lgkmcnt(0)
	v_fmac_f64_e32 v[130:131], v[138:139], v[134:135]
	buffer_load_dword v135, off, s[0:3], 0 offset:324
	buffer_load_dword v134, off, s[0:3], 0 offset:320
	buffer_load_dword v139, off, s[0:3], 0 offset:332
	buffer_load_dword v138, off, s[0:3], 0 offset:328
	s_waitcnt vmcnt(2)
	v_fmac_f64_e32 v[130:131], v[134:135], v[136:137]
	ds_read2_b64 v[134:137], v132 offset0:105 offset1:106
	s_waitcnt vmcnt(0) lgkmcnt(0)
	v_fmac_f64_e32 v[130:131], v[138:139], v[134:135]
	buffer_load_dword v135, off, s[0:3], 0 offset:340
	buffer_load_dword v134, off, s[0:3], 0 offset:336
	buffer_load_dword v139, off, s[0:3], 0 offset:348
	buffer_load_dword v138, off, s[0:3], 0 offset:344
	s_waitcnt vmcnt(2)
	v_fmac_f64_e32 v[130:131], v[134:135], v[136:137]
	ds_read2_b64 v[134:137], v132 offset0:107 offset1:108
	s_waitcnt vmcnt(0) lgkmcnt(0)
	v_fmac_f64_e32 v[130:131], v[138:139], v[134:135]
	buffer_load_dword v135, off, s[0:3], 0 offset:356
	buffer_load_dword v134, off, s[0:3], 0 offset:352
	buffer_load_dword v139, off, s[0:3], 0 offset:364
	buffer_load_dword v138, off, s[0:3], 0 offset:360
	s_waitcnt vmcnt(2)
	v_fmac_f64_e32 v[130:131], v[134:135], v[136:137]
	ds_read2_b64 v[134:137], v132 offset0:109 offset1:110
	s_waitcnt vmcnt(0) lgkmcnt(0)
	v_fmac_f64_e32 v[130:131], v[138:139], v[134:135]
	buffer_load_dword v135, off, s[0:3], 0 offset:372
	buffer_load_dword v134, off, s[0:3], 0 offset:368
	buffer_load_dword v139, off, s[0:3], 0 offset:380
	buffer_load_dword v138, off, s[0:3], 0 offset:376
	s_waitcnt vmcnt(2)
	v_fmac_f64_e32 v[130:131], v[134:135], v[136:137]
	ds_read2_b64 v[134:137], v132 offset0:111 offset1:112
	s_waitcnt vmcnt(0) lgkmcnt(0)
	v_fmac_f64_e32 v[130:131], v[138:139], v[134:135]
	buffer_load_dword v135, off, s[0:3], 0 offset:388
	buffer_load_dword v134, off, s[0:3], 0 offset:384
	buffer_load_dword v139, off, s[0:3], 0 offset:396
	buffer_load_dword v138, off, s[0:3], 0 offset:392
	s_waitcnt vmcnt(2)
	v_fmac_f64_e32 v[130:131], v[134:135], v[136:137]
	ds_read2_b64 v[134:137], v132 offset0:113 offset1:114
	s_waitcnt vmcnt(0) lgkmcnt(0)
	v_fmac_f64_e32 v[130:131], v[138:139], v[134:135]
	buffer_load_dword v135, off, s[0:3], 0 offset:404
	buffer_load_dword v134, off, s[0:3], 0 offset:400
	buffer_load_dword v139, off, s[0:3], 0 offset:412
	buffer_load_dword v138, off, s[0:3], 0 offset:408
	s_waitcnt vmcnt(2)
	v_fmac_f64_e32 v[130:131], v[134:135], v[136:137]
	ds_read2_b64 v[134:137], v132 offset0:115 offset1:116
	s_waitcnt vmcnt(0) lgkmcnt(0)
	v_fmac_f64_e32 v[130:131], v[138:139], v[134:135]
	buffer_load_dword v135, off, s[0:3], 0 offset:420
	buffer_load_dword v134, off, s[0:3], 0 offset:416
	buffer_load_dword v139, off, s[0:3], 0 offset:428
	buffer_load_dword v138, off, s[0:3], 0 offset:424
	s_waitcnt vmcnt(2)
	v_fmac_f64_e32 v[130:131], v[134:135], v[136:137]
	ds_read2_b64 v[134:137], v132 offset0:117 offset1:118
	s_waitcnt vmcnt(0) lgkmcnt(0)
	v_fmac_f64_e32 v[130:131], v[138:139], v[134:135]
	buffer_load_dword v135, off, s[0:3], 0 offset:436
	buffer_load_dword v134, off, s[0:3], 0 offset:432
	buffer_load_dword v139, off, s[0:3], 0 offset:444
	buffer_load_dword v138, off, s[0:3], 0 offset:440
	s_waitcnt vmcnt(2)
	v_fmac_f64_e32 v[130:131], v[134:135], v[136:137]
	ds_read2_b64 v[134:137], v132 offset0:119 offset1:120
	s_waitcnt vmcnt(0) lgkmcnt(0)
	v_fmac_f64_e32 v[130:131], v[138:139], v[134:135]
	buffer_load_dword v135, off, s[0:3], 0 offset:452
	buffer_load_dword v134, off, s[0:3], 0 offset:448
	buffer_load_dword v139, off, s[0:3], 0 offset:460
	buffer_load_dword v138, off, s[0:3], 0 offset:456
	s_waitcnt vmcnt(2)
	v_fmac_f64_e32 v[130:131], v[134:135], v[136:137]
	ds_read2_b64 v[134:137], v132 offset0:121 offset1:122
	s_waitcnt vmcnt(0) lgkmcnt(0)
	v_fmac_f64_e32 v[130:131], v[138:139], v[134:135]
	buffer_load_dword v135, off, s[0:3], 0 offset:468
	buffer_load_dword v134, off, s[0:3], 0 offset:464
	buffer_load_dword v139, off, s[0:3], 0 offset:476
	buffer_load_dword v138, off, s[0:3], 0 offset:472
	s_waitcnt vmcnt(2)
	v_fmac_f64_e32 v[130:131], v[134:135], v[136:137]
	ds_read2_b64 v[134:137], v132 offset0:123 offset1:124
	s_waitcnt vmcnt(0) lgkmcnt(0)
	v_fmac_f64_e32 v[130:131], v[138:139], v[134:135]
	buffer_load_dword v135, off, s[0:3], 0 offset:484
	buffer_load_dword v134, off, s[0:3], 0 offset:480
	s_waitcnt vmcnt(0)
	v_fmac_f64_e32 v[130:131], v[134:135], v[136:137]
	buffer_load_dword v137, off, s[0:3], 0 offset:492
	buffer_load_dword v136, off, s[0:3], 0 offset:488
	ds_read2_b64 v[132:135], v132 offset0:125 offset1:126
	s_waitcnt vmcnt(0) lgkmcnt(0)
	v_fmac_f64_e32 v[130:131], v[136:137], v[132:133]
	buffer_load_dword v133, off, s[0:3], 0 offset:500
	buffer_load_dword v132, off, s[0:3], 0 offset:496
	s_waitcnt vmcnt(0)
	v_fmac_f64_e32 v[130:131], v[132:133], v[134:135]
	v_add_f64 v[128:129], v[128:129], -v[130:131]
	buffer_store_dword v129, off, s[0:3], 0 offset:212
	buffer_store_dword v128, off, s[0:3], 0 offset:208
	s_and_saveexec_b64 s[4:5], vcc
	s_cbranch_execz .LBB126_335
; %bb.334:
	buffer_load_dword v128, off, s[0:3], 0 offset:200
	buffer_load_dword v129, off, s[0:3], 0 offset:204
	v_mov_b32_e32 v130, 0
	buffer_store_dword v130, off, s[0:3], 0 offset:200
	buffer_store_dword v130, off, s[0:3], 0 offset:204
	s_waitcnt vmcnt(2)
	ds_write_b64 v1, v[128:129]
.LBB126_335:
	s_or_b64 exec, exec, s[4:5]
	s_waitcnt lgkmcnt(0)
	; wave barrier
	s_waitcnt lgkmcnt(0)
	buffer_load_dword v128, off, s[0:3], 0 offset:200
	buffer_load_dword v129, off, s[0:3], 0 offset:204
	;; [unrolled: 1-line block ×16, first 2 shown]
	v_mov_b32_e32 v132, 0
	ds_read_b128 v[134:137], v132 offset:720
	ds_read_b128 v[138:141], v132 offset:736
	;; [unrolled: 1-line block ×4, first 2 shown]
	v_cmp_lt_u32_e32 vcc, 24, v0
	s_waitcnt vmcnt(12) lgkmcnt(3)
	v_fma_f64 v[130:131], v[130:131], v[134:135], 0
	buffer_load_dword v135, off, s[0:3], 0 offset:268
	buffer_load_dword v134, off, s[0:3], 0 offset:264
	s_waitcnt vmcnt(12)
	v_fmac_f64_e32 v[130:131], v[150:151], v[136:137]
	s_waitcnt vmcnt(10) lgkmcnt(2)
	v_fmac_f64_e32 v[130:131], v[152:153], v[138:139]
	buffer_load_dword v139, off, s[0:3], 0 offset:276
	buffer_load_dword v138, off, s[0:3], 0 offset:272
	s_waitcnt vmcnt(10)
	v_fmac_f64_e32 v[130:131], v[154:155], v[140:141]
	s_waitcnt vmcnt(8) lgkmcnt(1)
	v_fmac_f64_e32 v[130:131], v[156:157], v[142:143]
	s_waitcnt vmcnt(6)
	v_fmac_f64_e32 v[130:131], v[158:159], v[144:145]
	s_waitcnt vmcnt(4) lgkmcnt(0)
	v_fmac_f64_e32 v[130:131], v[160:161], v[146:147]
	s_waitcnt vmcnt(2)
	v_fmac_f64_e32 v[130:131], v[134:135], v[148:149]
	ds_read_b128 v[134:137], v132 offset:784
	s_waitcnt vmcnt(0) lgkmcnt(0)
	v_fmac_f64_e32 v[130:131], v[138:139], v[134:135]
	buffer_load_dword v135, off, s[0:3], 0 offset:284
	buffer_load_dword v134, off, s[0:3], 0 offset:280
	buffer_load_dword v139, off, s[0:3], 0 offset:292
	buffer_load_dword v138, off, s[0:3], 0 offset:288
	s_waitcnt vmcnt(2)
	v_fmac_f64_e32 v[130:131], v[134:135], v[136:137]
	ds_read_b128 v[134:137], v132 offset:800
	s_waitcnt vmcnt(0) lgkmcnt(0)
	v_fmac_f64_e32 v[130:131], v[138:139], v[134:135]
	buffer_load_dword v135, off, s[0:3], 0 offset:300
	buffer_load_dword v134, off, s[0:3], 0 offset:296
	buffer_load_dword v139, off, s[0:3], 0 offset:308
	buffer_load_dword v138, off, s[0:3], 0 offset:304
	;; [unrolled: 9-line block ×13, first 2 shown]
	s_waitcnt vmcnt(2)
	v_fmac_f64_e32 v[130:131], v[134:135], v[136:137]
	ds_read_b128 v[134:137], v132 offset:992
	s_waitcnt vmcnt(0) lgkmcnt(0)
	v_fmac_f64_e32 v[130:131], v[138:139], v[134:135]
	buffer_load_dword v135, off, s[0:3], 0 offset:492
	buffer_load_dword v134, off, s[0:3], 0 offset:488
	s_waitcnt vmcnt(0)
	v_fmac_f64_e32 v[130:131], v[134:135], v[136:137]
	buffer_load_dword v135, off, s[0:3], 0 offset:500
	buffer_load_dword v134, off, s[0:3], 0 offset:496
	ds_read_b64 v[136:137], v132 offset:1008
	s_waitcnt vmcnt(0) lgkmcnt(0)
	v_fmac_f64_e32 v[130:131], v[134:135], v[136:137]
	v_add_f64 v[128:129], v[128:129], -v[130:131]
	buffer_store_dword v129, off, s[0:3], 0 offset:204
	buffer_store_dword v128, off, s[0:3], 0 offset:200
	s_and_saveexec_b64 s[4:5], vcc
	s_cbranch_execz .LBB126_337
; %bb.336:
	buffer_load_dword v128, off, s[0:3], 0 offset:192
	buffer_load_dword v129, off, s[0:3], 0 offset:196
	s_waitcnt vmcnt(0)
	ds_write_b64 v1, v[128:129]
	buffer_store_dword v132, off, s[0:3], 0 offset:192
	buffer_store_dword v132, off, s[0:3], 0 offset:196
.LBB126_337:
	s_or_b64 exec, exec, s[4:5]
	s_waitcnt lgkmcnt(0)
	; wave barrier
	s_waitcnt lgkmcnt(0)
	buffer_load_dword v128, off, s[0:3], 0 offset:192
	buffer_load_dword v129, off, s[0:3], 0 offset:196
	;; [unrolled: 1-line block ×16, first 2 shown]
	ds_read2_b64 v[134:137], v132 offset0:89 offset1:90
	v_cmp_lt_u32_e32 vcc, 23, v0
	s_waitcnt vmcnt(12) lgkmcnt(0)
	v_fma_f64 v[130:131], v[130:131], v[134:135], 0
	s_waitcnt vmcnt(10)
	v_fmac_f64_e32 v[130:131], v[138:139], v[136:137]
	ds_read2_b64 v[134:137], v132 offset0:91 offset1:92
	s_waitcnt vmcnt(8) lgkmcnt(0)
	v_fmac_f64_e32 v[130:131], v[140:141], v[134:135]
	s_waitcnt vmcnt(6)
	v_fmac_f64_e32 v[130:131], v[142:143], v[136:137]
	ds_read2_b64 v[134:137], v132 offset0:93 offset1:94
	s_waitcnt vmcnt(4) lgkmcnt(0)
	v_fmac_f64_e32 v[130:131], v[144:145], v[134:135]
	;; [unrolled: 5-line block ×3, first 2 shown]
	buffer_load_dword v135, off, s[0:3], 0 offset:260
	buffer_load_dword v134, off, s[0:3], 0 offset:256
	buffer_load_dword v139, off, s[0:3], 0 offset:268
	buffer_load_dword v138, off, s[0:3], 0 offset:264
	s_waitcnt vmcnt(2)
	v_fmac_f64_e32 v[130:131], v[134:135], v[136:137]
	ds_read2_b64 v[134:137], v132 offset0:97 offset1:98
	s_waitcnt vmcnt(0) lgkmcnt(0)
	v_fmac_f64_e32 v[130:131], v[138:139], v[134:135]
	buffer_load_dword v135, off, s[0:3], 0 offset:276
	buffer_load_dword v134, off, s[0:3], 0 offset:272
	buffer_load_dword v139, off, s[0:3], 0 offset:284
	buffer_load_dword v138, off, s[0:3], 0 offset:280
	s_waitcnt vmcnt(2)
	v_fmac_f64_e32 v[130:131], v[134:135], v[136:137]
	ds_read2_b64 v[134:137], v132 offset0:99 offset1:100
	s_waitcnt vmcnt(0) lgkmcnt(0)
	v_fmac_f64_e32 v[130:131], v[138:139], v[134:135]
	;; [unrolled: 9-line block ×14, first 2 shown]
	buffer_load_dword v135, off, s[0:3], 0 offset:484
	buffer_load_dword v134, off, s[0:3], 0 offset:480
	s_waitcnt vmcnt(0)
	v_fmac_f64_e32 v[130:131], v[134:135], v[136:137]
	buffer_load_dword v137, off, s[0:3], 0 offset:492
	buffer_load_dword v136, off, s[0:3], 0 offset:488
	ds_read2_b64 v[132:135], v132 offset0:125 offset1:126
	s_waitcnt vmcnt(0) lgkmcnt(0)
	v_fmac_f64_e32 v[130:131], v[136:137], v[132:133]
	buffer_load_dword v133, off, s[0:3], 0 offset:500
	buffer_load_dword v132, off, s[0:3], 0 offset:496
	s_waitcnt vmcnt(0)
	v_fmac_f64_e32 v[130:131], v[132:133], v[134:135]
	v_add_f64 v[128:129], v[128:129], -v[130:131]
	buffer_store_dword v129, off, s[0:3], 0 offset:196
	buffer_store_dword v128, off, s[0:3], 0 offset:192
	s_and_saveexec_b64 s[4:5], vcc
	s_cbranch_execz .LBB126_339
; %bb.338:
	buffer_load_dword v128, off, s[0:3], 0 offset:184
	buffer_load_dword v129, off, s[0:3], 0 offset:188
	v_mov_b32_e32 v130, 0
	buffer_store_dword v130, off, s[0:3], 0 offset:184
	buffer_store_dword v130, off, s[0:3], 0 offset:188
	s_waitcnt vmcnt(2)
	ds_write_b64 v1, v[128:129]
.LBB126_339:
	s_or_b64 exec, exec, s[4:5]
	s_waitcnt lgkmcnt(0)
	; wave barrier
	s_waitcnt lgkmcnt(0)
	buffer_load_dword v128, off, s[0:3], 0 offset:184
	buffer_load_dword v129, off, s[0:3], 0 offset:188
	;; [unrolled: 1-line block ×16, first 2 shown]
	v_mov_b32_e32 v132, 0
	ds_read_b128 v[134:137], v132 offset:704
	ds_read_b128 v[138:141], v132 offset:720
	;; [unrolled: 1-line block ×4, first 2 shown]
	v_cmp_lt_u32_e32 vcc, 22, v0
	s_waitcnt vmcnt(12) lgkmcnt(3)
	v_fma_f64 v[130:131], v[130:131], v[134:135], 0
	buffer_load_dword v135, off, s[0:3], 0 offset:252
	buffer_load_dword v134, off, s[0:3], 0 offset:248
	s_waitcnt vmcnt(12)
	v_fmac_f64_e32 v[130:131], v[150:151], v[136:137]
	s_waitcnt vmcnt(10) lgkmcnt(2)
	v_fmac_f64_e32 v[130:131], v[152:153], v[138:139]
	buffer_load_dword v139, off, s[0:3], 0 offset:260
	buffer_load_dword v138, off, s[0:3], 0 offset:256
	s_waitcnt vmcnt(10)
	v_fmac_f64_e32 v[130:131], v[154:155], v[140:141]
	s_waitcnt vmcnt(8) lgkmcnt(1)
	v_fmac_f64_e32 v[130:131], v[156:157], v[142:143]
	s_waitcnt vmcnt(6)
	v_fmac_f64_e32 v[130:131], v[158:159], v[144:145]
	s_waitcnt vmcnt(4) lgkmcnt(0)
	v_fmac_f64_e32 v[130:131], v[160:161], v[146:147]
	s_waitcnt vmcnt(2)
	v_fmac_f64_e32 v[130:131], v[134:135], v[148:149]
	ds_read_b128 v[134:137], v132 offset:768
	s_waitcnt vmcnt(0) lgkmcnt(0)
	v_fmac_f64_e32 v[130:131], v[138:139], v[134:135]
	buffer_load_dword v135, off, s[0:3], 0 offset:268
	buffer_load_dword v134, off, s[0:3], 0 offset:264
	buffer_load_dword v139, off, s[0:3], 0 offset:276
	buffer_load_dword v138, off, s[0:3], 0 offset:272
	s_waitcnt vmcnt(2)
	v_fmac_f64_e32 v[130:131], v[134:135], v[136:137]
	ds_read_b128 v[134:137], v132 offset:784
	s_waitcnt vmcnt(0) lgkmcnt(0)
	v_fmac_f64_e32 v[130:131], v[138:139], v[134:135]
	buffer_load_dword v135, off, s[0:3], 0 offset:284
	buffer_load_dword v134, off, s[0:3], 0 offset:280
	buffer_load_dword v139, off, s[0:3], 0 offset:292
	buffer_load_dword v138, off, s[0:3], 0 offset:288
	;; [unrolled: 9-line block ×14, first 2 shown]
	s_waitcnt vmcnt(2)
	v_fmac_f64_e32 v[130:131], v[134:135], v[136:137]
	ds_read_b128 v[134:137], v132 offset:992
	s_waitcnt vmcnt(0) lgkmcnt(0)
	v_fmac_f64_e32 v[130:131], v[138:139], v[134:135]
	buffer_load_dword v135, off, s[0:3], 0 offset:492
	buffer_load_dword v134, off, s[0:3], 0 offset:488
	s_waitcnt vmcnt(0)
	v_fmac_f64_e32 v[130:131], v[134:135], v[136:137]
	buffer_load_dword v135, off, s[0:3], 0 offset:500
	buffer_load_dword v134, off, s[0:3], 0 offset:496
	ds_read_b64 v[136:137], v132 offset:1008
	s_waitcnt vmcnt(0) lgkmcnt(0)
	v_fmac_f64_e32 v[130:131], v[134:135], v[136:137]
	v_add_f64 v[128:129], v[128:129], -v[130:131]
	buffer_store_dword v129, off, s[0:3], 0 offset:188
	buffer_store_dword v128, off, s[0:3], 0 offset:184
	s_and_saveexec_b64 s[4:5], vcc
	s_cbranch_execz .LBB126_341
; %bb.340:
	buffer_load_dword v128, off, s[0:3], 0 offset:176
	buffer_load_dword v129, off, s[0:3], 0 offset:180
	s_waitcnt vmcnt(0)
	ds_write_b64 v1, v[128:129]
	buffer_store_dword v132, off, s[0:3], 0 offset:176
	buffer_store_dword v132, off, s[0:3], 0 offset:180
.LBB126_341:
	s_or_b64 exec, exec, s[4:5]
	s_waitcnt lgkmcnt(0)
	; wave barrier
	s_waitcnt lgkmcnt(0)
	buffer_load_dword v128, off, s[0:3], 0 offset:176
	buffer_load_dword v129, off, s[0:3], 0 offset:180
	;; [unrolled: 1-line block ×16, first 2 shown]
	ds_read2_b64 v[134:137], v132 offset0:87 offset1:88
	v_cmp_lt_u32_e32 vcc, 21, v0
	s_waitcnt vmcnt(12) lgkmcnt(0)
	v_fma_f64 v[130:131], v[130:131], v[134:135], 0
	s_waitcnt vmcnt(10)
	v_fmac_f64_e32 v[130:131], v[138:139], v[136:137]
	ds_read2_b64 v[134:137], v132 offset0:89 offset1:90
	s_waitcnt vmcnt(8) lgkmcnt(0)
	v_fmac_f64_e32 v[130:131], v[140:141], v[134:135]
	s_waitcnt vmcnt(6)
	v_fmac_f64_e32 v[130:131], v[142:143], v[136:137]
	ds_read2_b64 v[134:137], v132 offset0:91 offset1:92
	s_waitcnt vmcnt(4) lgkmcnt(0)
	v_fmac_f64_e32 v[130:131], v[144:145], v[134:135]
	;; [unrolled: 5-line block ×3, first 2 shown]
	buffer_load_dword v135, off, s[0:3], 0 offset:244
	buffer_load_dword v134, off, s[0:3], 0 offset:240
	buffer_load_dword v139, off, s[0:3], 0 offset:252
	buffer_load_dword v138, off, s[0:3], 0 offset:248
	s_waitcnt vmcnt(2)
	v_fmac_f64_e32 v[130:131], v[134:135], v[136:137]
	ds_read2_b64 v[134:137], v132 offset0:95 offset1:96
	s_waitcnt vmcnt(0) lgkmcnt(0)
	v_fmac_f64_e32 v[130:131], v[138:139], v[134:135]
	buffer_load_dword v135, off, s[0:3], 0 offset:260
	buffer_load_dword v134, off, s[0:3], 0 offset:256
	buffer_load_dword v139, off, s[0:3], 0 offset:268
	buffer_load_dword v138, off, s[0:3], 0 offset:264
	s_waitcnt vmcnt(2)
	v_fmac_f64_e32 v[130:131], v[134:135], v[136:137]
	ds_read2_b64 v[134:137], v132 offset0:97 offset1:98
	s_waitcnt vmcnt(0) lgkmcnt(0)
	v_fmac_f64_e32 v[130:131], v[138:139], v[134:135]
	;; [unrolled: 9-line block ×15, first 2 shown]
	buffer_load_dword v135, off, s[0:3], 0 offset:484
	buffer_load_dword v134, off, s[0:3], 0 offset:480
	s_waitcnt vmcnt(0)
	v_fmac_f64_e32 v[130:131], v[134:135], v[136:137]
	buffer_load_dword v137, off, s[0:3], 0 offset:492
	buffer_load_dword v136, off, s[0:3], 0 offset:488
	ds_read2_b64 v[132:135], v132 offset0:125 offset1:126
	s_waitcnt vmcnt(0) lgkmcnt(0)
	v_fmac_f64_e32 v[130:131], v[136:137], v[132:133]
	buffer_load_dword v133, off, s[0:3], 0 offset:500
	buffer_load_dword v132, off, s[0:3], 0 offset:496
	s_waitcnt vmcnt(0)
	v_fmac_f64_e32 v[130:131], v[132:133], v[134:135]
	v_add_f64 v[128:129], v[128:129], -v[130:131]
	buffer_store_dword v129, off, s[0:3], 0 offset:180
	buffer_store_dword v128, off, s[0:3], 0 offset:176
	s_and_saveexec_b64 s[4:5], vcc
	s_cbranch_execz .LBB126_343
; %bb.342:
	buffer_load_dword v128, off, s[0:3], 0 offset:168
	buffer_load_dword v129, off, s[0:3], 0 offset:172
	v_mov_b32_e32 v130, 0
	buffer_store_dword v130, off, s[0:3], 0 offset:168
	buffer_store_dword v130, off, s[0:3], 0 offset:172
	s_waitcnt vmcnt(2)
	ds_write_b64 v1, v[128:129]
.LBB126_343:
	s_or_b64 exec, exec, s[4:5]
	s_waitcnt lgkmcnt(0)
	; wave barrier
	s_waitcnt lgkmcnt(0)
	buffer_load_dword v128, off, s[0:3], 0 offset:168
	buffer_load_dword v129, off, s[0:3], 0 offset:172
	;; [unrolled: 1-line block ×16, first 2 shown]
	v_mov_b32_e32 v132, 0
	ds_read_b128 v[134:137], v132 offset:688
	ds_read_b128 v[138:141], v132 offset:704
	;; [unrolled: 1-line block ×4, first 2 shown]
	v_cmp_lt_u32_e32 vcc, 20, v0
	s_waitcnt vmcnt(12) lgkmcnt(3)
	v_fma_f64 v[130:131], v[130:131], v[134:135], 0
	buffer_load_dword v135, off, s[0:3], 0 offset:236
	buffer_load_dword v134, off, s[0:3], 0 offset:232
	s_waitcnt vmcnt(12)
	v_fmac_f64_e32 v[130:131], v[150:151], v[136:137]
	s_waitcnt vmcnt(10) lgkmcnt(2)
	v_fmac_f64_e32 v[130:131], v[152:153], v[138:139]
	buffer_load_dword v139, off, s[0:3], 0 offset:244
	buffer_load_dword v138, off, s[0:3], 0 offset:240
	s_waitcnt vmcnt(10)
	v_fmac_f64_e32 v[130:131], v[154:155], v[140:141]
	s_waitcnt vmcnt(8) lgkmcnt(1)
	v_fmac_f64_e32 v[130:131], v[156:157], v[142:143]
	s_waitcnt vmcnt(6)
	v_fmac_f64_e32 v[130:131], v[158:159], v[144:145]
	s_waitcnt vmcnt(4) lgkmcnt(0)
	v_fmac_f64_e32 v[130:131], v[160:161], v[146:147]
	s_waitcnt vmcnt(2)
	v_fmac_f64_e32 v[130:131], v[134:135], v[148:149]
	ds_read_b128 v[134:137], v132 offset:752
	s_waitcnt vmcnt(0) lgkmcnt(0)
	v_fmac_f64_e32 v[130:131], v[138:139], v[134:135]
	buffer_load_dword v135, off, s[0:3], 0 offset:252
	buffer_load_dword v134, off, s[0:3], 0 offset:248
	buffer_load_dword v139, off, s[0:3], 0 offset:260
	buffer_load_dword v138, off, s[0:3], 0 offset:256
	s_waitcnt vmcnt(2)
	v_fmac_f64_e32 v[130:131], v[134:135], v[136:137]
	ds_read_b128 v[134:137], v132 offset:768
	s_waitcnt vmcnt(0) lgkmcnt(0)
	v_fmac_f64_e32 v[130:131], v[138:139], v[134:135]
	buffer_load_dword v135, off, s[0:3], 0 offset:268
	buffer_load_dword v134, off, s[0:3], 0 offset:264
	buffer_load_dword v139, off, s[0:3], 0 offset:276
	buffer_load_dword v138, off, s[0:3], 0 offset:272
	;; [unrolled: 9-line block ×15, first 2 shown]
	s_waitcnt vmcnt(2)
	v_fmac_f64_e32 v[130:131], v[134:135], v[136:137]
	ds_read_b128 v[134:137], v132 offset:992
	s_waitcnt vmcnt(0) lgkmcnt(0)
	v_fmac_f64_e32 v[130:131], v[138:139], v[134:135]
	buffer_load_dword v135, off, s[0:3], 0 offset:492
	buffer_load_dword v134, off, s[0:3], 0 offset:488
	s_waitcnt vmcnt(0)
	v_fmac_f64_e32 v[130:131], v[134:135], v[136:137]
	buffer_load_dword v135, off, s[0:3], 0 offset:500
	buffer_load_dword v134, off, s[0:3], 0 offset:496
	ds_read_b64 v[136:137], v132 offset:1008
	s_waitcnt vmcnt(0) lgkmcnt(0)
	v_fmac_f64_e32 v[130:131], v[134:135], v[136:137]
	v_add_f64 v[128:129], v[128:129], -v[130:131]
	buffer_store_dword v129, off, s[0:3], 0 offset:172
	buffer_store_dword v128, off, s[0:3], 0 offset:168
	s_and_saveexec_b64 s[4:5], vcc
	s_cbranch_execz .LBB126_345
; %bb.344:
	buffer_load_dword v128, off, s[0:3], 0 offset:160
	buffer_load_dword v129, off, s[0:3], 0 offset:164
	s_waitcnt vmcnt(0)
	ds_write_b64 v1, v[128:129]
	buffer_store_dword v132, off, s[0:3], 0 offset:160
	buffer_store_dword v132, off, s[0:3], 0 offset:164
.LBB126_345:
	s_or_b64 exec, exec, s[4:5]
	s_waitcnt lgkmcnt(0)
	; wave barrier
	s_waitcnt lgkmcnt(0)
	buffer_load_dword v128, off, s[0:3], 0 offset:160
	buffer_load_dword v129, off, s[0:3], 0 offset:164
	;; [unrolled: 1-line block ×16, first 2 shown]
	ds_read2_b64 v[134:137], v132 offset0:85 offset1:86
	v_cmp_lt_u32_e32 vcc, 19, v0
	s_waitcnt vmcnt(12) lgkmcnt(0)
	v_fma_f64 v[130:131], v[130:131], v[134:135], 0
	s_waitcnt vmcnt(10)
	v_fmac_f64_e32 v[130:131], v[138:139], v[136:137]
	ds_read2_b64 v[134:137], v132 offset0:87 offset1:88
	s_waitcnt vmcnt(8) lgkmcnt(0)
	v_fmac_f64_e32 v[130:131], v[140:141], v[134:135]
	s_waitcnt vmcnt(6)
	v_fmac_f64_e32 v[130:131], v[142:143], v[136:137]
	ds_read2_b64 v[134:137], v132 offset0:89 offset1:90
	s_waitcnt vmcnt(4) lgkmcnt(0)
	v_fmac_f64_e32 v[130:131], v[144:145], v[134:135]
	;; [unrolled: 5-line block ×3, first 2 shown]
	buffer_load_dword v135, off, s[0:3], 0 offset:228
	buffer_load_dword v134, off, s[0:3], 0 offset:224
	buffer_load_dword v139, off, s[0:3], 0 offset:236
	buffer_load_dword v138, off, s[0:3], 0 offset:232
	s_waitcnt vmcnt(2)
	v_fmac_f64_e32 v[130:131], v[134:135], v[136:137]
	ds_read2_b64 v[134:137], v132 offset0:93 offset1:94
	s_waitcnt vmcnt(0) lgkmcnt(0)
	v_fmac_f64_e32 v[130:131], v[138:139], v[134:135]
	buffer_load_dword v135, off, s[0:3], 0 offset:244
	buffer_load_dword v134, off, s[0:3], 0 offset:240
	buffer_load_dword v139, off, s[0:3], 0 offset:252
	buffer_load_dword v138, off, s[0:3], 0 offset:248
	s_waitcnt vmcnt(2)
	v_fmac_f64_e32 v[130:131], v[134:135], v[136:137]
	ds_read2_b64 v[134:137], v132 offset0:95 offset1:96
	s_waitcnt vmcnt(0) lgkmcnt(0)
	v_fmac_f64_e32 v[130:131], v[138:139], v[134:135]
	;; [unrolled: 9-line block ×16, first 2 shown]
	buffer_load_dword v135, off, s[0:3], 0 offset:484
	buffer_load_dword v134, off, s[0:3], 0 offset:480
	s_waitcnt vmcnt(0)
	v_fmac_f64_e32 v[130:131], v[134:135], v[136:137]
	buffer_load_dword v137, off, s[0:3], 0 offset:492
	buffer_load_dword v136, off, s[0:3], 0 offset:488
	ds_read2_b64 v[132:135], v132 offset0:125 offset1:126
	s_waitcnt vmcnt(0) lgkmcnt(0)
	v_fmac_f64_e32 v[130:131], v[136:137], v[132:133]
	buffer_load_dword v133, off, s[0:3], 0 offset:500
	buffer_load_dword v132, off, s[0:3], 0 offset:496
	s_waitcnt vmcnt(0)
	v_fmac_f64_e32 v[130:131], v[132:133], v[134:135]
	v_add_f64 v[128:129], v[128:129], -v[130:131]
	buffer_store_dword v129, off, s[0:3], 0 offset:164
	buffer_store_dword v128, off, s[0:3], 0 offset:160
	s_and_saveexec_b64 s[4:5], vcc
	s_cbranch_execz .LBB126_347
; %bb.346:
	buffer_load_dword v128, off, s[0:3], 0 offset:152
	buffer_load_dword v129, off, s[0:3], 0 offset:156
	v_mov_b32_e32 v130, 0
	buffer_store_dword v130, off, s[0:3], 0 offset:152
	buffer_store_dword v130, off, s[0:3], 0 offset:156
	s_waitcnt vmcnt(2)
	ds_write_b64 v1, v[128:129]
.LBB126_347:
	s_or_b64 exec, exec, s[4:5]
	s_waitcnt lgkmcnt(0)
	; wave barrier
	s_waitcnt lgkmcnt(0)
	buffer_load_dword v128, off, s[0:3], 0 offset:152
	buffer_load_dword v129, off, s[0:3], 0 offset:156
	;; [unrolled: 1-line block ×16, first 2 shown]
	v_mov_b32_e32 v132, 0
	ds_read_b128 v[134:137], v132 offset:672
	ds_read_b128 v[138:141], v132 offset:688
	;; [unrolled: 1-line block ×4, first 2 shown]
	v_cmp_lt_u32_e32 vcc, 18, v0
	s_waitcnt vmcnt(12) lgkmcnt(3)
	v_fma_f64 v[130:131], v[130:131], v[134:135], 0
	buffer_load_dword v135, off, s[0:3], 0 offset:220
	buffer_load_dword v134, off, s[0:3], 0 offset:216
	s_waitcnt vmcnt(12)
	v_fmac_f64_e32 v[130:131], v[150:151], v[136:137]
	s_waitcnt vmcnt(10) lgkmcnt(2)
	v_fmac_f64_e32 v[130:131], v[152:153], v[138:139]
	buffer_load_dword v139, off, s[0:3], 0 offset:228
	buffer_load_dword v138, off, s[0:3], 0 offset:224
	s_waitcnt vmcnt(10)
	v_fmac_f64_e32 v[130:131], v[154:155], v[140:141]
	s_waitcnt vmcnt(8) lgkmcnt(1)
	v_fmac_f64_e32 v[130:131], v[156:157], v[142:143]
	s_waitcnt vmcnt(6)
	v_fmac_f64_e32 v[130:131], v[158:159], v[144:145]
	s_waitcnt vmcnt(4) lgkmcnt(0)
	v_fmac_f64_e32 v[130:131], v[160:161], v[146:147]
	s_waitcnt vmcnt(2)
	v_fmac_f64_e32 v[130:131], v[134:135], v[148:149]
	ds_read_b128 v[134:137], v132 offset:736
	s_waitcnt vmcnt(0) lgkmcnt(0)
	v_fmac_f64_e32 v[130:131], v[138:139], v[134:135]
	buffer_load_dword v135, off, s[0:3], 0 offset:236
	buffer_load_dword v134, off, s[0:3], 0 offset:232
	buffer_load_dword v139, off, s[0:3], 0 offset:244
	buffer_load_dword v138, off, s[0:3], 0 offset:240
	s_waitcnt vmcnt(2)
	v_fmac_f64_e32 v[130:131], v[134:135], v[136:137]
	ds_read_b128 v[134:137], v132 offset:752
	s_waitcnt vmcnt(0) lgkmcnt(0)
	v_fmac_f64_e32 v[130:131], v[138:139], v[134:135]
	buffer_load_dword v135, off, s[0:3], 0 offset:252
	buffer_load_dword v134, off, s[0:3], 0 offset:248
	buffer_load_dword v139, off, s[0:3], 0 offset:260
	buffer_load_dword v138, off, s[0:3], 0 offset:256
	;; [unrolled: 9-line block ×16, first 2 shown]
	s_waitcnt vmcnt(2)
	v_fmac_f64_e32 v[130:131], v[134:135], v[136:137]
	ds_read_b128 v[134:137], v132 offset:992
	s_waitcnt vmcnt(0) lgkmcnt(0)
	v_fmac_f64_e32 v[130:131], v[138:139], v[134:135]
	buffer_load_dword v135, off, s[0:3], 0 offset:492
	buffer_load_dword v134, off, s[0:3], 0 offset:488
	s_waitcnt vmcnt(0)
	v_fmac_f64_e32 v[130:131], v[134:135], v[136:137]
	buffer_load_dword v135, off, s[0:3], 0 offset:500
	buffer_load_dword v134, off, s[0:3], 0 offset:496
	ds_read_b64 v[136:137], v132 offset:1008
	s_waitcnt vmcnt(0) lgkmcnt(0)
	v_fmac_f64_e32 v[130:131], v[134:135], v[136:137]
	v_add_f64 v[128:129], v[128:129], -v[130:131]
	buffer_store_dword v129, off, s[0:3], 0 offset:156
	buffer_store_dword v128, off, s[0:3], 0 offset:152
	s_and_saveexec_b64 s[4:5], vcc
	s_cbranch_execz .LBB126_349
; %bb.348:
	buffer_load_dword v128, off, s[0:3], 0 offset:144
	buffer_load_dword v129, off, s[0:3], 0 offset:148
	s_waitcnt vmcnt(0)
	ds_write_b64 v1, v[128:129]
	buffer_store_dword v132, off, s[0:3], 0 offset:144
	buffer_store_dword v132, off, s[0:3], 0 offset:148
.LBB126_349:
	s_or_b64 exec, exec, s[4:5]
	s_waitcnt lgkmcnt(0)
	; wave barrier
	s_waitcnt lgkmcnt(0)
	buffer_load_dword v128, off, s[0:3], 0 offset:144
	buffer_load_dword v129, off, s[0:3], 0 offset:148
	;; [unrolled: 1-line block ×16, first 2 shown]
	ds_read2_b64 v[134:137], v132 offset0:83 offset1:84
	v_cmp_lt_u32_e32 vcc, 17, v0
	s_waitcnt vmcnt(12) lgkmcnt(0)
	v_fma_f64 v[130:131], v[130:131], v[134:135], 0
	s_waitcnt vmcnt(10)
	v_fmac_f64_e32 v[130:131], v[138:139], v[136:137]
	ds_read2_b64 v[134:137], v132 offset0:85 offset1:86
	s_waitcnt vmcnt(8) lgkmcnt(0)
	v_fmac_f64_e32 v[130:131], v[140:141], v[134:135]
	s_waitcnt vmcnt(6)
	v_fmac_f64_e32 v[130:131], v[142:143], v[136:137]
	ds_read2_b64 v[134:137], v132 offset0:87 offset1:88
	s_waitcnt vmcnt(4) lgkmcnt(0)
	v_fmac_f64_e32 v[130:131], v[144:145], v[134:135]
	;; [unrolled: 5-line block ×3, first 2 shown]
	buffer_load_dword v135, off, s[0:3], 0 offset:212
	buffer_load_dword v134, off, s[0:3], 0 offset:208
	buffer_load_dword v139, off, s[0:3], 0 offset:220
	buffer_load_dword v138, off, s[0:3], 0 offset:216
	s_waitcnt vmcnt(2)
	v_fmac_f64_e32 v[130:131], v[134:135], v[136:137]
	ds_read2_b64 v[134:137], v132 offset0:91 offset1:92
	s_waitcnt vmcnt(0) lgkmcnt(0)
	v_fmac_f64_e32 v[130:131], v[138:139], v[134:135]
	buffer_load_dword v135, off, s[0:3], 0 offset:228
	buffer_load_dword v134, off, s[0:3], 0 offset:224
	buffer_load_dword v139, off, s[0:3], 0 offset:236
	buffer_load_dword v138, off, s[0:3], 0 offset:232
	s_waitcnt vmcnt(2)
	v_fmac_f64_e32 v[130:131], v[134:135], v[136:137]
	ds_read2_b64 v[134:137], v132 offset0:93 offset1:94
	s_waitcnt vmcnt(0) lgkmcnt(0)
	v_fmac_f64_e32 v[130:131], v[138:139], v[134:135]
	buffer_load_dword v135, off, s[0:3], 0 offset:244
	buffer_load_dword v134, off, s[0:3], 0 offset:240
	buffer_load_dword v139, off, s[0:3], 0 offset:252
	buffer_load_dword v138, off, s[0:3], 0 offset:248
	s_waitcnt vmcnt(2)
	v_fmac_f64_e32 v[130:131], v[134:135], v[136:137]
	ds_read2_b64 v[134:137], v132 offset0:95 offset1:96
	s_waitcnt vmcnt(0) lgkmcnt(0)
	v_fmac_f64_e32 v[130:131], v[138:139], v[134:135]
	buffer_load_dword v135, off, s[0:3], 0 offset:260
	buffer_load_dword v134, off, s[0:3], 0 offset:256
	buffer_load_dword v139, off, s[0:3], 0 offset:268
	buffer_load_dword v138, off, s[0:3], 0 offset:264
	s_waitcnt vmcnt(2)
	v_fmac_f64_e32 v[130:131], v[134:135], v[136:137]
	ds_read2_b64 v[134:137], v132 offset0:97 offset1:98
	s_waitcnt vmcnt(0) lgkmcnt(0)
	v_fmac_f64_e32 v[130:131], v[138:139], v[134:135]
	buffer_load_dword v135, off, s[0:3], 0 offset:276
	buffer_load_dword v134, off, s[0:3], 0 offset:272
	buffer_load_dword v139, off, s[0:3], 0 offset:284
	buffer_load_dword v138, off, s[0:3], 0 offset:280
	s_waitcnt vmcnt(2)
	v_fmac_f64_e32 v[130:131], v[134:135], v[136:137]
	ds_read2_b64 v[134:137], v132 offset0:99 offset1:100
	s_waitcnt vmcnt(0) lgkmcnt(0)
	v_fmac_f64_e32 v[130:131], v[138:139], v[134:135]
	buffer_load_dword v135, off, s[0:3], 0 offset:292
	buffer_load_dword v134, off, s[0:3], 0 offset:288
	buffer_load_dword v139, off, s[0:3], 0 offset:300
	buffer_load_dword v138, off, s[0:3], 0 offset:296
	s_waitcnt vmcnt(2)
	v_fmac_f64_e32 v[130:131], v[134:135], v[136:137]
	ds_read2_b64 v[134:137], v132 offset0:101 offset1:102
	s_waitcnt vmcnt(0) lgkmcnt(0)
	v_fmac_f64_e32 v[130:131], v[138:139], v[134:135]
	buffer_load_dword v135, off, s[0:3], 0 offset:308
	buffer_load_dword v134, off, s[0:3], 0 offset:304
	buffer_load_dword v139, off, s[0:3], 0 offset:316
	buffer_load_dword v138, off, s[0:3], 0 offset:312
	s_waitcnt vmcnt(2)
	v_fmac_f64_e32 v[130:131], v[134:135], v[136:137]
	ds_read2_b64 v[134:137], v132 offset0:103 offset1:104
	s_waitcnt vmcnt(0) lgkmcnt(0)
	v_fmac_f64_e32 v[130:131], v[138:139], v[134:135]
	buffer_load_dword v135, off, s[0:3], 0 offset:324
	buffer_load_dword v134, off, s[0:3], 0 offset:320
	buffer_load_dword v139, off, s[0:3], 0 offset:332
	buffer_load_dword v138, off, s[0:3], 0 offset:328
	s_waitcnt vmcnt(2)
	v_fmac_f64_e32 v[130:131], v[134:135], v[136:137]
	ds_read2_b64 v[134:137], v132 offset0:105 offset1:106
	s_waitcnt vmcnt(0) lgkmcnt(0)
	v_fmac_f64_e32 v[130:131], v[138:139], v[134:135]
	buffer_load_dword v135, off, s[0:3], 0 offset:340
	buffer_load_dword v134, off, s[0:3], 0 offset:336
	buffer_load_dword v139, off, s[0:3], 0 offset:348
	buffer_load_dword v138, off, s[0:3], 0 offset:344
	s_waitcnt vmcnt(2)
	v_fmac_f64_e32 v[130:131], v[134:135], v[136:137]
	ds_read2_b64 v[134:137], v132 offset0:107 offset1:108
	s_waitcnt vmcnt(0) lgkmcnt(0)
	v_fmac_f64_e32 v[130:131], v[138:139], v[134:135]
	buffer_load_dword v135, off, s[0:3], 0 offset:356
	buffer_load_dword v134, off, s[0:3], 0 offset:352
	buffer_load_dword v139, off, s[0:3], 0 offset:364
	buffer_load_dword v138, off, s[0:3], 0 offset:360
	s_waitcnt vmcnt(2)
	v_fmac_f64_e32 v[130:131], v[134:135], v[136:137]
	ds_read2_b64 v[134:137], v132 offset0:109 offset1:110
	s_waitcnt vmcnt(0) lgkmcnt(0)
	v_fmac_f64_e32 v[130:131], v[138:139], v[134:135]
	buffer_load_dword v135, off, s[0:3], 0 offset:372
	buffer_load_dword v134, off, s[0:3], 0 offset:368
	buffer_load_dword v139, off, s[0:3], 0 offset:380
	buffer_load_dword v138, off, s[0:3], 0 offset:376
	s_waitcnt vmcnt(2)
	v_fmac_f64_e32 v[130:131], v[134:135], v[136:137]
	ds_read2_b64 v[134:137], v132 offset0:111 offset1:112
	s_waitcnt vmcnt(0) lgkmcnt(0)
	v_fmac_f64_e32 v[130:131], v[138:139], v[134:135]
	buffer_load_dword v135, off, s[0:3], 0 offset:388
	buffer_load_dword v134, off, s[0:3], 0 offset:384
	buffer_load_dword v139, off, s[0:3], 0 offset:396
	buffer_load_dword v138, off, s[0:3], 0 offset:392
	s_waitcnt vmcnt(2)
	v_fmac_f64_e32 v[130:131], v[134:135], v[136:137]
	ds_read2_b64 v[134:137], v132 offset0:113 offset1:114
	s_waitcnt vmcnt(0) lgkmcnt(0)
	v_fmac_f64_e32 v[130:131], v[138:139], v[134:135]
	buffer_load_dword v135, off, s[0:3], 0 offset:404
	buffer_load_dword v134, off, s[0:3], 0 offset:400
	buffer_load_dword v139, off, s[0:3], 0 offset:412
	buffer_load_dword v138, off, s[0:3], 0 offset:408
	s_waitcnt vmcnt(2)
	v_fmac_f64_e32 v[130:131], v[134:135], v[136:137]
	ds_read2_b64 v[134:137], v132 offset0:115 offset1:116
	s_waitcnt vmcnt(0) lgkmcnt(0)
	v_fmac_f64_e32 v[130:131], v[138:139], v[134:135]
	buffer_load_dword v135, off, s[0:3], 0 offset:420
	buffer_load_dword v134, off, s[0:3], 0 offset:416
	buffer_load_dword v139, off, s[0:3], 0 offset:428
	buffer_load_dword v138, off, s[0:3], 0 offset:424
	s_waitcnt vmcnt(2)
	v_fmac_f64_e32 v[130:131], v[134:135], v[136:137]
	ds_read2_b64 v[134:137], v132 offset0:117 offset1:118
	s_waitcnt vmcnt(0) lgkmcnt(0)
	v_fmac_f64_e32 v[130:131], v[138:139], v[134:135]
	buffer_load_dword v135, off, s[0:3], 0 offset:436
	buffer_load_dword v134, off, s[0:3], 0 offset:432
	buffer_load_dword v139, off, s[0:3], 0 offset:444
	buffer_load_dword v138, off, s[0:3], 0 offset:440
	s_waitcnt vmcnt(2)
	v_fmac_f64_e32 v[130:131], v[134:135], v[136:137]
	ds_read2_b64 v[134:137], v132 offset0:119 offset1:120
	s_waitcnt vmcnt(0) lgkmcnt(0)
	v_fmac_f64_e32 v[130:131], v[138:139], v[134:135]
	buffer_load_dword v135, off, s[0:3], 0 offset:452
	buffer_load_dword v134, off, s[0:3], 0 offset:448
	buffer_load_dword v139, off, s[0:3], 0 offset:460
	buffer_load_dword v138, off, s[0:3], 0 offset:456
	s_waitcnt vmcnt(2)
	v_fmac_f64_e32 v[130:131], v[134:135], v[136:137]
	ds_read2_b64 v[134:137], v132 offset0:121 offset1:122
	s_waitcnt vmcnt(0) lgkmcnt(0)
	v_fmac_f64_e32 v[130:131], v[138:139], v[134:135]
	buffer_load_dword v135, off, s[0:3], 0 offset:468
	buffer_load_dword v134, off, s[0:3], 0 offset:464
	buffer_load_dword v139, off, s[0:3], 0 offset:476
	buffer_load_dword v138, off, s[0:3], 0 offset:472
	s_waitcnt vmcnt(2)
	v_fmac_f64_e32 v[130:131], v[134:135], v[136:137]
	ds_read2_b64 v[134:137], v132 offset0:123 offset1:124
	s_waitcnt vmcnt(0) lgkmcnt(0)
	v_fmac_f64_e32 v[130:131], v[138:139], v[134:135]
	buffer_load_dword v135, off, s[0:3], 0 offset:484
	buffer_load_dword v134, off, s[0:3], 0 offset:480
	s_waitcnt vmcnt(0)
	v_fmac_f64_e32 v[130:131], v[134:135], v[136:137]
	buffer_load_dword v137, off, s[0:3], 0 offset:492
	buffer_load_dword v136, off, s[0:3], 0 offset:488
	ds_read2_b64 v[132:135], v132 offset0:125 offset1:126
	s_waitcnt vmcnt(0) lgkmcnt(0)
	v_fmac_f64_e32 v[130:131], v[136:137], v[132:133]
	buffer_load_dword v133, off, s[0:3], 0 offset:500
	buffer_load_dword v132, off, s[0:3], 0 offset:496
	s_waitcnt vmcnt(0)
	v_fmac_f64_e32 v[130:131], v[132:133], v[134:135]
	v_add_f64 v[128:129], v[128:129], -v[130:131]
	buffer_store_dword v129, off, s[0:3], 0 offset:148
	buffer_store_dword v128, off, s[0:3], 0 offset:144
	s_and_saveexec_b64 s[4:5], vcc
	s_cbranch_execz .LBB126_351
; %bb.350:
	buffer_load_dword v128, off, s[0:3], 0 offset:136
	buffer_load_dword v129, off, s[0:3], 0 offset:140
	v_mov_b32_e32 v130, 0
	buffer_store_dword v130, off, s[0:3], 0 offset:136
	buffer_store_dword v130, off, s[0:3], 0 offset:140
	s_waitcnt vmcnt(2)
	ds_write_b64 v1, v[128:129]
.LBB126_351:
	s_or_b64 exec, exec, s[4:5]
	s_waitcnt lgkmcnt(0)
	; wave barrier
	s_waitcnt lgkmcnt(0)
	buffer_load_dword v128, off, s[0:3], 0 offset:136
	buffer_load_dword v129, off, s[0:3], 0 offset:140
	;; [unrolled: 1-line block ×16, first 2 shown]
	v_mov_b32_e32 v132, 0
	ds_read_b128 v[134:137], v132 offset:656
	ds_read_b128 v[138:141], v132 offset:672
	;; [unrolled: 1-line block ×4, first 2 shown]
	v_cmp_lt_u32_e32 vcc, 16, v0
	s_waitcnt vmcnt(12) lgkmcnt(3)
	v_fma_f64 v[130:131], v[130:131], v[134:135], 0
	buffer_load_dword v135, off, s[0:3], 0 offset:204
	buffer_load_dword v134, off, s[0:3], 0 offset:200
	s_waitcnt vmcnt(12)
	v_fmac_f64_e32 v[130:131], v[150:151], v[136:137]
	s_waitcnt vmcnt(10) lgkmcnt(2)
	v_fmac_f64_e32 v[130:131], v[152:153], v[138:139]
	buffer_load_dword v139, off, s[0:3], 0 offset:212
	buffer_load_dword v138, off, s[0:3], 0 offset:208
	s_waitcnt vmcnt(10)
	v_fmac_f64_e32 v[130:131], v[154:155], v[140:141]
	s_waitcnt vmcnt(8) lgkmcnt(1)
	v_fmac_f64_e32 v[130:131], v[156:157], v[142:143]
	s_waitcnt vmcnt(6)
	v_fmac_f64_e32 v[130:131], v[158:159], v[144:145]
	s_waitcnt vmcnt(4) lgkmcnt(0)
	v_fmac_f64_e32 v[130:131], v[160:161], v[146:147]
	s_waitcnt vmcnt(2)
	v_fmac_f64_e32 v[130:131], v[134:135], v[148:149]
	ds_read_b128 v[134:137], v132 offset:720
	s_waitcnt vmcnt(0) lgkmcnt(0)
	v_fmac_f64_e32 v[130:131], v[138:139], v[134:135]
	buffer_load_dword v135, off, s[0:3], 0 offset:220
	buffer_load_dword v134, off, s[0:3], 0 offset:216
	buffer_load_dword v139, off, s[0:3], 0 offset:228
	buffer_load_dword v138, off, s[0:3], 0 offset:224
	s_waitcnt vmcnt(2)
	v_fmac_f64_e32 v[130:131], v[134:135], v[136:137]
	ds_read_b128 v[134:137], v132 offset:736
	s_waitcnt vmcnt(0) lgkmcnt(0)
	v_fmac_f64_e32 v[130:131], v[138:139], v[134:135]
	buffer_load_dword v135, off, s[0:3], 0 offset:236
	buffer_load_dword v134, off, s[0:3], 0 offset:232
	buffer_load_dword v139, off, s[0:3], 0 offset:244
	buffer_load_dword v138, off, s[0:3], 0 offset:240
	;; [unrolled: 9-line block ×17, first 2 shown]
	s_waitcnt vmcnt(2)
	v_fmac_f64_e32 v[130:131], v[134:135], v[136:137]
	ds_read_b128 v[134:137], v132 offset:992
	s_waitcnt vmcnt(0) lgkmcnt(0)
	v_fmac_f64_e32 v[130:131], v[138:139], v[134:135]
	buffer_load_dword v135, off, s[0:3], 0 offset:492
	buffer_load_dword v134, off, s[0:3], 0 offset:488
	s_waitcnt vmcnt(0)
	v_fmac_f64_e32 v[130:131], v[134:135], v[136:137]
	buffer_load_dword v135, off, s[0:3], 0 offset:500
	buffer_load_dword v134, off, s[0:3], 0 offset:496
	ds_read_b64 v[136:137], v132 offset:1008
	s_waitcnt vmcnt(0) lgkmcnt(0)
	v_fmac_f64_e32 v[130:131], v[134:135], v[136:137]
	v_add_f64 v[128:129], v[128:129], -v[130:131]
	buffer_store_dword v129, off, s[0:3], 0 offset:140
	buffer_store_dword v128, off, s[0:3], 0 offset:136
	s_and_saveexec_b64 s[4:5], vcc
	s_cbranch_execz .LBB126_353
; %bb.352:
	buffer_load_dword v128, off, s[0:3], 0 offset:128
	buffer_load_dword v129, off, s[0:3], 0 offset:132
	s_waitcnt vmcnt(0)
	ds_write_b64 v1, v[128:129]
	buffer_store_dword v132, off, s[0:3], 0 offset:128
	buffer_store_dword v132, off, s[0:3], 0 offset:132
.LBB126_353:
	s_or_b64 exec, exec, s[4:5]
	s_waitcnt lgkmcnt(0)
	; wave barrier
	s_waitcnt lgkmcnt(0)
	buffer_load_dword v128, off, s[0:3], 0 offset:128
	buffer_load_dword v129, off, s[0:3], 0 offset:132
	;; [unrolled: 1-line block ×16, first 2 shown]
	ds_read2_b64 v[134:137], v132 offset0:81 offset1:82
	v_cmp_lt_u32_e32 vcc, 15, v0
	s_waitcnt vmcnt(12) lgkmcnt(0)
	v_fma_f64 v[130:131], v[130:131], v[134:135], 0
	s_waitcnt vmcnt(10)
	v_fmac_f64_e32 v[130:131], v[138:139], v[136:137]
	ds_read2_b64 v[134:137], v132 offset0:83 offset1:84
	s_waitcnt vmcnt(8) lgkmcnt(0)
	v_fmac_f64_e32 v[130:131], v[140:141], v[134:135]
	s_waitcnt vmcnt(6)
	v_fmac_f64_e32 v[130:131], v[142:143], v[136:137]
	ds_read2_b64 v[134:137], v132 offset0:85 offset1:86
	s_waitcnt vmcnt(4) lgkmcnt(0)
	v_fmac_f64_e32 v[130:131], v[144:145], v[134:135]
	;; [unrolled: 5-line block ×3, first 2 shown]
	buffer_load_dword v135, off, s[0:3], 0 offset:196
	buffer_load_dword v134, off, s[0:3], 0 offset:192
	buffer_load_dword v139, off, s[0:3], 0 offset:204
	buffer_load_dword v138, off, s[0:3], 0 offset:200
	s_waitcnt vmcnt(2)
	v_fmac_f64_e32 v[130:131], v[134:135], v[136:137]
	ds_read2_b64 v[134:137], v132 offset0:89 offset1:90
	s_waitcnt vmcnt(0) lgkmcnt(0)
	v_fmac_f64_e32 v[130:131], v[138:139], v[134:135]
	buffer_load_dword v135, off, s[0:3], 0 offset:212
	buffer_load_dword v134, off, s[0:3], 0 offset:208
	buffer_load_dword v139, off, s[0:3], 0 offset:220
	buffer_load_dword v138, off, s[0:3], 0 offset:216
	s_waitcnt vmcnt(2)
	v_fmac_f64_e32 v[130:131], v[134:135], v[136:137]
	ds_read2_b64 v[134:137], v132 offset0:91 offset1:92
	s_waitcnt vmcnt(0) lgkmcnt(0)
	v_fmac_f64_e32 v[130:131], v[138:139], v[134:135]
	;; [unrolled: 9-line block ×18, first 2 shown]
	buffer_load_dword v135, off, s[0:3], 0 offset:484
	buffer_load_dword v134, off, s[0:3], 0 offset:480
	s_waitcnt vmcnt(0)
	v_fmac_f64_e32 v[130:131], v[134:135], v[136:137]
	buffer_load_dword v137, off, s[0:3], 0 offset:492
	buffer_load_dword v136, off, s[0:3], 0 offset:488
	ds_read2_b64 v[132:135], v132 offset0:125 offset1:126
	s_waitcnt vmcnt(0) lgkmcnt(0)
	v_fmac_f64_e32 v[130:131], v[136:137], v[132:133]
	buffer_load_dword v133, off, s[0:3], 0 offset:500
	buffer_load_dword v132, off, s[0:3], 0 offset:496
	s_waitcnt vmcnt(0)
	v_fmac_f64_e32 v[130:131], v[132:133], v[134:135]
	v_add_f64 v[128:129], v[128:129], -v[130:131]
	buffer_store_dword v129, off, s[0:3], 0 offset:132
	buffer_store_dword v128, off, s[0:3], 0 offset:128
	s_and_saveexec_b64 s[4:5], vcc
	s_cbranch_execz .LBB126_355
; %bb.354:
	buffer_load_dword v128, off, s[0:3], 0 offset:120
	buffer_load_dword v129, off, s[0:3], 0 offset:124
	v_mov_b32_e32 v130, 0
	buffer_store_dword v130, off, s[0:3], 0 offset:120
	buffer_store_dword v130, off, s[0:3], 0 offset:124
	s_waitcnt vmcnt(2)
	ds_write_b64 v1, v[128:129]
.LBB126_355:
	s_or_b64 exec, exec, s[4:5]
	s_waitcnt lgkmcnt(0)
	; wave barrier
	s_waitcnt lgkmcnt(0)
	buffer_load_dword v128, off, s[0:3], 0 offset:120
	buffer_load_dword v129, off, s[0:3], 0 offset:124
	;; [unrolled: 1-line block ×16, first 2 shown]
	v_mov_b32_e32 v132, 0
	ds_read_b128 v[134:137], v132 offset:640
	ds_read_b128 v[138:141], v132 offset:656
	;; [unrolled: 1-line block ×4, first 2 shown]
	v_cmp_lt_u32_e32 vcc, 14, v0
	s_waitcnt vmcnt(12) lgkmcnt(3)
	v_fma_f64 v[130:131], v[130:131], v[134:135], 0
	buffer_load_dword v135, off, s[0:3], 0 offset:188
	buffer_load_dword v134, off, s[0:3], 0 offset:184
	s_waitcnt vmcnt(12)
	v_fmac_f64_e32 v[130:131], v[150:151], v[136:137]
	s_waitcnt vmcnt(10) lgkmcnt(2)
	v_fmac_f64_e32 v[130:131], v[152:153], v[138:139]
	buffer_load_dword v139, off, s[0:3], 0 offset:196
	buffer_load_dword v138, off, s[0:3], 0 offset:192
	s_waitcnt vmcnt(10)
	v_fmac_f64_e32 v[130:131], v[154:155], v[140:141]
	s_waitcnt vmcnt(8) lgkmcnt(1)
	v_fmac_f64_e32 v[130:131], v[156:157], v[142:143]
	s_waitcnt vmcnt(6)
	v_fmac_f64_e32 v[130:131], v[158:159], v[144:145]
	s_waitcnt vmcnt(4) lgkmcnt(0)
	v_fmac_f64_e32 v[130:131], v[160:161], v[146:147]
	s_waitcnt vmcnt(2)
	v_fmac_f64_e32 v[130:131], v[134:135], v[148:149]
	ds_read_b128 v[134:137], v132 offset:704
	s_waitcnt vmcnt(0) lgkmcnt(0)
	v_fmac_f64_e32 v[130:131], v[138:139], v[134:135]
	buffer_load_dword v135, off, s[0:3], 0 offset:204
	buffer_load_dword v134, off, s[0:3], 0 offset:200
	buffer_load_dword v139, off, s[0:3], 0 offset:212
	buffer_load_dword v138, off, s[0:3], 0 offset:208
	s_waitcnt vmcnt(2)
	v_fmac_f64_e32 v[130:131], v[134:135], v[136:137]
	ds_read_b128 v[134:137], v132 offset:720
	s_waitcnt vmcnt(0) lgkmcnt(0)
	v_fmac_f64_e32 v[130:131], v[138:139], v[134:135]
	buffer_load_dword v135, off, s[0:3], 0 offset:220
	buffer_load_dword v134, off, s[0:3], 0 offset:216
	buffer_load_dword v139, off, s[0:3], 0 offset:228
	buffer_load_dword v138, off, s[0:3], 0 offset:224
	;; [unrolled: 9-line block ×18, first 2 shown]
	s_waitcnt vmcnt(2)
	v_fmac_f64_e32 v[130:131], v[134:135], v[136:137]
	ds_read_b128 v[134:137], v132 offset:992
	s_waitcnt vmcnt(0) lgkmcnt(0)
	v_fmac_f64_e32 v[130:131], v[138:139], v[134:135]
	buffer_load_dword v135, off, s[0:3], 0 offset:492
	buffer_load_dword v134, off, s[0:3], 0 offset:488
	s_waitcnt vmcnt(0)
	v_fmac_f64_e32 v[130:131], v[134:135], v[136:137]
	buffer_load_dword v135, off, s[0:3], 0 offset:500
	buffer_load_dword v134, off, s[0:3], 0 offset:496
	ds_read_b64 v[136:137], v132 offset:1008
	s_waitcnt vmcnt(0) lgkmcnt(0)
	v_fmac_f64_e32 v[130:131], v[134:135], v[136:137]
	v_add_f64 v[128:129], v[128:129], -v[130:131]
	buffer_store_dword v129, off, s[0:3], 0 offset:124
	buffer_store_dword v128, off, s[0:3], 0 offset:120
	s_and_saveexec_b64 s[4:5], vcc
	s_cbranch_execz .LBB126_357
; %bb.356:
	buffer_load_dword v128, off, s[0:3], 0 offset:112
	buffer_load_dword v129, off, s[0:3], 0 offset:116
	s_waitcnt vmcnt(0)
	ds_write_b64 v1, v[128:129]
	buffer_store_dword v132, off, s[0:3], 0 offset:112
	buffer_store_dword v132, off, s[0:3], 0 offset:116
.LBB126_357:
	s_or_b64 exec, exec, s[4:5]
	s_waitcnt lgkmcnt(0)
	; wave barrier
	s_waitcnt lgkmcnt(0)
	buffer_load_dword v128, off, s[0:3], 0 offset:112
	buffer_load_dword v129, off, s[0:3], 0 offset:116
	;; [unrolled: 1-line block ×16, first 2 shown]
	ds_read2_b64 v[134:137], v132 offset0:79 offset1:80
	v_cmp_lt_u32_e32 vcc, 13, v0
	s_waitcnt vmcnt(12) lgkmcnt(0)
	v_fma_f64 v[130:131], v[130:131], v[134:135], 0
	s_waitcnt vmcnt(10)
	v_fmac_f64_e32 v[130:131], v[138:139], v[136:137]
	ds_read2_b64 v[134:137], v132 offset0:81 offset1:82
	s_waitcnt vmcnt(8) lgkmcnt(0)
	v_fmac_f64_e32 v[130:131], v[140:141], v[134:135]
	s_waitcnt vmcnt(6)
	v_fmac_f64_e32 v[130:131], v[142:143], v[136:137]
	ds_read2_b64 v[134:137], v132 offset0:83 offset1:84
	s_waitcnt vmcnt(4) lgkmcnt(0)
	v_fmac_f64_e32 v[130:131], v[144:145], v[134:135]
	;; [unrolled: 5-line block ×3, first 2 shown]
	buffer_load_dword v135, off, s[0:3], 0 offset:180
	buffer_load_dword v134, off, s[0:3], 0 offset:176
	buffer_load_dword v139, off, s[0:3], 0 offset:188
	buffer_load_dword v138, off, s[0:3], 0 offset:184
	s_waitcnt vmcnt(2)
	v_fmac_f64_e32 v[130:131], v[134:135], v[136:137]
	ds_read2_b64 v[134:137], v132 offset0:87 offset1:88
	s_waitcnt vmcnt(0) lgkmcnt(0)
	v_fmac_f64_e32 v[130:131], v[138:139], v[134:135]
	buffer_load_dword v135, off, s[0:3], 0 offset:196
	buffer_load_dword v134, off, s[0:3], 0 offset:192
	buffer_load_dword v139, off, s[0:3], 0 offset:204
	buffer_load_dword v138, off, s[0:3], 0 offset:200
	s_waitcnt vmcnt(2)
	v_fmac_f64_e32 v[130:131], v[134:135], v[136:137]
	ds_read2_b64 v[134:137], v132 offset0:89 offset1:90
	s_waitcnt vmcnt(0) lgkmcnt(0)
	v_fmac_f64_e32 v[130:131], v[138:139], v[134:135]
	;; [unrolled: 9-line block ×19, first 2 shown]
	buffer_load_dword v135, off, s[0:3], 0 offset:484
	buffer_load_dword v134, off, s[0:3], 0 offset:480
	s_waitcnt vmcnt(0)
	v_fmac_f64_e32 v[130:131], v[134:135], v[136:137]
	buffer_load_dword v137, off, s[0:3], 0 offset:492
	buffer_load_dword v136, off, s[0:3], 0 offset:488
	ds_read2_b64 v[132:135], v132 offset0:125 offset1:126
	s_waitcnt vmcnt(0) lgkmcnt(0)
	v_fmac_f64_e32 v[130:131], v[136:137], v[132:133]
	buffer_load_dword v133, off, s[0:3], 0 offset:500
	buffer_load_dword v132, off, s[0:3], 0 offset:496
	s_waitcnt vmcnt(0)
	v_fmac_f64_e32 v[130:131], v[132:133], v[134:135]
	v_add_f64 v[128:129], v[128:129], -v[130:131]
	buffer_store_dword v129, off, s[0:3], 0 offset:116
	buffer_store_dword v128, off, s[0:3], 0 offset:112
	s_and_saveexec_b64 s[4:5], vcc
	s_cbranch_execz .LBB126_359
; %bb.358:
	buffer_load_dword v128, off, s[0:3], 0 offset:104
	buffer_load_dword v129, off, s[0:3], 0 offset:108
	v_mov_b32_e32 v130, 0
	buffer_store_dword v130, off, s[0:3], 0 offset:104
	buffer_store_dword v130, off, s[0:3], 0 offset:108
	s_waitcnt vmcnt(2)
	ds_write_b64 v1, v[128:129]
.LBB126_359:
	s_or_b64 exec, exec, s[4:5]
	s_waitcnt lgkmcnt(0)
	; wave barrier
	s_waitcnt lgkmcnt(0)
	buffer_load_dword v128, off, s[0:3], 0 offset:104
	buffer_load_dword v129, off, s[0:3], 0 offset:108
	buffer_load_dword v130, off, s[0:3], 0 offset:112
	buffer_load_dword v131, off, s[0:3], 0 offset:116
	buffer_load_dword v138, off, s[0:3], 0 offset:120
	buffer_load_dword v139, off, s[0:3], 0 offset:124
	buffer_load_dword v140, off, s[0:3], 0 offset:128
	buffer_load_dword v141, off, s[0:3], 0 offset:132
	buffer_load_dword v142, off, s[0:3], 0 offset:136
	buffer_load_dword v143, off, s[0:3], 0 offset:140
	buffer_load_dword v144, off, s[0:3], 0 offset:144
	buffer_load_dword v145, off, s[0:3], 0 offset:148
	buffer_load_dword v146, off, s[0:3], 0 offset:152
	buffer_load_dword v147, off, s[0:3], 0 offset:156
	buffer_load_dword v148, off, s[0:3], 0 offset:160
	buffer_load_dword v149, off, s[0:3], 0 offset:164
	v_mov_b32_e32 v132, 0
	ds_read_b128 v[134:137], v132 offset:624
	v_cmp_lt_u32_e32 vcc, 12, v0
	s_waitcnt vmcnt(12) lgkmcnt(0)
	v_fma_f64 v[130:131], v[130:131], v[134:135], 0
	s_waitcnt vmcnt(10)
	v_fmac_f64_e32 v[130:131], v[138:139], v[136:137]
	ds_read_b128 v[134:137], v132 offset:640
	s_waitcnt vmcnt(8) lgkmcnt(0)
	v_fmac_f64_e32 v[130:131], v[140:141], v[134:135]
	s_waitcnt vmcnt(6)
	v_fmac_f64_e32 v[130:131], v[142:143], v[136:137]
	ds_read_b128 v[134:137], v132 offset:656
	s_waitcnt vmcnt(4) lgkmcnt(0)
	v_fmac_f64_e32 v[130:131], v[144:145], v[134:135]
	;; [unrolled: 5-line block ×3, first 2 shown]
	buffer_load_dword v135, off, s[0:3], 0 offset:172
	buffer_load_dword v134, off, s[0:3], 0 offset:168
	buffer_load_dword v139, off, s[0:3], 0 offset:180
	buffer_load_dword v138, off, s[0:3], 0 offset:176
	s_waitcnt vmcnt(2)
	v_fmac_f64_e32 v[130:131], v[134:135], v[136:137]
	ds_read_b128 v[134:137], v132 offset:688
	s_waitcnt vmcnt(0) lgkmcnt(0)
	v_fmac_f64_e32 v[130:131], v[138:139], v[134:135]
	buffer_load_dword v135, off, s[0:3], 0 offset:188
	buffer_load_dword v134, off, s[0:3], 0 offset:184
	buffer_load_dword v139, off, s[0:3], 0 offset:196
	buffer_load_dword v138, off, s[0:3], 0 offset:192
	s_waitcnt vmcnt(2)
	v_fmac_f64_e32 v[130:131], v[134:135], v[136:137]
	ds_read_b128 v[134:137], v132 offset:704
	s_waitcnt vmcnt(0) lgkmcnt(0)
	v_fmac_f64_e32 v[130:131], v[138:139], v[134:135]
	;; [unrolled: 9-line block ×20, first 2 shown]
	buffer_load_dword v135, off, s[0:3], 0 offset:492
	buffer_load_dword v134, off, s[0:3], 0 offset:488
	s_waitcnt vmcnt(0)
	v_fmac_f64_e32 v[130:131], v[134:135], v[136:137]
	buffer_load_dword v135, off, s[0:3], 0 offset:500
	buffer_load_dword v134, off, s[0:3], 0 offset:496
	ds_read_b64 v[136:137], v132 offset:1008
	s_waitcnt vmcnt(0) lgkmcnt(0)
	v_fmac_f64_e32 v[130:131], v[134:135], v[136:137]
	v_add_f64 v[128:129], v[128:129], -v[130:131]
	buffer_store_dword v129, off, s[0:3], 0 offset:108
	buffer_store_dword v128, off, s[0:3], 0 offset:104
	s_and_saveexec_b64 s[4:5], vcc
	s_cbranch_execz .LBB126_361
; %bb.360:
	buffer_load_dword v128, off, s[0:3], 0 offset:96
	buffer_load_dword v129, off, s[0:3], 0 offset:100
	s_waitcnt vmcnt(0)
	ds_write_b64 v1, v[128:129]
	buffer_store_dword v132, off, s[0:3], 0 offset:96
	buffer_store_dword v132, off, s[0:3], 0 offset:100
.LBB126_361:
	s_or_b64 exec, exec, s[4:5]
	s_waitcnt lgkmcnt(0)
	; wave barrier
	s_waitcnt lgkmcnt(0)
	buffer_load_dword v128, off, s[0:3], 0 offset:96
	buffer_load_dword v129, off, s[0:3], 0 offset:100
	;; [unrolled: 1-line block ×16, first 2 shown]
	ds_read2_b64 v[134:137], v132 offset0:77 offset1:78
	v_cmp_lt_u32_e32 vcc, 11, v0
	s_waitcnt vmcnt(12) lgkmcnt(0)
	v_fma_f64 v[130:131], v[130:131], v[134:135], 0
	s_waitcnt vmcnt(10)
	v_fmac_f64_e32 v[130:131], v[138:139], v[136:137]
	ds_read2_b64 v[134:137], v132 offset0:79 offset1:80
	s_waitcnt vmcnt(8) lgkmcnt(0)
	v_fmac_f64_e32 v[130:131], v[140:141], v[134:135]
	s_waitcnt vmcnt(6)
	v_fmac_f64_e32 v[130:131], v[142:143], v[136:137]
	ds_read2_b64 v[134:137], v132 offset0:81 offset1:82
	s_waitcnt vmcnt(4) lgkmcnt(0)
	v_fmac_f64_e32 v[130:131], v[144:145], v[134:135]
	s_waitcnt vmcnt(2)
	v_fmac_f64_e32 v[130:131], v[146:147], v[136:137]
	ds_read2_b64 v[134:137], v132 offset0:83 offset1:84
	s_waitcnt vmcnt(0) lgkmcnt(0)
	v_fmac_f64_e32 v[130:131], v[148:149], v[134:135]
	buffer_load_dword v135, off, s[0:3], 0 offset:164
	buffer_load_dword v134, off, s[0:3], 0 offset:160
	buffer_load_dword v139, off, s[0:3], 0 offset:172
	buffer_load_dword v138, off, s[0:3], 0 offset:168
	s_waitcnt vmcnt(2)
	v_fmac_f64_e32 v[130:131], v[134:135], v[136:137]
	ds_read2_b64 v[134:137], v132 offset0:85 offset1:86
	s_waitcnt vmcnt(0) lgkmcnt(0)
	v_fmac_f64_e32 v[130:131], v[138:139], v[134:135]
	buffer_load_dword v135, off, s[0:3], 0 offset:180
	buffer_load_dword v134, off, s[0:3], 0 offset:176
	buffer_load_dword v139, off, s[0:3], 0 offset:188
	buffer_load_dword v138, off, s[0:3], 0 offset:184
	s_waitcnt vmcnt(2)
	v_fmac_f64_e32 v[130:131], v[134:135], v[136:137]
	ds_read2_b64 v[134:137], v132 offset0:87 offset1:88
	s_waitcnt vmcnt(0) lgkmcnt(0)
	v_fmac_f64_e32 v[130:131], v[138:139], v[134:135]
	;; [unrolled: 9-line block ×20, first 2 shown]
	buffer_load_dword v135, off, s[0:3], 0 offset:484
	buffer_load_dword v134, off, s[0:3], 0 offset:480
	s_waitcnt vmcnt(0)
	v_fmac_f64_e32 v[130:131], v[134:135], v[136:137]
	buffer_load_dword v137, off, s[0:3], 0 offset:492
	buffer_load_dword v136, off, s[0:3], 0 offset:488
	ds_read2_b64 v[132:135], v132 offset0:125 offset1:126
	s_waitcnt vmcnt(0) lgkmcnt(0)
	v_fmac_f64_e32 v[130:131], v[136:137], v[132:133]
	buffer_load_dword v133, off, s[0:3], 0 offset:500
	buffer_load_dword v132, off, s[0:3], 0 offset:496
	s_waitcnt vmcnt(0)
	v_fmac_f64_e32 v[130:131], v[132:133], v[134:135]
	v_add_f64 v[128:129], v[128:129], -v[130:131]
	buffer_store_dword v129, off, s[0:3], 0 offset:100
	buffer_store_dword v128, off, s[0:3], 0 offset:96
	s_and_saveexec_b64 s[4:5], vcc
	s_cbranch_execz .LBB126_363
; %bb.362:
	buffer_load_dword v128, off, s[0:3], 0 offset:88
	buffer_load_dword v129, off, s[0:3], 0 offset:92
	v_mov_b32_e32 v130, 0
	buffer_store_dword v130, off, s[0:3], 0 offset:88
	buffer_store_dword v130, off, s[0:3], 0 offset:92
	s_waitcnt vmcnt(2)
	ds_write_b64 v1, v[128:129]
.LBB126_363:
	s_or_b64 exec, exec, s[4:5]
	s_waitcnt lgkmcnt(0)
	; wave barrier
	s_waitcnt lgkmcnt(0)
	buffer_load_dword v128, off, s[0:3], 0 offset:88
	buffer_load_dword v129, off, s[0:3], 0 offset:92
	;; [unrolled: 1-line block ×16, first 2 shown]
	v_mov_b32_e32 v132, 0
	ds_read_b128 v[134:137], v132 offset:608
	v_cmp_lt_u32_e32 vcc, 10, v0
	s_waitcnt vmcnt(12) lgkmcnt(0)
	v_fma_f64 v[130:131], v[130:131], v[134:135], 0
	s_waitcnt vmcnt(10)
	v_fmac_f64_e32 v[130:131], v[138:139], v[136:137]
	ds_read_b128 v[134:137], v132 offset:624
	s_waitcnt vmcnt(8) lgkmcnt(0)
	v_fmac_f64_e32 v[130:131], v[140:141], v[134:135]
	s_waitcnt vmcnt(6)
	v_fmac_f64_e32 v[130:131], v[142:143], v[136:137]
	ds_read_b128 v[134:137], v132 offset:640
	s_waitcnt vmcnt(4) lgkmcnt(0)
	v_fmac_f64_e32 v[130:131], v[144:145], v[134:135]
	;; [unrolled: 5-line block ×3, first 2 shown]
	buffer_load_dword v135, off, s[0:3], 0 offset:156
	buffer_load_dword v134, off, s[0:3], 0 offset:152
	buffer_load_dword v139, off, s[0:3], 0 offset:164
	buffer_load_dword v138, off, s[0:3], 0 offset:160
	s_waitcnt vmcnt(2)
	v_fmac_f64_e32 v[130:131], v[134:135], v[136:137]
	ds_read_b128 v[134:137], v132 offset:672
	s_waitcnt vmcnt(0) lgkmcnt(0)
	v_fmac_f64_e32 v[130:131], v[138:139], v[134:135]
	buffer_load_dword v135, off, s[0:3], 0 offset:172
	buffer_load_dword v134, off, s[0:3], 0 offset:168
	buffer_load_dword v139, off, s[0:3], 0 offset:180
	buffer_load_dword v138, off, s[0:3], 0 offset:176
	s_waitcnt vmcnt(2)
	v_fmac_f64_e32 v[130:131], v[134:135], v[136:137]
	ds_read_b128 v[134:137], v132 offset:688
	s_waitcnt vmcnt(0) lgkmcnt(0)
	v_fmac_f64_e32 v[130:131], v[138:139], v[134:135]
	;; [unrolled: 9-line block ×21, first 2 shown]
	buffer_load_dword v135, off, s[0:3], 0 offset:492
	buffer_load_dword v134, off, s[0:3], 0 offset:488
	s_waitcnt vmcnt(0)
	v_fmac_f64_e32 v[130:131], v[134:135], v[136:137]
	buffer_load_dword v135, off, s[0:3], 0 offset:500
	buffer_load_dword v134, off, s[0:3], 0 offset:496
	ds_read_b64 v[136:137], v132 offset:1008
	s_waitcnt vmcnt(0) lgkmcnt(0)
	v_fmac_f64_e32 v[130:131], v[134:135], v[136:137]
	v_add_f64 v[128:129], v[128:129], -v[130:131]
	buffer_store_dword v129, off, s[0:3], 0 offset:92
	buffer_store_dword v128, off, s[0:3], 0 offset:88
	s_and_saveexec_b64 s[4:5], vcc
	s_cbranch_execz .LBB126_365
; %bb.364:
	buffer_load_dword v128, off, s[0:3], 0 offset:80
	buffer_load_dword v129, off, s[0:3], 0 offset:84
	s_waitcnt vmcnt(0)
	ds_write_b64 v1, v[128:129]
	buffer_store_dword v132, off, s[0:3], 0 offset:80
	buffer_store_dword v132, off, s[0:3], 0 offset:84
.LBB126_365:
	s_or_b64 exec, exec, s[4:5]
	s_waitcnt lgkmcnt(0)
	; wave barrier
	s_waitcnt lgkmcnt(0)
	buffer_load_dword v128, off, s[0:3], 0 offset:80
	buffer_load_dword v129, off, s[0:3], 0 offset:84
	;; [unrolled: 1-line block ×16, first 2 shown]
	ds_read2_b64 v[134:137], v132 offset0:75 offset1:76
	v_cmp_lt_u32_e32 vcc, 9, v0
	s_waitcnt vmcnt(12) lgkmcnt(0)
	v_fma_f64 v[130:131], v[130:131], v[134:135], 0
	s_waitcnt vmcnt(10)
	v_fmac_f64_e32 v[130:131], v[138:139], v[136:137]
	ds_read2_b64 v[134:137], v132 offset0:77 offset1:78
	s_waitcnt vmcnt(8) lgkmcnt(0)
	v_fmac_f64_e32 v[130:131], v[140:141], v[134:135]
	s_waitcnt vmcnt(6)
	v_fmac_f64_e32 v[130:131], v[142:143], v[136:137]
	ds_read2_b64 v[134:137], v132 offset0:79 offset1:80
	s_waitcnt vmcnt(4) lgkmcnt(0)
	v_fmac_f64_e32 v[130:131], v[144:145], v[134:135]
	;; [unrolled: 5-line block ×3, first 2 shown]
	buffer_load_dword v135, off, s[0:3], 0 offset:148
	buffer_load_dword v134, off, s[0:3], 0 offset:144
	buffer_load_dword v139, off, s[0:3], 0 offset:156
	buffer_load_dword v138, off, s[0:3], 0 offset:152
	s_waitcnt vmcnt(2)
	v_fmac_f64_e32 v[130:131], v[134:135], v[136:137]
	ds_read2_b64 v[134:137], v132 offset0:83 offset1:84
	s_waitcnt vmcnt(0) lgkmcnt(0)
	v_fmac_f64_e32 v[130:131], v[138:139], v[134:135]
	buffer_load_dword v135, off, s[0:3], 0 offset:164
	buffer_load_dword v134, off, s[0:3], 0 offset:160
	buffer_load_dword v139, off, s[0:3], 0 offset:172
	buffer_load_dword v138, off, s[0:3], 0 offset:168
	s_waitcnt vmcnt(2)
	v_fmac_f64_e32 v[130:131], v[134:135], v[136:137]
	ds_read2_b64 v[134:137], v132 offset0:85 offset1:86
	s_waitcnt vmcnt(0) lgkmcnt(0)
	v_fmac_f64_e32 v[130:131], v[138:139], v[134:135]
	;; [unrolled: 9-line block ×21, first 2 shown]
	buffer_load_dword v135, off, s[0:3], 0 offset:484
	buffer_load_dword v134, off, s[0:3], 0 offset:480
	s_waitcnt vmcnt(0)
	v_fmac_f64_e32 v[130:131], v[134:135], v[136:137]
	buffer_load_dword v137, off, s[0:3], 0 offset:492
	buffer_load_dword v136, off, s[0:3], 0 offset:488
	ds_read2_b64 v[132:135], v132 offset0:125 offset1:126
	s_waitcnt vmcnt(0) lgkmcnt(0)
	v_fmac_f64_e32 v[130:131], v[136:137], v[132:133]
	buffer_load_dword v133, off, s[0:3], 0 offset:500
	buffer_load_dword v132, off, s[0:3], 0 offset:496
	s_waitcnt vmcnt(0)
	v_fmac_f64_e32 v[130:131], v[132:133], v[134:135]
	v_add_f64 v[128:129], v[128:129], -v[130:131]
	buffer_store_dword v129, off, s[0:3], 0 offset:84
	buffer_store_dword v128, off, s[0:3], 0 offset:80
	s_and_saveexec_b64 s[4:5], vcc
	s_cbranch_execz .LBB126_367
; %bb.366:
	buffer_load_dword v128, off, s[0:3], 0 offset:72
	buffer_load_dword v129, off, s[0:3], 0 offset:76
	v_mov_b32_e32 v130, 0
	buffer_store_dword v130, off, s[0:3], 0 offset:72
	buffer_store_dword v130, off, s[0:3], 0 offset:76
	s_waitcnt vmcnt(2)
	ds_write_b64 v1, v[128:129]
.LBB126_367:
	s_or_b64 exec, exec, s[4:5]
	s_waitcnt lgkmcnt(0)
	; wave barrier
	s_waitcnt lgkmcnt(0)
	buffer_load_dword v128, off, s[0:3], 0 offset:72
	buffer_load_dword v129, off, s[0:3], 0 offset:76
	;; [unrolled: 1-line block ×16, first 2 shown]
	v_mov_b32_e32 v132, 0
	ds_read_b128 v[134:137], v132 offset:592
	v_cmp_lt_u32_e32 vcc, 8, v0
	s_waitcnt vmcnt(12) lgkmcnt(0)
	v_fma_f64 v[130:131], v[130:131], v[134:135], 0
	s_waitcnt vmcnt(10)
	v_fmac_f64_e32 v[130:131], v[138:139], v[136:137]
	ds_read_b128 v[134:137], v132 offset:608
	s_waitcnt vmcnt(8) lgkmcnt(0)
	v_fmac_f64_e32 v[130:131], v[140:141], v[134:135]
	s_waitcnt vmcnt(6)
	v_fmac_f64_e32 v[130:131], v[142:143], v[136:137]
	ds_read_b128 v[134:137], v132 offset:624
	s_waitcnt vmcnt(4) lgkmcnt(0)
	v_fmac_f64_e32 v[130:131], v[144:145], v[134:135]
	;; [unrolled: 5-line block ×3, first 2 shown]
	buffer_load_dword v135, off, s[0:3], 0 offset:140
	buffer_load_dword v134, off, s[0:3], 0 offset:136
	buffer_load_dword v139, off, s[0:3], 0 offset:148
	buffer_load_dword v138, off, s[0:3], 0 offset:144
	s_waitcnt vmcnt(2)
	v_fmac_f64_e32 v[130:131], v[134:135], v[136:137]
	ds_read_b128 v[134:137], v132 offset:656
	s_waitcnt vmcnt(0) lgkmcnt(0)
	v_fmac_f64_e32 v[130:131], v[138:139], v[134:135]
	buffer_load_dword v135, off, s[0:3], 0 offset:156
	buffer_load_dword v134, off, s[0:3], 0 offset:152
	buffer_load_dword v139, off, s[0:3], 0 offset:164
	buffer_load_dword v138, off, s[0:3], 0 offset:160
	s_waitcnt vmcnt(2)
	v_fmac_f64_e32 v[130:131], v[134:135], v[136:137]
	ds_read_b128 v[134:137], v132 offset:672
	s_waitcnt vmcnt(0) lgkmcnt(0)
	v_fmac_f64_e32 v[130:131], v[138:139], v[134:135]
	;; [unrolled: 9-line block ×22, first 2 shown]
	buffer_load_dword v135, off, s[0:3], 0 offset:492
	buffer_load_dword v134, off, s[0:3], 0 offset:488
	s_waitcnt vmcnt(0)
	v_fmac_f64_e32 v[130:131], v[134:135], v[136:137]
	buffer_load_dword v135, off, s[0:3], 0 offset:500
	buffer_load_dword v134, off, s[0:3], 0 offset:496
	ds_read_b64 v[136:137], v132 offset:1008
	s_waitcnt vmcnt(0) lgkmcnt(0)
	v_fmac_f64_e32 v[130:131], v[134:135], v[136:137]
	v_add_f64 v[128:129], v[128:129], -v[130:131]
	buffer_store_dword v129, off, s[0:3], 0 offset:76
	buffer_store_dword v128, off, s[0:3], 0 offset:72
	s_and_saveexec_b64 s[4:5], vcc
	s_cbranch_execz .LBB126_369
; %bb.368:
	buffer_load_dword v128, off, s[0:3], 0 offset:64
	buffer_load_dword v129, off, s[0:3], 0 offset:68
	s_waitcnt vmcnt(0)
	ds_write_b64 v1, v[128:129]
	buffer_store_dword v132, off, s[0:3], 0 offset:64
	buffer_store_dword v132, off, s[0:3], 0 offset:68
.LBB126_369:
	s_or_b64 exec, exec, s[4:5]
	s_waitcnt lgkmcnt(0)
	; wave barrier
	s_waitcnt lgkmcnt(0)
	buffer_load_dword v128, off, s[0:3], 0 offset:64
	buffer_load_dword v129, off, s[0:3], 0 offset:68
	;; [unrolled: 1-line block ×16, first 2 shown]
	ds_read2_b64 v[134:137], v132 offset0:73 offset1:74
	v_cmp_lt_u32_e32 vcc, 7, v0
	s_waitcnt vmcnt(12) lgkmcnt(0)
	v_fma_f64 v[130:131], v[130:131], v[134:135], 0
	s_waitcnt vmcnt(10)
	v_fmac_f64_e32 v[130:131], v[138:139], v[136:137]
	ds_read2_b64 v[134:137], v132 offset0:75 offset1:76
	s_waitcnt vmcnt(8) lgkmcnt(0)
	v_fmac_f64_e32 v[130:131], v[140:141], v[134:135]
	s_waitcnt vmcnt(6)
	v_fmac_f64_e32 v[130:131], v[142:143], v[136:137]
	ds_read2_b64 v[134:137], v132 offset0:77 offset1:78
	s_waitcnt vmcnt(4) lgkmcnt(0)
	v_fmac_f64_e32 v[130:131], v[144:145], v[134:135]
	;; [unrolled: 5-line block ×3, first 2 shown]
	buffer_load_dword v135, off, s[0:3], 0 offset:132
	buffer_load_dword v134, off, s[0:3], 0 offset:128
	buffer_load_dword v139, off, s[0:3], 0 offset:140
	buffer_load_dword v138, off, s[0:3], 0 offset:136
	s_waitcnt vmcnt(2)
	v_fmac_f64_e32 v[130:131], v[134:135], v[136:137]
	ds_read2_b64 v[134:137], v132 offset0:81 offset1:82
	s_waitcnt vmcnt(0) lgkmcnt(0)
	v_fmac_f64_e32 v[130:131], v[138:139], v[134:135]
	buffer_load_dword v135, off, s[0:3], 0 offset:148
	buffer_load_dword v134, off, s[0:3], 0 offset:144
	buffer_load_dword v139, off, s[0:3], 0 offset:156
	buffer_load_dword v138, off, s[0:3], 0 offset:152
	s_waitcnt vmcnt(2)
	v_fmac_f64_e32 v[130:131], v[134:135], v[136:137]
	ds_read2_b64 v[134:137], v132 offset0:83 offset1:84
	s_waitcnt vmcnt(0) lgkmcnt(0)
	v_fmac_f64_e32 v[130:131], v[138:139], v[134:135]
	;; [unrolled: 9-line block ×22, first 2 shown]
	buffer_load_dword v135, off, s[0:3], 0 offset:484
	buffer_load_dword v134, off, s[0:3], 0 offset:480
	s_waitcnt vmcnt(0)
	v_fmac_f64_e32 v[130:131], v[134:135], v[136:137]
	buffer_load_dword v137, off, s[0:3], 0 offset:492
	buffer_load_dword v136, off, s[0:3], 0 offset:488
	ds_read2_b64 v[132:135], v132 offset0:125 offset1:126
	s_waitcnt vmcnt(0) lgkmcnt(0)
	v_fmac_f64_e32 v[130:131], v[136:137], v[132:133]
	buffer_load_dword v133, off, s[0:3], 0 offset:500
	buffer_load_dword v132, off, s[0:3], 0 offset:496
	s_waitcnt vmcnt(0)
	v_fmac_f64_e32 v[130:131], v[132:133], v[134:135]
	v_add_f64 v[128:129], v[128:129], -v[130:131]
	buffer_store_dword v129, off, s[0:3], 0 offset:68
	buffer_store_dword v128, off, s[0:3], 0 offset:64
	s_and_saveexec_b64 s[4:5], vcc
	s_cbranch_execz .LBB126_371
; %bb.370:
	buffer_load_dword v128, off, s[0:3], 0 offset:56
	buffer_load_dword v129, off, s[0:3], 0 offset:60
	v_mov_b32_e32 v130, 0
	buffer_store_dword v130, off, s[0:3], 0 offset:56
	buffer_store_dword v130, off, s[0:3], 0 offset:60
	s_waitcnt vmcnt(2)
	ds_write_b64 v1, v[128:129]
.LBB126_371:
	s_or_b64 exec, exec, s[4:5]
	s_waitcnt lgkmcnt(0)
	; wave barrier
	s_waitcnt lgkmcnt(0)
	buffer_load_dword v128, off, s[0:3], 0 offset:56
	buffer_load_dword v129, off, s[0:3], 0 offset:60
	;; [unrolled: 1-line block ×16, first 2 shown]
	v_mov_b32_e32 v132, 0
	ds_read_b128 v[134:137], v132 offset:576
	v_cmp_lt_u32_e32 vcc, 6, v0
	s_waitcnt vmcnt(12) lgkmcnt(0)
	v_fma_f64 v[130:131], v[130:131], v[134:135], 0
	s_waitcnt vmcnt(10)
	v_fmac_f64_e32 v[130:131], v[138:139], v[136:137]
	ds_read_b128 v[134:137], v132 offset:592
	s_waitcnt vmcnt(8) lgkmcnt(0)
	v_fmac_f64_e32 v[130:131], v[140:141], v[134:135]
	s_waitcnt vmcnt(6)
	v_fmac_f64_e32 v[130:131], v[142:143], v[136:137]
	ds_read_b128 v[134:137], v132 offset:608
	s_waitcnt vmcnt(4) lgkmcnt(0)
	v_fmac_f64_e32 v[130:131], v[144:145], v[134:135]
	;; [unrolled: 5-line block ×3, first 2 shown]
	buffer_load_dword v135, off, s[0:3], 0 offset:124
	buffer_load_dword v134, off, s[0:3], 0 offset:120
	buffer_load_dword v139, off, s[0:3], 0 offset:132
	buffer_load_dword v138, off, s[0:3], 0 offset:128
	s_waitcnt vmcnt(2)
	v_fmac_f64_e32 v[130:131], v[134:135], v[136:137]
	ds_read_b128 v[134:137], v132 offset:640
	s_waitcnt vmcnt(0) lgkmcnt(0)
	v_fmac_f64_e32 v[130:131], v[138:139], v[134:135]
	buffer_load_dword v135, off, s[0:3], 0 offset:140
	buffer_load_dword v134, off, s[0:3], 0 offset:136
	buffer_load_dword v139, off, s[0:3], 0 offset:148
	buffer_load_dword v138, off, s[0:3], 0 offset:144
	s_waitcnt vmcnt(2)
	v_fmac_f64_e32 v[130:131], v[134:135], v[136:137]
	ds_read_b128 v[134:137], v132 offset:656
	s_waitcnt vmcnt(0) lgkmcnt(0)
	v_fmac_f64_e32 v[130:131], v[138:139], v[134:135]
	buffer_load_dword v135, off, s[0:3], 0 offset:156
	buffer_load_dword v134, off, s[0:3], 0 offset:152
	buffer_load_dword v139, off, s[0:3], 0 offset:164
	buffer_load_dword v138, off, s[0:3], 0 offset:160
	s_waitcnt vmcnt(2)
	v_fmac_f64_e32 v[130:131], v[134:135], v[136:137]
	ds_read_b128 v[134:137], v132 offset:672
	s_waitcnt vmcnt(0) lgkmcnt(0)
	v_fmac_f64_e32 v[130:131], v[138:139], v[134:135]
	buffer_load_dword v135, off, s[0:3], 0 offset:172
	buffer_load_dword v134, off, s[0:3], 0 offset:168
	buffer_load_dword v139, off, s[0:3], 0 offset:180
	buffer_load_dword v138, off, s[0:3], 0 offset:176
	s_waitcnt vmcnt(2)
	v_fmac_f64_e32 v[130:131], v[134:135], v[136:137]
	ds_read_b128 v[134:137], v132 offset:688
	s_waitcnt vmcnt(0) lgkmcnt(0)
	v_fmac_f64_e32 v[130:131], v[138:139], v[134:135]
	buffer_load_dword v135, off, s[0:3], 0 offset:188
	buffer_load_dword v134, off, s[0:3], 0 offset:184
	buffer_load_dword v139, off, s[0:3], 0 offset:196
	buffer_load_dword v138, off, s[0:3], 0 offset:192
	s_waitcnt vmcnt(2)
	v_fmac_f64_e32 v[130:131], v[134:135], v[136:137]
	ds_read_b128 v[134:137], v132 offset:704
	s_waitcnt vmcnt(0) lgkmcnt(0)
	v_fmac_f64_e32 v[130:131], v[138:139], v[134:135]
	buffer_load_dword v135, off, s[0:3], 0 offset:204
	buffer_load_dword v134, off, s[0:3], 0 offset:200
	buffer_load_dword v139, off, s[0:3], 0 offset:212
	buffer_load_dword v138, off, s[0:3], 0 offset:208
	s_waitcnt vmcnt(2)
	v_fmac_f64_e32 v[130:131], v[134:135], v[136:137]
	ds_read_b128 v[134:137], v132 offset:720
	s_waitcnt vmcnt(0) lgkmcnt(0)
	v_fmac_f64_e32 v[130:131], v[138:139], v[134:135]
	buffer_load_dword v135, off, s[0:3], 0 offset:220
	buffer_load_dword v134, off, s[0:3], 0 offset:216
	buffer_load_dword v139, off, s[0:3], 0 offset:228
	buffer_load_dword v138, off, s[0:3], 0 offset:224
	s_waitcnt vmcnt(2)
	v_fmac_f64_e32 v[130:131], v[134:135], v[136:137]
	ds_read_b128 v[134:137], v132 offset:736
	s_waitcnt vmcnt(0) lgkmcnt(0)
	v_fmac_f64_e32 v[130:131], v[138:139], v[134:135]
	buffer_load_dword v135, off, s[0:3], 0 offset:236
	buffer_load_dword v134, off, s[0:3], 0 offset:232
	buffer_load_dword v139, off, s[0:3], 0 offset:244
	buffer_load_dword v138, off, s[0:3], 0 offset:240
	s_waitcnt vmcnt(2)
	v_fmac_f64_e32 v[130:131], v[134:135], v[136:137]
	ds_read_b128 v[134:137], v132 offset:752
	s_waitcnt vmcnt(0) lgkmcnt(0)
	v_fmac_f64_e32 v[130:131], v[138:139], v[134:135]
	buffer_load_dword v135, off, s[0:3], 0 offset:252
	buffer_load_dword v134, off, s[0:3], 0 offset:248
	buffer_load_dword v139, off, s[0:3], 0 offset:260
	buffer_load_dword v138, off, s[0:3], 0 offset:256
	s_waitcnt vmcnt(2)
	v_fmac_f64_e32 v[130:131], v[134:135], v[136:137]
	ds_read_b128 v[134:137], v132 offset:768
	s_waitcnt vmcnt(0) lgkmcnt(0)
	v_fmac_f64_e32 v[130:131], v[138:139], v[134:135]
	buffer_load_dword v135, off, s[0:3], 0 offset:268
	buffer_load_dword v134, off, s[0:3], 0 offset:264
	buffer_load_dword v139, off, s[0:3], 0 offset:276
	buffer_load_dword v138, off, s[0:3], 0 offset:272
	s_waitcnt vmcnt(2)
	v_fmac_f64_e32 v[130:131], v[134:135], v[136:137]
	ds_read_b128 v[134:137], v132 offset:784
	s_waitcnt vmcnt(0) lgkmcnt(0)
	v_fmac_f64_e32 v[130:131], v[138:139], v[134:135]
	buffer_load_dword v135, off, s[0:3], 0 offset:284
	buffer_load_dword v134, off, s[0:3], 0 offset:280
	buffer_load_dword v139, off, s[0:3], 0 offset:292
	buffer_load_dword v138, off, s[0:3], 0 offset:288
	s_waitcnt vmcnt(2)
	v_fmac_f64_e32 v[130:131], v[134:135], v[136:137]
	ds_read_b128 v[134:137], v132 offset:800
	s_waitcnt vmcnt(0) lgkmcnt(0)
	v_fmac_f64_e32 v[130:131], v[138:139], v[134:135]
	buffer_load_dword v135, off, s[0:3], 0 offset:300
	buffer_load_dword v134, off, s[0:3], 0 offset:296
	buffer_load_dword v139, off, s[0:3], 0 offset:308
	buffer_load_dword v138, off, s[0:3], 0 offset:304
	s_waitcnt vmcnt(2)
	v_fmac_f64_e32 v[130:131], v[134:135], v[136:137]
	ds_read_b128 v[134:137], v132 offset:816
	s_waitcnt vmcnt(0) lgkmcnt(0)
	v_fmac_f64_e32 v[130:131], v[138:139], v[134:135]
	buffer_load_dword v135, off, s[0:3], 0 offset:316
	buffer_load_dword v134, off, s[0:3], 0 offset:312
	buffer_load_dword v139, off, s[0:3], 0 offset:324
	buffer_load_dword v138, off, s[0:3], 0 offset:320
	s_waitcnt vmcnt(2)
	v_fmac_f64_e32 v[130:131], v[134:135], v[136:137]
	ds_read_b128 v[134:137], v132 offset:832
	s_waitcnt vmcnt(0) lgkmcnt(0)
	v_fmac_f64_e32 v[130:131], v[138:139], v[134:135]
	buffer_load_dword v135, off, s[0:3], 0 offset:332
	buffer_load_dword v134, off, s[0:3], 0 offset:328
	buffer_load_dword v139, off, s[0:3], 0 offset:340
	buffer_load_dword v138, off, s[0:3], 0 offset:336
	s_waitcnt vmcnt(2)
	v_fmac_f64_e32 v[130:131], v[134:135], v[136:137]
	ds_read_b128 v[134:137], v132 offset:848
	s_waitcnt vmcnt(0) lgkmcnt(0)
	v_fmac_f64_e32 v[130:131], v[138:139], v[134:135]
	buffer_load_dword v135, off, s[0:3], 0 offset:348
	buffer_load_dword v134, off, s[0:3], 0 offset:344
	buffer_load_dword v139, off, s[0:3], 0 offset:356
	buffer_load_dword v138, off, s[0:3], 0 offset:352
	s_waitcnt vmcnt(2)
	v_fmac_f64_e32 v[130:131], v[134:135], v[136:137]
	ds_read_b128 v[134:137], v132 offset:864
	s_waitcnt vmcnt(0) lgkmcnt(0)
	v_fmac_f64_e32 v[130:131], v[138:139], v[134:135]
	buffer_load_dword v135, off, s[0:3], 0 offset:364
	buffer_load_dword v134, off, s[0:3], 0 offset:360
	buffer_load_dword v139, off, s[0:3], 0 offset:372
	buffer_load_dword v138, off, s[0:3], 0 offset:368
	s_waitcnt vmcnt(2)
	v_fmac_f64_e32 v[130:131], v[134:135], v[136:137]
	ds_read_b128 v[134:137], v132 offset:880
	s_waitcnt vmcnt(0) lgkmcnt(0)
	v_fmac_f64_e32 v[130:131], v[138:139], v[134:135]
	buffer_load_dword v135, off, s[0:3], 0 offset:380
	buffer_load_dword v134, off, s[0:3], 0 offset:376
	buffer_load_dword v139, off, s[0:3], 0 offset:388
	buffer_load_dword v138, off, s[0:3], 0 offset:384
	s_waitcnt vmcnt(2)
	v_fmac_f64_e32 v[130:131], v[134:135], v[136:137]
	ds_read_b128 v[134:137], v132 offset:896
	s_waitcnt vmcnt(0) lgkmcnt(0)
	v_fmac_f64_e32 v[130:131], v[138:139], v[134:135]
	buffer_load_dword v135, off, s[0:3], 0 offset:396
	buffer_load_dword v134, off, s[0:3], 0 offset:392
	buffer_load_dword v139, off, s[0:3], 0 offset:404
	buffer_load_dword v138, off, s[0:3], 0 offset:400
	s_waitcnt vmcnt(2)
	v_fmac_f64_e32 v[130:131], v[134:135], v[136:137]
	ds_read_b128 v[134:137], v132 offset:912
	s_waitcnt vmcnt(0) lgkmcnt(0)
	v_fmac_f64_e32 v[130:131], v[138:139], v[134:135]
	buffer_load_dword v135, off, s[0:3], 0 offset:412
	buffer_load_dword v134, off, s[0:3], 0 offset:408
	buffer_load_dword v139, off, s[0:3], 0 offset:420
	buffer_load_dword v138, off, s[0:3], 0 offset:416
	s_waitcnt vmcnt(2)
	v_fmac_f64_e32 v[130:131], v[134:135], v[136:137]
	ds_read_b128 v[134:137], v132 offset:928
	s_waitcnt vmcnt(0) lgkmcnt(0)
	v_fmac_f64_e32 v[130:131], v[138:139], v[134:135]
	buffer_load_dword v135, off, s[0:3], 0 offset:428
	buffer_load_dword v134, off, s[0:3], 0 offset:424
	buffer_load_dword v139, off, s[0:3], 0 offset:436
	buffer_load_dword v138, off, s[0:3], 0 offset:432
	s_waitcnt vmcnt(2)
	v_fmac_f64_e32 v[130:131], v[134:135], v[136:137]
	ds_read_b128 v[134:137], v132 offset:944
	s_waitcnt vmcnt(0) lgkmcnt(0)
	v_fmac_f64_e32 v[130:131], v[138:139], v[134:135]
	buffer_load_dword v135, off, s[0:3], 0 offset:444
	buffer_load_dword v134, off, s[0:3], 0 offset:440
	buffer_load_dword v139, off, s[0:3], 0 offset:452
	buffer_load_dword v138, off, s[0:3], 0 offset:448
	s_waitcnt vmcnt(2)
	v_fmac_f64_e32 v[130:131], v[134:135], v[136:137]
	ds_read_b128 v[134:137], v132 offset:960
	s_waitcnt vmcnt(0) lgkmcnt(0)
	v_fmac_f64_e32 v[130:131], v[138:139], v[134:135]
	buffer_load_dword v135, off, s[0:3], 0 offset:460
	buffer_load_dword v134, off, s[0:3], 0 offset:456
	buffer_load_dword v139, off, s[0:3], 0 offset:468
	buffer_load_dword v138, off, s[0:3], 0 offset:464
	s_waitcnt vmcnt(2)
	v_fmac_f64_e32 v[130:131], v[134:135], v[136:137]
	ds_read_b128 v[134:137], v132 offset:976
	s_waitcnt vmcnt(0) lgkmcnt(0)
	v_fmac_f64_e32 v[130:131], v[138:139], v[134:135]
	buffer_load_dword v135, off, s[0:3], 0 offset:476
	buffer_load_dword v134, off, s[0:3], 0 offset:472
	buffer_load_dword v139, off, s[0:3], 0 offset:484
	buffer_load_dword v138, off, s[0:3], 0 offset:480
	s_waitcnt vmcnt(2)
	v_fmac_f64_e32 v[130:131], v[134:135], v[136:137]
	ds_read_b128 v[134:137], v132 offset:992
	s_waitcnt vmcnt(0) lgkmcnt(0)
	v_fmac_f64_e32 v[130:131], v[138:139], v[134:135]
	buffer_load_dword v135, off, s[0:3], 0 offset:492
	buffer_load_dword v134, off, s[0:3], 0 offset:488
	s_waitcnt vmcnt(0)
	v_fmac_f64_e32 v[130:131], v[134:135], v[136:137]
	buffer_load_dword v135, off, s[0:3], 0 offset:500
	buffer_load_dword v134, off, s[0:3], 0 offset:496
	ds_read_b64 v[136:137], v132 offset:1008
	s_waitcnt vmcnt(0) lgkmcnt(0)
	v_fmac_f64_e32 v[130:131], v[134:135], v[136:137]
	v_add_f64 v[128:129], v[128:129], -v[130:131]
	buffer_store_dword v129, off, s[0:3], 0 offset:60
	buffer_store_dword v128, off, s[0:3], 0 offset:56
	s_and_saveexec_b64 s[4:5], vcc
	s_cbranch_execz .LBB126_373
; %bb.372:
	buffer_load_dword v128, off, s[0:3], 0 offset:48
	buffer_load_dword v129, off, s[0:3], 0 offset:52
	s_waitcnt vmcnt(0)
	ds_write_b64 v1, v[128:129]
	buffer_store_dword v132, off, s[0:3], 0 offset:48
	buffer_store_dword v132, off, s[0:3], 0 offset:52
.LBB126_373:
	s_or_b64 exec, exec, s[4:5]
	s_waitcnt lgkmcnt(0)
	; wave barrier
	s_waitcnt lgkmcnt(0)
	buffer_load_dword v128, off, s[0:3], 0 offset:48
	buffer_load_dword v129, off, s[0:3], 0 offset:52
	;; [unrolled: 1-line block ×16, first 2 shown]
	ds_read2_b64 v[134:137], v132 offset0:71 offset1:72
	v_cmp_lt_u32_e32 vcc, 5, v0
	s_waitcnt vmcnt(12) lgkmcnt(0)
	v_fma_f64 v[130:131], v[130:131], v[134:135], 0
	s_waitcnt vmcnt(10)
	v_fmac_f64_e32 v[130:131], v[138:139], v[136:137]
	ds_read2_b64 v[134:137], v132 offset0:73 offset1:74
	s_waitcnt vmcnt(8) lgkmcnt(0)
	v_fmac_f64_e32 v[130:131], v[140:141], v[134:135]
	s_waitcnt vmcnt(6)
	v_fmac_f64_e32 v[130:131], v[142:143], v[136:137]
	ds_read2_b64 v[134:137], v132 offset0:75 offset1:76
	s_waitcnt vmcnt(4) lgkmcnt(0)
	v_fmac_f64_e32 v[130:131], v[144:145], v[134:135]
	;; [unrolled: 5-line block ×3, first 2 shown]
	buffer_load_dword v135, off, s[0:3], 0 offset:116
	buffer_load_dword v134, off, s[0:3], 0 offset:112
	buffer_load_dword v139, off, s[0:3], 0 offset:124
	buffer_load_dword v138, off, s[0:3], 0 offset:120
	s_waitcnt vmcnt(2)
	v_fmac_f64_e32 v[130:131], v[134:135], v[136:137]
	ds_read2_b64 v[134:137], v132 offset0:79 offset1:80
	s_waitcnt vmcnt(0) lgkmcnt(0)
	v_fmac_f64_e32 v[130:131], v[138:139], v[134:135]
	buffer_load_dword v135, off, s[0:3], 0 offset:132
	buffer_load_dword v134, off, s[0:3], 0 offset:128
	buffer_load_dword v139, off, s[0:3], 0 offset:140
	buffer_load_dword v138, off, s[0:3], 0 offset:136
	s_waitcnt vmcnt(2)
	v_fmac_f64_e32 v[130:131], v[134:135], v[136:137]
	ds_read2_b64 v[134:137], v132 offset0:81 offset1:82
	s_waitcnt vmcnt(0) lgkmcnt(0)
	v_fmac_f64_e32 v[130:131], v[138:139], v[134:135]
	;; [unrolled: 9-line block ×23, first 2 shown]
	buffer_load_dword v135, off, s[0:3], 0 offset:484
	buffer_load_dword v134, off, s[0:3], 0 offset:480
	s_waitcnt vmcnt(0)
	v_fmac_f64_e32 v[130:131], v[134:135], v[136:137]
	buffer_load_dword v137, off, s[0:3], 0 offset:492
	buffer_load_dword v136, off, s[0:3], 0 offset:488
	ds_read2_b64 v[132:135], v132 offset0:125 offset1:126
	s_waitcnt vmcnt(0) lgkmcnt(0)
	v_fmac_f64_e32 v[130:131], v[136:137], v[132:133]
	buffer_load_dword v133, off, s[0:3], 0 offset:500
	buffer_load_dword v132, off, s[0:3], 0 offset:496
	s_waitcnt vmcnt(0)
	v_fmac_f64_e32 v[130:131], v[132:133], v[134:135]
	v_add_f64 v[128:129], v[128:129], -v[130:131]
	buffer_store_dword v129, off, s[0:3], 0 offset:52
	buffer_store_dword v128, off, s[0:3], 0 offset:48
	s_and_saveexec_b64 s[4:5], vcc
	s_cbranch_execz .LBB126_375
; %bb.374:
	buffer_load_dword v128, off, s[0:3], 0 offset:40
	buffer_load_dword v129, off, s[0:3], 0 offset:44
	v_mov_b32_e32 v130, 0
	buffer_store_dword v130, off, s[0:3], 0 offset:40
	buffer_store_dword v130, off, s[0:3], 0 offset:44
	s_waitcnt vmcnt(2)
	ds_write_b64 v1, v[128:129]
.LBB126_375:
	s_or_b64 exec, exec, s[4:5]
	s_waitcnt lgkmcnt(0)
	; wave barrier
	s_waitcnt lgkmcnt(0)
	buffer_load_dword v128, off, s[0:3], 0 offset:40
	buffer_load_dword v129, off, s[0:3], 0 offset:44
	;; [unrolled: 1-line block ×16, first 2 shown]
	v_mov_b32_e32 v132, 0
	ds_read_b128 v[134:137], v132 offset:560
	v_cmp_lt_u32_e32 vcc, 4, v0
	s_waitcnt vmcnt(12) lgkmcnt(0)
	v_fma_f64 v[130:131], v[130:131], v[134:135], 0
	s_waitcnt vmcnt(10)
	v_fmac_f64_e32 v[130:131], v[138:139], v[136:137]
	ds_read_b128 v[134:137], v132 offset:576
	s_waitcnt vmcnt(8) lgkmcnt(0)
	v_fmac_f64_e32 v[130:131], v[140:141], v[134:135]
	s_waitcnt vmcnt(6)
	v_fmac_f64_e32 v[130:131], v[142:143], v[136:137]
	ds_read_b128 v[134:137], v132 offset:592
	s_waitcnt vmcnt(4) lgkmcnt(0)
	v_fmac_f64_e32 v[130:131], v[144:145], v[134:135]
	;; [unrolled: 5-line block ×3, first 2 shown]
	buffer_load_dword v135, off, s[0:3], 0 offset:108
	buffer_load_dword v134, off, s[0:3], 0 offset:104
	buffer_load_dword v139, off, s[0:3], 0 offset:116
	buffer_load_dword v138, off, s[0:3], 0 offset:112
	s_waitcnt vmcnt(2)
	v_fmac_f64_e32 v[130:131], v[134:135], v[136:137]
	ds_read_b128 v[134:137], v132 offset:624
	s_waitcnt vmcnt(0) lgkmcnt(0)
	v_fmac_f64_e32 v[130:131], v[138:139], v[134:135]
	buffer_load_dword v135, off, s[0:3], 0 offset:124
	buffer_load_dword v134, off, s[0:3], 0 offset:120
	buffer_load_dword v139, off, s[0:3], 0 offset:132
	buffer_load_dword v138, off, s[0:3], 0 offset:128
	s_waitcnt vmcnt(2)
	v_fmac_f64_e32 v[130:131], v[134:135], v[136:137]
	ds_read_b128 v[134:137], v132 offset:640
	s_waitcnt vmcnt(0) lgkmcnt(0)
	v_fmac_f64_e32 v[130:131], v[138:139], v[134:135]
	;; [unrolled: 9-line block ×24, first 2 shown]
	buffer_load_dword v135, off, s[0:3], 0 offset:492
	buffer_load_dword v134, off, s[0:3], 0 offset:488
	s_waitcnt vmcnt(0)
	v_fmac_f64_e32 v[130:131], v[134:135], v[136:137]
	buffer_load_dword v135, off, s[0:3], 0 offset:500
	buffer_load_dword v134, off, s[0:3], 0 offset:496
	ds_read_b64 v[136:137], v132 offset:1008
	s_waitcnt vmcnt(0) lgkmcnt(0)
	v_fmac_f64_e32 v[130:131], v[134:135], v[136:137]
	v_add_f64 v[128:129], v[128:129], -v[130:131]
	buffer_store_dword v129, off, s[0:3], 0 offset:44
	buffer_store_dword v128, off, s[0:3], 0 offset:40
	s_and_saveexec_b64 s[4:5], vcc
	s_cbranch_execz .LBB126_377
; %bb.376:
	buffer_load_dword v128, off, s[0:3], 0 offset:32
	buffer_load_dword v129, off, s[0:3], 0 offset:36
	s_waitcnt vmcnt(0)
	ds_write_b64 v1, v[128:129]
	buffer_store_dword v132, off, s[0:3], 0 offset:32
	buffer_store_dword v132, off, s[0:3], 0 offset:36
.LBB126_377:
	s_or_b64 exec, exec, s[4:5]
	s_waitcnt lgkmcnt(0)
	; wave barrier
	s_waitcnt lgkmcnt(0)
	buffer_load_dword v128, off, s[0:3], 0 offset:32
	buffer_load_dword v129, off, s[0:3], 0 offset:36
	;; [unrolled: 1-line block ×16, first 2 shown]
	ds_read2_b64 v[134:137], v132 offset0:69 offset1:70
	v_cmp_lt_u32_e32 vcc, 3, v0
	s_waitcnt vmcnt(12) lgkmcnt(0)
	v_fma_f64 v[130:131], v[130:131], v[134:135], 0
	s_waitcnt vmcnt(10)
	v_fmac_f64_e32 v[130:131], v[138:139], v[136:137]
	ds_read2_b64 v[134:137], v132 offset0:71 offset1:72
	s_waitcnt vmcnt(8) lgkmcnt(0)
	v_fmac_f64_e32 v[130:131], v[140:141], v[134:135]
	s_waitcnt vmcnt(6)
	v_fmac_f64_e32 v[130:131], v[142:143], v[136:137]
	ds_read2_b64 v[134:137], v132 offset0:73 offset1:74
	s_waitcnt vmcnt(4) lgkmcnt(0)
	v_fmac_f64_e32 v[130:131], v[144:145], v[134:135]
	;; [unrolled: 5-line block ×3, first 2 shown]
	buffer_load_dword v135, off, s[0:3], 0 offset:100
	buffer_load_dword v134, off, s[0:3], 0 offset:96
	buffer_load_dword v139, off, s[0:3], 0 offset:108
	buffer_load_dword v138, off, s[0:3], 0 offset:104
	s_waitcnt vmcnt(2)
	v_fmac_f64_e32 v[130:131], v[134:135], v[136:137]
	ds_read2_b64 v[134:137], v132 offset0:77 offset1:78
	s_waitcnt vmcnt(0) lgkmcnt(0)
	v_fmac_f64_e32 v[130:131], v[138:139], v[134:135]
	buffer_load_dword v135, off, s[0:3], 0 offset:116
	buffer_load_dword v134, off, s[0:3], 0 offset:112
	buffer_load_dword v139, off, s[0:3], 0 offset:124
	buffer_load_dword v138, off, s[0:3], 0 offset:120
	s_waitcnt vmcnt(2)
	v_fmac_f64_e32 v[130:131], v[134:135], v[136:137]
	ds_read2_b64 v[134:137], v132 offset0:79 offset1:80
	s_waitcnt vmcnt(0) lgkmcnt(0)
	v_fmac_f64_e32 v[130:131], v[138:139], v[134:135]
	;; [unrolled: 9-line block ×24, first 2 shown]
	buffer_load_dword v135, off, s[0:3], 0 offset:484
	buffer_load_dword v134, off, s[0:3], 0 offset:480
	s_waitcnt vmcnt(0)
	v_fmac_f64_e32 v[130:131], v[134:135], v[136:137]
	buffer_load_dword v137, off, s[0:3], 0 offset:492
	buffer_load_dword v136, off, s[0:3], 0 offset:488
	ds_read2_b64 v[132:135], v132 offset0:125 offset1:126
	s_waitcnt vmcnt(0) lgkmcnt(0)
	v_fmac_f64_e32 v[130:131], v[136:137], v[132:133]
	buffer_load_dword v133, off, s[0:3], 0 offset:500
	buffer_load_dword v132, off, s[0:3], 0 offset:496
	s_waitcnt vmcnt(0)
	v_fmac_f64_e32 v[130:131], v[132:133], v[134:135]
	v_add_f64 v[128:129], v[128:129], -v[130:131]
	buffer_store_dword v129, off, s[0:3], 0 offset:36
	buffer_store_dword v128, off, s[0:3], 0 offset:32
	s_and_saveexec_b64 s[4:5], vcc
	s_cbranch_execz .LBB126_379
; %bb.378:
	buffer_load_dword v128, off, s[0:3], 0 offset:24
	buffer_load_dword v129, off, s[0:3], 0 offset:28
	v_mov_b32_e32 v130, 0
	buffer_store_dword v130, off, s[0:3], 0 offset:24
	buffer_store_dword v130, off, s[0:3], 0 offset:28
	s_waitcnt vmcnt(2)
	ds_write_b64 v1, v[128:129]
.LBB126_379:
	s_or_b64 exec, exec, s[4:5]
	s_waitcnt lgkmcnt(0)
	; wave barrier
	s_waitcnt lgkmcnt(0)
	buffer_load_dword v128, off, s[0:3], 0 offset:24
	buffer_load_dword v129, off, s[0:3], 0 offset:28
	buffer_load_dword v130, off, s[0:3], 0 offset:32
	buffer_load_dword v131, off, s[0:3], 0 offset:36
	buffer_load_dword v138, off, s[0:3], 0 offset:40
	buffer_load_dword v139, off, s[0:3], 0 offset:44
	buffer_load_dword v140, off, s[0:3], 0 offset:48
	buffer_load_dword v141, off, s[0:3], 0 offset:52
	buffer_load_dword v142, off, s[0:3], 0 offset:56
	buffer_load_dword v143, off, s[0:3], 0 offset:60
	buffer_load_dword v144, off, s[0:3], 0 offset:64
	buffer_load_dword v145, off, s[0:3], 0 offset:68
	buffer_load_dword v146, off, s[0:3], 0 offset:72
	buffer_load_dword v147, off, s[0:3], 0 offset:76
	buffer_load_dword v148, off, s[0:3], 0 offset:80
	buffer_load_dword v149, off, s[0:3], 0 offset:84
	v_mov_b32_e32 v132, 0
	ds_read_b128 v[134:137], v132 offset:544
	v_cmp_lt_u32_e32 vcc, 2, v0
	s_waitcnt vmcnt(12) lgkmcnt(0)
	v_fma_f64 v[130:131], v[130:131], v[134:135], 0
	s_waitcnt vmcnt(10)
	v_fmac_f64_e32 v[130:131], v[138:139], v[136:137]
	ds_read_b128 v[134:137], v132 offset:560
	s_waitcnt vmcnt(8) lgkmcnt(0)
	v_fmac_f64_e32 v[130:131], v[140:141], v[134:135]
	s_waitcnt vmcnt(6)
	v_fmac_f64_e32 v[130:131], v[142:143], v[136:137]
	ds_read_b128 v[134:137], v132 offset:576
	s_waitcnt vmcnt(4) lgkmcnt(0)
	v_fmac_f64_e32 v[130:131], v[144:145], v[134:135]
	;; [unrolled: 5-line block ×3, first 2 shown]
	buffer_load_dword v135, off, s[0:3], 0 offset:92
	buffer_load_dword v134, off, s[0:3], 0 offset:88
	buffer_load_dword v139, off, s[0:3], 0 offset:100
	buffer_load_dword v138, off, s[0:3], 0 offset:96
	s_waitcnt vmcnt(2)
	v_fmac_f64_e32 v[130:131], v[134:135], v[136:137]
	ds_read_b128 v[134:137], v132 offset:608
	s_waitcnt vmcnt(0) lgkmcnt(0)
	v_fmac_f64_e32 v[130:131], v[138:139], v[134:135]
	buffer_load_dword v135, off, s[0:3], 0 offset:108
	buffer_load_dword v134, off, s[0:3], 0 offset:104
	buffer_load_dword v139, off, s[0:3], 0 offset:116
	buffer_load_dword v138, off, s[0:3], 0 offset:112
	s_waitcnt vmcnt(2)
	v_fmac_f64_e32 v[130:131], v[134:135], v[136:137]
	ds_read_b128 v[134:137], v132 offset:624
	s_waitcnt vmcnt(0) lgkmcnt(0)
	v_fmac_f64_e32 v[130:131], v[138:139], v[134:135]
	;; [unrolled: 9-line block ×25, first 2 shown]
	buffer_load_dword v135, off, s[0:3], 0 offset:492
	buffer_load_dword v134, off, s[0:3], 0 offset:488
	s_waitcnt vmcnt(0)
	v_fmac_f64_e32 v[130:131], v[134:135], v[136:137]
	buffer_load_dword v135, off, s[0:3], 0 offset:500
	buffer_load_dword v134, off, s[0:3], 0 offset:496
	ds_read_b64 v[136:137], v132 offset:1008
	s_waitcnt vmcnt(0) lgkmcnt(0)
	v_fmac_f64_e32 v[130:131], v[134:135], v[136:137]
	v_add_f64 v[128:129], v[128:129], -v[130:131]
	buffer_store_dword v129, off, s[0:3], 0 offset:28
	buffer_store_dword v128, off, s[0:3], 0 offset:24
	s_and_saveexec_b64 s[4:5], vcc
	s_cbranch_execz .LBB126_381
; %bb.380:
	buffer_load_dword v128, off, s[0:3], 0 offset:16
	buffer_load_dword v129, off, s[0:3], 0 offset:20
	s_waitcnt vmcnt(0)
	ds_write_b64 v1, v[128:129]
	buffer_store_dword v132, off, s[0:3], 0 offset:16
	buffer_store_dword v132, off, s[0:3], 0 offset:20
.LBB126_381:
	s_or_b64 exec, exec, s[4:5]
	s_waitcnt lgkmcnt(0)
	; wave barrier
	s_waitcnt lgkmcnt(0)
	buffer_load_dword v128, off, s[0:3], 0 offset:16
	buffer_load_dword v129, off, s[0:3], 0 offset:20
	;; [unrolled: 1-line block ×16, first 2 shown]
	ds_read2_b64 v[134:137], v132 offset0:67 offset1:68
	v_cmp_lt_u32_e32 vcc, 1, v0
	s_waitcnt vmcnt(12) lgkmcnt(0)
	v_fma_f64 v[130:131], v[130:131], v[134:135], 0
	s_waitcnt vmcnt(10)
	v_fmac_f64_e32 v[130:131], v[138:139], v[136:137]
	ds_read2_b64 v[134:137], v132 offset0:69 offset1:70
	s_waitcnt vmcnt(8) lgkmcnt(0)
	v_fmac_f64_e32 v[130:131], v[140:141], v[134:135]
	s_waitcnt vmcnt(6)
	v_fmac_f64_e32 v[130:131], v[142:143], v[136:137]
	ds_read2_b64 v[134:137], v132 offset0:71 offset1:72
	s_waitcnt vmcnt(4) lgkmcnt(0)
	v_fmac_f64_e32 v[130:131], v[144:145], v[134:135]
	;; [unrolled: 5-line block ×3, first 2 shown]
	buffer_load_dword v135, off, s[0:3], 0 offset:84
	buffer_load_dword v134, off, s[0:3], 0 offset:80
	buffer_load_dword v139, off, s[0:3], 0 offset:92
	buffer_load_dword v138, off, s[0:3], 0 offset:88
	s_waitcnt vmcnt(2)
	v_fmac_f64_e32 v[130:131], v[134:135], v[136:137]
	ds_read2_b64 v[134:137], v132 offset0:75 offset1:76
	s_waitcnt vmcnt(0) lgkmcnt(0)
	v_fmac_f64_e32 v[130:131], v[138:139], v[134:135]
	buffer_load_dword v135, off, s[0:3], 0 offset:100
	buffer_load_dword v134, off, s[0:3], 0 offset:96
	buffer_load_dword v139, off, s[0:3], 0 offset:108
	buffer_load_dword v138, off, s[0:3], 0 offset:104
	s_waitcnt vmcnt(2)
	v_fmac_f64_e32 v[130:131], v[134:135], v[136:137]
	ds_read2_b64 v[134:137], v132 offset0:77 offset1:78
	s_waitcnt vmcnt(0) lgkmcnt(0)
	v_fmac_f64_e32 v[130:131], v[138:139], v[134:135]
	buffer_load_dword v135, off, s[0:3], 0 offset:116
	buffer_load_dword v134, off, s[0:3], 0 offset:112
	buffer_load_dword v139, off, s[0:3], 0 offset:124
	buffer_load_dword v138, off, s[0:3], 0 offset:120
	s_waitcnt vmcnt(2)
	v_fmac_f64_e32 v[130:131], v[134:135], v[136:137]
	ds_read2_b64 v[134:137], v132 offset0:79 offset1:80
	s_waitcnt vmcnt(0) lgkmcnt(0)
	v_fmac_f64_e32 v[130:131], v[138:139], v[134:135]
	buffer_load_dword v135, off, s[0:3], 0 offset:132
	buffer_load_dword v134, off, s[0:3], 0 offset:128
	buffer_load_dword v139, off, s[0:3], 0 offset:140
	buffer_load_dword v138, off, s[0:3], 0 offset:136
	s_waitcnt vmcnt(2)
	v_fmac_f64_e32 v[130:131], v[134:135], v[136:137]
	ds_read2_b64 v[134:137], v132 offset0:81 offset1:82
	s_waitcnt vmcnt(0) lgkmcnt(0)
	v_fmac_f64_e32 v[130:131], v[138:139], v[134:135]
	buffer_load_dword v135, off, s[0:3], 0 offset:148
	buffer_load_dword v134, off, s[0:3], 0 offset:144
	buffer_load_dword v139, off, s[0:3], 0 offset:156
	buffer_load_dword v138, off, s[0:3], 0 offset:152
	s_waitcnt vmcnt(2)
	v_fmac_f64_e32 v[130:131], v[134:135], v[136:137]
	ds_read2_b64 v[134:137], v132 offset0:83 offset1:84
	s_waitcnt vmcnt(0) lgkmcnt(0)
	v_fmac_f64_e32 v[130:131], v[138:139], v[134:135]
	buffer_load_dword v135, off, s[0:3], 0 offset:164
	buffer_load_dword v134, off, s[0:3], 0 offset:160
	buffer_load_dword v139, off, s[0:3], 0 offset:172
	buffer_load_dword v138, off, s[0:3], 0 offset:168
	s_waitcnt vmcnt(2)
	v_fmac_f64_e32 v[130:131], v[134:135], v[136:137]
	ds_read2_b64 v[134:137], v132 offset0:85 offset1:86
	s_waitcnt vmcnt(0) lgkmcnt(0)
	v_fmac_f64_e32 v[130:131], v[138:139], v[134:135]
	buffer_load_dword v135, off, s[0:3], 0 offset:180
	buffer_load_dword v134, off, s[0:3], 0 offset:176
	buffer_load_dword v139, off, s[0:3], 0 offset:188
	buffer_load_dword v138, off, s[0:3], 0 offset:184
	s_waitcnt vmcnt(2)
	v_fmac_f64_e32 v[130:131], v[134:135], v[136:137]
	ds_read2_b64 v[134:137], v132 offset0:87 offset1:88
	s_waitcnt vmcnt(0) lgkmcnt(0)
	v_fmac_f64_e32 v[130:131], v[138:139], v[134:135]
	buffer_load_dword v135, off, s[0:3], 0 offset:196
	buffer_load_dword v134, off, s[0:3], 0 offset:192
	buffer_load_dword v139, off, s[0:3], 0 offset:204
	buffer_load_dword v138, off, s[0:3], 0 offset:200
	s_waitcnt vmcnt(2)
	v_fmac_f64_e32 v[130:131], v[134:135], v[136:137]
	ds_read2_b64 v[134:137], v132 offset0:89 offset1:90
	s_waitcnt vmcnt(0) lgkmcnt(0)
	v_fmac_f64_e32 v[130:131], v[138:139], v[134:135]
	buffer_load_dword v135, off, s[0:3], 0 offset:212
	buffer_load_dword v134, off, s[0:3], 0 offset:208
	buffer_load_dword v139, off, s[0:3], 0 offset:220
	buffer_load_dword v138, off, s[0:3], 0 offset:216
	s_waitcnt vmcnt(2)
	v_fmac_f64_e32 v[130:131], v[134:135], v[136:137]
	ds_read2_b64 v[134:137], v132 offset0:91 offset1:92
	s_waitcnt vmcnt(0) lgkmcnt(0)
	v_fmac_f64_e32 v[130:131], v[138:139], v[134:135]
	buffer_load_dword v135, off, s[0:3], 0 offset:228
	buffer_load_dword v134, off, s[0:3], 0 offset:224
	buffer_load_dword v139, off, s[0:3], 0 offset:236
	buffer_load_dword v138, off, s[0:3], 0 offset:232
	s_waitcnt vmcnt(2)
	v_fmac_f64_e32 v[130:131], v[134:135], v[136:137]
	ds_read2_b64 v[134:137], v132 offset0:93 offset1:94
	s_waitcnt vmcnt(0) lgkmcnt(0)
	v_fmac_f64_e32 v[130:131], v[138:139], v[134:135]
	buffer_load_dword v135, off, s[0:3], 0 offset:244
	buffer_load_dword v134, off, s[0:3], 0 offset:240
	buffer_load_dword v139, off, s[0:3], 0 offset:252
	buffer_load_dword v138, off, s[0:3], 0 offset:248
	s_waitcnt vmcnt(2)
	v_fmac_f64_e32 v[130:131], v[134:135], v[136:137]
	ds_read2_b64 v[134:137], v132 offset0:95 offset1:96
	s_waitcnt vmcnt(0) lgkmcnt(0)
	v_fmac_f64_e32 v[130:131], v[138:139], v[134:135]
	buffer_load_dword v135, off, s[0:3], 0 offset:260
	buffer_load_dword v134, off, s[0:3], 0 offset:256
	buffer_load_dword v139, off, s[0:3], 0 offset:268
	buffer_load_dword v138, off, s[0:3], 0 offset:264
	s_waitcnt vmcnt(2)
	v_fmac_f64_e32 v[130:131], v[134:135], v[136:137]
	ds_read2_b64 v[134:137], v132 offset0:97 offset1:98
	s_waitcnt vmcnt(0) lgkmcnt(0)
	v_fmac_f64_e32 v[130:131], v[138:139], v[134:135]
	buffer_load_dword v135, off, s[0:3], 0 offset:276
	buffer_load_dword v134, off, s[0:3], 0 offset:272
	buffer_load_dword v139, off, s[0:3], 0 offset:284
	buffer_load_dword v138, off, s[0:3], 0 offset:280
	s_waitcnt vmcnt(2)
	v_fmac_f64_e32 v[130:131], v[134:135], v[136:137]
	ds_read2_b64 v[134:137], v132 offset0:99 offset1:100
	s_waitcnt vmcnt(0) lgkmcnt(0)
	v_fmac_f64_e32 v[130:131], v[138:139], v[134:135]
	buffer_load_dword v135, off, s[0:3], 0 offset:292
	buffer_load_dword v134, off, s[0:3], 0 offset:288
	buffer_load_dword v139, off, s[0:3], 0 offset:300
	buffer_load_dword v138, off, s[0:3], 0 offset:296
	s_waitcnt vmcnt(2)
	v_fmac_f64_e32 v[130:131], v[134:135], v[136:137]
	ds_read2_b64 v[134:137], v132 offset0:101 offset1:102
	s_waitcnt vmcnt(0) lgkmcnt(0)
	v_fmac_f64_e32 v[130:131], v[138:139], v[134:135]
	buffer_load_dword v135, off, s[0:3], 0 offset:308
	buffer_load_dword v134, off, s[0:3], 0 offset:304
	buffer_load_dword v139, off, s[0:3], 0 offset:316
	buffer_load_dword v138, off, s[0:3], 0 offset:312
	s_waitcnt vmcnt(2)
	v_fmac_f64_e32 v[130:131], v[134:135], v[136:137]
	ds_read2_b64 v[134:137], v132 offset0:103 offset1:104
	s_waitcnt vmcnt(0) lgkmcnt(0)
	v_fmac_f64_e32 v[130:131], v[138:139], v[134:135]
	buffer_load_dword v135, off, s[0:3], 0 offset:324
	buffer_load_dword v134, off, s[0:3], 0 offset:320
	buffer_load_dword v139, off, s[0:3], 0 offset:332
	buffer_load_dword v138, off, s[0:3], 0 offset:328
	s_waitcnt vmcnt(2)
	v_fmac_f64_e32 v[130:131], v[134:135], v[136:137]
	ds_read2_b64 v[134:137], v132 offset0:105 offset1:106
	s_waitcnt vmcnt(0) lgkmcnt(0)
	v_fmac_f64_e32 v[130:131], v[138:139], v[134:135]
	buffer_load_dword v135, off, s[0:3], 0 offset:340
	buffer_load_dword v134, off, s[0:3], 0 offset:336
	buffer_load_dword v139, off, s[0:3], 0 offset:348
	buffer_load_dword v138, off, s[0:3], 0 offset:344
	s_waitcnt vmcnt(2)
	v_fmac_f64_e32 v[130:131], v[134:135], v[136:137]
	ds_read2_b64 v[134:137], v132 offset0:107 offset1:108
	s_waitcnt vmcnt(0) lgkmcnt(0)
	v_fmac_f64_e32 v[130:131], v[138:139], v[134:135]
	buffer_load_dword v135, off, s[0:3], 0 offset:356
	buffer_load_dword v134, off, s[0:3], 0 offset:352
	buffer_load_dword v139, off, s[0:3], 0 offset:364
	buffer_load_dword v138, off, s[0:3], 0 offset:360
	s_waitcnt vmcnt(2)
	v_fmac_f64_e32 v[130:131], v[134:135], v[136:137]
	ds_read2_b64 v[134:137], v132 offset0:109 offset1:110
	s_waitcnt vmcnt(0) lgkmcnt(0)
	v_fmac_f64_e32 v[130:131], v[138:139], v[134:135]
	buffer_load_dword v135, off, s[0:3], 0 offset:372
	buffer_load_dword v134, off, s[0:3], 0 offset:368
	buffer_load_dword v139, off, s[0:3], 0 offset:380
	buffer_load_dword v138, off, s[0:3], 0 offset:376
	s_waitcnt vmcnt(2)
	v_fmac_f64_e32 v[130:131], v[134:135], v[136:137]
	ds_read2_b64 v[134:137], v132 offset0:111 offset1:112
	s_waitcnt vmcnt(0) lgkmcnt(0)
	v_fmac_f64_e32 v[130:131], v[138:139], v[134:135]
	buffer_load_dword v135, off, s[0:3], 0 offset:388
	buffer_load_dword v134, off, s[0:3], 0 offset:384
	buffer_load_dword v139, off, s[0:3], 0 offset:396
	buffer_load_dword v138, off, s[0:3], 0 offset:392
	s_waitcnt vmcnt(2)
	v_fmac_f64_e32 v[130:131], v[134:135], v[136:137]
	ds_read2_b64 v[134:137], v132 offset0:113 offset1:114
	s_waitcnt vmcnt(0) lgkmcnt(0)
	v_fmac_f64_e32 v[130:131], v[138:139], v[134:135]
	buffer_load_dword v135, off, s[0:3], 0 offset:404
	buffer_load_dword v134, off, s[0:3], 0 offset:400
	buffer_load_dword v139, off, s[0:3], 0 offset:412
	buffer_load_dword v138, off, s[0:3], 0 offset:408
	s_waitcnt vmcnt(2)
	v_fmac_f64_e32 v[130:131], v[134:135], v[136:137]
	ds_read2_b64 v[134:137], v132 offset0:115 offset1:116
	s_waitcnt vmcnt(0) lgkmcnt(0)
	v_fmac_f64_e32 v[130:131], v[138:139], v[134:135]
	buffer_load_dword v135, off, s[0:3], 0 offset:420
	buffer_load_dword v134, off, s[0:3], 0 offset:416
	buffer_load_dword v139, off, s[0:3], 0 offset:428
	buffer_load_dword v138, off, s[0:3], 0 offset:424
	s_waitcnt vmcnt(2)
	v_fmac_f64_e32 v[130:131], v[134:135], v[136:137]
	ds_read2_b64 v[134:137], v132 offset0:117 offset1:118
	s_waitcnt vmcnt(0) lgkmcnt(0)
	v_fmac_f64_e32 v[130:131], v[138:139], v[134:135]
	buffer_load_dword v135, off, s[0:3], 0 offset:436
	buffer_load_dword v134, off, s[0:3], 0 offset:432
	buffer_load_dword v139, off, s[0:3], 0 offset:444
	buffer_load_dword v138, off, s[0:3], 0 offset:440
	s_waitcnt vmcnt(2)
	v_fmac_f64_e32 v[130:131], v[134:135], v[136:137]
	ds_read2_b64 v[134:137], v132 offset0:119 offset1:120
	s_waitcnt vmcnt(0) lgkmcnt(0)
	v_fmac_f64_e32 v[130:131], v[138:139], v[134:135]
	buffer_load_dword v135, off, s[0:3], 0 offset:452
	buffer_load_dword v134, off, s[0:3], 0 offset:448
	buffer_load_dword v139, off, s[0:3], 0 offset:460
	buffer_load_dword v138, off, s[0:3], 0 offset:456
	s_waitcnt vmcnt(2)
	v_fmac_f64_e32 v[130:131], v[134:135], v[136:137]
	ds_read2_b64 v[134:137], v132 offset0:121 offset1:122
	s_waitcnt vmcnt(0) lgkmcnt(0)
	v_fmac_f64_e32 v[130:131], v[138:139], v[134:135]
	buffer_load_dword v135, off, s[0:3], 0 offset:468
	buffer_load_dword v134, off, s[0:3], 0 offset:464
	buffer_load_dword v139, off, s[0:3], 0 offset:476
	buffer_load_dword v138, off, s[0:3], 0 offset:472
	s_waitcnt vmcnt(2)
	v_fmac_f64_e32 v[130:131], v[134:135], v[136:137]
	ds_read2_b64 v[134:137], v132 offset0:123 offset1:124
	s_waitcnt vmcnt(0) lgkmcnt(0)
	v_fmac_f64_e32 v[130:131], v[138:139], v[134:135]
	buffer_load_dword v135, off, s[0:3], 0 offset:484
	buffer_load_dword v134, off, s[0:3], 0 offset:480
	s_waitcnt vmcnt(0)
	v_fmac_f64_e32 v[130:131], v[134:135], v[136:137]
	buffer_load_dword v137, off, s[0:3], 0 offset:492
	buffer_load_dword v136, off, s[0:3], 0 offset:488
	ds_read2_b64 v[132:135], v132 offset0:125 offset1:126
	s_waitcnt vmcnt(0) lgkmcnt(0)
	v_fmac_f64_e32 v[130:131], v[136:137], v[132:133]
	buffer_load_dword v133, off, s[0:3], 0 offset:500
	buffer_load_dword v132, off, s[0:3], 0 offset:496
	s_waitcnt vmcnt(0)
	v_fmac_f64_e32 v[130:131], v[132:133], v[134:135]
	v_add_f64 v[128:129], v[128:129], -v[130:131]
	buffer_store_dword v129, off, s[0:3], 0 offset:20
	buffer_store_dword v128, off, s[0:3], 0 offset:16
	s_and_saveexec_b64 s[4:5], vcc
	s_cbranch_execz .LBB126_383
; %bb.382:
	buffer_load_dword v128, off, s[0:3], 0 offset:8
	buffer_load_dword v129, off, s[0:3], 0 offset:12
	v_mov_b32_e32 v130, 0
	buffer_store_dword v130, off, s[0:3], 0 offset:8
	buffer_store_dword v130, off, s[0:3], 0 offset:12
	s_waitcnt vmcnt(2)
	ds_write_b64 v1, v[128:129]
.LBB126_383:
	s_or_b64 exec, exec, s[4:5]
	s_waitcnt lgkmcnt(0)
	; wave barrier
	s_waitcnt lgkmcnt(0)
	buffer_load_dword v128, off, s[0:3], 0 offset:8
	buffer_load_dword v129, off, s[0:3], 0 offset:12
	;; [unrolled: 1-line block ×16, first 2 shown]
	v_mov_b32_e32 v132, 0
	ds_read_b128 v[134:137], v132 offset:528
	v_cmp_ne_u32_e32 vcc, 0, v0
	s_waitcnt vmcnt(12) lgkmcnt(0)
	v_fma_f64 v[130:131], v[130:131], v[134:135], 0
	s_waitcnt vmcnt(10)
	v_fmac_f64_e32 v[130:131], v[138:139], v[136:137]
	ds_read_b128 v[134:137], v132 offset:544
	s_waitcnt vmcnt(8) lgkmcnt(0)
	v_fmac_f64_e32 v[130:131], v[140:141], v[134:135]
	s_waitcnt vmcnt(6)
	v_fmac_f64_e32 v[130:131], v[142:143], v[136:137]
	ds_read_b128 v[134:137], v132 offset:560
	s_waitcnt vmcnt(4) lgkmcnt(0)
	v_fmac_f64_e32 v[130:131], v[144:145], v[134:135]
	;; [unrolled: 5-line block ×3, first 2 shown]
	buffer_load_dword v135, off, s[0:3], 0 offset:76
	buffer_load_dword v134, off, s[0:3], 0 offset:72
	buffer_load_dword v139, off, s[0:3], 0 offset:84
	buffer_load_dword v138, off, s[0:3], 0 offset:80
	s_waitcnt vmcnt(2)
	v_fmac_f64_e32 v[130:131], v[134:135], v[136:137]
	ds_read_b128 v[134:137], v132 offset:592
	s_waitcnt vmcnt(0) lgkmcnt(0)
	v_fmac_f64_e32 v[130:131], v[138:139], v[134:135]
	buffer_load_dword v135, off, s[0:3], 0 offset:92
	buffer_load_dword v134, off, s[0:3], 0 offset:88
	buffer_load_dword v139, off, s[0:3], 0 offset:100
	buffer_load_dword v138, off, s[0:3], 0 offset:96
	s_waitcnt vmcnt(2)
	v_fmac_f64_e32 v[130:131], v[134:135], v[136:137]
	ds_read_b128 v[134:137], v132 offset:608
	s_waitcnt vmcnt(0) lgkmcnt(0)
	v_fmac_f64_e32 v[130:131], v[138:139], v[134:135]
	;; [unrolled: 9-line block ×26, first 2 shown]
	buffer_load_dword v135, off, s[0:3], 0 offset:492
	buffer_load_dword v134, off, s[0:3], 0 offset:488
	s_waitcnt vmcnt(0)
	v_fmac_f64_e32 v[130:131], v[134:135], v[136:137]
	buffer_load_dword v135, off, s[0:3], 0 offset:500
	buffer_load_dword v134, off, s[0:3], 0 offset:496
	ds_read_b64 v[136:137], v132 offset:1008
	s_waitcnt vmcnt(0) lgkmcnt(0)
	v_fmac_f64_e32 v[130:131], v[134:135], v[136:137]
	v_add_f64 v[128:129], v[128:129], -v[130:131]
	buffer_store_dword v129, off, s[0:3], 0 offset:12
	buffer_store_dword v128, off, s[0:3], 0 offset:8
	s_and_saveexec_b64 s[4:5], vcc
	s_cbranch_execz .LBB126_385
; %bb.384:
	buffer_load_dword v128, off, s[0:3], 0
	buffer_load_dword v129, off, s[0:3], 0 offset:4
	s_waitcnt vmcnt(0)
	ds_write_b64 v1, v[128:129]
	buffer_store_dword v132, off, s[0:3], 0
	buffer_store_dword v132, off, s[0:3], 0 offset:4
.LBB126_385:
	s_or_b64 exec, exec, s[4:5]
	s_waitcnt lgkmcnt(0)
	; wave barrier
	s_waitcnt lgkmcnt(0)
	buffer_load_dword v0, off, s[0:3], 0
	buffer_load_dword v1, off, s[0:3], 0 offset:4
	buffer_load_dword v134, off, s[0:3], 0 offset:8
	;; [unrolled: 1-line block ×15, first 2 shown]
	ds_read2_b64 v[128:131], v132 offset0:65 offset1:66
	s_and_b64 vcc, exec, s[16:17]
	s_waitcnt vmcnt(12) lgkmcnt(0)
	v_fma_f64 v[128:129], v[134:135], v[128:129], 0
	s_waitcnt vmcnt(10)
	v_fmac_f64_e32 v[128:129], v[136:137], v[130:131]
	ds_read2_b64 v[134:137], v132 offset0:67 offset1:68
	s_waitcnt vmcnt(8) lgkmcnt(0)
	v_fmac_f64_e32 v[128:129], v[138:139], v[134:135]
	s_waitcnt vmcnt(6)
	v_fmac_f64_e32 v[128:129], v[140:141], v[136:137]
	ds_read2_b64 v[134:137], v132 offset0:69 offset1:70
	s_waitcnt vmcnt(4) lgkmcnt(0)
	v_fmac_f64_e32 v[128:129], v[142:143], v[134:135]
	s_waitcnt vmcnt(2)
	v_fmac_f64_e32 v[128:129], v[144:145], v[136:137]
	ds_read2_b64 v[134:137], v132 offset0:71 offset1:72
	buffer_load_dword v131, off, s[0:3], 0 offset:68
	buffer_load_dword v130, off, s[0:3], 0 offset:64
	s_waitcnt vmcnt(2) lgkmcnt(0)
	v_fmac_f64_e32 v[128:129], v[146:147], v[134:135]
	s_waitcnt vmcnt(0)
	v_fmac_f64_e32 v[128:129], v[130:131], v[136:137]
	buffer_load_dword v131, off, s[0:3], 0 offset:76
	buffer_load_dword v130, off, s[0:3], 0 offset:72
	ds_read2_b64 v[134:137], v132 offset0:73 offset1:74
	s_waitcnt vmcnt(0) lgkmcnt(0)
	v_fmac_f64_e32 v[128:129], v[130:131], v[134:135]
	buffer_load_dword v131, off, s[0:3], 0 offset:84
	buffer_load_dword v130, off, s[0:3], 0 offset:80
	s_waitcnt vmcnt(0)
	v_fmac_f64_e32 v[128:129], v[130:131], v[136:137]
	buffer_load_dword v131, off, s[0:3], 0 offset:92
	buffer_load_dword v130, off, s[0:3], 0 offset:88
	ds_read2_b64 v[134:137], v132 offset0:75 offset1:76
	s_waitcnt vmcnt(0) lgkmcnt(0)
	v_fmac_f64_e32 v[128:129], v[130:131], v[134:135]
	buffer_load_dword v131, off, s[0:3], 0 offset:100
	buffer_load_dword v130, off, s[0:3], 0 offset:96
	;; [unrolled: 9-line block ×27, first 2 shown]
	s_waitcnt vmcnt(0)
	v_fmac_f64_e32 v[128:129], v[132:133], v[134:135]
	v_add_f64 v[0:1], v[0:1], -v[128:129]
	buffer_store_dword v1, off, s[0:3], 0 offset:4
	buffer_store_dword v0, off, s[0:3], 0
	s_cbranch_vccz .LBB126_511
; %bb.386:
	v_pk_mov_b32 v[0:1], s[10:11], s[10:11] op_sel:[0,1]
	flat_load_dword v0, v[0:1] offset:244
	s_waitcnt vmcnt(0) lgkmcnt(0)
	v_add_u32_e32 v0, -1, v0
	v_cmp_ne_u32_e32 vcc, 61, v0
	s_and_saveexec_b64 s[4:5], vcc
	s_cbranch_execz .LBB126_388
; %bb.387:
	v_mov_b32_e32 v1, 0
	v_lshl_add_u32 v0, v0, 3, v1
	buffer_load_dword v1, v0, s[0:3], 0 offen
	buffer_load_dword v128, v0, s[0:3], 0 offen offset:4
	s_waitcnt vmcnt(1)
	buffer_store_dword v1, off, s[0:3], 0 offset:488
	s_waitcnt vmcnt(1)
	buffer_store_dword v128, off, s[0:3], 0 offset:492
	buffer_store_dword v130, v0, s[0:3], 0 offen
	buffer_store_dword v131, v0, s[0:3], 0 offen offset:4
.LBB126_388:
	s_or_b64 exec, exec, s[4:5]
	v_pk_mov_b32 v[0:1], s[10:11], s[10:11] op_sel:[0,1]
	flat_load_dword v0, v[0:1] offset:240
	s_waitcnt vmcnt(0) lgkmcnt(0)
	v_add_u32_e32 v0, -1, v0
	v_cmp_ne_u32_e32 vcc, 60, v0
	s_and_saveexec_b64 s[4:5], vcc
	s_cbranch_execz .LBB126_390
; %bb.389:
	v_mov_b32_e32 v1, 0
	v_lshl_add_u32 v0, v0, 3, v1
	buffer_load_dword v1, v0, s[0:3], 0 offen
	buffer_load_dword v128, v0, s[0:3], 0 offen offset:4
	buffer_load_dword v129, off, s[0:3], 0 offset:484
	buffer_load_dword v130, off, s[0:3], 0 offset:480
	s_waitcnt vmcnt(3)
	buffer_store_dword v1, off, s[0:3], 0 offset:480
	s_waitcnt vmcnt(3)
	buffer_store_dword v128, off, s[0:3], 0 offset:484
	s_waitcnt vmcnt(3)
	buffer_store_dword v129, v0, s[0:3], 0 offen offset:4
	s_waitcnt vmcnt(3)
	buffer_store_dword v130, v0, s[0:3], 0 offen
.LBB126_390:
	s_or_b64 exec, exec, s[4:5]
	v_pk_mov_b32 v[0:1], s[10:11], s[10:11] op_sel:[0,1]
	flat_load_dword v0, v[0:1] offset:236
	s_waitcnt vmcnt(0) lgkmcnt(0)
	v_add_u32_e32 v0, -1, v0
	v_cmp_ne_u32_e32 vcc, 59, v0
	s_and_saveexec_b64 s[4:5], vcc
	s_cbranch_execz .LBB126_392
; %bb.391:
	v_mov_b32_e32 v1, 0
	v_lshl_add_u32 v0, v0, 3, v1
	buffer_load_dword v1, v0, s[0:3], 0 offen
	buffer_load_dword v128, v0, s[0:3], 0 offen offset:4
	buffer_load_dword v129, off, s[0:3], 0 offset:472
	buffer_load_dword v130, off, s[0:3], 0 offset:476
	s_waitcnt vmcnt(3)
	buffer_store_dword v1, off, s[0:3], 0 offset:472
	s_waitcnt vmcnt(3)
	buffer_store_dword v128, off, s[0:3], 0 offset:476
	s_waitcnt vmcnt(3)
	buffer_store_dword v129, v0, s[0:3], 0 offen
	s_waitcnt vmcnt(3)
	buffer_store_dword v130, v0, s[0:3], 0 offen offset:4
.LBB126_392:
	s_or_b64 exec, exec, s[4:5]
	v_pk_mov_b32 v[0:1], s[10:11], s[10:11] op_sel:[0,1]
	flat_load_dword v0, v[0:1] offset:232
	s_waitcnt vmcnt(0) lgkmcnt(0)
	v_add_u32_e32 v0, -1, v0
	v_cmp_ne_u32_e32 vcc, 58, v0
	s_and_saveexec_b64 s[4:5], vcc
	s_cbranch_execz .LBB126_394
; %bb.393:
	v_mov_b32_e32 v1, 0
	v_lshl_add_u32 v0, v0, 3, v1
	buffer_load_dword v1, v0, s[0:3], 0 offen
	buffer_load_dword v128, v0, s[0:3], 0 offen offset:4
	buffer_load_dword v129, off, s[0:3], 0 offset:468
	buffer_load_dword v130, off, s[0:3], 0 offset:464
	s_waitcnt vmcnt(3)
	buffer_store_dword v1, off, s[0:3], 0 offset:464
	s_waitcnt vmcnt(3)
	buffer_store_dword v128, off, s[0:3], 0 offset:468
	s_waitcnt vmcnt(3)
	buffer_store_dword v129, v0, s[0:3], 0 offen offset:4
	s_waitcnt vmcnt(3)
	buffer_store_dword v130, v0, s[0:3], 0 offen
.LBB126_394:
	s_or_b64 exec, exec, s[4:5]
	v_pk_mov_b32 v[0:1], s[10:11], s[10:11] op_sel:[0,1]
	flat_load_dword v0, v[0:1] offset:228
	s_waitcnt vmcnt(0) lgkmcnt(0)
	v_add_u32_e32 v0, -1, v0
	v_cmp_ne_u32_e32 vcc, 57, v0
	s_and_saveexec_b64 s[4:5], vcc
	s_cbranch_execz .LBB126_396
; %bb.395:
	v_mov_b32_e32 v1, 0
	v_lshl_add_u32 v0, v0, 3, v1
	buffer_load_dword v1, v0, s[0:3], 0 offen
	buffer_load_dword v128, v0, s[0:3], 0 offen offset:4
	buffer_load_dword v129, off, s[0:3], 0 offset:456
	buffer_load_dword v130, off, s[0:3], 0 offset:460
	s_waitcnt vmcnt(3)
	buffer_store_dword v1, off, s[0:3], 0 offset:456
	s_waitcnt vmcnt(3)
	buffer_store_dword v128, off, s[0:3], 0 offset:460
	s_waitcnt vmcnt(3)
	buffer_store_dword v129, v0, s[0:3], 0 offen
	s_waitcnt vmcnt(3)
	buffer_store_dword v130, v0, s[0:3], 0 offen offset:4
.LBB126_396:
	;; [unrolled: 48-line block ×30, first 2 shown]
	s_or_b64 exec, exec, s[4:5]
	v_pk_mov_b32 v[0:1], s[10:11], s[10:11] op_sel:[0,1]
	flat_load_dword v128, v[0:1]
	s_nop 0
	buffer_load_dword v0, off, s[0:3], 0
	buffer_load_dword v1, off, s[0:3], 0 offset:4
	s_waitcnt vmcnt(0) lgkmcnt(0)
	v_add_u32_e32 v128, -1, v128
	v_cmp_ne_u32_e32 vcc, 0, v128
	s_and_saveexec_b64 s[4:5], vcc
	s_cbranch_execz .LBB126_510
; %bb.509:
	v_mov_b32_e32 v129, 0
	v_lshl_add_u32 v128, v128, 3, v129
	buffer_load_dword v129, v128, s[0:3], 0 offen offset:4
	buffer_load_dword v130, v128, s[0:3], 0 offen
	s_waitcnt vmcnt(1)
	buffer_store_dword v129, off, s[0:3], 0 offset:4
	s_waitcnt vmcnt(1)
	buffer_store_dword v130, off, s[0:3], 0
	buffer_store_dword v1, v128, s[0:3], 0 offen offset:4
	buffer_store_dword v0, v128, s[0:3], 0 offen
	buffer_load_dword v0, off, s[0:3], 0
	s_nop 0
	buffer_load_dword v1, off, s[0:3], 0 offset:4
.LBB126_510:
	s_or_b64 exec, exec, s[4:5]
.LBB126_511:
	s_waitcnt vmcnt(0)
	global_store_dwordx2 v[126:127], v[0:1], off
	buffer_load_dword v0, off, s[0:3], 0 offset:8
	s_nop 0
	buffer_load_dword v1, off, s[0:3], 0 offset:12
	buffer_load_dword v126, off, s[0:3], 0 offset:16
	;; [unrolled: 1-line block ×15, first 2 shown]
	s_waitcnt vmcnt(14)
	global_store_dwordx2 v[124:125], v[0:1], off
	s_waitcnt vmcnt(13)
	global_store_dwordx2 v[2:3], v[126:127], off
	;; [unrolled: 2-line block ×8, first 2 shown]
	buffer_load_dword v0, off, s[0:3], 0 offset:72
	buffer_load_dword v1, off, s[0:3], 0 offset:76
	s_waitcnt vmcnt(0)
	global_store_dwordx2 v[14:15], v[0:1], off
	buffer_load_dword v0, off, s[0:3], 0 offset:80
	s_nop 0
	buffer_load_dword v1, off, s[0:3], 0 offset:84
	s_waitcnt vmcnt(0)
	global_store_dwordx2 v[16:17], v[0:1], off
	buffer_load_dword v0, off, s[0:3], 0 offset:88
	s_nop 0
	;; [unrolled: 5-line block ×53, first 2 shown]
	buffer_load_dword v1, off, s[0:3], 0 offset:500
	s_waitcnt vmcnt(0)
	global_store_dwordx2 v[108:109], v[0:1], off
	s_endpgm
	.section	.rodata,"a",@progbits
	.p2align	6, 0x0
	.amdhsa_kernel _ZN9rocsolver6v33100L18getri_kernel_smallILi63EdPKPdEEvT1_iilPiilS6_bb
		.amdhsa_group_segment_fixed_size 1016
		.amdhsa_private_segment_fixed_size 512
		.amdhsa_kernarg_size 60
		.amdhsa_user_sgpr_count 8
		.amdhsa_user_sgpr_private_segment_buffer 1
		.amdhsa_user_sgpr_dispatch_ptr 0
		.amdhsa_user_sgpr_queue_ptr 0
		.amdhsa_user_sgpr_kernarg_segment_ptr 1
		.amdhsa_user_sgpr_dispatch_id 0
		.amdhsa_user_sgpr_flat_scratch_init 1
		.amdhsa_user_sgpr_kernarg_preload_length 0
		.amdhsa_user_sgpr_kernarg_preload_offset 0
		.amdhsa_user_sgpr_private_segment_size 0
		.amdhsa_uses_dynamic_stack 0
		.amdhsa_system_sgpr_private_segment_wavefront_offset 1
		.amdhsa_system_sgpr_workgroup_id_x 1
		.amdhsa_system_sgpr_workgroup_id_y 0
		.amdhsa_system_sgpr_workgroup_id_z 0
		.amdhsa_system_sgpr_workgroup_info 0
		.amdhsa_system_vgpr_workitem_id 0
		.amdhsa_next_free_vgpr 164
		.amdhsa_next_free_sgpr 22
		.amdhsa_accum_offset 164
		.amdhsa_reserve_vcc 1
		.amdhsa_reserve_flat_scratch 1
		.amdhsa_float_round_mode_32 0
		.amdhsa_float_round_mode_16_64 0
		.amdhsa_float_denorm_mode_32 3
		.amdhsa_float_denorm_mode_16_64 3
		.amdhsa_dx10_clamp 1
		.amdhsa_ieee_mode 1
		.amdhsa_fp16_overflow 0
		.amdhsa_tg_split 0
		.amdhsa_exception_fp_ieee_invalid_op 0
		.amdhsa_exception_fp_denorm_src 0
		.amdhsa_exception_fp_ieee_div_zero 0
		.amdhsa_exception_fp_ieee_overflow 0
		.amdhsa_exception_fp_ieee_underflow 0
		.amdhsa_exception_fp_ieee_inexact 0
		.amdhsa_exception_int_div_zero 0
	.end_amdhsa_kernel
	.section	.text._ZN9rocsolver6v33100L18getri_kernel_smallILi63EdPKPdEEvT1_iilPiilS6_bb,"axG",@progbits,_ZN9rocsolver6v33100L18getri_kernel_smallILi63EdPKPdEEvT1_iilPiilS6_bb,comdat
.Lfunc_end126:
	.size	_ZN9rocsolver6v33100L18getri_kernel_smallILi63EdPKPdEEvT1_iilPiilS6_bb, .Lfunc_end126-_ZN9rocsolver6v33100L18getri_kernel_smallILi63EdPKPdEEvT1_iilPiilS6_bb
                                        ; -- End function
	.section	.AMDGPU.csdata,"",@progbits
; Kernel info:
; codeLenInByte = 87720
; NumSgprs: 28
; NumVgprs: 164
; NumAgprs: 0
; TotalNumVgprs: 164
; ScratchSize: 512
; MemoryBound: 1
; FloatMode: 240
; IeeeMode: 1
; LDSByteSize: 1016 bytes/workgroup (compile time only)
; SGPRBlocks: 3
; VGPRBlocks: 20
; NumSGPRsForWavesPerEU: 28
; NumVGPRsForWavesPerEU: 164
; AccumOffset: 164
; Occupancy: 3
; WaveLimiterHint : 1
; COMPUTE_PGM_RSRC2:SCRATCH_EN: 1
; COMPUTE_PGM_RSRC2:USER_SGPR: 8
; COMPUTE_PGM_RSRC2:TRAP_HANDLER: 0
; COMPUTE_PGM_RSRC2:TGID_X_EN: 1
; COMPUTE_PGM_RSRC2:TGID_Y_EN: 0
; COMPUTE_PGM_RSRC2:TGID_Z_EN: 0
; COMPUTE_PGM_RSRC2:TIDIG_COMP_CNT: 0
; COMPUTE_PGM_RSRC3_GFX90A:ACCUM_OFFSET: 40
; COMPUTE_PGM_RSRC3_GFX90A:TG_SPLIT: 0
	.section	.text._ZN9rocsolver6v33100L18getri_kernel_smallILi64EdPKPdEEvT1_iilPiilS6_bb,"axG",@progbits,_ZN9rocsolver6v33100L18getri_kernel_smallILi64EdPKPdEEvT1_iilPiilS6_bb,comdat
	.globl	_ZN9rocsolver6v33100L18getri_kernel_smallILi64EdPKPdEEvT1_iilPiilS6_bb ; -- Begin function _ZN9rocsolver6v33100L18getri_kernel_smallILi64EdPKPdEEvT1_iilPiilS6_bb
	.p2align	8
	.type	_ZN9rocsolver6v33100L18getri_kernel_smallILi64EdPKPdEEvT1_iilPiilS6_bb,@function
_ZN9rocsolver6v33100L18getri_kernel_smallILi64EdPKPdEEvT1_iilPiilS6_bb: ; @_ZN9rocsolver6v33100L18getri_kernel_smallILi64EdPKPdEEvT1_iilPiilS6_bb
; %bb.0:
	s_add_u32 flat_scratch_lo, s6, s9
	s_addc_u32 flat_scratch_hi, s7, 0
	s_add_u32 s0, s0, s9
	s_addc_u32 s1, s1, 0
	v_cmp_gt_u32_e32 vcc, 64, v0
	s_and_saveexec_b64 s[6:7], vcc
	s_cbranch_execz .LBB127_264
; %bb.1:
	s_load_dword s18, s[4:5], 0x38
	s_load_dwordx2 s[6:7], s[4:5], 0x0
	s_load_dwordx4 s[12:15], s[4:5], 0x28
	s_waitcnt lgkmcnt(0)
	s_bitcmp1_b32 s18, 8
	s_cselect_b64 s[16:17], -1, 0
	s_ashr_i32 s9, s8, 31
	s_lshl_b64 s[10:11], s[8:9], 3
	s_add_u32 s6, s6, s10
	s_addc_u32 s7, s7, s11
	s_load_dwordx2 s[6:7], s[6:7], 0x0
	s_bfe_u32 s10, s18, 0x10008
	s_cmp_eq_u32 s10, 0
                                        ; implicit-def: $sgpr10_sgpr11
	s_cbranch_scc1 .LBB127_3
; %bb.2:
	s_load_dword s10, s[4:5], 0x20
	s_load_dwordx2 s[20:21], s[4:5], 0x18
	s_mul_i32 s11, s8, s13
	s_mul_hi_u32 s13, s8, s12
	s_add_i32 s13, s13, s11
	s_mul_i32 s19, s9, s12
	s_add_i32 s13, s13, s19
	s_mul_i32 s12, s8, s12
	s_waitcnt lgkmcnt(0)
	s_ashr_i32 s11, s10, 31
	s_lshl_b64 s[12:13], s[12:13], 2
	s_add_u32 s12, s20, s12
	s_addc_u32 s13, s21, s13
	s_lshl_b64 s[10:11], s[10:11], 2
	s_add_u32 s10, s12, s10
	s_addc_u32 s11, s13, s11
.LBB127_3:
	s_load_dwordx2 s[4:5], s[4:5], 0x8
	s_waitcnt lgkmcnt(0)
	s_ashr_i32 s13, s4, 31
	s_mov_b32 s12, s4
	s_lshl_b64 s[12:13], s[12:13], 3
	s_add_u32 s6, s6, s12
	s_addc_u32 s7, s7, s13
	s_add_i32 s4, s5, s5
	v_add_u32_e32 v4, s4, v0
	v_ashrrev_i32_e32 v5, 31, v4
	v_lshlrev_b64 v[2:3], 3, v[4:5]
	v_add_u32_e32 v6, s5, v4
	v_mov_b32_e32 v1, s7
	v_add_co_u32_e32 v2, vcc, s6, v2
	v_ashrrev_i32_e32 v7, 31, v6
	v_addc_co_u32_e32 v3, vcc, v1, v3, vcc
	v_lshlrev_b64 v[4:5], 3, v[6:7]
	v_add_u32_e32 v8, s5, v6
	v_add_co_u32_e32 v4, vcc, s6, v4
	v_ashrrev_i32_e32 v9, 31, v8
	v_addc_co_u32_e32 v5, vcc, v1, v5, vcc
	v_lshlrev_b64 v[6:7], 3, v[8:9]
	v_add_u32_e32 v10, s5, v8
	;; [unrolled: 5-line block ×5, first 2 shown]
	v_add_co_u32_e32 v12, vcc, s6, v12
	v_ashrrev_i32_e32 v15, 31, v14
	v_addc_co_u32_e32 v13, vcc, v1, v13, vcc
	v_lshlrev_b64 v[16:17], 3, v[14:15]
	v_add_co_u32_e32 v18, vcc, s6, v16
	v_add_u32_e32 v16, s5, v14
	v_addc_co_u32_e32 v19, vcc, v1, v17, vcc
	v_ashrrev_i32_e32 v17, 31, v16
	v_lshlrev_b64 v[14:15], 3, v[16:17]
	v_add_u32_e32 v20, s5, v16
	v_add_co_u32_e32 v14, vcc, s6, v14
	v_ashrrev_i32_e32 v21, 31, v20
	v_addc_co_u32_e32 v15, vcc, v1, v15, vcc
	v_lshlrev_b64 v[16:17], 3, v[20:21]
	v_add_u32_e32 v22, s5, v20
	v_add_co_u32_e32 v16, vcc, s6, v16
	v_ashrrev_i32_e32 v23, 31, v22
	v_addc_co_u32_e32 v17, vcc, v1, v17, vcc
	;; [unrolled: 5-line block ×46, first 2 shown]
	v_lshlrev_b64 v[108:109], 3, v[110:111]
	v_add_co_u32_e32 v108, vcc, s6, v108
	v_addc_co_u32_e32 v109, vcc, v1, v109, vcc
	v_lshlrev_b32_e32 v1, 3, v0
	v_mov_b32_e32 v111, s7
	v_add_co_u32_e32 v128, vcc, s6, v1
	s_ashr_i32 s13, s5, 31
	s_mov_b32 s12, s5
	v_addc_co_u32_e32 v129, vcc, 0, v111, vcc
	s_lshl_b64 s[12:13], s[12:13], 3
	global_load_dwordx2 v[132:133], v1, s[6:7]
	global_load_dwordx2 v[136:137], v[2:3], off
	global_load_dwordx2 v[138:139], v[4:5], off
	;; [unrolled: 1-line block ×3, first 2 shown]
	v_mov_b32_e32 v111, s13
	v_add_co_u32_e32 v126, vcc, s12, v128
	v_addc_co_u32_e32 v127, vcc, v129, v111, vcc
	global_load_dwordx2 v[134:135], v[126:127], off
	global_load_dwordx2 v[142:143], v[8:9], off
	;; [unrolled: 1-line block ×11, first 2 shown]
	v_add_u32_e32 v110, s5, v110
	v_ashrrev_i32_e32 v111, 31, v110
	v_lshlrev_b64 v[112:113], 3, v[110:111]
	v_add_u32_e32 v110, s5, v110
	v_mov_b32_e32 v114, s7
	v_add_co_u32_e32 v112, vcc, s6, v112
	v_ashrrev_i32_e32 v111, 31, v110
	v_addc_co_u32_e32 v113, vcc, v114, v113, vcc
	v_lshlrev_b64 v[114:115], 3, v[110:111]
	v_add_u32_e32 v110, s5, v110
	v_mov_b32_e32 v116, s7
	v_add_co_u32_e32 v114, vcc, s6, v114
	v_ashrrev_i32_e32 v111, 31, v110
	v_addc_co_u32_e32 v115, vcc, v116, v115, vcc
	;; [unrolled: 6-line block ×7, first 2 shown]
	v_lshlrev_b64 v[110:111], 3, v[110:111]
	v_add_co_u32_e32 v110, vcc, s6, v110
	v_addc_co_u32_e32 v111, vcc, v130, v111, vcc
	global_load_dwordx2 v[130:131], v[110:111], off
	s_waitcnt vmcnt(15)
	buffer_store_dword v133, off, s[0:3], 0 offset:4
	buffer_store_dword v132, off, s[0:3], 0
	s_waitcnt vmcnt(13)
	buffer_store_dword v135, off, s[0:3], 0 offset:12
	buffer_store_dword v134, off, s[0:3], 0 offset:8
	global_load_dwordx2 v[132:133], v[28:29], off
	s_nop 0
	global_load_dwordx2 v[134:135], v[30:31], off
	global_load_dwordx2 v[162:163], v[34:35], off
	s_bitcmp0_b32 s18, 0
	buffer_store_dword v137, off, s[0:3], 0 offset:20
	buffer_store_dword v136, off, s[0:3], 0 offset:16
	global_load_dwordx2 v[136:137], v[32:33], off
	s_mov_b64 s[6:7], -1
	buffer_store_dword v139, off, s[0:3], 0 offset:28
	buffer_store_dword v138, off, s[0:3], 0 offset:24
	global_load_dwordx2 v[138:139], v[36:37], off
	s_nop 0
	buffer_store_dword v141, off, s[0:3], 0 offset:36
	buffer_store_dword v140, off, s[0:3], 0 offset:32
	global_load_dwordx2 v[140:141], v[38:39], off
	s_waitcnt vmcnt(26)
	buffer_store_dword v143, off, s[0:3], 0 offset:44
	buffer_store_dword v142, off, s[0:3], 0 offset:40
	global_load_dwordx2 v[142:143], v[40:41], off
	s_waitcnt vmcnt(28)
	;; [unrolled: 4-line block ×4, first 2 shown]
	buffer_store_dword v149, off, s[0:3], 0 offset:68
	buffer_store_dword v148, off, s[0:3], 0 offset:64
	global_load_dwordx2 v[148:149], v[46:47], off
	s_nop 0
	buffer_store_dword v150, off, s[0:3], 0 offset:72
	buffer_store_dword v151, off, s[0:3], 0 offset:76
	global_load_dwordx2 v[150:151], v[48:49], off
	s_waitcnt vmcnt(36)
	buffer_store_dword v152, off, s[0:3], 0 offset:80
	buffer_store_dword v153, off, s[0:3], 0 offset:84
	global_load_dwordx2 v[152:153], v[50:51], off
	s_waitcnt vmcnt(38)
	;; [unrolled: 4-line block ×6, first 2 shown]
	buffer_store_dword v132, off, s[0:3], 0 offset:120
	buffer_store_dword v133, off, s[0:3], 0 offset:124
	s_waitcnt vmcnt(42)
	buffer_store_dword v134, off, s[0:3], 0 offset:128
	buffer_store_dword v135, off, s[0:3], 0 offset:132
	s_waitcnt vmcnt(40)
	buffer_store_dword v136, off, s[0:3], 0 offset:136
	buffer_store_dword v137, off, s[0:3], 0 offset:140
	;; [unrolled: 1-line block ×4, first 2 shown]
	s_waitcnt vmcnt(41)
	buffer_store_dword v139, off, s[0:3], 0 offset:156
	buffer_store_dword v138, off, s[0:3], 0 offset:152
	global_load_dwordx2 v[132:133], v[60:61], off
	global_load_dwordx2 v[134:135], v[62:63], off
	;; [unrolled: 1-line block ×3, first 2 shown]
	s_nop 0
	global_load_dwordx2 v[138:139], v[66:67], off
	global_load_dwordx2 v[162:163], v[74:75], off
	s_waitcnt vmcnt(45)
	buffer_store_dword v141, off, s[0:3], 0 offset:164
	buffer_store_dword v140, off, s[0:3], 0 offset:160
	global_load_dwordx2 v[140:141], v[68:69], off
	s_waitcnt vmcnt(45)
	buffer_store_dword v142, off, s[0:3], 0 offset:168
	buffer_store_dword v143, off, s[0:3], 0 offset:172
	;; [unrolled: 4-line block ×12, first 2 shown]
	s_waitcnt vmcnt(38)
	buffer_store_dword v135, off, s[0:3], 0 offset:260
	buffer_store_dword v134, off, s[0:3], 0 offset:256
	s_waitcnt vmcnt(39)
	buffer_store_dword v136, off, s[0:3], 0 offset:264
	buffer_store_dword v137, off, s[0:3], 0 offset:268
	;; [unrolled: 3-line block ×6, first 2 shown]
	buffer_store_dword v163, off, s[0:3], 0 offset:308
	buffer_store_dword v162, off, s[0:3], 0 offset:304
	s_waitcnt vmcnt(37)
	buffer_store_dword v146, off, s[0:3], 0 offset:312
	global_load_dwordx2 v[132:133], v[92:93], off
	global_load_dwordx2 v[134:135], v[94:95], off
	;; [unrolled: 1-line block ×8, first 2 shown]
	s_nop 0
	buffer_store_dword v147, off, s[0:3], 0 offset:316
	global_load_dwordx2 v[146:147], v[106:107], off
	s_waitcnt vmcnt(45)
	buffer_store_dword v148, off, s[0:3], 0 offset:320
	buffer_store_dword v149, off, s[0:3], 0 offset:324
	global_load_dwordx2 v[148:149], v[108:109], off
	s_waitcnt vmcnt(45)
	buffer_store_dword v150, off, s[0:3], 0 offset:328
	;; [unrolled: 4-line block ×8, first 2 shown]
	buffer_store_dword v133, off, s[0:3], 0 offset:380
	s_waitcnt vmcnt(31)
	buffer_store_dword v134, off, s[0:3], 0 offset:384
	buffer_store_dword v135, off, s[0:3], 0 offset:388
	s_waitcnt vmcnt(32)
	buffer_store_dword v137, off, s[0:3], 0 offset:396
	;; [unrolled: 3-line block ×13, first 2 shown]
	buffer_store_dword v159, off, s[0:3], 0 offset:484
	buffer_store_dword v163, off, s[0:3], 0 offset:492
	;; [unrolled: 1-line block ×3, first 2 shown]
	s_waitcnt vmcnt(30)
	buffer_store_dword v161, off, s[0:3], 0 offset:500
	buffer_store_dword v160, off, s[0:3], 0 offset:496
	;; [unrolled: 1-line block ×4, first 2 shown]
	s_cbranch_scc1 .LBB127_262
; %bb.4:
	v_cmp_eq_u32_e64 s[4:5], 0, v0
	s_and_saveexec_b64 s[6:7], s[4:5]
	s_cbranch_execz .LBB127_6
; %bb.5:
	v_mov_b32_e32 v130, 0
	ds_write_b32 v130, v130 offset:1024
.LBB127_6:
	s_or_b64 exec, exec, s[6:7]
	v_mov_b32_e32 v130, 0
	v_lshl_add_u32 v130, v0, 3, v130
	s_waitcnt lgkmcnt(0)
	; wave barrier
	s_waitcnt lgkmcnt(0)
	buffer_load_dword v132, v130, s[0:3], 0 offen
	buffer_load_dword v133, v130, s[0:3], 0 offen offset:4
	s_waitcnt vmcnt(0)
	v_cmp_eq_f64_e32 vcc, 0, v[132:133]
	s_and_saveexec_b64 s[12:13], vcc
	s_cbranch_execz .LBB127_10
; %bb.7:
	v_mov_b32_e32 v131, 0
	ds_read_b32 v133, v131 offset:1024
	v_add_u32_e32 v132, 1, v0
	s_waitcnt lgkmcnt(0)
	v_readfirstlane_b32 s6, v133
	s_cmp_eq_u32 s6, 0
	s_cselect_b64 s[18:19], -1, 0
	v_cmp_gt_i32_e32 vcc, s6, v132
	s_or_b64 s[18:19], s[18:19], vcc
	s_and_b64 exec, exec, s[18:19]
	s_cbranch_execz .LBB127_10
; %bb.8:
	s_mov_b64 s[18:19], 0
	v_mov_b32_e32 v133, s6
.LBB127_9:                              ; =>This Inner Loop Header: Depth=1
	ds_cmpst_rtn_b32 v133, v131, v133, v132 offset:1024
	s_waitcnt lgkmcnt(0)
	v_cmp_ne_u32_e32 vcc, 0, v133
	v_cmp_le_i32_e64 s[6:7], v133, v132
	s_and_b64 s[6:7], vcc, s[6:7]
	s_and_b64 s[6:7], exec, s[6:7]
	s_or_b64 s[18:19], s[6:7], s[18:19]
	s_andn2_b64 exec, exec, s[18:19]
	s_cbranch_execnz .LBB127_9
.LBB127_10:
	s_or_b64 exec, exec, s[12:13]
	v_mov_b32_e32 v132, 0
	s_waitcnt lgkmcnt(0)
	; wave barrier
	ds_read_b32 v131, v132 offset:1024
	s_and_saveexec_b64 s[6:7], s[4:5]
	s_cbranch_execz .LBB127_12
; %bb.11:
	s_lshl_b64 s[12:13], s[8:9], 2
	s_add_u32 s12, s14, s12
	s_addc_u32 s13, s15, s13
	s_waitcnt lgkmcnt(0)
	global_store_dword v132, v131, s[12:13]
.LBB127_12:
	s_or_b64 exec, exec, s[6:7]
	s_waitcnt lgkmcnt(0)
	v_cmp_ne_u32_e32 vcc, 0, v131
	s_mov_b64 s[6:7], 0
	s_cbranch_vccnz .LBB127_262
; %bb.13:
	buffer_load_dword v132, v130, s[0:3], 0 offen
	buffer_load_dword v133, v130, s[0:3], 0 offen offset:4
	s_waitcnt vmcnt(0)
	v_div_scale_f64 v[134:135], s[6:7], v[132:133], v[132:133], 1.0
	v_rcp_f64_e32 v[136:137], v[134:135]
	v_div_scale_f64 v[138:139], vcc, 1.0, v[132:133], 1.0
	v_fma_f64 v[140:141], -v[134:135], v[136:137], 1.0
	v_fmac_f64_e32 v[136:137], v[136:137], v[140:141]
	v_fma_f64 v[140:141], -v[134:135], v[136:137], 1.0
	v_fmac_f64_e32 v[136:137], v[136:137], v[140:141]
	v_mul_f64 v[140:141], v[138:139], v[136:137]
	v_fma_f64 v[134:135], -v[134:135], v[140:141], v[138:139]
	v_div_fmas_f64 v[134:135], v[134:135], v[136:137], v[140:141]
	v_div_fixup_f64 v[134:135], v[134:135], v[132:133], 1.0
	buffer_store_dword v135, v130, s[0:3], 0 offen offset:4
	buffer_store_dword v134, v130, s[0:3], 0 offen
	buffer_load_dword v137, off, s[0:3], 0 offset:12
	buffer_load_dword v136, off, s[0:3], 0 offset:8
	v_or_b32_e32 v132, 0x200, v1
	v_xor_b32_e32 v135, 0x80000000, v135
	s_waitcnt vmcnt(0)
	ds_write2st64_b64 v1, v[134:135], v[136:137] offset1:1
	s_waitcnt lgkmcnt(0)
	; wave barrier
	s_waitcnt lgkmcnt(0)
	s_and_saveexec_b64 s[6:7], s[4:5]
	s_cbranch_execz .LBB127_15
; %bb.14:
	buffer_load_dword v134, v130, s[0:3], 0 offen
	buffer_load_dword v135, v130, s[0:3], 0 offen offset:4
	v_mov_b32_e32 v131, 0
	ds_read_b64 v[136:137], v132
	ds_read_b64 v[138:139], v131 offset:8
	s_waitcnt vmcnt(0) lgkmcnt(1)
	v_fma_f64 v[134:135], v[134:135], v[136:137], 0
	s_waitcnt lgkmcnt(0)
	v_mul_f64 v[134:135], v[134:135], v[138:139]
	buffer_store_dword v134, off, s[0:3], 0 offset:8
	buffer_store_dword v135, off, s[0:3], 0 offset:12
.LBB127_15:
	s_or_b64 exec, exec, s[6:7]
	s_waitcnt lgkmcnt(0)
	; wave barrier
	buffer_load_dword v134, off, s[0:3], 0 offset:16
	buffer_load_dword v135, off, s[0:3], 0 offset:20
	v_cmp_gt_u32_e32 vcc, 2, v0
	s_waitcnt vmcnt(0)
	ds_write_b64 v132, v[134:135]
	s_waitcnt lgkmcnt(0)
	; wave barrier
	s_waitcnt lgkmcnt(0)
	s_and_saveexec_b64 s[6:7], vcc
	s_cbranch_execz .LBB127_17
; %bb.16:
	buffer_load_dword v131, v130, s[0:3], 0 offen offset:4
	buffer_load_dword v138, off, s[0:3], 0 offset:8
	s_nop 0
	buffer_load_dword v130, v130, s[0:3], 0 offen
	s_nop 0
	buffer_load_dword v139, off, s[0:3], 0 offset:12
	ds_read_b64 v[140:141], v132
	v_mov_b32_e32 v133, 0
	ds_read2_b64 v[134:137], v133 offset0:2 offset1:65
	s_waitcnt vmcnt(1) lgkmcnt(1)
	v_fma_f64 v[130:131], v[130:131], v[140:141], 0
	s_waitcnt vmcnt(0) lgkmcnt(0)
	v_fma_f64 v[136:137], v[138:139], v[136:137], v[130:131]
	v_cndmask_b32_e64 v131, v131, v137, s[4:5]
	v_cndmask_b32_e64 v130, v130, v136, s[4:5]
	v_mul_f64 v[130:131], v[130:131], v[134:135]
	buffer_store_dword v131, off, s[0:3], 0 offset:20
	buffer_store_dword v130, off, s[0:3], 0 offset:16
.LBB127_17:
	s_or_b64 exec, exec, s[6:7]
	s_waitcnt lgkmcnt(0)
	; wave barrier
	buffer_load_dword v130, off, s[0:3], 0 offset:24
	buffer_load_dword v131, off, s[0:3], 0 offset:28
	v_cmp_gt_u32_e32 vcc, 3, v0
	v_add_u32_e32 v133, -1, v0
	s_waitcnt vmcnt(0)
	ds_write_b64 v132, v[130:131]
	s_waitcnt lgkmcnt(0)
	; wave barrier
	s_waitcnt lgkmcnt(0)
	s_and_saveexec_b64 s[4:5], vcc
	s_cbranch_execz .LBB127_21
; %bb.18:
	v_add_u32_e32 v134, -1, v0
	v_or_b32_e32 v135, 0x200, v1
	v_add_u32_e32 v136, 0, v1
	s_mov_b64 s[6:7], 0
	v_pk_mov_b32 v[130:131], 0, 0
.LBB127_19:                             ; =>This Inner Loop Header: Depth=1
	buffer_load_dword v138, v136, s[0:3], 0 offen
	buffer_load_dword v139, v136, s[0:3], 0 offen offset:4
	ds_read_b64 v[140:141], v135
	v_add_u32_e32 v134, 1, v134
	v_cmp_lt_u32_e32 vcc, 1, v134
	v_add_u32_e32 v135, 8, v135
	v_add_u32_e32 v136, 8, v136
	s_or_b64 s[6:7], vcc, s[6:7]
	s_waitcnt vmcnt(0) lgkmcnt(0)
	v_fmac_f64_e32 v[130:131], v[138:139], v[140:141]
	s_andn2_b64 exec, exec, s[6:7]
	s_cbranch_execnz .LBB127_19
; %bb.20:
	s_or_b64 exec, exec, s[6:7]
	v_mov_b32_e32 v134, 0
	ds_read_b64 v[134:135], v134 offset:24
	s_waitcnt lgkmcnt(0)
	v_mul_f64 v[130:131], v[130:131], v[134:135]
	buffer_store_dword v131, off, s[0:3], 0 offset:28
	buffer_store_dword v130, off, s[0:3], 0 offset:24
.LBB127_21:
	s_or_b64 exec, exec, s[4:5]
	s_waitcnt lgkmcnt(0)
	; wave barrier
	buffer_load_dword v130, off, s[0:3], 0 offset:32
	buffer_load_dword v131, off, s[0:3], 0 offset:36
	v_cmp_gt_u32_e32 vcc, 4, v0
	s_waitcnt vmcnt(0)
	ds_write_b64 v132, v[130:131]
	s_waitcnt lgkmcnt(0)
	; wave barrier
	s_waitcnt lgkmcnt(0)
	s_and_saveexec_b64 s[4:5], vcc
	s_cbranch_execz .LBB127_25
; %bb.22:
	v_add_u32_e32 v134, -1, v0
	v_or_b32_e32 v135, 0x200, v1
	v_add_u32_e32 v136, 0, v1
	s_mov_b64 s[6:7], 0
	v_pk_mov_b32 v[130:131], 0, 0
.LBB127_23:                             ; =>This Inner Loop Header: Depth=1
	buffer_load_dword v138, v136, s[0:3], 0 offen
	buffer_load_dword v139, v136, s[0:3], 0 offen offset:4
	ds_read_b64 v[140:141], v135
	v_add_u32_e32 v134, 1, v134
	v_cmp_lt_u32_e32 vcc, 2, v134
	v_add_u32_e32 v135, 8, v135
	v_add_u32_e32 v136, 8, v136
	s_or_b64 s[6:7], vcc, s[6:7]
	s_waitcnt vmcnt(0) lgkmcnt(0)
	v_fmac_f64_e32 v[130:131], v[138:139], v[140:141]
	s_andn2_b64 exec, exec, s[6:7]
	s_cbranch_execnz .LBB127_23
; %bb.24:
	s_or_b64 exec, exec, s[6:7]
	v_mov_b32_e32 v134, 0
	ds_read_b64 v[134:135], v134 offset:32
	s_waitcnt lgkmcnt(0)
	v_mul_f64 v[130:131], v[130:131], v[134:135]
	buffer_store_dword v131, off, s[0:3], 0 offset:36
	buffer_store_dword v130, off, s[0:3], 0 offset:32
.LBB127_25:
	s_or_b64 exec, exec, s[4:5]
	s_waitcnt lgkmcnt(0)
	; wave barrier
	buffer_load_dword v130, off, s[0:3], 0 offset:40
	buffer_load_dword v131, off, s[0:3], 0 offset:44
	v_cmp_gt_u32_e32 vcc, 5, v0
	;; [unrolled: 41-line block ×21, first 2 shown]
	s_waitcnt vmcnt(0)
	ds_write_b64 v132, v[130:131]
	s_waitcnt lgkmcnt(0)
	; wave barrier
	s_waitcnt lgkmcnt(0)
	s_and_saveexec_b64 s[4:5], vcc
	s_cbranch_execz .LBB127_105
; %bb.102:
	v_add_u32_e32 v134, -1, v0
	v_or_b32_e32 v135, 0x200, v1
	v_add_u32_e32 v136, 0, v1
	s_mov_b64 s[6:7], 0
	v_pk_mov_b32 v[130:131], 0, 0
.LBB127_103:                            ; =>This Inner Loop Header: Depth=1
	buffer_load_dword v138, v136, s[0:3], 0 offen
	buffer_load_dword v139, v136, s[0:3], 0 offen offset:4
	ds_read_b64 v[140:141], v135
	v_add_u32_e32 v134, 1, v134
	v_cmp_lt_u32_e32 vcc, 22, v134
	v_add_u32_e32 v135, 8, v135
	v_add_u32_e32 v136, 8, v136
	s_or_b64 s[6:7], vcc, s[6:7]
	s_waitcnt vmcnt(0) lgkmcnt(0)
	v_fmac_f64_e32 v[130:131], v[138:139], v[140:141]
	s_andn2_b64 exec, exec, s[6:7]
	s_cbranch_execnz .LBB127_103
; %bb.104:
	s_or_b64 exec, exec, s[6:7]
	v_mov_b32_e32 v134, 0
	ds_read_b64 v[134:135], v134 offset:192
	s_waitcnt lgkmcnt(0)
	v_mul_f64 v[130:131], v[130:131], v[134:135]
	buffer_store_dword v131, off, s[0:3], 0 offset:196
	buffer_store_dword v130, off, s[0:3], 0 offset:192
.LBB127_105:
	s_or_b64 exec, exec, s[4:5]
	s_waitcnt lgkmcnt(0)
	; wave barrier
	buffer_load_dword v130, off, s[0:3], 0 offset:200
	buffer_load_dword v131, off, s[0:3], 0 offset:204
	v_cmp_gt_u32_e32 vcc, 25, v0
	s_waitcnt vmcnt(0)
	ds_write_b64 v132, v[130:131]
	s_waitcnt lgkmcnt(0)
	; wave barrier
	s_waitcnt lgkmcnt(0)
	s_and_saveexec_b64 s[4:5], vcc
	s_cbranch_execz .LBB127_109
; %bb.106:
	v_add_u32_e32 v134, -1, v0
	v_or_b32_e32 v135, 0x200, v1
	v_add_u32_e32 v136, 0, v1
	s_mov_b64 s[6:7], 0
	v_pk_mov_b32 v[130:131], 0, 0
.LBB127_107:                            ; =>This Inner Loop Header: Depth=1
	buffer_load_dword v138, v136, s[0:3], 0 offen
	buffer_load_dword v139, v136, s[0:3], 0 offen offset:4
	ds_read_b64 v[140:141], v135
	v_add_u32_e32 v134, 1, v134
	v_cmp_lt_u32_e32 vcc, 23, v134
	v_add_u32_e32 v135, 8, v135
	v_add_u32_e32 v136, 8, v136
	s_or_b64 s[6:7], vcc, s[6:7]
	s_waitcnt vmcnt(0) lgkmcnt(0)
	v_fmac_f64_e32 v[130:131], v[138:139], v[140:141]
	s_andn2_b64 exec, exec, s[6:7]
	s_cbranch_execnz .LBB127_107
; %bb.108:
	s_or_b64 exec, exec, s[6:7]
	v_mov_b32_e32 v134, 0
	ds_read_b64 v[134:135], v134 offset:200
	s_waitcnt lgkmcnt(0)
	v_mul_f64 v[130:131], v[130:131], v[134:135]
	buffer_store_dword v131, off, s[0:3], 0 offset:204
	buffer_store_dword v130, off, s[0:3], 0 offset:200
.LBB127_109:
	s_or_b64 exec, exec, s[4:5]
	s_waitcnt lgkmcnt(0)
	; wave barrier
	buffer_load_dword v130, off, s[0:3], 0 offset:208
	buffer_load_dword v131, off, s[0:3], 0 offset:212
	v_cmp_gt_u32_e32 vcc, 26, v0
	;; [unrolled: 41-line block ×38, first 2 shown]
	s_waitcnt vmcnt(0)
	ds_write_b64 v132, v[130:131]
	s_waitcnt lgkmcnt(0)
	; wave barrier
	s_waitcnt lgkmcnt(0)
	s_and_saveexec_b64 s[4:5], vcc
	s_cbranch_execz .LBB127_257
; %bb.254:
	v_add_u32_e32 v134, -1, v0
	v_or_b32_e32 v135, 0x200, v1
	v_add_u32_e32 v136, 0, v1
	s_mov_b64 s[6:7], 0
	v_pk_mov_b32 v[130:131], 0, 0
.LBB127_255:                            ; =>This Inner Loop Header: Depth=1
	buffer_load_dword v138, v136, s[0:3], 0 offen
	buffer_load_dword v139, v136, s[0:3], 0 offen offset:4
	ds_read_b64 v[140:141], v135
	v_add_u32_e32 v134, 1, v134
	v_cmp_lt_u32_e32 vcc, 60, v134
	v_add_u32_e32 v135, 8, v135
	v_add_u32_e32 v136, 8, v136
	s_or_b64 s[6:7], vcc, s[6:7]
	s_waitcnt vmcnt(0) lgkmcnt(0)
	v_fmac_f64_e32 v[130:131], v[138:139], v[140:141]
	s_andn2_b64 exec, exec, s[6:7]
	s_cbranch_execnz .LBB127_255
; %bb.256:
	s_or_b64 exec, exec, s[6:7]
	v_mov_b32_e32 v134, 0
	ds_read_b64 v[134:135], v134 offset:496
	s_waitcnt lgkmcnt(0)
	v_mul_f64 v[130:131], v[130:131], v[134:135]
	buffer_store_dword v131, off, s[0:3], 0 offset:500
	buffer_store_dword v130, off, s[0:3], 0 offset:496
.LBB127_257:
	s_or_b64 exec, exec, s[4:5]
	s_waitcnt lgkmcnt(0)
	; wave barrier
	buffer_load_dword v130, off, s[0:3], 0 offset:504
	buffer_load_dword v131, off, s[0:3], 0 offset:508
	v_cmp_ne_u32_e32 vcc, 63, v0
	s_waitcnt vmcnt(0)
	ds_write_b64 v132, v[130:131]
	s_waitcnt lgkmcnt(0)
	; wave barrier
	s_waitcnt lgkmcnt(0)
	s_and_saveexec_b64 s[4:5], vcc
	s_cbranch_execz .LBB127_261
; %bb.258:
	v_or_b32_e32 v132, 0x200, v1
	v_add_u32_e32 v1, 0, v1
	s_mov_b64 s[6:7], 0
	v_pk_mov_b32 v[130:131], 0, 0
.LBB127_259:                            ; =>This Inner Loop Header: Depth=1
	buffer_load_dword v134, v1, s[0:3], 0 offen
	buffer_load_dword v135, v1, s[0:3], 0 offen offset:4
	ds_read_b64 v[136:137], v132
	v_add_u32_e32 v133, 1, v133
	v_cmp_lt_u32_e32 vcc, 61, v133
	v_add_u32_e32 v132, 8, v132
	v_add_u32_e32 v1, 8, v1
	s_or_b64 s[6:7], vcc, s[6:7]
	s_waitcnt vmcnt(0) lgkmcnt(0)
	v_fmac_f64_e32 v[130:131], v[134:135], v[136:137]
	s_andn2_b64 exec, exec, s[6:7]
	s_cbranch_execnz .LBB127_259
; %bb.260:
	s_or_b64 exec, exec, s[6:7]
	v_mov_b32_e32 v1, 0
	ds_read_b64 v[132:133], v1 offset:504
	s_waitcnt lgkmcnt(0)
	v_mul_f64 v[130:131], v[130:131], v[132:133]
	buffer_store_dword v131, off, s[0:3], 0 offset:508
	buffer_store_dword v130, off, s[0:3], 0 offset:504
.LBB127_261:
	s_or_b64 exec, exec, s[4:5]
	s_mov_b64 s[6:7], -1
	s_waitcnt lgkmcnt(0)
	; wave barrier
.LBB127_262:
	s_and_b64 vcc, exec, s[6:7]
	s_cbranch_vccz .LBB127_264
; %bb.263:
	s_lshl_b64 s[4:5], s[8:9], 2
	s_add_u32 s4, s14, s4
	s_addc_u32 s5, s15, s5
	v_mov_b32_e32 v1, 0
	global_load_dword v1, v1, s[4:5]
	s_waitcnt vmcnt(0)
	v_cmp_ne_u32_e32 vcc, 0, v1
	s_cbranch_vccz .LBB127_265
.LBB127_264:
	s_endpgm
.LBB127_265:
	v_mov_b32_e32 v1, 0x200
	v_lshl_or_b32 v1, v0, 3, v1
	v_cmp_eq_u32_e32 vcc, 63, v0
	s_and_saveexec_b64 s[4:5], vcc
	s_cbranch_execz .LBB127_267
; %bb.266:
	buffer_load_dword v130, off, s[0:3], 0 offset:496
	buffer_load_dword v131, off, s[0:3], 0 offset:500
	v_mov_b32_e32 v132, 0
	buffer_store_dword v132, off, s[0:3], 0 offset:496
	buffer_store_dword v132, off, s[0:3], 0 offset:500
	s_waitcnt vmcnt(2)
	ds_write_b64 v1, v[130:131]
.LBB127_267:
	s_or_b64 exec, exec, s[4:5]
	s_waitcnt lgkmcnt(0)
	; wave barrier
	s_waitcnt lgkmcnt(0)
	buffer_load_dword v132, off, s[0:3], 0 offset:504
	buffer_load_dword v133, off, s[0:3], 0 offset:508
	;; [unrolled: 1-line block ×4, first 2 shown]
	v_mov_b32_e32 v130, 0
	ds_read_b64 v[136:137], v130 offset:1016
	v_cmp_lt_u32_e32 vcc, 61, v0
	s_waitcnt vmcnt(2) lgkmcnt(0)
	v_fma_f64 v[132:133], v[132:133], v[136:137], 0
	s_waitcnt vmcnt(0)
	v_add_f64 v[132:133], v[134:135], -v[132:133]
	buffer_store_dword v132, off, s[0:3], 0 offset:496
	buffer_store_dword v133, off, s[0:3], 0 offset:500
	s_and_saveexec_b64 s[4:5], vcc
	s_cbranch_execz .LBB127_269
; %bb.268:
	buffer_load_dword v132, off, s[0:3], 0 offset:488
	buffer_load_dword v133, off, s[0:3], 0 offset:492
	s_waitcnt vmcnt(0)
	ds_write_b64 v1, v[132:133]
	buffer_store_dword v130, off, s[0:3], 0 offset:488
	buffer_store_dword v130, off, s[0:3], 0 offset:492
.LBB127_269:
	s_or_b64 exec, exec, s[4:5]
	s_waitcnt lgkmcnt(0)
	; wave barrier
	s_waitcnt lgkmcnt(0)
	buffer_load_dword v134, off, s[0:3], 0 offset:496
	buffer_load_dword v135, off, s[0:3], 0 offset:500
	;; [unrolled: 1-line block ×6, first 2 shown]
	ds_read_b128 v[130:133], v130 offset:1008
	v_cmp_lt_u32_e32 vcc, 60, v0
	s_waitcnt vmcnt(4) lgkmcnt(0)
	v_fma_f64 v[130:131], v[134:135], v[130:131], 0
	s_waitcnt vmcnt(2)
	v_fmac_f64_e32 v[130:131], v[136:137], v[132:133]
	s_waitcnt vmcnt(0)
	v_add_f64 v[130:131], v[138:139], -v[130:131]
	buffer_store_dword v130, off, s[0:3], 0 offset:488
	buffer_store_dword v131, off, s[0:3], 0 offset:492
	s_and_saveexec_b64 s[4:5], vcc
	s_cbranch_execz .LBB127_271
; %bb.270:
	buffer_load_dword v130, off, s[0:3], 0 offset:480
	buffer_load_dword v131, off, s[0:3], 0 offset:484
	v_mov_b32_e32 v132, 0
	buffer_store_dword v132, off, s[0:3], 0 offset:480
	buffer_store_dword v132, off, s[0:3], 0 offset:484
	s_waitcnt vmcnt(2)
	ds_write_b64 v1, v[130:131]
.LBB127_271:
	s_or_b64 exec, exec, s[4:5]
	s_waitcnt lgkmcnt(0)
	; wave barrier
	s_waitcnt lgkmcnt(0)
	buffer_load_dword v136, off, s[0:3], 0 offset:488
	buffer_load_dword v137, off, s[0:3], 0 offset:492
	;; [unrolled: 1-line block ×8, first 2 shown]
	v_mov_b32_e32 v130, 0
	ds_read2_b64 v[132:135], v130 offset0:125 offset1:126
	ds_read_b64 v[144:145], v130 offset:1016
	v_cmp_lt_u32_e32 vcc, 59, v0
	s_waitcnt vmcnt(6) lgkmcnt(1)
	v_fma_f64 v[132:133], v[136:137], v[132:133], 0
	s_waitcnt vmcnt(4)
	v_fmac_f64_e32 v[132:133], v[138:139], v[134:135]
	s_waitcnt vmcnt(2) lgkmcnt(0)
	v_fmac_f64_e32 v[132:133], v[140:141], v[144:145]
	s_waitcnt vmcnt(0)
	v_add_f64 v[132:133], v[142:143], -v[132:133]
	buffer_store_dword v132, off, s[0:3], 0 offset:480
	buffer_store_dword v133, off, s[0:3], 0 offset:484
	s_and_saveexec_b64 s[4:5], vcc
	s_cbranch_execz .LBB127_273
; %bb.272:
	buffer_load_dword v132, off, s[0:3], 0 offset:472
	buffer_load_dword v133, off, s[0:3], 0 offset:476
	s_waitcnt vmcnt(0)
	ds_write_b64 v1, v[132:133]
	buffer_store_dword v130, off, s[0:3], 0 offset:472
	buffer_store_dword v130, off, s[0:3], 0 offset:476
.LBB127_273:
	s_or_b64 exec, exec, s[4:5]
	s_waitcnt lgkmcnt(0)
	; wave barrier
	s_waitcnt lgkmcnt(0)
	buffer_load_dword v140, off, s[0:3], 0 offset:480
	buffer_load_dword v141, off, s[0:3], 0 offset:484
	;; [unrolled: 1-line block ×10, first 2 shown]
	ds_read_b128 v[132:135], v130 offset:992
	ds_read_b128 v[136:139], v130 offset:1008
	v_cmp_lt_u32_e32 vcc, 58, v0
	s_waitcnt vmcnt(8) lgkmcnt(1)
	v_fma_f64 v[130:131], v[140:141], v[132:133], 0
	s_waitcnt vmcnt(6)
	v_fmac_f64_e32 v[130:131], v[142:143], v[134:135]
	s_waitcnt vmcnt(4) lgkmcnt(0)
	v_fmac_f64_e32 v[130:131], v[144:145], v[136:137]
	s_waitcnt vmcnt(2)
	v_fmac_f64_e32 v[130:131], v[146:147], v[138:139]
	s_waitcnt vmcnt(0)
	v_add_f64 v[130:131], v[148:149], -v[130:131]
	buffer_store_dword v130, off, s[0:3], 0 offset:472
	buffer_store_dword v131, off, s[0:3], 0 offset:476
	s_and_saveexec_b64 s[4:5], vcc
	s_cbranch_execz .LBB127_275
; %bb.274:
	buffer_load_dword v130, off, s[0:3], 0 offset:464
	buffer_load_dword v131, off, s[0:3], 0 offset:468
	v_mov_b32_e32 v132, 0
	buffer_store_dword v132, off, s[0:3], 0 offset:464
	buffer_store_dword v132, off, s[0:3], 0 offset:468
	s_waitcnt vmcnt(2)
	ds_write_b64 v1, v[130:131]
.LBB127_275:
	s_or_b64 exec, exec, s[4:5]
	s_waitcnt lgkmcnt(0)
	; wave barrier
	s_waitcnt lgkmcnt(0)
	buffer_load_dword v140, off, s[0:3], 0 offset:472
	buffer_load_dword v141, off, s[0:3], 0 offset:476
	;; [unrolled: 1-line block ×12, first 2 shown]
	v_mov_b32_e32 v130, 0
	ds_read2_b64 v[132:135], v130 offset0:123 offset1:124
	ds_read2_b64 v[136:139], v130 offset0:125 offset1:126
	ds_read_b64 v[152:153], v130 offset:1016
	v_cmp_lt_u32_e32 vcc, 57, v0
	s_waitcnt vmcnt(10) lgkmcnt(2)
	v_fma_f64 v[132:133], v[140:141], v[132:133], 0
	s_waitcnt vmcnt(8)
	v_fmac_f64_e32 v[132:133], v[142:143], v[134:135]
	s_waitcnt vmcnt(6) lgkmcnt(1)
	v_fmac_f64_e32 v[132:133], v[144:145], v[136:137]
	s_waitcnt vmcnt(4)
	v_fmac_f64_e32 v[132:133], v[146:147], v[138:139]
	s_waitcnt vmcnt(2) lgkmcnt(0)
	v_fmac_f64_e32 v[132:133], v[148:149], v[152:153]
	s_waitcnt vmcnt(0)
	v_add_f64 v[132:133], v[150:151], -v[132:133]
	buffer_store_dword v132, off, s[0:3], 0 offset:464
	buffer_store_dword v133, off, s[0:3], 0 offset:468
	s_and_saveexec_b64 s[4:5], vcc
	s_cbranch_execz .LBB127_277
; %bb.276:
	buffer_load_dword v132, off, s[0:3], 0 offset:456
	buffer_load_dword v133, off, s[0:3], 0 offset:460
	s_waitcnt vmcnt(0)
	ds_write_b64 v1, v[132:133]
	buffer_store_dword v130, off, s[0:3], 0 offset:456
	buffer_store_dword v130, off, s[0:3], 0 offset:460
.LBB127_277:
	s_or_b64 exec, exec, s[4:5]
	s_waitcnt lgkmcnt(0)
	; wave barrier
	s_waitcnt lgkmcnt(0)
	buffer_load_dword v144, off, s[0:3], 0 offset:464
	buffer_load_dword v145, off, s[0:3], 0 offset:468
	;; [unrolled: 1-line block ×14, first 2 shown]
	ds_read_b128 v[132:135], v130 offset:976
	ds_read_b128 v[136:139], v130 offset:992
	;; [unrolled: 1-line block ×3, first 2 shown]
	v_cmp_lt_u32_e32 vcc, 56, v0
	s_waitcnt vmcnt(12) lgkmcnt(2)
	v_fma_f64 v[130:131], v[144:145], v[132:133], 0
	s_waitcnt vmcnt(10)
	v_fmac_f64_e32 v[130:131], v[146:147], v[134:135]
	s_waitcnt vmcnt(8) lgkmcnt(1)
	v_fmac_f64_e32 v[130:131], v[148:149], v[136:137]
	s_waitcnt vmcnt(6)
	v_fmac_f64_e32 v[130:131], v[150:151], v[138:139]
	s_waitcnt vmcnt(4) lgkmcnt(0)
	v_fmac_f64_e32 v[130:131], v[152:153], v[140:141]
	s_waitcnt vmcnt(2)
	v_fmac_f64_e32 v[130:131], v[154:155], v[142:143]
	s_waitcnt vmcnt(0)
	v_add_f64 v[130:131], v[156:157], -v[130:131]
	buffer_store_dword v130, off, s[0:3], 0 offset:456
	buffer_store_dword v131, off, s[0:3], 0 offset:460
	s_and_saveexec_b64 s[4:5], vcc
	s_cbranch_execz .LBB127_279
; %bb.278:
	buffer_load_dword v130, off, s[0:3], 0 offset:448
	buffer_load_dword v131, off, s[0:3], 0 offset:452
	v_mov_b32_e32 v132, 0
	buffer_store_dword v132, off, s[0:3], 0 offset:448
	buffer_store_dword v132, off, s[0:3], 0 offset:452
	s_waitcnt vmcnt(2)
	ds_write_b64 v1, v[130:131]
.LBB127_279:
	s_or_b64 exec, exec, s[4:5]
	s_waitcnt lgkmcnt(0)
	; wave barrier
	s_waitcnt lgkmcnt(0)
	buffer_load_dword v144, off, s[0:3], 0 offset:456
	buffer_load_dword v145, off, s[0:3], 0 offset:460
	;; [unrolled: 1-line block ×16, first 2 shown]
	v_mov_b32_e32 v130, 0
	ds_read2_b64 v[132:135], v130 offset0:121 offset1:122
	ds_read2_b64 v[136:139], v130 offset0:123 offset1:124
	;; [unrolled: 1-line block ×3, first 2 shown]
	ds_read_b64 v[160:161], v130 offset:1016
	v_cmp_lt_u32_e32 vcc, 55, v0
	s_waitcnt vmcnt(14) lgkmcnt(3)
	v_fma_f64 v[132:133], v[144:145], v[132:133], 0
	s_waitcnt vmcnt(12)
	v_fmac_f64_e32 v[132:133], v[146:147], v[134:135]
	s_waitcnt vmcnt(10) lgkmcnt(2)
	v_fmac_f64_e32 v[132:133], v[148:149], v[136:137]
	s_waitcnt vmcnt(8)
	v_fmac_f64_e32 v[132:133], v[150:151], v[138:139]
	s_waitcnt vmcnt(6) lgkmcnt(1)
	v_fmac_f64_e32 v[132:133], v[152:153], v[140:141]
	;; [unrolled: 4-line block ×3, first 2 shown]
	s_waitcnt vmcnt(0)
	v_add_f64 v[132:133], v[158:159], -v[132:133]
	buffer_store_dword v132, off, s[0:3], 0 offset:448
	buffer_store_dword v133, off, s[0:3], 0 offset:452
	s_and_saveexec_b64 s[4:5], vcc
	s_cbranch_execz .LBB127_281
; %bb.280:
	buffer_load_dword v132, off, s[0:3], 0 offset:440
	buffer_load_dword v133, off, s[0:3], 0 offset:444
	s_waitcnt vmcnt(0)
	ds_write_b64 v1, v[132:133]
	buffer_store_dword v130, off, s[0:3], 0 offset:440
	buffer_store_dword v130, off, s[0:3], 0 offset:444
.LBB127_281:
	s_or_b64 exec, exec, s[4:5]
	s_waitcnt lgkmcnt(0)
	; wave barrier
	s_waitcnt lgkmcnt(0)
	buffer_load_dword v148, off, s[0:3], 0 offset:448
	buffer_load_dword v149, off, s[0:3], 0 offset:452
	;; [unrolled: 1-line block ×18, first 2 shown]
	ds_read_b128 v[132:135], v130 offset:960
	ds_read_b128 v[136:139], v130 offset:976
	;; [unrolled: 1-line block ×4, first 2 shown]
	v_cmp_lt_u32_e32 vcc, 54, v0
	s_waitcnt vmcnt(16) lgkmcnt(3)
	v_fma_f64 v[130:131], v[148:149], v[132:133], 0
	s_waitcnt vmcnt(14)
	v_fmac_f64_e32 v[130:131], v[150:151], v[134:135]
	s_waitcnt vmcnt(12) lgkmcnt(2)
	v_fmac_f64_e32 v[130:131], v[152:153], v[136:137]
	s_waitcnt vmcnt(10)
	v_fmac_f64_e32 v[130:131], v[154:155], v[138:139]
	s_waitcnt vmcnt(8) lgkmcnt(1)
	v_fmac_f64_e32 v[130:131], v[156:157], v[140:141]
	;; [unrolled: 4-line block ×3, first 2 shown]
	s_waitcnt vmcnt(2)
	v_fmac_f64_e32 v[130:131], v[162:163], v[146:147]
	s_waitcnt vmcnt(0)
	v_add_f64 v[130:131], v[164:165], -v[130:131]
	buffer_store_dword v130, off, s[0:3], 0 offset:440
	buffer_store_dword v131, off, s[0:3], 0 offset:444
	s_and_saveexec_b64 s[4:5], vcc
	s_cbranch_execz .LBB127_283
; %bb.282:
	buffer_load_dword v130, off, s[0:3], 0 offset:432
	buffer_load_dword v131, off, s[0:3], 0 offset:436
	v_mov_b32_e32 v132, 0
	buffer_store_dword v132, off, s[0:3], 0 offset:432
	buffer_store_dword v132, off, s[0:3], 0 offset:436
	s_waitcnt vmcnt(2)
	ds_write_b64 v1, v[130:131]
.LBB127_283:
	s_or_b64 exec, exec, s[4:5]
	s_waitcnt lgkmcnt(0)
	; wave barrier
	s_waitcnt lgkmcnt(0)
	buffer_load_dword v136, off, s[0:3], 0 offset:432
	buffer_load_dword v137, off, s[0:3], 0 offset:436
	;; [unrolled: 1-line block ×16, first 2 shown]
	v_mov_b32_e32 v130, 0
	ds_read2_b64 v[132:135], v130 offset0:119 offset1:120
	v_cmp_lt_u32_e32 vcc, 53, v0
	s_waitcnt vmcnt(12) lgkmcnt(0)
	v_fma_f64 v[138:139], v[138:139], v[132:133], 0
	s_waitcnt vmcnt(10)
	v_fmac_f64_e32 v[138:139], v[140:141], v[134:135]
	ds_read2_b64 v[132:135], v130 offset0:121 offset1:122
	s_waitcnt vmcnt(8) lgkmcnt(0)
	v_fmac_f64_e32 v[138:139], v[142:143], v[132:133]
	s_waitcnt vmcnt(6)
	v_fmac_f64_e32 v[138:139], v[144:145], v[134:135]
	ds_read2_b64 v[132:135], v130 offset0:123 offset1:124
	s_waitcnt vmcnt(4) lgkmcnt(0)
	v_fmac_f64_e32 v[138:139], v[146:147], v[132:133]
	;; [unrolled: 5-line block ×3, first 2 shown]
	buffer_load_dword v133, off, s[0:3], 0 offset:500
	buffer_load_dword v132, off, s[0:3], 0 offset:496
	s_waitcnt vmcnt(0)
	v_fmac_f64_e32 v[138:139], v[132:133], v[134:135]
	buffer_load_dword v133, off, s[0:3], 0 offset:508
	buffer_load_dword v132, off, s[0:3], 0 offset:504
	ds_read_b64 v[134:135], v130 offset:1016
	s_waitcnt vmcnt(0) lgkmcnt(0)
	v_fmac_f64_e32 v[138:139], v[132:133], v[134:135]
	v_add_f64 v[132:133], v[136:137], -v[138:139]
	buffer_store_dword v132, off, s[0:3], 0 offset:432
	buffer_store_dword v133, off, s[0:3], 0 offset:436
	s_and_saveexec_b64 s[4:5], vcc
	s_cbranch_execz .LBB127_285
; %bb.284:
	buffer_load_dword v132, off, s[0:3], 0 offset:424
	buffer_load_dword v133, off, s[0:3], 0 offset:428
	s_waitcnt vmcnt(0)
	ds_write_b64 v1, v[132:133]
	buffer_store_dword v130, off, s[0:3], 0 offset:424
	buffer_store_dword v130, off, s[0:3], 0 offset:428
.LBB127_285:
	s_or_b64 exec, exec, s[4:5]
	s_waitcnt lgkmcnt(0)
	; wave barrier
	s_waitcnt lgkmcnt(0)
	buffer_load_dword v148, off, s[0:3], 0 offset:424
	buffer_load_dword v149, off, s[0:3], 0 offset:428
	buffer_load_dword v150, off, s[0:3], 0 offset:432
	buffer_load_dword v151, off, s[0:3], 0 offset:436
	buffer_load_dword v152, off, s[0:3], 0 offset:440
	buffer_load_dword v153, off, s[0:3], 0 offset:444
	buffer_load_dword v154, off, s[0:3], 0 offset:448
	buffer_load_dword v155, off, s[0:3], 0 offset:452
	buffer_load_dword v156, off, s[0:3], 0 offset:456
	buffer_load_dword v157, off, s[0:3], 0 offset:460
	buffer_load_dword v158, off, s[0:3], 0 offset:464
	buffer_load_dword v159, off, s[0:3], 0 offset:468
	buffer_load_dword v160, off, s[0:3], 0 offset:472
	buffer_load_dword v161, off, s[0:3], 0 offset:476
	buffer_load_dword v162, off, s[0:3], 0 offset:480
	buffer_load_dword v163, off, s[0:3], 0 offset:484
	ds_read_b128 v[132:135], v130 offset:944
	ds_read_b128 v[136:139], v130 offset:960
	;; [unrolled: 1-line block ×4, first 2 shown]
	v_cmp_lt_u32_e32 vcc, 52, v0
	s_waitcnt vmcnt(12) lgkmcnt(3)
	v_fma_f64 v[150:151], v[150:151], v[132:133], 0
	buffer_load_dword v133, off, s[0:3], 0 offset:492
	buffer_load_dword v132, off, s[0:3], 0 offset:488
	s_waitcnt vmcnt(12)
	v_fmac_f64_e32 v[150:151], v[152:153], v[134:135]
	buffer_load_dword v135, off, s[0:3], 0 offset:500
	buffer_load_dword v134, off, s[0:3], 0 offset:496
	s_waitcnt vmcnt(12) lgkmcnt(2)
	v_fmac_f64_e32 v[150:151], v[154:155], v[136:137]
	s_waitcnt vmcnt(10)
	v_fmac_f64_e32 v[150:151], v[156:157], v[138:139]
	s_waitcnt vmcnt(8) lgkmcnt(1)
	v_fmac_f64_e32 v[150:151], v[158:159], v[140:141]
	s_waitcnt vmcnt(6)
	v_fmac_f64_e32 v[150:151], v[160:161], v[142:143]
	;; [unrolled: 4-line block ×3, first 2 shown]
	ds_read_b128 v[130:133], v130 offset:1008
	s_waitcnt vmcnt(0) lgkmcnt(0)
	v_fmac_f64_e32 v[150:151], v[134:135], v[130:131]
	buffer_load_dword v131, off, s[0:3], 0 offset:508
	buffer_load_dword v130, off, s[0:3], 0 offset:504
	s_waitcnt vmcnt(0)
	v_fmac_f64_e32 v[150:151], v[130:131], v[132:133]
	v_add_f64 v[130:131], v[148:149], -v[150:151]
	buffer_store_dword v130, off, s[0:3], 0 offset:424
	buffer_store_dword v131, off, s[0:3], 0 offset:428
	s_and_saveexec_b64 s[4:5], vcc
	s_cbranch_execz .LBB127_287
; %bb.286:
	buffer_load_dword v130, off, s[0:3], 0 offset:416
	buffer_load_dword v131, off, s[0:3], 0 offset:420
	v_mov_b32_e32 v132, 0
	buffer_store_dword v132, off, s[0:3], 0 offset:416
	buffer_store_dword v132, off, s[0:3], 0 offset:420
	s_waitcnt vmcnt(2)
	ds_write_b64 v1, v[130:131]
.LBB127_287:
	s_or_b64 exec, exec, s[4:5]
	s_waitcnt lgkmcnt(0)
	; wave barrier
	s_waitcnt lgkmcnt(0)
	buffer_load_dword v136, off, s[0:3], 0 offset:416
	buffer_load_dword v137, off, s[0:3], 0 offset:420
	buffer_load_dword v138, off, s[0:3], 0 offset:424
	buffer_load_dword v139, off, s[0:3], 0 offset:428
	buffer_load_dword v140, off, s[0:3], 0 offset:432
	buffer_load_dword v141, off, s[0:3], 0 offset:436
	buffer_load_dword v142, off, s[0:3], 0 offset:440
	buffer_load_dword v143, off, s[0:3], 0 offset:444
	buffer_load_dword v144, off, s[0:3], 0 offset:448
	buffer_load_dword v145, off, s[0:3], 0 offset:452
	buffer_load_dword v146, off, s[0:3], 0 offset:456
	buffer_load_dword v147, off, s[0:3], 0 offset:460
	buffer_load_dword v148, off, s[0:3], 0 offset:464
	buffer_load_dword v149, off, s[0:3], 0 offset:468
	buffer_load_dword v150, off, s[0:3], 0 offset:472
	buffer_load_dword v151, off, s[0:3], 0 offset:476
	v_mov_b32_e32 v130, 0
	ds_read2_b64 v[132:135], v130 offset0:117 offset1:118
	v_cmp_lt_u32_e32 vcc, 51, v0
	s_waitcnt vmcnt(12) lgkmcnt(0)
	v_fma_f64 v[138:139], v[138:139], v[132:133], 0
	s_waitcnt vmcnt(10)
	v_fmac_f64_e32 v[138:139], v[140:141], v[134:135]
	ds_read2_b64 v[132:135], v130 offset0:119 offset1:120
	s_waitcnt vmcnt(8) lgkmcnt(0)
	v_fmac_f64_e32 v[138:139], v[142:143], v[132:133]
	s_waitcnt vmcnt(6)
	v_fmac_f64_e32 v[138:139], v[144:145], v[134:135]
	ds_read2_b64 v[132:135], v130 offset0:121 offset1:122
	s_waitcnt vmcnt(4) lgkmcnt(0)
	v_fmac_f64_e32 v[138:139], v[146:147], v[132:133]
	;; [unrolled: 5-line block ×3, first 2 shown]
	buffer_load_dword v133, off, s[0:3], 0 offset:484
	buffer_load_dword v132, off, s[0:3], 0 offset:480
	;; [unrolled: 1-line block ×4, first 2 shown]
	s_waitcnt vmcnt(2)
	v_fmac_f64_e32 v[138:139], v[132:133], v[134:135]
	ds_read2_b64 v[132:135], v130 offset0:125 offset1:126
	s_waitcnt vmcnt(0) lgkmcnt(0)
	v_fmac_f64_e32 v[138:139], v[140:141], v[132:133]
	buffer_load_dword v133, off, s[0:3], 0 offset:500
	buffer_load_dword v132, off, s[0:3], 0 offset:496
	s_waitcnt vmcnt(0)
	v_fmac_f64_e32 v[138:139], v[132:133], v[134:135]
	buffer_load_dword v133, off, s[0:3], 0 offset:508
	buffer_load_dword v132, off, s[0:3], 0 offset:504
	ds_read_b64 v[134:135], v130 offset:1016
	s_waitcnt vmcnt(0) lgkmcnt(0)
	v_fmac_f64_e32 v[138:139], v[132:133], v[134:135]
	v_add_f64 v[132:133], v[136:137], -v[138:139]
	buffer_store_dword v133, off, s[0:3], 0 offset:420
	buffer_store_dword v132, off, s[0:3], 0 offset:416
	s_and_saveexec_b64 s[4:5], vcc
	s_cbranch_execz .LBB127_289
; %bb.288:
	buffer_load_dword v132, off, s[0:3], 0 offset:408
	buffer_load_dword v133, off, s[0:3], 0 offset:412
	s_waitcnt vmcnt(0)
	ds_write_b64 v1, v[132:133]
	buffer_store_dword v130, off, s[0:3], 0 offset:408
	buffer_store_dword v130, off, s[0:3], 0 offset:412
.LBB127_289:
	s_or_b64 exec, exec, s[4:5]
	s_waitcnt lgkmcnt(0)
	; wave barrier
	s_waitcnt lgkmcnt(0)
	buffer_load_dword v148, off, s[0:3], 0 offset:408
	buffer_load_dword v149, off, s[0:3], 0 offset:412
	;; [unrolled: 1-line block ×16, first 2 shown]
	ds_read_b128 v[132:135], v130 offset:928
	ds_read_b128 v[136:139], v130 offset:944
	;; [unrolled: 1-line block ×4, first 2 shown]
	v_cmp_lt_u32_e32 vcc, 50, v0
	s_waitcnt vmcnt(12) lgkmcnt(3)
	v_fma_f64 v[150:151], v[150:151], v[132:133], 0
	buffer_load_dword v133, off, s[0:3], 0 offset:476
	buffer_load_dword v132, off, s[0:3], 0 offset:472
	s_waitcnt vmcnt(12)
	v_fmac_f64_e32 v[150:151], v[152:153], v[134:135]
	s_waitcnt vmcnt(10) lgkmcnt(2)
	v_fmac_f64_e32 v[150:151], v[154:155], v[136:137]
	buffer_load_dword v137, off, s[0:3], 0 offset:484
	buffer_load_dword v136, off, s[0:3], 0 offset:480
	s_waitcnt vmcnt(10)
	v_fmac_f64_e32 v[150:151], v[156:157], v[138:139]
	s_waitcnt vmcnt(8) lgkmcnt(1)
	v_fmac_f64_e32 v[150:151], v[158:159], v[140:141]
	s_waitcnt vmcnt(6)
	v_fmac_f64_e32 v[150:151], v[160:161], v[142:143]
	s_waitcnt vmcnt(4) lgkmcnt(0)
	v_fmac_f64_e32 v[150:151], v[162:163], v[144:145]
	s_waitcnt vmcnt(2)
	v_fmac_f64_e32 v[150:151], v[132:133], v[146:147]
	ds_read_b128 v[132:135], v130 offset:992
	s_waitcnt vmcnt(0) lgkmcnt(0)
	v_fmac_f64_e32 v[150:151], v[136:137], v[132:133]
	buffer_load_dword v133, off, s[0:3], 0 offset:492
	buffer_load_dword v132, off, s[0:3], 0 offset:488
	s_waitcnt vmcnt(0)
	v_fmac_f64_e32 v[150:151], v[132:133], v[134:135]
	buffer_load_dword v135, off, s[0:3], 0 offset:500
	buffer_load_dword v134, off, s[0:3], 0 offset:496
	ds_read_b128 v[130:133], v130 offset:1008
	s_waitcnt vmcnt(0) lgkmcnt(0)
	v_fmac_f64_e32 v[150:151], v[134:135], v[130:131]
	buffer_load_dword v131, off, s[0:3], 0 offset:508
	buffer_load_dword v130, off, s[0:3], 0 offset:504
	s_waitcnt vmcnt(0)
	v_fmac_f64_e32 v[150:151], v[130:131], v[132:133]
	v_add_f64 v[130:131], v[148:149], -v[150:151]
	buffer_store_dword v131, off, s[0:3], 0 offset:412
	buffer_store_dword v130, off, s[0:3], 0 offset:408
	s_and_saveexec_b64 s[4:5], vcc
	s_cbranch_execz .LBB127_291
; %bb.290:
	buffer_load_dword v130, off, s[0:3], 0 offset:400
	buffer_load_dword v131, off, s[0:3], 0 offset:404
	v_mov_b32_e32 v132, 0
	buffer_store_dword v132, off, s[0:3], 0 offset:400
	buffer_store_dword v132, off, s[0:3], 0 offset:404
	s_waitcnt vmcnt(2)
	ds_write_b64 v1, v[130:131]
.LBB127_291:
	s_or_b64 exec, exec, s[4:5]
	s_waitcnt lgkmcnt(0)
	; wave barrier
	s_waitcnt lgkmcnt(0)
	buffer_load_dword v136, off, s[0:3], 0 offset:400
	buffer_load_dword v137, off, s[0:3], 0 offset:404
	;; [unrolled: 1-line block ×16, first 2 shown]
	v_mov_b32_e32 v130, 0
	ds_read2_b64 v[132:135], v130 offset0:115 offset1:116
	v_cmp_lt_u32_e32 vcc, 49, v0
	s_waitcnt vmcnt(12) lgkmcnt(0)
	v_fma_f64 v[138:139], v[138:139], v[132:133], 0
	s_waitcnt vmcnt(10)
	v_fmac_f64_e32 v[138:139], v[140:141], v[134:135]
	ds_read2_b64 v[132:135], v130 offset0:117 offset1:118
	s_waitcnt vmcnt(8) lgkmcnt(0)
	v_fmac_f64_e32 v[138:139], v[142:143], v[132:133]
	s_waitcnt vmcnt(6)
	v_fmac_f64_e32 v[138:139], v[144:145], v[134:135]
	ds_read2_b64 v[132:135], v130 offset0:119 offset1:120
	s_waitcnt vmcnt(4) lgkmcnt(0)
	v_fmac_f64_e32 v[138:139], v[146:147], v[132:133]
	;; [unrolled: 5-line block ×3, first 2 shown]
	buffer_load_dword v133, off, s[0:3], 0 offset:468
	buffer_load_dword v132, off, s[0:3], 0 offset:464
	;; [unrolled: 1-line block ×4, first 2 shown]
	s_waitcnt vmcnt(2)
	v_fmac_f64_e32 v[138:139], v[132:133], v[134:135]
	ds_read2_b64 v[132:135], v130 offset0:123 offset1:124
	s_waitcnt vmcnt(0) lgkmcnt(0)
	v_fmac_f64_e32 v[138:139], v[140:141], v[132:133]
	buffer_load_dword v133, off, s[0:3], 0 offset:484
	buffer_load_dword v132, off, s[0:3], 0 offset:480
	;; [unrolled: 1-line block ×4, first 2 shown]
	s_waitcnt vmcnt(2)
	v_fmac_f64_e32 v[138:139], v[132:133], v[134:135]
	ds_read2_b64 v[132:135], v130 offset0:125 offset1:126
	s_waitcnt vmcnt(0) lgkmcnt(0)
	v_fmac_f64_e32 v[138:139], v[140:141], v[132:133]
	buffer_load_dword v133, off, s[0:3], 0 offset:500
	buffer_load_dword v132, off, s[0:3], 0 offset:496
	s_waitcnt vmcnt(0)
	v_fmac_f64_e32 v[138:139], v[132:133], v[134:135]
	buffer_load_dword v133, off, s[0:3], 0 offset:508
	buffer_load_dword v132, off, s[0:3], 0 offset:504
	ds_read_b64 v[134:135], v130 offset:1016
	s_waitcnt vmcnt(0) lgkmcnt(0)
	v_fmac_f64_e32 v[138:139], v[132:133], v[134:135]
	v_add_f64 v[132:133], v[136:137], -v[138:139]
	buffer_store_dword v133, off, s[0:3], 0 offset:404
	buffer_store_dword v132, off, s[0:3], 0 offset:400
	s_and_saveexec_b64 s[4:5], vcc
	s_cbranch_execz .LBB127_293
; %bb.292:
	buffer_load_dword v132, off, s[0:3], 0 offset:392
	buffer_load_dword v133, off, s[0:3], 0 offset:396
	s_waitcnt vmcnt(0)
	ds_write_b64 v1, v[132:133]
	buffer_store_dword v130, off, s[0:3], 0 offset:392
	buffer_store_dword v130, off, s[0:3], 0 offset:396
.LBB127_293:
	s_or_b64 exec, exec, s[4:5]
	s_waitcnt lgkmcnt(0)
	; wave barrier
	s_waitcnt lgkmcnt(0)
	buffer_load_dword v148, off, s[0:3], 0 offset:392
	buffer_load_dword v149, off, s[0:3], 0 offset:396
	;; [unrolled: 1-line block ×16, first 2 shown]
	ds_read_b128 v[132:135], v130 offset:912
	ds_read_b128 v[136:139], v130 offset:928
	;; [unrolled: 1-line block ×4, first 2 shown]
	v_cmp_lt_u32_e32 vcc, 48, v0
	s_waitcnt vmcnt(12) lgkmcnt(3)
	v_fma_f64 v[150:151], v[150:151], v[132:133], 0
	buffer_load_dword v133, off, s[0:3], 0 offset:460
	buffer_load_dword v132, off, s[0:3], 0 offset:456
	s_waitcnt vmcnt(12)
	v_fmac_f64_e32 v[150:151], v[152:153], v[134:135]
	s_waitcnt vmcnt(10) lgkmcnt(2)
	v_fmac_f64_e32 v[150:151], v[154:155], v[136:137]
	buffer_load_dword v137, off, s[0:3], 0 offset:468
	buffer_load_dword v136, off, s[0:3], 0 offset:464
	s_waitcnt vmcnt(10)
	v_fmac_f64_e32 v[150:151], v[156:157], v[138:139]
	s_waitcnt vmcnt(8) lgkmcnt(1)
	v_fmac_f64_e32 v[150:151], v[158:159], v[140:141]
	s_waitcnt vmcnt(6)
	v_fmac_f64_e32 v[150:151], v[160:161], v[142:143]
	s_waitcnt vmcnt(4) lgkmcnt(0)
	v_fmac_f64_e32 v[150:151], v[162:163], v[144:145]
	s_waitcnt vmcnt(2)
	v_fmac_f64_e32 v[150:151], v[132:133], v[146:147]
	ds_read_b128 v[132:135], v130 offset:976
	s_waitcnt vmcnt(0) lgkmcnt(0)
	v_fmac_f64_e32 v[150:151], v[136:137], v[132:133]
	buffer_load_dword v133, off, s[0:3], 0 offset:476
	buffer_load_dword v132, off, s[0:3], 0 offset:472
	;; [unrolled: 1-line block ×4, first 2 shown]
	s_waitcnt vmcnt(2)
	v_fmac_f64_e32 v[150:151], v[132:133], v[134:135]
	ds_read_b128 v[132:135], v130 offset:992
	s_waitcnt vmcnt(0) lgkmcnt(0)
	v_fmac_f64_e32 v[150:151], v[136:137], v[132:133]
	buffer_load_dword v133, off, s[0:3], 0 offset:492
	buffer_load_dword v132, off, s[0:3], 0 offset:488
	s_waitcnt vmcnt(0)
	v_fmac_f64_e32 v[150:151], v[132:133], v[134:135]
	buffer_load_dword v135, off, s[0:3], 0 offset:500
	buffer_load_dword v134, off, s[0:3], 0 offset:496
	ds_read_b128 v[130:133], v130 offset:1008
	s_waitcnt vmcnt(0) lgkmcnt(0)
	v_fmac_f64_e32 v[150:151], v[134:135], v[130:131]
	buffer_load_dword v131, off, s[0:3], 0 offset:508
	buffer_load_dword v130, off, s[0:3], 0 offset:504
	s_waitcnt vmcnt(0)
	v_fmac_f64_e32 v[150:151], v[130:131], v[132:133]
	v_add_f64 v[130:131], v[148:149], -v[150:151]
	buffer_store_dword v131, off, s[0:3], 0 offset:396
	buffer_store_dword v130, off, s[0:3], 0 offset:392
	s_and_saveexec_b64 s[4:5], vcc
	s_cbranch_execz .LBB127_295
; %bb.294:
	buffer_load_dword v130, off, s[0:3], 0 offset:384
	buffer_load_dword v131, off, s[0:3], 0 offset:388
	v_mov_b32_e32 v132, 0
	buffer_store_dword v132, off, s[0:3], 0 offset:384
	buffer_store_dword v132, off, s[0:3], 0 offset:388
	s_waitcnt vmcnt(2)
	ds_write_b64 v1, v[130:131]
.LBB127_295:
	s_or_b64 exec, exec, s[4:5]
	s_waitcnt lgkmcnt(0)
	; wave barrier
	s_waitcnt lgkmcnt(0)
	buffer_load_dword v136, off, s[0:3], 0 offset:384
	buffer_load_dword v137, off, s[0:3], 0 offset:388
	;; [unrolled: 1-line block ×16, first 2 shown]
	v_mov_b32_e32 v130, 0
	ds_read2_b64 v[132:135], v130 offset0:113 offset1:114
	v_cmp_lt_u32_e32 vcc, 47, v0
	s_waitcnt vmcnt(12) lgkmcnt(0)
	v_fma_f64 v[138:139], v[138:139], v[132:133], 0
	s_waitcnt vmcnt(10)
	v_fmac_f64_e32 v[138:139], v[140:141], v[134:135]
	ds_read2_b64 v[132:135], v130 offset0:115 offset1:116
	s_waitcnt vmcnt(8) lgkmcnt(0)
	v_fmac_f64_e32 v[138:139], v[142:143], v[132:133]
	s_waitcnt vmcnt(6)
	v_fmac_f64_e32 v[138:139], v[144:145], v[134:135]
	ds_read2_b64 v[132:135], v130 offset0:117 offset1:118
	s_waitcnt vmcnt(4) lgkmcnt(0)
	v_fmac_f64_e32 v[138:139], v[146:147], v[132:133]
	;; [unrolled: 5-line block ×3, first 2 shown]
	buffer_load_dword v133, off, s[0:3], 0 offset:452
	buffer_load_dword v132, off, s[0:3], 0 offset:448
	buffer_load_dword v141, off, s[0:3], 0 offset:460
	buffer_load_dword v140, off, s[0:3], 0 offset:456
	s_waitcnt vmcnt(2)
	v_fmac_f64_e32 v[138:139], v[132:133], v[134:135]
	ds_read2_b64 v[132:135], v130 offset0:121 offset1:122
	s_waitcnt vmcnt(0) lgkmcnt(0)
	v_fmac_f64_e32 v[138:139], v[140:141], v[132:133]
	buffer_load_dword v133, off, s[0:3], 0 offset:468
	buffer_load_dword v132, off, s[0:3], 0 offset:464
	buffer_load_dword v141, off, s[0:3], 0 offset:476
	buffer_load_dword v140, off, s[0:3], 0 offset:472
	s_waitcnt vmcnt(2)
	v_fmac_f64_e32 v[138:139], v[132:133], v[134:135]
	ds_read2_b64 v[132:135], v130 offset0:123 offset1:124
	s_waitcnt vmcnt(0) lgkmcnt(0)
	v_fmac_f64_e32 v[138:139], v[140:141], v[132:133]
	;; [unrolled: 9-line block ×3, first 2 shown]
	buffer_load_dword v133, off, s[0:3], 0 offset:500
	buffer_load_dword v132, off, s[0:3], 0 offset:496
	s_waitcnt vmcnt(0)
	v_fmac_f64_e32 v[138:139], v[132:133], v[134:135]
	buffer_load_dword v133, off, s[0:3], 0 offset:508
	buffer_load_dword v132, off, s[0:3], 0 offset:504
	ds_read_b64 v[134:135], v130 offset:1016
	s_waitcnt vmcnt(0) lgkmcnt(0)
	v_fmac_f64_e32 v[138:139], v[132:133], v[134:135]
	v_add_f64 v[132:133], v[136:137], -v[138:139]
	buffer_store_dword v133, off, s[0:3], 0 offset:388
	buffer_store_dword v132, off, s[0:3], 0 offset:384
	s_and_saveexec_b64 s[4:5], vcc
	s_cbranch_execz .LBB127_297
; %bb.296:
	buffer_load_dword v132, off, s[0:3], 0 offset:376
	buffer_load_dword v133, off, s[0:3], 0 offset:380
	s_waitcnt vmcnt(0)
	ds_write_b64 v1, v[132:133]
	buffer_store_dword v130, off, s[0:3], 0 offset:376
	buffer_store_dword v130, off, s[0:3], 0 offset:380
.LBB127_297:
	s_or_b64 exec, exec, s[4:5]
	s_waitcnt lgkmcnt(0)
	; wave barrier
	s_waitcnt lgkmcnt(0)
	buffer_load_dword v148, off, s[0:3], 0 offset:376
	buffer_load_dword v149, off, s[0:3], 0 offset:380
	;; [unrolled: 1-line block ×16, first 2 shown]
	ds_read_b128 v[132:135], v130 offset:896
	ds_read_b128 v[136:139], v130 offset:912
	;; [unrolled: 1-line block ×4, first 2 shown]
	v_cmp_lt_u32_e32 vcc, 46, v0
	s_waitcnt vmcnt(12) lgkmcnt(3)
	v_fma_f64 v[150:151], v[150:151], v[132:133], 0
	buffer_load_dword v133, off, s[0:3], 0 offset:444
	buffer_load_dword v132, off, s[0:3], 0 offset:440
	s_waitcnt vmcnt(12)
	v_fmac_f64_e32 v[150:151], v[152:153], v[134:135]
	s_waitcnt vmcnt(10) lgkmcnt(2)
	v_fmac_f64_e32 v[150:151], v[154:155], v[136:137]
	buffer_load_dword v137, off, s[0:3], 0 offset:452
	buffer_load_dword v136, off, s[0:3], 0 offset:448
	s_waitcnt vmcnt(10)
	v_fmac_f64_e32 v[150:151], v[156:157], v[138:139]
	s_waitcnt vmcnt(8) lgkmcnt(1)
	v_fmac_f64_e32 v[150:151], v[158:159], v[140:141]
	s_waitcnt vmcnt(6)
	v_fmac_f64_e32 v[150:151], v[160:161], v[142:143]
	s_waitcnt vmcnt(4) lgkmcnt(0)
	v_fmac_f64_e32 v[150:151], v[162:163], v[144:145]
	s_waitcnt vmcnt(2)
	v_fmac_f64_e32 v[150:151], v[132:133], v[146:147]
	ds_read_b128 v[132:135], v130 offset:960
	s_waitcnt vmcnt(0) lgkmcnt(0)
	v_fmac_f64_e32 v[150:151], v[136:137], v[132:133]
	buffer_load_dword v133, off, s[0:3], 0 offset:460
	buffer_load_dword v132, off, s[0:3], 0 offset:456
	;; [unrolled: 1-line block ×4, first 2 shown]
	s_waitcnt vmcnt(2)
	v_fmac_f64_e32 v[150:151], v[132:133], v[134:135]
	ds_read_b128 v[132:135], v130 offset:976
	s_waitcnt vmcnt(0) lgkmcnt(0)
	v_fmac_f64_e32 v[150:151], v[136:137], v[132:133]
	buffer_load_dword v133, off, s[0:3], 0 offset:476
	buffer_load_dword v132, off, s[0:3], 0 offset:472
	buffer_load_dword v137, off, s[0:3], 0 offset:484
	buffer_load_dword v136, off, s[0:3], 0 offset:480
	s_waitcnt vmcnt(2)
	v_fmac_f64_e32 v[150:151], v[132:133], v[134:135]
	ds_read_b128 v[132:135], v130 offset:992
	s_waitcnt vmcnt(0) lgkmcnt(0)
	v_fmac_f64_e32 v[150:151], v[136:137], v[132:133]
	buffer_load_dword v133, off, s[0:3], 0 offset:492
	buffer_load_dword v132, off, s[0:3], 0 offset:488
	s_waitcnt vmcnt(0)
	v_fmac_f64_e32 v[150:151], v[132:133], v[134:135]
	buffer_load_dword v135, off, s[0:3], 0 offset:500
	buffer_load_dword v134, off, s[0:3], 0 offset:496
	ds_read_b128 v[130:133], v130 offset:1008
	s_waitcnt vmcnt(0) lgkmcnt(0)
	v_fmac_f64_e32 v[150:151], v[134:135], v[130:131]
	buffer_load_dword v131, off, s[0:3], 0 offset:508
	buffer_load_dword v130, off, s[0:3], 0 offset:504
	s_waitcnt vmcnt(0)
	v_fmac_f64_e32 v[150:151], v[130:131], v[132:133]
	v_add_f64 v[130:131], v[148:149], -v[150:151]
	buffer_store_dword v131, off, s[0:3], 0 offset:380
	buffer_store_dword v130, off, s[0:3], 0 offset:376
	s_and_saveexec_b64 s[4:5], vcc
	s_cbranch_execz .LBB127_299
; %bb.298:
	buffer_load_dword v130, off, s[0:3], 0 offset:368
	buffer_load_dword v131, off, s[0:3], 0 offset:372
	v_mov_b32_e32 v132, 0
	buffer_store_dword v132, off, s[0:3], 0 offset:368
	buffer_store_dword v132, off, s[0:3], 0 offset:372
	s_waitcnt vmcnt(2)
	ds_write_b64 v1, v[130:131]
.LBB127_299:
	s_or_b64 exec, exec, s[4:5]
	s_waitcnt lgkmcnt(0)
	; wave barrier
	s_waitcnt lgkmcnt(0)
	buffer_load_dword v130, off, s[0:3], 0 offset:368
	buffer_load_dword v131, off, s[0:3], 0 offset:372
	;; [unrolled: 1-line block ×16, first 2 shown]
	v_mov_b32_e32 v134, 0
	ds_read2_b64 v[136:139], v134 offset0:111 offset1:112
	v_cmp_lt_u32_e32 vcc, 45, v0
	s_waitcnt vmcnt(12) lgkmcnt(0)
	v_fma_f64 v[132:133], v[132:133], v[136:137], 0
	s_waitcnt vmcnt(10)
	v_fmac_f64_e32 v[132:133], v[140:141], v[138:139]
	ds_read2_b64 v[136:139], v134 offset0:113 offset1:114
	s_waitcnt vmcnt(8) lgkmcnt(0)
	v_fmac_f64_e32 v[132:133], v[142:143], v[136:137]
	s_waitcnt vmcnt(6)
	v_fmac_f64_e32 v[132:133], v[144:145], v[138:139]
	ds_read2_b64 v[136:139], v134 offset0:115 offset1:116
	s_waitcnt vmcnt(4) lgkmcnt(0)
	v_fmac_f64_e32 v[132:133], v[146:147], v[136:137]
	;; [unrolled: 5-line block ×3, first 2 shown]
	buffer_load_dword v137, off, s[0:3], 0 offset:436
	buffer_load_dword v136, off, s[0:3], 0 offset:432
	buffer_load_dword v141, off, s[0:3], 0 offset:444
	buffer_load_dword v140, off, s[0:3], 0 offset:440
	s_waitcnt vmcnt(2)
	v_fmac_f64_e32 v[132:133], v[136:137], v[138:139]
	ds_read2_b64 v[136:139], v134 offset0:119 offset1:120
	s_waitcnt vmcnt(0) lgkmcnt(0)
	v_fmac_f64_e32 v[132:133], v[140:141], v[136:137]
	buffer_load_dword v137, off, s[0:3], 0 offset:452
	buffer_load_dword v136, off, s[0:3], 0 offset:448
	buffer_load_dword v141, off, s[0:3], 0 offset:460
	buffer_load_dword v140, off, s[0:3], 0 offset:456
	s_waitcnt vmcnt(2)
	v_fmac_f64_e32 v[132:133], v[136:137], v[138:139]
	ds_read2_b64 v[136:139], v134 offset0:121 offset1:122
	s_waitcnt vmcnt(0) lgkmcnt(0)
	v_fmac_f64_e32 v[132:133], v[140:141], v[136:137]
	;; [unrolled: 9-line block ×4, first 2 shown]
	buffer_load_dword v137, off, s[0:3], 0 offset:500
	buffer_load_dword v136, off, s[0:3], 0 offset:496
	s_waitcnt vmcnt(0)
	v_fmac_f64_e32 v[132:133], v[136:137], v[138:139]
	buffer_load_dword v137, off, s[0:3], 0 offset:508
	buffer_load_dword v136, off, s[0:3], 0 offset:504
	ds_read_b64 v[138:139], v134 offset:1016
	s_waitcnt vmcnt(0) lgkmcnt(0)
	v_fmac_f64_e32 v[132:133], v[136:137], v[138:139]
	v_add_f64 v[130:131], v[130:131], -v[132:133]
	buffer_store_dword v131, off, s[0:3], 0 offset:372
	buffer_store_dword v130, off, s[0:3], 0 offset:368
	s_and_saveexec_b64 s[4:5], vcc
	s_cbranch_execz .LBB127_301
; %bb.300:
	buffer_load_dword v130, off, s[0:3], 0 offset:360
	buffer_load_dword v131, off, s[0:3], 0 offset:364
	s_waitcnt vmcnt(0)
	ds_write_b64 v1, v[130:131]
	buffer_store_dword v134, off, s[0:3], 0 offset:360
	buffer_store_dword v134, off, s[0:3], 0 offset:364
.LBB127_301:
	s_or_b64 exec, exec, s[4:5]
	s_waitcnt lgkmcnt(0)
	; wave barrier
	s_waitcnt lgkmcnt(0)
	buffer_load_dword v130, off, s[0:3], 0 offset:360
	buffer_load_dword v131, off, s[0:3], 0 offset:364
	;; [unrolled: 1-line block ×16, first 2 shown]
	ds_read_b128 v[136:139], v134 offset:880
	ds_read_b128 v[140:143], v134 offset:896
	;; [unrolled: 1-line block ×4, first 2 shown]
	v_cmp_lt_u32_e32 vcc, 44, v0
	s_waitcnt vmcnt(12) lgkmcnt(3)
	v_fma_f64 v[132:133], v[132:133], v[136:137], 0
	buffer_load_dword v137, off, s[0:3], 0 offset:428
	buffer_load_dword v136, off, s[0:3], 0 offset:424
	s_waitcnt vmcnt(12)
	v_fmac_f64_e32 v[132:133], v[152:153], v[138:139]
	s_waitcnt vmcnt(10) lgkmcnt(2)
	v_fmac_f64_e32 v[132:133], v[154:155], v[140:141]
	buffer_load_dword v141, off, s[0:3], 0 offset:436
	buffer_load_dword v140, off, s[0:3], 0 offset:432
	s_waitcnt vmcnt(10)
	v_fmac_f64_e32 v[132:133], v[156:157], v[142:143]
	s_waitcnt vmcnt(8) lgkmcnt(1)
	v_fmac_f64_e32 v[132:133], v[158:159], v[144:145]
	s_waitcnt vmcnt(6)
	v_fmac_f64_e32 v[132:133], v[160:161], v[146:147]
	s_waitcnt vmcnt(4) lgkmcnt(0)
	v_fmac_f64_e32 v[132:133], v[162:163], v[148:149]
	s_waitcnt vmcnt(2)
	v_fmac_f64_e32 v[132:133], v[136:137], v[150:151]
	ds_read_b128 v[136:139], v134 offset:944
	s_waitcnt vmcnt(0) lgkmcnt(0)
	v_fmac_f64_e32 v[132:133], v[140:141], v[136:137]
	buffer_load_dword v137, off, s[0:3], 0 offset:444
	buffer_load_dword v136, off, s[0:3], 0 offset:440
	buffer_load_dword v141, off, s[0:3], 0 offset:452
	buffer_load_dword v140, off, s[0:3], 0 offset:448
	s_waitcnt vmcnt(2)
	v_fmac_f64_e32 v[132:133], v[136:137], v[138:139]
	ds_read_b128 v[136:139], v134 offset:960
	s_waitcnt vmcnt(0) lgkmcnt(0)
	v_fmac_f64_e32 v[132:133], v[140:141], v[136:137]
	buffer_load_dword v137, off, s[0:3], 0 offset:460
	buffer_load_dword v136, off, s[0:3], 0 offset:456
	buffer_load_dword v141, off, s[0:3], 0 offset:468
	buffer_load_dword v140, off, s[0:3], 0 offset:464
	;; [unrolled: 9-line block ×3, first 2 shown]
	s_waitcnt vmcnt(2)
	v_fmac_f64_e32 v[132:133], v[136:137], v[138:139]
	ds_read_b128 v[136:139], v134 offset:992
	s_waitcnt vmcnt(0) lgkmcnt(0)
	v_fmac_f64_e32 v[132:133], v[140:141], v[136:137]
	buffer_load_dword v137, off, s[0:3], 0 offset:492
	buffer_load_dword v136, off, s[0:3], 0 offset:488
	s_waitcnt vmcnt(0)
	v_fmac_f64_e32 v[132:133], v[136:137], v[138:139]
	buffer_load_dword v139, off, s[0:3], 0 offset:500
	buffer_load_dword v138, off, s[0:3], 0 offset:496
	ds_read_b128 v[134:137], v134 offset:1008
	s_waitcnt vmcnt(0) lgkmcnt(0)
	v_fmac_f64_e32 v[132:133], v[138:139], v[134:135]
	buffer_load_dword v135, off, s[0:3], 0 offset:508
	buffer_load_dword v134, off, s[0:3], 0 offset:504
	s_waitcnt vmcnt(0)
	v_fmac_f64_e32 v[132:133], v[134:135], v[136:137]
	v_add_f64 v[130:131], v[130:131], -v[132:133]
	buffer_store_dword v131, off, s[0:3], 0 offset:364
	buffer_store_dword v130, off, s[0:3], 0 offset:360
	s_and_saveexec_b64 s[4:5], vcc
	s_cbranch_execz .LBB127_303
; %bb.302:
	buffer_load_dword v130, off, s[0:3], 0 offset:352
	buffer_load_dword v131, off, s[0:3], 0 offset:356
	v_mov_b32_e32 v132, 0
	buffer_store_dword v132, off, s[0:3], 0 offset:352
	buffer_store_dword v132, off, s[0:3], 0 offset:356
	s_waitcnt vmcnt(2)
	ds_write_b64 v1, v[130:131]
.LBB127_303:
	s_or_b64 exec, exec, s[4:5]
	s_waitcnt lgkmcnt(0)
	; wave barrier
	s_waitcnt lgkmcnt(0)
	buffer_load_dword v130, off, s[0:3], 0 offset:352
	buffer_load_dword v131, off, s[0:3], 0 offset:356
	;; [unrolled: 1-line block ×16, first 2 shown]
	v_mov_b32_e32 v134, 0
	ds_read2_b64 v[136:139], v134 offset0:109 offset1:110
	v_cmp_lt_u32_e32 vcc, 43, v0
	s_waitcnt vmcnt(12) lgkmcnt(0)
	v_fma_f64 v[132:133], v[132:133], v[136:137], 0
	s_waitcnt vmcnt(10)
	v_fmac_f64_e32 v[132:133], v[140:141], v[138:139]
	ds_read2_b64 v[136:139], v134 offset0:111 offset1:112
	s_waitcnt vmcnt(8) lgkmcnt(0)
	v_fmac_f64_e32 v[132:133], v[142:143], v[136:137]
	s_waitcnt vmcnt(6)
	v_fmac_f64_e32 v[132:133], v[144:145], v[138:139]
	ds_read2_b64 v[136:139], v134 offset0:113 offset1:114
	s_waitcnt vmcnt(4) lgkmcnt(0)
	v_fmac_f64_e32 v[132:133], v[146:147], v[136:137]
	;; [unrolled: 5-line block ×3, first 2 shown]
	buffer_load_dword v137, off, s[0:3], 0 offset:420
	buffer_load_dword v136, off, s[0:3], 0 offset:416
	buffer_load_dword v141, off, s[0:3], 0 offset:428
	buffer_load_dword v140, off, s[0:3], 0 offset:424
	s_waitcnt vmcnt(2)
	v_fmac_f64_e32 v[132:133], v[136:137], v[138:139]
	ds_read2_b64 v[136:139], v134 offset0:117 offset1:118
	s_waitcnt vmcnt(0) lgkmcnt(0)
	v_fmac_f64_e32 v[132:133], v[140:141], v[136:137]
	buffer_load_dword v137, off, s[0:3], 0 offset:436
	buffer_load_dword v136, off, s[0:3], 0 offset:432
	buffer_load_dword v141, off, s[0:3], 0 offset:444
	buffer_load_dword v140, off, s[0:3], 0 offset:440
	s_waitcnt vmcnt(2)
	v_fmac_f64_e32 v[132:133], v[136:137], v[138:139]
	ds_read2_b64 v[136:139], v134 offset0:119 offset1:120
	s_waitcnt vmcnt(0) lgkmcnt(0)
	v_fmac_f64_e32 v[132:133], v[140:141], v[136:137]
	;; [unrolled: 9-line block ×5, first 2 shown]
	buffer_load_dword v137, off, s[0:3], 0 offset:500
	buffer_load_dword v136, off, s[0:3], 0 offset:496
	s_waitcnt vmcnt(0)
	v_fmac_f64_e32 v[132:133], v[136:137], v[138:139]
	buffer_load_dword v137, off, s[0:3], 0 offset:508
	buffer_load_dword v136, off, s[0:3], 0 offset:504
	ds_read_b64 v[138:139], v134 offset:1016
	s_waitcnt vmcnt(0) lgkmcnt(0)
	v_fmac_f64_e32 v[132:133], v[136:137], v[138:139]
	v_add_f64 v[130:131], v[130:131], -v[132:133]
	buffer_store_dword v131, off, s[0:3], 0 offset:356
	buffer_store_dword v130, off, s[0:3], 0 offset:352
	s_and_saveexec_b64 s[4:5], vcc
	s_cbranch_execz .LBB127_305
; %bb.304:
	buffer_load_dword v130, off, s[0:3], 0 offset:344
	buffer_load_dword v131, off, s[0:3], 0 offset:348
	s_waitcnt vmcnt(0)
	ds_write_b64 v1, v[130:131]
	buffer_store_dword v134, off, s[0:3], 0 offset:344
	buffer_store_dword v134, off, s[0:3], 0 offset:348
.LBB127_305:
	s_or_b64 exec, exec, s[4:5]
	s_waitcnt lgkmcnt(0)
	; wave barrier
	s_waitcnt lgkmcnt(0)
	buffer_load_dword v130, off, s[0:3], 0 offset:344
	buffer_load_dword v131, off, s[0:3], 0 offset:348
	;; [unrolled: 1-line block ×16, first 2 shown]
	ds_read_b128 v[136:139], v134 offset:864
	ds_read_b128 v[140:143], v134 offset:880
	;; [unrolled: 1-line block ×4, first 2 shown]
	v_cmp_lt_u32_e32 vcc, 42, v0
	s_waitcnt vmcnt(12) lgkmcnt(3)
	v_fma_f64 v[132:133], v[132:133], v[136:137], 0
	buffer_load_dword v137, off, s[0:3], 0 offset:412
	buffer_load_dword v136, off, s[0:3], 0 offset:408
	s_waitcnt vmcnt(12)
	v_fmac_f64_e32 v[132:133], v[152:153], v[138:139]
	s_waitcnt vmcnt(10) lgkmcnt(2)
	v_fmac_f64_e32 v[132:133], v[154:155], v[140:141]
	buffer_load_dword v141, off, s[0:3], 0 offset:420
	buffer_load_dword v140, off, s[0:3], 0 offset:416
	s_waitcnt vmcnt(10)
	v_fmac_f64_e32 v[132:133], v[156:157], v[142:143]
	s_waitcnt vmcnt(8) lgkmcnt(1)
	v_fmac_f64_e32 v[132:133], v[158:159], v[144:145]
	s_waitcnt vmcnt(6)
	v_fmac_f64_e32 v[132:133], v[160:161], v[146:147]
	s_waitcnt vmcnt(4) lgkmcnt(0)
	v_fmac_f64_e32 v[132:133], v[162:163], v[148:149]
	s_waitcnt vmcnt(2)
	v_fmac_f64_e32 v[132:133], v[136:137], v[150:151]
	ds_read_b128 v[136:139], v134 offset:928
	s_waitcnt vmcnt(0) lgkmcnt(0)
	v_fmac_f64_e32 v[132:133], v[140:141], v[136:137]
	buffer_load_dword v137, off, s[0:3], 0 offset:428
	buffer_load_dword v136, off, s[0:3], 0 offset:424
	buffer_load_dword v141, off, s[0:3], 0 offset:436
	buffer_load_dword v140, off, s[0:3], 0 offset:432
	s_waitcnt vmcnt(2)
	v_fmac_f64_e32 v[132:133], v[136:137], v[138:139]
	ds_read_b128 v[136:139], v134 offset:944
	s_waitcnt vmcnt(0) lgkmcnt(0)
	v_fmac_f64_e32 v[132:133], v[140:141], v[136:137]
	buffer_load_dword v137, off, s[0:3], 0 offset:444
	buffer_load_dword v136, off, s[0:3], 0 offset:440
	buffer_load_dword v141, off, s[0:3], 0 offset:452
	buffer_load_dword v140, off, s[0:3], 0 offset:448
	;; [unrolled: 9-line block ×4, first 2 shown]
	s_waitcnt vmcnt(2)
	v_fmac_f64_e32 v[132:133], v[136:137], v[138:139]
	ds_read_b128 v[136:139], v134 offset:992
	s_waitcnt vmcnt(0) lgkmcnt(0)
	v_fmac_f64_e32 v[132:133], v[140:141], v[136:137]
	buffer_load_dword v137, off, s[0:3], 0 offset:492
	buffer_load_dword v136, off, s[0:3], 0 offset:488
	s_waitcnt vmcnt(0)
	v_fmac_f64_e32 v[132:133], v[136:137], v[138:139]
	buffer_load_dword v139, off, s[0:3], 0 offset:500
	buffer_load_dword v138, off, s[0:3], 0 offset:496
	ds_read_b128 v[134:137], v134 offset:1008
	s_waitcnt vmcnt(0) lgkmcnt(0)
	v_fmac_f64_e32 v[132:133], v[138:139], v[134:135]
	buffer_load_dword v135, off, s[0:3], 0 offset:508
	buffer_load_dword v134, off, s[0:3], 0 offset:504
	s_waitcnt vmcnt(0)
	v_fmac_f64_e32 v[132:133], v[134:135], v[136:137]
	v_add_f64 v[130:131], v[130:131], -v[132:133]
	buffer_store_dword v131, off, s[0:3], 0 offset:348
	buffer_store_dword v130, off, s[0:3], 0 offset:344
	s_and_saveexec_b64 s[4:5], vcc
	s_cbranch_execz .LBB127_307
; %bb.306:
	buffer_load_dword v130, off, s[0:3], 0 offset:336
	buffer_load_dword v131, off, s[0:3], 0 offset:340
	v_mov_b32_e32 v132, 0
	buffer_store_dword v132, off, s[0:3], 0 offset:336
	buffer_store_dword v132, off, s[0:3], 0 offset:340
	s_waitcnt vmcnt(2)
	ds_write_b64 v1, v[130:131]
.LBB127_307:
	s_or_b64 exec, exec, s[4:5]
	s_waitcnt lgkmcnt(0)
	; wave barrier
	s_waitcnt lgkmcnt(0)
	buffer_load_dword v130, off, s[0:3], 0 offset:336
	buffer_load_dword v131, off, s[0:3], 0 offset:340
	buffer_load_dword v132, off, s[0:3], 0 offset:344
	buffer_load_dword v133, off, s[0:3], 0 offset:348
	buffer_load_dword v140, off, s[0:3], 0 offset:352
	buffer_load_dword v141, off, s[0:3], 0 offset:356
	buffer_load_dword v142, off, s[0:3], 0 offset:360
	buffer_load_dword v143, off, s[0:3], 0 offset:364
	buffer_load_dword v144, off, s[0:3], 0 offset:368
	buffer_load_dword v145, off, s[0:3], 0 offset:372
	buffer_load_dword v146, off, s[0:3], 0 offset:376
	buffer_load_dword v147, off, s[0:3], 0 offset:380
	buffer_load_dword v148, off, s[0:3], 0 offset:384
	buffer_load_dword v149, off, s[0:3], 0 offset:388
	buffer_load_dword v150, off, s[0:3], 0 offset:392
	buffer_load_dword v151, off, s[0:3], 0 offset:396
	v_mov_b32_e32 v134, 0
	ds_read2_b64 v[136:139], v134 offset0:107 offset1:108
	v_cmp_lt_u32_e32 vcc, 41, v0
	s_waitcnt vmcnt(12) lgkmcnt(0)
	v_fma_f64 v[132:133], v[132:133], v[136:137], 0
	s_waitcnt vmcnt(10)
	v_fmac_f64_e32 v[132:133], v[140:141], v[138:139]
	ds_read2_b64 v[136:139], v134 offset0:109 offset1:110
	s_waitcnt vmcnt(8) lgkmcnt(0)
	v_fmac_f64_e32 v[132:133], v[142:143], v[136:137]
	s_waitcnt vmcnt(6)
	v_fmac_f64_e32 v[132:133], v[144:145], v[138:139]
	ds_read2_b64 v[136:139], v134 offset0:111 offset1:112
	s_waitcnt vmcnt(4) lgkmcnt(0)
	v_fmac_f64_e32 v[132:133], v[146:147], v[136:137]
	;; [unrolled: 5-line block ×3, first 2 shown]
	buffer_load_dword v137, off, s[0:3], 0 offset:404
	buffer_load_dword v136, off, s[0:3], 0 offset:400
	buffer_load_dword v141, off, s[0:3], 0 offset:412
	buffer_load_dword v140, off, s[0:3], 0 offset:408
	s_waitcnt vmcnt(2)
	v_fmac_f64_e32 v[132:133], v[136:137], v[138:139]
	ds_read2_b64 v[136:139], v134 offset0:115 offset1:116
	s_waitcnt vmcnt(0) lgkmcnt(0)
	v_fmac_f64_e32 v[132:133], v[140:141], v[136:137]
	buffer_load_dword v137, off, s[0:3], 0 offset:420
	buffer_load_dword v136, off, s[0:3], 0 offset:416
	buffer_load_dword v141, off, s[0:3], 0 offset:428
	buffer_load_dword v140, off, s[0:3], 0 offset:424
	s_waitcnt vmcnt(2)
	v_fmac_f64_e32 v[132:133], v[136:137], v[138:139]
	ds_read2_b64 v[136:139], v134 offset0:117 offset1:118
	s_waitcnt vmcnt(0) lgkmcnt(0)
	v_fmac_f64_e32 v[132:133], v[140:141], v[136:137]
	;; [unrolled: 9-line block ×6, first 2 shown]
	buffer_load_dword v137, off, s[0:3], 0 offset:500
	buffer_load_dword v136, off, s[0:3], 0 offset:496
	s_waitcnt vmcnt(0)
	v_fmac_f64_e32 v[132:133], v[136:137], v[138:139]
	buffer_load_dword v137, off, s[0:3], 0 offset:508
	buffer_load_dword v136, off, s[0:3], 0 offset:504
	ds_read_b64 v[138:139], v134 offset:1016
	s_waitcnt vmcnt(0) lgkmcnt(0)
	v_fmac_f64_e32 v[132:133], v[136:137], v[138:139]
	v_add_f64 v[130:131], v[130:131], -v[132:133]
	buffer_store_dword v131, off, s[0:3], 0 offset:340
	buffer_store_dword v130, off, s[0:3], 0 offset:336
	s_and_saveexec_b64 s[4:5], vcc
	s_cbranch_execz .LBB127_309
; %bb.308:
	buffer_load_dword v130, off, s[0:3], 0 offset:328
	buffer_load_dword v131, off, s[0:3], 0 offset:332
	s_waitcnt vmcnt(0)
	ds_write_b64 v1, v[130:131]
	buffer_store_dword v134, off, s[0:3], 0 offset:328
	buffer_store_dword v134, off, s[0:3], 0 offset:332
.LBB127_309:
	s_or_b64 exec, exec, s[4:5]
	s_waitcnt lgkmcnt(0)
	; wave barrier
	s_waitcnt lgkmcnt(0)
	buffer_load_dword v130, off, s[0:3], 0 offset:328
	buffer_load_dword v131, off, s[0:3], 0 offset:332
	;; [unrolled: 1-line block ×16, first 2 shown]
	ds_read_b128 v[136:139], v134 offset:848
	ds_read_b128 v[140:143], v134 offset:864
	;; [unrolled: 1-line block ×4, first 2 shown]
	v_cmp_lt_u32_e32 vcc, 40, v0
	s_waitcnt vmcnt(12) lgkmcnt(3)
	v_fma_f64 v[132:133], v[132:133], v[136:137], 0
	buffer_load_dword v137, off, s[0:3], 0 offset:396
	buffer_load_dword v136, off, s[0:3], 0 offset:392
	s_waitcnt vmcnt(12)
	v_fmac_f64_e32 v[132:133], v[152:153], v[138:139]
	s_waitcnt vmcnt(10) lgkmcnt(2)
	v_fmac_f64_e32 v[132:133], v[154:155], v[140:141]
	buffer_load_dword v141, off, s[0:3], 0 offset:404
	buffer_load_dword v140, off, s[0:3], 0 offset:400
	s_waitcnt vmcnt(10)
	v_fmac_f64_e32 v[132:133], v[156:157], v[142:143]
	s_waitcnt vmcnt(8) lgkmcnt(1)
	v_fmac_f64_e32 v[132:133], v[158:159], v[144:145]
	s_waitcnt vmcnt(6)
	v_fmac_f64_e32 v[132:133], v[160:161], v[146:147]
	s_waitcnt vmcnt(4) lgkmcnt(0)
	v_fmac_f64_e32 v[132:133], v[162:163], v[148:149]
	s_waitcnt vmcnt(2)
	v_fmac_f64_e32 v[132:133], v[136:137], v[150:151]
	ds_read_b128 v[136:139], v134 offset:912
	s_waitcnt vmcnt(0) lgkmcnt(0)
	v_fmac_f64_e32 v[132:133], v[140:141], v[136:137]
	buffer_load_dword v137, off, s[0:3], 0 offset:412
	buffer_load_dword v136, off, s[0:3], 0 offset:408
	buffer_load_dword v141, off, s[0:3], 0 offset:420
	buffer_load_dword v140, off, s[0:3], 0 offset:416
	s_waitcnt vmcnt(2)
	v_fmac_f64_e32 v[132:133], v[136:137], v[138:139]
	ds_read_b128 v[136:139], v134 offset:928
	s_waitcnt vmcnt(0) lgkmcnt(0)
	v_fmac_f64_e32 v[132:133], v[140:141], v[136:137]
	buffer_load_dword v137, off, s[0:3], 0 offset:428
	buffer_load_dword v136, off, s[0:3], 0 offset:424
	buffer_load_dword v141, off, s[0:3], 0 offset:436
	buffer_load_dword v140, off, s[0:3], 0 offset:432
	;; [unrolled: 9-line block ×5, first 2 shown]
	s_waitcnt vmcnt(2)
	v_fmac_f64_e32 v[132:133], v[136:137], v[138:139]
	ds_read_b128 v[136:139], v134 offset:992
	s_waitcnt vmcnt(0) lgkmcnt(0)
	v_fmac_f64_e32 v[132:133], v[140:141], v[136:137]
	buffer_load_dword v137, off, s[0:3], 0 offset:492
	buffer_load_dword v136, off, s[0:3], 0 offset:488
	s_waitcnt vmcnt(0)
	v_fmac_f64_e32 v[132:133], v[136:137], v[138:139]
	buffer_load_dword v139, off, s[0:3], 0 offset:500
	buffer_load_dword v138, off, s[0:3], 0 offset:496
	ds_read_b128 v[134:137], v134 offset:1008
	s_waitcnt vmcnt(0) lgkmcnt(0)
	v_fmac_f64_e32 v[132:133], v[138:139], v[134:135]
	buffer_load_dword v135, off, s[0:3], 0 offset:508
	buffer_load_dword v134, off, s[0:3], 0 offset:504
	s_waitcnt vmcnt(0)
	v_fmac_f64_e32 v[132:133], v[134:135], v[136:137]
	v_add_f64 v[130:131], v[130:131], -v[132:133]
	buffer_store_dword v131, off, s[0:3], 0 offset:332
	buffer_store_dword v130, off, s[0:3], 0 offset:328
	s_and_saveexec_b64 s[4:5], vcc
	s_cbranch_execz .LBB127_311
; %bb.310:
	buffer_load_dword v130, off, s[0:3], 0 offset:320
	buffer_load_dword v131, off, s[0:3], 0 offset:324
	v_mov_b32_e32 v132, 0
	buffer_store_dword v132, off, s[0:3], 0 offset:320
	buffer_store_dword v132, off, s[0:3], 0 offset:324
	s_waitcnt vmcnt(2)
	ds_write_b64 v1, v[130:131]
.LBB127_311:
	s_or_b64 exec, exec, s[4:5]
	s_waitcnt lgkmcnt(0)
	; wave barrier
	s_waitcnt lgkmcnt(0)
	buffer_load_dword v130, off, s[0:3], 0 offset:320
	buffer_load_dword v131, off, s[0:3], 0 offset:324
	;; [unrolled: 1-line block ×16, first 2 shown]
	v_mov_b32_e32 v134, 0
	ds_read2_b64 v[136:139], v134 offset0:105 offset1:106
	v_cmp_lt_u32_e32 vcc, 39, v0
	s_waitcnt vmcnt(12) lgkmcnt(0)
	v_fma_f64 v[132:133], v[132:133], v[136:137], 0
	s_waitcnt vmcnt(10)
	v_fmac_f64_e32 v[132:133], v[140:141], v[138:139]
	ds_read2_b64 v[136:139], v134 offset0:107 offset1:108
	s_waitcnt vmcnt(8) lgkmcnt(0)
	v_fmac_f64_e32 v[132:133], v[142:143], v[136:137]
	s_waitcnt vmcnt(6)
	v_fmac_f64_e32 v[132:133], v[144:145], v[138:139]
	ds_read2_b64 v[136:139], v134 offset0:109 offset1:110
	s_waitcnt vmcnt(4) lgkmcnt(0)
	v_fmac_f64_e32 v[132:133], v[146:147], v[136:137]
	s_waitcnt vmcnt(2)
	v_fmac_f64_e32 v[132:133], v[148:149], v[138:139]
	ds_read2_b64 v[136:139], v134 offset0:111 offset1:112
	s_waitcnt vmcnt(0) lgkmcnt(0)
	v_fmac_f64_e32 v[132:133], v[150:151], v[136:137]
	buffer_load_dword v137, off, s[0:3], 0 offset:388
	buffer_load_dword v136, off, s[0:3], 0 offset:384
	buffer_load_dword v141, off, s[0:3], 0 offset:396
	buffer_load_dword v140, off, s[0:3], 0 offset:392
	s_waitcnt vmcnt(2)
	v_fmac_f64_e32 v[132:133], v[136:137], v[138:139]
	ds_read2_b64 v[136:139], v134 offset0:113 offset1:114
	s_waitcnt vmcnt(0) lgkmcnt(0)
	v_fmac_f64_e32 v[132:133], v[140:141], v[136:137]
	buffer_load_dword v137, off, s[0:3], 0 offset:404
	buffer_load_dword v136, off, s[0:3], 0 offset:400
	buffer_load_dword v141, off, s[0:3], 0 offset:412
	buffer_load_dword v140, off, s[0:3], 0 offset:408
	s_waitcnt vmcnt(2)
	v_fmac_f64_e32 v[132:133], v[136:137], v[138:139]
	ds_read2_b64 v[136:139], v134 offset0:115 offset1:116
	s_waitcnt vmcnt(0) lgkmcnt(0)
	v_fmac_f64_e32 v[132:133], v[140:141], v[136:137]
	;; [unrolled: 9-line block ×7, first 2 shown]
	buffer_load_dword v137, off, s[0:3], 0 offset:500
	buffer_load_dword v136, off, s[0:3], 0 offset:496
	s_waitcnt vmcnt(0)
	v_fmac_f64_e32 v[132:133], v[136:137], v[138:139]
	buffer_load_dword v137, off, s[0:3], 0 offset:508
	buffer_load_dword v136, off, s[0:3], 0 offset:504
	ds_read_b64 v[138:139], v134 offset:1016
	s_waitcnt vmcnt(0) lgkmcnt(0)
	v_fmac_f64_e32 v[132:133], v[136:137], v[138:139]
	v_add_f64 v[130:131], v[130:131], -v[132:133]
	buffer_store_dword v131, off, s[0:3], 0 offset:324
	buffer_store_dword v130, off, s[0:3], 0 offset:320
	s_and_saveexec_b64 s[4:5], vcc
	s_cbranch_execz .LBB127_313
; %bb.312:
	buffer_load_dword v130, off, s[0:3], 0 offset:312
	buffer_load_dword v131, off, s[0:3], 0 offset:316
	s_waitcnt vmcnt(0)
	ds_write_b64 v1, v[130:131]
	buffer_store_dword v134, off, s[0:3], 0 offset:312
	buffer_store_dword v134, off, s[0:3], 0 offset:316
.LBB127_313:
	s_or_b64 exec, exec, s[4:5]
	s_waitcnt lgkmcnt(0)
	; wave barrier
	s_waitcnt lgkmcnt(0)
	buffer_load_dword v130, off, s[0:3], 0 offset:312
	buffer_load_dword v131, off, s[0:3], 0 offset:316
	;; [unrolled: 1-line block ×16, first 2 shown]
	ds_read_b128 v[136:139], v134 offset:832
	ds_read_b128 v[140:143], v134 offset:848
	;; [unrolled: 1-line block ×4, first 2 shown]
	v_cmp_lt_u32_e32 vcc, 38, v0
	s_waitcnt vmcnt(12) lgkmcnt(3)
	v_fma_f64 v[132:133], v[132:133], v[136:137], 0
	buffer_load_dword v137, off, s[0:3], 0 offset:380
	buffer_load_dword v136, off, s[0:3], 0 offset:376
	s_waitcnt vmcnt(12)
	v_fmac_f64_e32 v[132:133], v[152:153], v[138:139]
	s_waitcnt vmcnt(10) lgkmcnt(2)
	v_fmac_f64_e32 v[132:133], v[154:155], v[140:141]
	buffer_load_dword v141, off, s[0:3], 0 offset:388
	buffer_load_dword v140, off, s[0:3], 0 offset:384
	s_waitcnt vmcnt(10)
	v_fmac_f64_e32 v[132:133], v[156:157], v[142:143]
	s_waitcnt vmcnt(8) lgkmcnt(1)
	v_fmac_f64_e32 v[132:133], v[158:159], v[144:145]
	s_waitcnt vmcnt(6)
	v_fmac_f64_e32 v[132:133], v[160:161], v[146:147]
	s_waitcnt vmcnt(4) lgkmcnt(0)
	v_fmac_f64_e32 v[132:133], v[162:163], v[148:149]
	s_waitcnt vmcnt(2)
	v_fmac_f64_e32 v[132:133], v[136:137], v[150:151]
	ds_read_b128 v[136:139], v134 offset:896
	s_waitcnt vmcnt(0) lgkmcnt(0)
	v_fmac_f64_e32 v[132:133], v[140:141], v[136:137]
	buffer_load_dword v137, off, s[0:3], 0 offset:396
	buffer_load_dword v136, off, s[0:3], 0 offset:392
	buffer_load_dword v141, off, s[0:3], 0 offset:404
	buffer_load_dword v140, off, s[0:3], 0 offset:400
	s_waitcnt vmcnt(2)
	v_fmac_f64_e32 v[132:133], v[136:137], v[138:139]
	ds_read_b128 v[136:139], v134 offset:912
	s_waitcnt vmcnt(0) lgkmcnt(0)
	v_fmac_f64_e32 v[132:133], v[140:141], v[136:137]
	buffer_load_dword v137, off, s[0:3], 0 offset:412
	buffer_load_dword v136, off, s[0:3], 0 offset:408
	buffer_load_dword v141, off, s[0:3], 0 offset:420
	buffer_load_dword v140, off, s[0:3], 0 offset:416
	;; [unrolled: 9-line block ×6, first 2 shown]
	s_waitcnt vmcnt(2)
	v_fmac_f64_e32 v[132:133], v[136:137], v[138:139]
	ds_read_b128 v[136:139], v134 offset:992
	s_waitcnt vmcnt(0) lgkmcnt(0)
	v_fmac_f64_e32 v[132:133], v[140:141], v[136:137]
	buffer_load_dword v137, off, s[0:3], 0 offset:492
	buffer_load_dword v136, off, s[0:3], 0 offset:488
	s_waitcnt vmcnt(0)
	v_fmac_f64_e32 v[132:133], v[136:137], v[138:139]
	buffer_load_dword v139, off, s[0:3], 0 offset:500
	buffer_load_dword v138, off, s[0:3], 0 offset:496
	ds_read_b128 v[134:137], v134 offset:1008
	s_waitcnt vmcnt(0) lgkmcnt(0)
	v_fmac_f64_e32 v[132:133], v[138:139], v[134:135]
	buffer_load_dword v135, off, s[0:3], 0 offset:508
	buffer_load_dword v134, off, s[0:3], 0 offset:504
	s_waitcnt vmcnt(0)
	v_fmac_f64_e32 v[132:133], v[134:135], v[136:137]
	v_add_f64 v[130:131], v[130:131], -v[132:133]
	buffer_store_dword v131, off, s[0:3], 0 offset:316
	buffer_store_dword v130, off, s[0:3], 0 offset:312
	s_and_saveexec_b64 s[4:5], vcc
	s_cbranch_execz .LBB127_315
; %bb.314:
	buffer_load_dword v130, off, s[0:3], 0 offset:304
	buffer_load_dword v131, off, s[0:3], 0 offset:308
	v_mov_b32_e32 v132, 0
	buffer_store_dword v132, off, s[0:3], 0 offset:304
	buffer_store_dword v132, off, s[0:3], 0 offset:308
	s_waitcnt vmcnt(2)
	ds_write_b64 v1, v[130:131]
.LBB127_315:
	s_or_b64 exec, exec, s[4:5]
	s_waitcnt lgkmcnt(0)
	; wave barrier
	s_waitcnt lgkmcnt(0)
	buffer_load_dword v130, off, s[0:3], 0 offset:304
	buffer_load_dword v131, off, s[0:3], 0 offset:308
	buffer_load_dword v132, off, s[0:3], 0 offset:312
	buffer_load_dword v133, off, s[0:3], 0 offset:316
	buffer_load_dword v140, off, s[0:3], 0 offset:320
	buffer_load_dword v141, off, s[0:3], 0 offset:324
	buffer_load_dword v142, off, s[0:3], 0 offset:328
	buffer_load_dword v143, off, s[0:3], 0 offset:332
	buffer_load_dword v144, off, s[0:3], 0 offset:336
	buffer_load_dword v145, off, s[0:3], 0 offset:340
	buffer_load_dword v146, off, s[0:3], 0 offset:344
	buffer_load_dword v147, off, s[0:3], 0 offset:348
	buffer_load_dword v148, off, s[0:3], 0 offset:352
	buffer_load_dword v149, off, s[0:3], 0 offset:356
	buffer_load_dword v150, off, s[0:3], 0 offset:360
	buffer_load_dword v151, off, s[0:3], 0 offset:364
	v_mov_b32_e32 v134, 0
	ds_read2_b64 v[136:139], v134 offset0:103 offset1:104
	v_cmp_lt_u32_e32 vcc, 37, v0
	s_waitcnt vmcnt(12) lgkmcnt(0)
	v_fma_f64 v[132:133], v[132:133], v[136:137], 0
	s_waitcnt vmcnt(10)
	v_fmac_f64_e32 v[132:133], v[140:141], v[138:139]
	ds_read2_b64 v[136:139], v134 offset0:105 offset1:106
	s_waitcnt vmcnt(8) lgkmcnt(0)
	v_fmac_f64_e32 v[132:133], v[142:143], v[136:137]
	s_waitcnt vmcnt(6)
	v_fmac_f64_e32 v[132:133], v[144:145], v[138:139]
	ds_read2_b64 v[136:139], v134 offset0:107 offset1:108
	s_waitcnt vmcnt(4) lgkmcnt(0)
	v_fmac_f64_e32 v[132:133], v[146:147], v[136:137]
	;; [unrolled: 5-line block ×3, first 2 shown]
	buffer_load_dword v137, off, s[0:3], 0 offset:372
	buffer_load_dword v136, off, s[0:3], 0 offset:368
	buffer_load_dword v141, off, s[0:3], 0 offset:380
	buffer_load_dword v140, off, s[0:3], 0 offset:376
	s_waitcnt vmcnt(2)
	v_fmac_f64_e32 v[132:133], v[136:137], v[138:139]
	ds_read2_b64 v[136:139], v134 offset0:111 offset1:112
	s_waitcnt vmcnt(0) lgkmcnt(0)
	v_fmac_f64_e32 v[132:133], v[140:141], v[136:137]
	buffer_load_dword v137, off, s[0:3], 0 offset:388
	buffer_load_dword v136, off, s[0:3], 0 offset:384
	buffer_load_dword v141, off, s[0:3], 0 offset:396
	buffer_load_dword v140, off, s[0:3], 0 offset:392
	s_waitcnt vmcnt(2)
	v_fmac_f64_e32 v[132:133], v[136:137], v[138:139]
	ds_read2_b64 v[136:139], v134 offset0:113 offset1:114
	s_waitcnt vmcnt(0) lgkmcnt(0)
	v_fmac_f64_e32 v[132:133], v[140:141], v[136:137]
	;; [unrolled: 9-line block ×8, first 2 shown]
	buffer_load_dword v137, off, s[0:3], 0 offset:500
	buffer_load_dword v136, off, s[0:3], 0 offset:496
	s_waitcnt vmcnt(0)
	v_fmac_f64_e32 v[132:133], v[136:137], v[138:139]
	buffer_load_dword v137, off, s[0:3], 0 offset:508
	buffer_load_dword v136, off, s[0:3], 0 offset:504
	ds_read_b64 v[138:139], v134 offset:1016
	s_waitcnt vmcnt(0) lgkmcnt(0)
	v_fmac_f64_e32 v[132:133], v[136:137], v[138:139]
	v_add_f64 v[130:131], v[130:131], -v[132:133]
	buffer_store_dword v131, off, s[0:3], 0 offset:308
	buffer_store_dword v130, off, s[0:3], 0 offset:304
	s_and_saveexec_b64 s[4:5], vcc
	s_cbranch_execz .LBB127_317
; %bb.316:
	buffer_load_dword v130, off, s[0:3], 0 offset:296
	buffer_load_dword v131, off, s[0:3], 0 offset:300
	s_waitcnt vmcnt(0)
	ds_write_b64 v1, v[130:131]
	buffer_store_dword v134, off, s[0:3], 0 offset:296
	buffer_store_dword v134, off, s[0:3], 0 offset:300
.LBB127_317:
	s_or_b64 exec, exec, s[4:5]
	s_waitcnt lgkmcnt(0)
	; wave barrier
	s_waitcnt lgkmcnt(0)
	buffer_load_dword v130, off, s[0:3], 0 offset:296
	buffer_load_dword v131, off, s[0:3], 0 offset:300
	;; [unrolled: 1-line block ×16, first 2 shown]
	ds_read_b128 v[136:139], v134 offset:816
	ds_read_b128 v[140:143], v134 offset:832
	ds_read_b128 v[144:147], v134 offset:848
	ds_read_b128 v[148:151], v134 offset:864
	v_cmp_lt_u32_e32 vcc, 36, v0
	s_waitcnt vmcnt(12) lgkmcnt(3)
	v_fma_f64 v[132:133], v[132:133], v[136:137], 0
	buffer_load_dword v137, off, s[0:3], 0 offset:364
	buffer_load_dword v136, off, s[0:3], 0 offset:360
	s_waitcnt vmcnt(12)
	v_fmac_f64_e32 v[132:133], v[152:153], v[138:139]
	s_waitcnt vmcnt(10) lgkmcnt(2)
	v_fmac_f64_e32 v[132:133], v[154:155], v[140:141]
	buffer_load_dword v141, off, s[0:3], 0 offset:372
	buffer_load_dword v140, off, s[0:3], 0 offset:368
	s_waitcnt vmcnt(10)
	v_fmac_f64_e32 v[132:133], v[156:157], v[142:143]
	s_waitcnt vmcnt(8) lgkmcnt(1)
	v_fmac_f64_e32 v[132:133], v[158:159], v[144:145]
	s_waitcnt vmcnt(6)
	v_fmac_f64_e32 v[132:133], v[160:161], v[146:147]
	s_waitcnt vmcnt(4) lgkmcnt(0)
	v_fmac_f64_e32 v[132:133], v[162:163], v[148:149]
	s_waitcnt vmcnt(2)
	v_fmac_f64_e32 v[132:133], v[136:137], v[150:151]
	ds_read_b128 v[136:139], v134 offset:880
	s_waitcnt vmcnt(0) lgkmcnt(0)
	v_fmac_f64_e32 v[132:133], v[140:141], v[136:137]
	buffer_load_dword v137, off, s[0:3], 0 offset:380
	buffer_load_dword v136, off, s[0:3], 0 offset:376
	buffer_load_dword v141, off, s[0:3], 0 offset:388
	buffer_load_dword v140, off, s[0:3], 0 offset:384
	s_waitcnt vmcnt(2)
	v_fmac_f64_e32 v[132:133], v[136:137], v[138:139]
	ds_read_b128 v[136:139], v134 offset:896
	s_waitcnt vmcnt(0) lgkmcnt(0)
	v_fmac_f64_e32 v[132:133], v[140:141], v[136:137]
	buffer_load_dword v137, off, s[0:3], 0 offset:396
	buffer_load_dword v136, off, s[0:3], 0 offset:392
	buffer_load_dword v141, off, s[0:3], 0 offset:404
	buffer_load_dword v140, off, s[0:3], 0 offset:400
	;; [unrolled: 9-line block ×7, first 2 shown]
	s_waitcnt vmcnt(2)
	v_fmac_f64_e32 v[132:133], v[136:137], v[138:139]
	ds_read_b128 v[136:139], v134 offset:992
	s_waitcnt vmcnt(0) lgkmcnt(0)
	v_fmac_f64_e32 v[132:133], v[140:141], v[136:137]
	buffer_load_dword v137, off, s[0:3], 0 offset:492
	buffer_load_dword v136, off, s[0:3], 0 offset:488
	s_waitcnt vmcnt(0)
	v_fmac_f64_e32 v[132:133], v[136:137], v[138:139]
	buffer_load_dword v139, off, s[0:3], 0 offset:500
	buffer_load_dword v138, off, s[0:3], 0 offset:496
	ds_read_b128 v[134:137], v134 offset:1008
	s_waitcnt vmcnt(0) lgkmcnt(0)
	v_fmac_f64_e32 v[132:133], v[138:139], v[134:135]
	buffer_load_dword v135, off, s[0:3], 0 offset:508
	buffer_load_dword v134, off, s[0:3], 0 offset:504
	s_waitcnt vmcnt(0)
	v_fmac_f64_e32 v[132:133], v[134:135], v[136:137]
	v_add_f64 v[130:131], v[130:131], -v[132:133]
	buffer_store_dword v131, off, s[0:3], 0 offset:300
	buffer_store_dword v130, off, s[0:3], 0 offset:296
	s_and_saveexec_b64 s[4:5], vcc
	s_cbranch_execz .LBB127_319
; %bb.318:
	buffer_load_dword v130, off, s[0:3], 0 offset:288
	buffer_load_dword v131, off, s[0:3], 0 offset:292
	v_mov_b32_e32 v132, 0
	buffer_store_dword v132, off, s[0:3], 0 offset:288
	buffer_store_dword v132, off, s[0:3], 0 offset:292
	s_waitcnt vmcnt(2)
	ds_write_b64 v1, v[130:131]
.LBB127_319:
	s_or_b64 exec, exec, s[4:5]
	s_waitcnt lgkmcnt(0)
	; wave barrier
	s_waitcnt lgkmcnt(0)
	buffer_load_dword v130, off, s[0:3], 0 offset:288
	buffer_load_dword v131, off, s[0:3], 0 offset:292
	;; [unrolled: 1-line block ×16, first 2 shown]
	v_mov_b32_e32 v134, 0
	ds_read2_b64 v[136:139], v134 offset0:101 offset1:102
	v_cmp_lt_u32_e32 vcc, 35, v0
	s_waitcnt vmcnt(12) lgkmcnt(0)
	v_fma_f64 v[132:133], v[132:133], v[136:137], 0
	s_waitcnt vmcnt(10)
	v_fmac_f64_e32 v[132:133], v[140:141], v[138:139]
	ds_read2_b64 v[136:139], v134 offset0:103 offset1:104
	s_waitcnt vmcnt(8) lgkmcnt(0)
	v_fmac_f64_e32 v[132:133], v[142:143], v[136:137]
	s_waitcnt vmcnt(6)
	v_fmac_f64_e32 v[132:133], v[144:145], v[138:139]
	ds_read2_b64 v[136:139], v134 offset0:105 offset1:106
	s_waitcnt vmcnt(4) lgkmcnt(0)
	v_fmac_f64_e32 v[132:133], v[146:147], v[136:137]
	;; [unrolled: 5-line block ×3, first 2 shown]
	buffer_load_dword v137, off, s[0:3], 0 offset:356
	buffer_load_dword v136, off, s[0:3], 0 offset:352
	buffer_load_dword v141, off, s[0:3], 0 offset:364
	buffer_load_dword v140, off, s[0:3], 0 offset:360
	s_waitcnt vmcnt(2)
	v_fmac_f64_e32 v[132:133], v[136:137], v[138:139]
	ds_read2_b64 v[136:139], v134 offset0:109 offset1:110
	s_waitcnt vmcnt(0) lgkmcnt(0)
	v_fmac_f64_e32 v[132:133], v[140:141], v[136:137]
	buffer_load_dword v137, off, s[0:3], 0 offset:372
	buffer_load_dword v136, off, s[0:3], 0 offset:368
	buffer_load_dword v141, off, s[0:3], 0 offset:380
	buffer_load_dword v140, off, s[0:3], 0 offset:376
	s_waitcnt vmcnt(2)
	v_fmac_f64_e32 v[132:133], v[136:137], v[138:139]
	ds_read2_b64 v[136:139], v134 offset0:111 offset1:112
	s_waitcnt vmcnt(0) lgkmcnt(0)
	v_fmac_f64_e32 v[132:133], v[140:141], v[136:137]
	;; [unrolled: 9-line block ×9, first 2 shown]
	buffer_load_dword v137, off, s[0:3], 0 offset:500
	buffer_load_dword v136, off, s[0:3], 0 offset:496
	s_waitcnt vmcnt(0)
	v_fmac_f64_e32 v[132:133], v[136:137], v[138:139]
	buffer_load_dword v137, off, s[0:3], 0 offset:508
	buffer_load_dword v136, off, s[0:3], 0 offset:504
	ds_read_b64 v[138:139], v134 offset:1016
	s_waitcnt vmcnt(0) lgkmcnt(0)
	v_fmac_f64_e32 v[132:133], v[136:137], v[138:139]
	v_add_f64 v[130:131], v[130:131], -v[132:133]
	buffer_store_dword v131, off, s[0:3], 0 offset:292
	buffer_store_dword v130, off, s[0:3], 0 offset:288
	s_and_saveexec_b64 s[4:5], vcc
	s_cbranch_execz .LBB127_321
; %bb.320:
	buffer_load_dword v130, off, s[0:3], 0 offset:280
	buffer_load_dword v131, off, s[0:3], 0 offset:284
	s_waitcnt vmcnt(0)
	ds_write_b64 v1, v[130:131]
	buffer_store_dword v134, off, s[0:3], 0 offset:280
	buffer_store_dword v134, off, s[0:3], 0 offset:284
.LBB127_321:
	s_or_b64 exec, exec, s[4:5]
	s_waitcnt lgkmcnt(0)
	; wave barrier
	s_waitcnt lgkmcnt(0)
	buffer_load_dword v130, off, s[0:3], 0 offset:280
	buffer_load_dword v131, off, s[0:3], 0 offset:284
	;; [unrolled: 1-line block ×16, first 2 shown]
	ds_read_b128 v[136:139], v134 offset:800
	ds_read_b128 v[140:143], v134 offset:816
	;; [unrolled: 1-line block ×4, first 2 shown]
	v_cmp_lt_u32_e32 vcc, 34, v0
	s_waitcnt vmcnt(12) lgkmcnt(3)
	v_fma_f64 v[132:133], v[132:133], v[136:137], 0
	buffer_load_dword v137, off, s[0:3], 0 offset:348
	buffer_load_dword v136, off, s[0:3], 0 offset:344
	s_waitcnt vmcnt(12)
	v_fmac_f64_e32 v[132:133], v[152:153], v[138:139]
	s_waitcnt vmcnt(10) lgkmcnt(2)
	v_fmac_f64_e32 v[132:133], v[154:155], v[140:141]
	buffer_load_dword v141, off, s[0:3], 0 offset:356
	buffer_load_dword v140, off, s[0:3], 0 offset:352
	s_waitcnt vmcnt(10)
	v_fmac_f64_e32 v[132:133], v[156:157], v[142:143]
	s_waitcnt vmcnt(8) lgkmcnt(1)
	v_fmac_f64_e32 v[132:133], v[158:159], v[144:145]
	s_waitcnt vmcnt(6)
	v_fmac_f64_e32 v[132:133], v[160:161], v[146:147]
	s_waitcnt vmcnt(4) lgkmcnt(0)
	v_fmac_f64_e32 v[132:133], v[162:163], v[148:149]
	s_waitcnt vmcnt(2)
	v_fmac_f64_e32 v[132:133], v[136:137], v[150:151]
	ds_read_b128 v[136:139], v134 offset:864
	s_waitcnt vmcnt(0) lgkmcnt(0)
	v_fmac_f64_e32 v[132:133], v[140:141], v[136:137]
	buffer_load_dword v137, off, s[0:3], 0 offset:364
	buffer_load_dword v136, off, s[0:3], 0 offset:360
	buffer_load_dword v141, off, s[0:3], 0 offset:372
	buffer_load_dword v140, off, s[0:3], 0 offset:368
	s_waitcnt vmcnt(2)
	v_fmac_f64_e32 v[132:133], v[136:137], v[138:139]
	ds_read_b128 v[136:139], v134 offset:880
	s_waitcnt vmcnt(0) lgkmcnt(0)
	v_fmac_f64_e32 v[132:133], v[140:141], v[136:137]
	buffer_load_dword v137, off, s[0:3], 0 offset:380
	buffer_load_dword v136, off, s[0:3], 0 offset:376
	buffer_load_dword v141, off, s[0:3], 0 offset:388
	buffer_load_dword v140, off, s[0:3], 0 offset:384
	;; [unrolled: 9-line block ×8, first 2 shown]
	s_waitcnt vmcnt(2)
	v_fmac_f64_e32 v[132:133], v[136:137], v[138:139]
	ds_read_b128 v[136:139], v134 offset:992
	s_waitcnt vmcnt(0) lgkmcnt(0)
	v_fmac_f64_e32 v[132:133], v[140:141], v[136:137]
	buffer_load_dword v137, off, s[0:3], 0 offset:492
	buffer_load_dword v136, off, s[0:3], 0 offset:488
	s_waitcnt vmcnt(0)
	v_fmac_f64_e32 v[132:133], v[136:137], v[138:139]
	buffer_load_dword v139, off, s[0:3], 0 offset:500
	buffer_load_dword v138, off, s[0:3], 0 offset:496
	ds_read_b128 v[134:137], v134 offset:1008
	s_waitcnt vmcnt(0) lgkmcnt(0)
	v_fmac_f64_e32 v[132:133], v[138:139], v[134:135]
	buffer_load_dword v135, off, s[0:3], 0 offset:508
	buffer_load_dword v134, off, s[0:3], 0 offset:504
	s_waitcnt vmcnt(0)
	v_fmac_f64_e32 v[132:133], v[134:135], v[136:137]
	v_add_f64 v[130:131], v[130:131], -v[132:133]
	buffer_store_dword v131, off, s[0:3], 0 offset:284
	buffer_store_dword v130, off, s[0:3], 0 offset:280
	s_and_saveexec_b64 s[4:5], vcc
	s_cbranch_execz .LBB127_323
; %bb.322:
	buffer_load_dword v130, off, s[0:3], 0 offset:272
	buffer_load_dword v131, off, s[0:3], 0 offset:276
	v_mov_b32_e32 v132, 0
	buffer_store_dword v132, off, s[0:3], 0 offset:272
	buffer_store_dword v132, off, s[0:3], 0 offset:276
	s_waitcnt vmcnt(2)
	ds_write_b64 v1, v[130:131]
.LBB127_323:
	s_or_b64 exec, exec, s[4:5]
	s_waitcnt lgkmcnt(0)
	; wave barrier
	s_waitcnt lgkmcnt(0)
	buffer_load_dword v130, off, s[0:3], 0 offset:272
	buffer_load_dword v131, off, s[0:3], 0 offset:276
	;; [unrolled: 1-line block ×16, first 2 shown]
	v_mov_b32_e32 v134, 0
	ds_read2_b64 v[136:139], v134 offset0:99 offset1:100
	v_cmp_lt_u32_e32 vcc, 33, v0
	s_waitcnt vmcnt(12) lgkmcnt(0)
	v_fma_f64 v[132:133], v[132:133], v[136:137], 0
	s_waitcnt vmcnt(10)
	v_fmac_f64_e32 v[132:133], v[140:141], v[138:139]
	ds_read2_b64 v[136:139], v134 offset0:101 offset1:102
	s_waitcnt vmcnt(8) lgkmcnt(0)
	v_fmac_f64_e32 v[132:133], v[142:143], v[136:137]
	s_waitcnt vmcnt(6)
	v_fmac_f64_e32 v[132:133], v[144:145], v[138:139]
	ds_read2_b64 v[136:139], v134 offset0:103 offset1:104
	s_waitcnt vmcnt(4) lgkmcnt(0)
	v_fmac_f64_e32 v[132:133], v[146:147], v[136:137]
	;; [unrolled: 5-line block ×3, first 2 shown]
	buffer_load_dword v137, off, s[0:3], 0 offset:340
	buffer_load_dword v136, off, s[0:3], 0 offset:336
	buffer_load_dword v141, off, s[0:3], 0 offset:348
	buffer_load_dword v140, off, s[0:3], 0 offset:344
	s_waitcnt vmcnt(2)
	v_fmac_f64_e32 v[132:133], v[136:137], v[138:139]
	ds_read2_b64 v[136:139], v134 offset0:107 offset1:108
	s_waitcnt vmcnt(0) lgkmcnt(0)
	v_fmac_f64_e32 v[132:133], v[140:141], v[136:137]
	buffer_load_dword v137, off, s[0:3], 0 offset:356
	buffer_load_dword v136, off, s[0:3], 0 offset:352
	buffer_load_dword v141, off, s[0:3], 0 offset:364
	buffer_load_dword v140, off, s[0:3], 0 offset:360
	s_waitcnt vmcnt(2)
	v_fmac_f64_e32 v[132:133], v[136:137], v[138:139]
	ds_read2_b64 v[136:139], v134 offset0:109 offset1:110
	s_waitcnt vmcnt(0) lgkmcnt(0)
	v_fmac_f64_e32 v[132:133], v[140:141], v[136:137]
	;; [unrolled: 9-line block ×10, first 2 shown]
	buffer_load_dword v137, off, s[0:3], 0 offset:500
	buffer_load_dword v136, off, s[0:3], 0 offset:496
	s_waitcnt vmcnt(0)
	v_fmac_f64_e32 v[132:133], v[136:137], v[138:139]
	buffer_load_dword v137, off, s[0:3], 0 offset:508
	buffer_load_dword v136, off, s[0:3], 0 offset:504
	ds_read_b64 v[138:139], v134 offset:1016
	s_waitcnt vmcnt(0) lgkmcnt(0)
	v_fmac_f64_e32 v[132:133], v[136:137], v[138:139]
	v_add_f64 v[130:131], v[130:131], -v[132:133]
	buffer_store_dword v131, off, s[0:3], 0 offset:276
	buffer_store_dword v130, off, s[0:3], 0 offset:272
	s_and_saveexec_b64 s[4:5], vcc
	s_cbranch_execz .LBB127_325
; %bb.324:
	buffer_load_dword v130, off, s[0:3], 0 offset:264
	buffer_load_dword v131, off, s[0:3], 0 offset:268
	s_waitcnt vmcnt(0)
	ds_write_b64 v1, v[130:131]
	buffer_store_dword v134, off, s[0:3], 0 offset:264
	buffer_store_dword v134, off, s[0:3], 0 offset:268
.LBB127_325:
	s_or_b64 exec, exec, s[4:5]
	s_waitcnt lgkmcnt(0)
	; wave barrier
	s_waitcnt lgkmcnt(0)
	buffer_load_dword v130, off, s[0:3], 0 offset:264
	buffer_load_dword v131, off, s[0:3], 0 offset:268
	;; [unrolled: 1-line block ×16, first 2 shown]
	ds_read_b128 v[136:139], v134 offset:784
	ds_read_b128 v[140:143], v134 offset:800
	;; [unrolled: 1-line block ×4, first 2 shown]
	v_cmp_lt_u32_e32 vcc, 32, v0
	s_waitcnt vmcnt(12) lgkmcnt(3)
	v_fma_f64 v[132:133], v[132:133], v[136:137], 0
	buffer_load_dword v137, off, s[0:3], 0 offset:332
	buffer_load_dword v136, off, s[0:3], 0 offset:328
	s_waitcnt vmcnt(12)
	v_fmac_f64_e32 v[132:133], v[152:153], v[138:139]
	s_waitcnt vmcnt(10) lgkmcnt(2)
	v_fmac_f64_e32 v[132:133], v[154:155], v[140:141]
	buffer_load_dword v141, off, s[0:3], 0 offset:340
	buffer_load_dword v140, off, s[0:3], 0 offset:336
	s_waitcnt vmcnt(10)
	v_fmac_f64_e32 v[132:133], v[156:157], v[142:143]
	s_waitcnt vmcnt(8) lgkmcnt(1)
	v_fmac_f64_e32 v[132:133], v[158:159], v[144:145]
	s_waitcnt vmcnt(6)
	v_fmac_f64_e32 v[132:133], v[160:161], v[146:147]
	s_waitcnt vmcnt(4) lgkmcnt(0)
	v_fmac_f64_e32 v[132:133], v[162:163], v[148:149]
	s_waitcnt vmcnt(2)
	v_fmac_f64_e32 v[132:133], v[136:137], v[150:151]
	ds_read_b128 v[136:139], v134 offset:848
	s_waitcnt vmcnt(0) lgkmcnt(0)
	v_fmac_f64_e32 v[132:133], v[140:141], v[136:137]
	buffer_load_dword v137, off, s[0:3], 0 offset:348
	buffer_load_dword v136, off, s[0:3], 0 offset:344
	buffer_load_dword v141, off, s[0:3], 0 offset:356
	buffer_load_dword v140, off, s[0:3], 0 offset:352
	s_waitcnt vmcnt(2)
	v_fmac_f64_e32 v[132:133], v[136:137], v[138:139]
	ds_read_b128 v[136:139], v134 offset:864
	s_waitcnt vmcnt(0) lgkmcnt(0)
	v_fmac_f64_e32 v[132:133], v[140:141], v[136:137]
	buffer_load_dword v137, off, s[0:3], 0 offset:364
	buffer_load_dword v136, off, s[0:3], 0 offset:360
	buffer_load_dword v141, off, s[0:3], 0 offset:372
	buffer_load_dword v140, off, s[0:3], 0 offset:368
	s_waitcnt vmcnt(2)
	v_fmac_f64_e32 v[132:133], v[136:137], v[138:139]
	ds_read_b128 v[136:139], v134 offset:880
	s_waitcnt vmcnt(0) lgkmcnt(0)
	v_fmac_f64_e32 v[132:133], v[140:141], v[136:137]
	buffer_load_dword v137, off, s[0:3], 0 offset:380
	buffer_load_dword v136, off, s[0:3], 0 offset:376
	buffer_load_dword v141, off, s[0:3], 0 offset:388
	buffer_load_dword v140, off, s[0:3], 0 offset:384
	s_waitcnt vmcnt(2)
	v_fmac_f64_e32 v[132:133], v[136:137], v[138:139]
	ds_read_b128 v[136:139], v134 offset:896
	s_waitcnt vmcnt(0) lgkmcnt(0)
	v_fmac_f64_e32 v[132:133], v[140:141], v[136:137]
	buffer_load_dword v137, off, s[0:3], 0 offset:396
	buffer_load_dword v136, off, s[0:3], 0 offset:392
	buffer_load_dword v141, off, s[0:3], 0 offset:404
	buffer_load_dword v140, off, s[0:3], 0 offset:400
	s_waitcnt vmcnt(2)
	v_fmac_f64_e32 v[132:133], v[136:137], v[138:139]
	ds_read_b128 v[136:139], v134 offset:912
	s_waitcnt vmcnt(0) lgkmcnt(0)
	v_fmac_f64_e32 v[132:133], v[140:141], v[136:137]
	buffer_load_dword v137, off, s[0:3], 0 offset:412
	buffer_load_dword v136, off, s[0:3], 0 offset:408
	buffer_load_dword v141, off, s[0:3], 0 offset:420
	buffer_load_dword v140, off, s[0:3], 0 offset:416
	s_waitcnt vmcnt(2)
	v_fmac_f64_e32 v[132:133], v[136:137], v[138:139]
	ds_read_b128 v[136:139], v134 offset:928
	s_waitcnt vmcnt(0) lgkmcnt(0)
	v_fmac_f64_e32 v[132:133], v[140:141], v[136:137]
	buffer_load_dword v137, off, s[0:3], 0 offset:428
	buffer_load_dword v136, off, s[0:3], 0 offset:424
	buffer_load_dword v141, off, s[0:3], 0 offset:436
	buffer_load_dword v140, off, s[0:3], 0 offset:432
	s_waitcnt vmcnt(2)
	v_fmac_f64_e32 v[132:133], v[136:137], v[138:139]
	ds_read_b128 v[136:139], v134 offset:944
	s_waitcnt vmcnt(0) lgkmcnt(0)
	v_fmac_f64_e32 v[132:133], v[140:141], v[136:137]
	buffer_load_dword v137, off, s[0:3], 0 offset:444
	buffer_load_dword v136, off, s[0:3], 0 offset:440
	buffer_load_dword v141, off, s[0:3], 0 offset:452
	buffer_load_dword v140, off, s[0:3], 0 offset:448
	s_waitcnt vmcnt(2)
	v_fmac_f64_e32 v[132:133], v[136:137], v[138:139]
	ds_read_b128 v[136:139], v134 offset:960
	s_waitcnt vmcnt(0) lgkmcnt(0)
	v_fmac_f64_e32 v[132:133], v[140:141], v[136:137]
	buffer_load_dword v137, off, s[0:3], 0 offset:460
	buffer_load_dword v136, off, s[0:3], 0 offset:456
	buffer_load_dword v141, off, s[0:3], 0 offset:468
	buffer_load_dword v140, off, s[0:3], 0 offset:464
	s_waitcnt vmcnt(2)
	v_fmac_f64_e32 v[132:133], v[136:137], v[138:139]
	ds_read_b128 v[136:139], v134 offset:976
	s_waitcnt vmcnt(0) lgkmcnt(0)
	v_fmac_f64_e32 v[132:133], v[140:141], v[136:137]
	buffer_load_dword v137, off, s[0:3], 0 offset:476
	buffer_load_dword v136, off, s[0:3], 0 offset:472
	buffer_load_dword v141, off, s[0:3], 0 offset:484
	buffer_load_dword v140, off, s[0:3], 0 offset:480
	s_waitcnt vmcnt(2)
	v_fmac_f64_e32 v[132:133], v[136:137], v[138:139]
	ds_read_b128 v[136:139], v134 offset:992
	s_waitcnt vmcnt(0) lgkmcnt(0)
	v_fmac_f64_e32 v[132:133], v[140:141], v[136:137]
	buffer_load_dword v137, off, s[0:3], 0 offset:492
	buffer_load_dword v136, off, s[0:3], 0 offset:488
	s_waitcnt vmcnt(0)
	v_fmac_f64_e32 v[132:133], v[136:137], v[138:139]
	buffer_load_dword v139, off, s[0:3], 0 offset:500
	buffer_load_dword v138, off, s[0:3], 0 offset:496
	ds_read_b128 v[134:137], v134 offset:1008
	s_waitcnt vmcnt(0) lgkmcnt(0)
	v_fmac_f64_e32 v[132:133], v[138:139], v[134:135]
	buffer_load_dword v135, off, s[0:3], 0 offset:508
	buffer_load_dword v134, off, s[0:3], 0 offset:504
	s_waitcnt vmcnt(0)
	v_fmac_f64_e32 v[132:133], v[134:135], v[136:137]
	v_add_f64 v[130:131], v[130:131], -v[132:133]
	buffer_store_dword v131, off, s[0:3], 0 offset:268
	buffer_store_dword v130, off, s[0:3], 0 offset:264
	s_and_saveexec_b64 s[4:5], vcc
	s_cbranch_execz .LBB127_327
; %bb.326:
	buffer_load_dword v130, off, s[0:3], 0 offset:256
	buffer_load_dword v131, off, s[0:3], 0 offset:260
	v_mov_b32_e32 v132, 0
	buffer_store_dword v132, off, s[0:3], 0 offset:256
	buffer_store_dword v132, off, s[0:3], 0 offset:260
	s_waitcnt vmcnt(2)
	ds_write_b64 v1, v[130:131]
.LBB127_327:
	s_or_b64 exec, exec, s[4:5]
	s_waitcnt lgkmcnt(0)
	; wave barrier
	s_waitcnt lgkmcnt(0)
	buffer_load_dword v130, off, s[0:3], 0 offset:256
	buffer_load_dword v131, off, s[0:3], 0 offset:260
	;; [unrolled: 1-line block ×16, first 2 shown]
	v_mov_b32_e32 v134, 0
	ds_read2_b64 v[136:139], v134 offset0:97 offset1:98
	v_cmp_lt_u32_e32 vcc, 31, v0
	s_waitcnt vmcnt(12) lgkmcnt(0)
	v_fma_f64 v[132:133], v[132:133], v[136:137], 0
	s_waitcnt vmcnt(10)
	v_fmac_f64_e32 v[132:133], v[140:141], v[138:139]
	ds_read2_b64 v[136:139], v134 offset0:99 offset1:100
	s_waitcnt vmcnt(8) lgkmcnt(0)
	v_fmac_f64_e32 v[132:133], v[142:143], v[136:137]
	s_waitcnt vmcnt(6)
	v_fmac_f64_e32 v[132:133], v[144:145], v[138:139]
	ds_read2_b64 v[136:139], v134 offset0:101 offset1:102
	s_waitcnt vmcnt(4) lgkmcnt(0)
	v_fmac_f64_e32 v[132:133], v[146:147], v[136:137]
	;; [unrolled: 5-line block ×3, first 2 shown]
	buffer_load_dword v137, off, s[0:3], 0 offset:324
	buffer_load_dword v136, off, s[0:3], 0 offset:320
	buffer_load_dword v141, off, s[0:3], 0 offset:332
	buffer_load_dword v140, off, s[0:3], 0 offset:328
	s_waitcnt vmcnt(2)
	v_fmac_f64_e32 v[132:133], v[136:137], v[138:139]
	ds_read2_b64 v[136:139], v134 offset0:105 offset1:106
	s_waitcnt vmcnt(0) lgkmcnt(0)
	v_fmac_f64_e32 v[132:133], v[140:141], v[136:137]
	buffer_load_dword v137, off, s[0:3], 0 offset:340
	buffer_load_dword v136, off, s[0:3], 0 offset:336
	buffer_load_dword v141, off, s[0:3], 0 offset:348
	buffer_load_dword v140, off, s[0:3], 0 offset:344
	s_waitcnt vmcnt(2)
	v_fmac_f64_e32 v[132:133], v[136:137], v[138:139]
	ds_read2_b64 v[136:139], v134 offset0:107 offset1:108
	s_waitcnt vmcnt(0) lgkmcnt(0)
	v_fmac_f64_e32 v[132:133], v[140:141], v[136:137]
	;; [unrolled: 9-line block ×11, first 2 shown]
	buffer_load_dword v137, off, s[0:3], 0 offset:500
	buffer_load_dword v136, off, s[0:3], 0 offset:496
	s_waitcnt vmcnt(0)
	v_fmac_f64_e32 v[132:133], v[136:137], v[138:139]
	buffer_load_dword v137, off, s[0:3], 0 offset:508
	buffer_load_dword v136, off, s[0:3], 0 offset:504
	ds_read_b64 v[138:139], v134 offset:1016
	s_waitcnt vmcnt(0) lgkmcnt(0)
	v_fmac_f64_e32 v[132:133], v[136:137], v[138:139]
	v_add_f64 v[130:131], v[130:131], -v[132:133]
	buffer_store_dword v131, off, s[0:3], 0 offset:260
	buffer_store_dword v130, off, s[0:3], 0 offset:256
	s_and_saveexec_b64 s[4:5], vcc
	s_cbranch_execz .LBB127_329
; %bb.328:
	buffer_load_dword v130, off, s[0:3], 0 offset:248
	buffer_load_dword v131, off, s[0:3], 0 offset:252
	s_waitcnt vmcnt(0)
	ds_write_b64 v1, v[130:131]
	buffer_store_dword v134, off, s[0:3], 0 offset:248
	buffer_store_dword v134, off, s[0:3], 0 offset:252
.LBB127_329:
	s_or_b64 exec, exec, s[4:5]
	s_waitcnt lgkmcnt(0)
	; wave barrier
	s_waitcnt lgkmcnt(0)
	buffer_load_dword v130, off, s[0:3], 0 offset:248
	buffer_load_dword v131, off, s[0:3], 0 offset:252
	;; [unrolled: 1-line block ×16, first 2 shown]
	ds_read_b128 v[136:139], v134 offset:768
	ds_read_b128 v[140:143], v134 offset:784
	;; [unrolled: 1-line block ×4, first 2 shown]
	v_cmp_lt_u32_e32 vcc, 30, v0
	s_waitcnt vmcnt(12) lgkmcnt(3)
	v_fma_f64 v[132:133], v[132:133], v[136:137], 0
	buffer_load_dword v137, off, s[0:3], 0 offset:316
	buffer_load_dword v136, off, s[0:3], 0 offset:312
	s_waitcnt vmcnt(12)
	v_fmac_f64_e32 v[132:133], v[152:153], v[138:139]
	s_waitcnt vmcnt(10) lgkmcnt(2)
	v_fmac_f64_e32 v[132:133], v[154:155], v[140:141]
	buffer_load_dword v141, off, s[0:3], 0 offset:324
	buffer_load_dword v140, off, s[0:3], 0 offset:320
	s_waitcnt vmcnt(10)
	v_fmac_f64_e32 v[132:133], v[156:157], v[142:143]
	s_waitcnt vmcnt(8) lgkmcnt(1)
	v_fmac_f64_e32 v[132:133], v[158:159], v[144:145]
	s_waitcnt vmcnt(6)
	v_fmac_f64_e32 v[132:133], v[160:161], v[146:147]
	s_waitcnt vmcnt(4) lgkmcnt(0)
	v_fmac_f64_e32 v[132:133], v[162:163], v[148:149]
	s_waitcnt vmcnt(2)
	v_fmac_f64_e32 v[132:133], v[136:137], v[150:151]
	ds_read_b128 v[136:139], v134 offset:832
	s_waitcnt vmcnt(0) lgkmcnt(0)
	v_fmac_f64_e32 v[132:133], v[140:141], v[136:137]
	buffer_load_dword v137, off, s[0:3], 0 offset:332
	buffer_load_dword v136, off, s[0:3], 0 offset:328
	buffer_load_dword v141, off, s[0:3], 0 offset:340
	buffer_load_dword v140, off, s[0:3], 0 offset:336
	s_waitcnt vmcnt(2)
	v_fmac_f64_e32 v[132:133], v[136:137], v[138:139]
	ds_read_b128 v[136:139], v134 offset:848
	s_waitcnt vmcnt(0) lgkmcnt(0)
	v_fmac_f64_e32 v[132:133], v[140:141], v[136:137]
	buffer_load_dword v137, off, s[0:3], 0 offset:348
	buffer_load_dword v136, off, s[0:3], 0 offset:344
	buffer_load_dword v141, off, s[0:3], 0 offset:356
	buffer_load_dword v140, off, s[0:3], 0 offset:352
	;; [unrolled: 9-line block ×10, first 2 shown]
	s_waitcnt vmcnt(2)
	v_fmac_f64_e32 v[132:133], v[136:137], v[138:139]
	ds_read_b128 v[136:139], v134 offset:992
	s_waitcnt vmcnt(0) lgkmcnt(0)
	v_fmac_f64_e32 v[132:133], v[140:141], v[136:137]
	buffer_load_dword v137, off, s[0:3], 0 offset:492
	buffer_load_dword v136, off, s[0:3], 0 offset:488
	s_waitcnt vmcnt(0)
	v_fmac_f64_e32 v[132:133], v[136:137], v[138:139]
	buffer_load_dword v139, off, s[0:3], 0 offset:500
	buffer_load_dword v138, off, s[0:3], 0 offset:496
	ds_read_b128 v[134:137], v134 offset:1008
	s_waitcnt vmcnt(0) lgkmcnt(0)
	v_fmac_f64_e32 v[132:133], v[138:139], v[134:135]
	buffer_load_dword v135, off, s[0:3], 0 offset:508
	buffer_load_dword v134, off, s[0:3], 0 offset:504
	s_waitcnt vmcnt(0)
	v_fmac_f64_e32 v[132:133], v[134:135], v[136:137]
	v_add_f64 v[130:131], v[130:131], -v[132:133]
	buffer_store_dword v131, off, s[0:3], 0 offset:252
	buffer_store_dword v130, off, s[0:3], 0 offset:248
	s_and_saveexec_b64 s[4:5], vcc
	s_cbranch_execz .LBB127_331
; %bb.330:
	buffer_load_dword v130, off, s[0:3], 0 offset:240
	buffer_load_dword v131, off, s[0:3], 0 offset:244
	v_mov_b32_e32 v132, 0
	buffer_store_dword v132, off, s[0:3], 0 offset:240
	buffer_store_dword v132, off, s[0:3], 0 offset:244
	s_waitcnt vmcnt(2)
	ds_write_b64 v1, v[130:131]
.LBB127_331:
	s_or_b64 exec, exec, s[4:5]
	s_waitcnt lgkmcnt(0)
	; wave barrier
	s_waitcnt lgkmcnt(0)
	buffer_load_dword v130, off, s[0:3], 0 offset:240
	buffer_load_dword v131, off, s[0:3], 0 offset:244
	buffer_load_dword v132, off, s[0:3], 0 offset:248
	buffer_load_dword v133, off, s[0:3], 0 offset:252
	buffer_load_dword v140, off, s[0:3], 0 offset:256
	buffer_load_dword v141, off, s[0:3], 0 offset:260
	buffer_load_dword v142, off, s[0:3], 0 offset:264
	buffer_load_dword v143, off, s[0:3], 0 offset:268
	buffer_load_dword v144, off, s[0:3], 0 offset:272
	buffer_load_dword v145, off, s[0:3], 0 offset:276
	buffer_load_dword v146, off, s[0:3], 0 offset:280
	buffer_load_dword v147, off, s[0:3], 0 offset:284
	buffer_load_dword v148, off, s[0:3], 0 offset:288
	buffer_load_dword v149, off, s[0:3], 0 offset:292
	buffer_load_dword v150, off, s[0:3], 0 offset:296
	buffer_load_dword v151, off, s[0:3], 0 offset:300
	v_mov_b32_e32 v134, 0
	ds_read2_b64 v[136:139], v134 offset0:95 offset1:96
	v_cmp_lt_u32_e32 vcc, 29, v0
	s_waitcnt vmcnt(12) lgkmcnt(0)
	v_fma_f64 v[132:133], v[132:133], v[136:137], 0
	s_waitcnt vmcnt(10)
	v_fmac_f64_e32 v[132:133], v[140:141], v[138:139]
	ds_read2_b64 v[136:139], v134 offset0:97 offset1:98
	s_waitcnt vmcnt(8) lgkmcnt(0)
	v_fmac_f64_e32 v[132:133], v[142:143], v[136:137]
	s_waitcnt vmcnt(6)
	v_fmac_f64_e32 v[132:133], v[144:145], v[138:139]
	ds_read2_b64 v[136:139], v134 offset0:99 offset1:100
	s_waitcnt vmcnt(4) lgkmcnt(0)
	v_fmac_f64_e32 v[132:133], v[146:147], v[136:137]
	;; [unrolled: 5-line block ×3, first 2 shown]
	buffer_load_dword v137, off, s[0:3], 0 offset:308
	buffer_load_dword v136, off, s[0:3], 0 offset:304
	buffer_load_dword v141, off, s[0:3], 0 offset:316
	buffer_load_dword v140, off, s[0:3], 0 offset:312
	s_waitcnt vmcnt(2)
	v_fmac_f64_e32 v[132:133], v[136:137], v[138:139]
	ds_read2_b64 v[136:139], v134 offset0:103 offset1:104
	s_waitcnt vmcnt(0) lgkmcnt(0)
	v_fmac_f64_e32 v[132:133], v[140:141], v[136:137]
	buffer_load_dword v137, off, s[0:3], 0 offset:324
	buffer_load_dword v136, off, s[0:3], 0 offset:320
	buffer_load_dword v141, off, s[0:3], 0 offset:332
	buffer_load_dword v140, off, s[0:3], 0 offset:328
	s_waitcnt vmcnt(2)
	v_fmac_f64_e32 v[132:133], v[136:137], v[138:139]
	ds_read2_b64 v[136:139], v134 offset0:105 offset1:106
	s_waitcnt vmcnt(0) lgkmcnt(0)
	v_fmac_f64_e32 v[132:133], v[140:141], v[136:137]
	;; [unrolled: 9-line block ×12, first 2 shown]
	buffer_load_dword v137, off, s[0:3], 0 offset:500
	buffer_load_dword v136, off, s[0:3], 0 offset:496
	s_waitcnt vmcnt(0)
	v_fmac_f64_e32 v[132:133], v[136:137], v[138:139]
	buffer_load_dword v137, off, s[0:3], 0 offset:508
	buffer_load_dword v136, off, s[0:3], 0 offset:504
	ds_read_b64 v[138:139], v134 offset:1016
	s_waitcnt vmcnt(0) lgkmcnt(0)
	v_fmac_f64_e32 v[132:133], v[136:137], v[138:139]
	v_add_f64 v[130:131], v[130:131], -v[132:133]
	buffer_store_dword v131, off, s[0:3], 0 offset:244
	buffer_store_dword v130, off, s[0:3], 0 offset:240
	s_and_saveexec_b64 s[4:5], vcc
	s_cbranch_execz .LBB127_333
; %bb.332:
	buffer_load_dword v130, off, s[0:3], 0 offset:232
	buffer_load_dword v131, off, s[0:3], 0 offset:236
	s_waitcnt vmcnt(0)
	ds_write_b64 v1, v[130:131]
	buffer_store_dword v134, off, s[0:3], 0 offset:232
	buffer_store_dword v134, off, s[0:3], 0 offset:236
.LBB127_333:
	s_or_b64 exec, exec, s[4:5]
	s_waitcnt lgkmcnt(0)
	; wave barrier
	s_waitcnt lgkmcnt(0)
	buffer_load_dword v130, off, s[0:3], 0 offset:232
	buffer_load_dword v131, off, s[0:3], 0 offset:236
	;; [unrolled: 1-line block ×16, first 2 shown]
	ds_read_b128 v[136:139], v134 offset:752
	ds_read_b128 v[140:143], v134 offset:768
	;; [unrolled: 1-line block ×4, first 2 shown]
	v_cmp_lt_u32_e32 vcc, 28, v0
	s_waitcnt vmcnt(12) lgkmcnt(3)
	v_fma_f64 v[132:133], v[132:133], v[136:137], 0
	buffer_load_dword v137, off, s[0:3], 0 offset:300
	buffer_load_dword v136, off, s[0:3], 0 offset:296
	s_waitcnt vmcnt(12)
	v_fmac_f64_e32 v[132:133], v[152:153], v[138:139]
	s_waitcnt vmcnt(10) lgkmcnt(2)
	v_fmac_f64_e32 v[132:133], v[154:155], v[140:141]
	buffer_load_dword v141, off, s[0:3], 0 offset:308
	buffer_load_dword v140, off, s[0:3], 0 offset:304
	s_waitcnt vmcnt(10)
	v_fmac_f64_e32 v[132:133], v[156:157], v[142:143]
	s_waitcnt vmcnt(8) lgkmcnt(1)
	v_fmac_f64_e32 v[132:133], v[158:159], v[144:145]
	s_waitcnt vmcnt(6)
	v_fmac_f64_e32 v[132:133], v[160:161], v[146:147]
	s_waitcnt vmcnt(4) lgkmcnt(0)
	v_fmac_f64_e32 v[132:133], v[162:163], v[148:149]
	s_waitcnt vmcnt(2)
	v_fmac_f64_e32 v[132:133], v[136:137], v[150:151]
	ds_read_b128 v[136:139], v134 offset:816
	s_waitcnt vmcnt(0) lgkmcnt(0)
	v_fmac_f64_e32 v[132:133], v[140:141], v[136:137]
	buffer_load_dword v137, off, s[0:3], 0 offset:316
	buffer_load_dword v136, off, s[0:3], 0 offset:312
	buffer_load_dword v141, off, s[0:3], 0 offset:324
	buffer_load_dword v140, off, s[0:3], 0 offset:320
	s_waitcnt vmcnt(2)
	v_fmac_f64_e32 v[132:133], v[136:137], v[138:139]
	ds_read_b128 v[136:139], v134 offset:832
	s_waitcnt vmcnt(0) lgkmcnt(0)
	v_fmac_f64_e32 v[132:133], v[140:141], v[136:137]
	buffer_load_dword v137, off, s[0:3], 0 offset:332
	buffer_load_dword v136, off, s[0:3], 0 offset:328
	buffer_load_dword v141, off, s[0:3], 0 offset:340
	buffer_load_dword v140, off, s[0:3], 0 offset:336
	;; [unrolled: 9-line block ×11, first 2 shown]
	s_waitcnt vmcnt(2)
	v_fmac_f64_e32 v[132:133], v[136:137], v[138:139]
	ds_read_b128 v[136:139], v134 offset:992
	s_waitcnt vmcnt(0) lgkmcnt(0)
	v_fmac_f64_e32 v[132:133], v[140:141], v[136:137]
	buffer_load_dword v137, off, s[0:3], 0 offset:492
	buffer_load_dword v136, off, s[0:3], 0 offset:488
	s_waitcnt vmcnt(0)
	v_fmac_f64_e32 v[132:133], v[136:137], v[138:139]
	buffer_load_dword v139, off, s[0:3], 0 offset:500
	buffer_load_dword v138, off, s[0:3], 0 offset:496
	ds_read_b128 v[134:137], v134 offset:1008
	s_waitcnt vmcnt(0) lgkmcnt(0)
	v_fmac_f64_e32 v[132:133], v[138:139], v[134:135]
	buffer_load_dword v135, off, s[0:3], 0 offset:508
	buffer_load_dword v134, off, s[0:3], 0 offset:504
	s_waitcnt vmcnt(0)
	v_fmac_f64_e32 v[132:133], v[134:135], v[136:137]
	v_add_f64 v[130:131], v[130:131], -v[132:133]
	buffer_store_dword v131, off, s[0:3], 0 offset:236
	buffer_store_dword v130, off, s[0:3], 0 offset:232
	s_and_saveexec_b64 s[4:5], vcc
	s_cbranch_execz .LBB127_335
; %bb.334:
	buffer_load_dword v130, off, s[0:3], 0 offset:224
	buffer_load_dword v131, off, s[0:3], 0 offset:228
	v_mov_b32_e32 v132, 0
	buffer_store_dword v132, off, s[0:3], 0 offset:224
	buffer_store_dword v132, off, s[0:3], 0 offset:228
	s_waitcnt vmcnt(2)
	ds_write_b64 v1, v[130:131]
.LBB127_335:
	s_or_b64 exec, exec, s[4:5]
	s_waitcnt lgkmcnt(0)
	; wave barrier
	s_waitcnt lgkmcnt(0)
	buffer_load_dword v130, off, s[0:3], 0 offset:224
	buffer_load_dword v131, off, s[0:3], 0 offset:228
	;; [unrolled: 1-line block ×16, first 2 shown]
	v_mov_b32_e32 v134, 0
	ds_read2_b64 v[136:139], v134 offset0:93 offset1:94
	v_cmp_lt_u32_e32 vcc, 27, v0
	s_waitcnt vmcnt(12) lgkmcnt(0)
	v_fma_f64 v[132:133], v[132:133], v[136:137], 0
	s_waitcnt vmcnt(10)
	v_fmac_f64_e32 v[132:133], v[140:141], v[138:139]
	ds_read2_b64 v[136:139], v134 offset0:95 offset1:96
	s_waitcnt vmcnt(8) lgkmcnt(0)
	v_fmac_f64_e32 v[132:133], v[142:143], v[136:137]
	s_waitcnt vmcnt(6)
	v_fmac_f64_e32 v[132:133], v[144:145], v[138:139]
	ds_read2_b64 v[136:139], v134 offset0:97 offset1:98
	s_waitcnt vmcnt(4) lgkmcnt(0)
	v_fmac_f64_e32 v[132:133], v[146:147], v[136:137]
	;; [unrolled: 5-line block ×3, first 2 shown]
	buffer_load_dword v137, off, s[0:3], 0 offset:292
	buffer_load_dword v136, off, s[0:3], 0 offset:288
	buffer_load_dword v141, off, s[0:3], 0 offset:300
	buffer_load_dword v140, off, s[0:3], 0 offset:296
	s_waitcnt vmcnt(2)
	v_fmac_f64_e32 v[132:133], v[136:137], v[138:139]
	ds_read2_b64 v[136:139], v134 offset0:101 offset1:102
	s_waitcnt vmcnt(0) lgkmcnt(0)
	v_fmac_f64_e32 v[132:133], v[140:141], v[136:137]
	buffer_load_dword v137, off, s[0:3], 0 offset:308
	buffer_load_dword v136, off, s[0:3], 0 offset:304
	buffer_load_dword v141, off, s[0:3], 0 offset:316
	buffer_load_dword v140, off, s[0:3], 0 offset:312
	s_waitcnt vmcnt(2)
	v_fmac_f64_e32 v[132:133], v[136:137], v[138:139]
	ds_read2_b64 v[136:139], v134 offset0:103 offset1:104
	s_waitcnt vmcnt(0) lgkmcnt(0)
	v_fmac_f64_e32 v[132:133], v[140:141], v[136:137]
	;; [unrolled: 9-line block ×13, first 2 shown]
	buffer_load_dword v137, off, s[0:3], 0 offset:500
	buffer_load_dword v136, off, s[0:3], 0 offset:496
	s_waitcnt vmcnt(0)
	v_fmac_f64_e32 v[132:133], v[136:137], v[138:139]
	buffer_load_dword v137, off, s[0:3], 0 offset:508
	buffer_load_dword v136, off, s[0:3], 0 offset:504
	ds_read_b64 v[138:139], v134 offset:1016
	s_waitcnt vmcnt(0) lgkmcnt(0)
	v_fmac_f64_e32 v[132:133], v[136:137], v[138:139]
	v_add_f64 v[130:131], v[130:131], -v[132:133]
	buffer_store_dword v131, off, s[0:3], 0 offset:228
	buffer_store_dword v130, off, s[0:3], 0 offset:224
	s_and_saveexec_b64 s[4:5], vcc
	s_cbranch_execz .LBB127_337
; %bb.336:
	buffer_load_dword v130, off, s[0:3], 0 offset:216
	buffer_load_dword v131, off, s[0:3], 0 offset:220
	s_waitcnt vmcnt(0)
	ds_write_b64 v1, v[130:131]
	buffer_store_dword v134, off, s[0:3], 0 offset:216
	buffer_store_dword v134, off, s[0:3], 0 offset:220
.LBB127_337:
	s_or_b64 exec, exec, s[4:5]
	s_waitcnt lgkmcnt(0)
	; wave barrier
	s_waitcnt lgkmcnt(0)
	buffer_load_dword v130, off, s[0:3], 0 offset:216
	buffer_load_dword v131, off, s[0:3], 0 offset:220
	;; [unrolled: 1-line block ×16, first 2 shown]
	ds_read_b128 v[136:139], v134 offset:736
	ds_read_b128 v[140:143], v134 offset:752
	;; [unrolled: 1-line block ×4, first 2 shown]
	v_cmp_lt_u32_e32 vcc, 26, v0
	s_waitcnt vmcnt(12) lgkmcnt(3)
	v_fma_f64 v[132:133], v[132:133], v[136:137], 0
	buffer_load_dword v137, off, s[0:3], 0 offset:284
	buffer_load_dword v136, off, s[0:3], 0 offset:280
	s_waitcnt vmcnt(12)
	v_fmac_f64_e32 v[132:133], v[152:153], v[138:139]
	s_waitcnt vmcnt(10) lgkmcnt(2)
	v_fmac_f64_e32 v[132:133], v[154:155], v[140:141]
	buffer_load_dword v141, off, s[0:3], 0 offset:292
	buffer_load_dword v140, off, s[0:3], 0 offset:288
	s_waitcnt vmcnt(10)
	v_fmac_f64_e32 v[132:133], v[156:157], v[142:143]
	s_waitcnt vmcnt(8) lgkmcnt(1)
	v_fmac_f64_e32 v[132:133], v[158:159], v[144:145]
	s_waitcnt vmcnt(6)
	v_fmac_f64_e32 v[132:133], v[160:161], v[146:147]
	s_waitcnt vmcnt(4) lgkmcnt(0)
	v_fmac_f64_e32 v[132:133], v[162:163], v[148:149]
	s_waitcnt vmcnt(2)
	v_fmac_f64_e32 v[132:133], v[136:137], v[150:151]
	ds_read_b128 v[136:139], v134 offset:800
	s_waitcnt vmcnt(0) lgkmcnt(0)
	v_fmac_f64_e32 v[132:133], v[140:141], v[136:137]
	buffer_load_dword v137, off, s[0:3], 0 offset:300
	buffer_load_dword v136, off, s[0:3], 0 offset:296
	buffer_load_dword v141, off, s[0:3], 0 offset:308
	buffer_load_dword v140, off, s[0:3], 0 offset:304
	s_waitcnt vmcnt(2)
	v_fmac_f64_e32 v[132:133], v[136:137], v[138:139]
	ds_read_b128 v[136:139], v134 offset:816
	s_waitcnt vmcnt(0) lgkmcnt(0)
	v_fmac_f64_e32 v[132:133], v[140:141], v[136:137]
	buffer_load_dword v137, off, s[0:3], 0 offset:316
	buffer_load_dword v136, off, s[0:3], 0 offset:312
	buffer_load_dword v141, off, s[0:3], 0 offset:324
	buffer_load_dword v140, off, s[0:3], 0 offset:320
	;; [unrolled: 9-line block ×12, first 2 shown]
	s_waitcnt vmcnt(2)
	v_fmac_f64_e32 v[132:133], v[136:137], v[138:139]
	ds_read_b128 v[136:139], v134 offset:992
	s_waitcnt vmcnt(0) lgkmcnt(0)
	v_fmac_f64_e32 v[132:133], v[140:141], v[136:137]
	buffer_load_dword v137, off, s[0:3], 0 offset:492
	buffer_load_dword v136, off, s[0:3], 0 offset:488
	s_waitcnt vmcnt(0)
	v_fmac_f64_e32 v[132:133], v[136:137], v[138:139]
	buffer_load_dword v139, off, s[0:3], 0 offset:500
	buffer_load_dword v138, off, s[0:3], 0 offset:496
	ds_read_b128 v[134:137], v134 offset:1008
	s_waitcnt vmcnt(0) lgkmcnt(0)
	v_fmac_f64_e32 v[132:133], v[138:139], v[134:135]
	buffer_load_dword v135, off, s[0:3], 0 offset:508
	buffer_load_dword v134, off, s[0:3], 0 offset:504
	s_waitcnt vmcnt(0)
	v_fmac_f64_e32 v[132:133], v[134:135], v[136:137]
	v_add_f64 v[130:131], v[130:131], -v[132:133]
	buffer_store_dword v131, off, s[0:3], 0 offset:220
	buffer_store_dword v130, off, s[0:3], 0 offset:216
	s_and_saveexec_b64 s[4:5], vcc
	s_cbranch_execz .LBB127_339
; %bb.338:
	buffer_load_dword v130, off, s[0:3], 0 offset:208
	buffer_load_dword v131, off, s[0:3], 0 offset:212
	v_mov_b32_e32 v132, 0
	buffer_store_dword v132, off, s[0:3], 0 offset:208
	buffer_store_dword v132, off, s[0:3], 0 offset:212
	s_waitcnt vmcnt(2)
	ds_write_b64 v1, v[130:131]
.LBB127_339:
	s_or_b64 exec, exec, s[4:5]
	s_waitcnt lgkmcnt(0)
	; wave barrier
	s_waitcnt lgkmcnt(0)
	buffer_load_dword v130, off, s[0:3], 0 offset:208
	buffer_load_dword v131, off, s[0:3], 0 offset:212
	;; [unrolled: 1-line block ×16, first 2 shown]
	v_mov_b32_e32 v134, 0
	ds_read2_b64 v[136:139], v134 offset0:91 offset1:92
	v_cmp_lt_u32_e32 vcc, 25, v0
	s_waitcnt vmcnt(12) lgkmcnt(0)
	v_fma_f64 v[132:133], v[132:133], v[136:137], 0
	s_waitcnt vmcnt(10)
	v_fmac_f64_e32 v[132:133], v[140:141], v[138:139]
	ds_read2_b64 v[136:139], v134 offset0:93 offset1:94
	s_waitcnt vmcnt(8) lgkmcnt(0)
	v_fmac_f64_e32 v[132:133], v[142:143], v[136:137]
	s_waitcnt vmcnt(6)
	v_fmac_f64_e32 v[132:133], v[144:145], v[138:139]
	ds_read2_b64 v[136:139], v134 offset0:95 offset1:96
	s_waitcnt vmcnt(4) lgkmcnt(0)
	v_fmac_f64_e32 v[132:133], v[146:147], v[136:137]
	;; [unrolled: 5-line block ×3, first 2 shown]
	buffer_load_dword v137, off, s[0:3], 0 offset:276
	buffer_load_dword v136, off, s[0:3], 0 offset:272
	buffer_load_dword v141, off, s[0:3], 0 offset:284
	buffer_load_dword v140, off, s[0:3], 0 offset:280
	s_waitcnt vmcnt(2)
	v_fmac_f64_e32 v[132:133], v[136:137], v[138:139]
	ds_read2_b64 v[136:139], v134 offset0:99 offset1:100
	s_waitcnt vmcnt(0) lgkmcnt(0)
	v_fmac_f64_e32 v[132:133], v[140:141], v[136:137]
	buffer_load_dword v137, off, s[0:3], 0 offset:292
	buffer_load_dword v136, off, s[0:3], 0 offset:288
	buffer_load_dword v141, off, s[0:3], 0 offset:300
	buffer_load_dword v140, off, s[0:3], 0 offset:296
	s_waitcnt vmcnt(2)
	v_fmac_f64_e32 v[132:133], v[136:137], v[138:139]
	ds_read2_b64 v[136:139], v134 offset0:101 offset1:102
	s_waitcnt vmcnt(0) lgkmcnt(0)
	v_fmac_f64_e32 v[132:133], v[140:141], v[136:137]
	buffer_load_dword v137, off, s[0:3], 0 offset:308
	buffer_load_dword v136, off, s[0:3], 0 offset:304
	buffer_load_dword v141, off, s[0:3], 0 offset:316
	buffer_load_dword v140, off, s[0:3], 0 offset:312
	s_waitcnt vmcnt(2)
	v_fmac_f64_e32 v[132:133], v[136:137], v[138:139]
	ds_read2_b64 v[136:139], v134 offset0:103 offset1:104
	s_waitcnt vmcnt(0) lgkmcnt(0)
	v_fmac_f64_e32 v[132:133], v[140:141], v[136:137]
	buffer_load_dword v137, off, s[0:3], 0 offset:324
	buffer_load_dword v136, off, s[0:3], 0 offset:320
	buffer_load_dword v141, off, s[0:3], 0 offset:332
	buffer_load_dword v140, off, s[0:3], 0 offset:328
	s_waitcnt vmcnt(2)
	v_fmac_f64_e32 v[132:133], v[136:137], v[138:139]
	ds_read2_b64 v[136:139], v134 offset0:105 offset1:106
	s_waitcnt vmcnt(0) lgkmcnt(0)
	v_fmac_f64_e32 v[132:133], v[140:141], v[136:137]
	buffer_load_dword v137, off, s[0:3], 0 offset:340
	buffer_load_dword v136, off, s[0:3], 0 offset:336
	buffer_load_dword v141, off, s[0:3], 0 offset:348
	buffer_load_dword v140, off, s[0:3], 0 offset:344
	s_waitcnt vmcnt(2)
	v_fmac_f64_e32 v[132:133], v[136:137], v[138:139]
	ds_read2_b64 v[136:139], v134 offset0:107 offset1:108
	s_waitcnt vmcnt(0) lgkmcnt(0)
	v_fmac_f64_e32 v[132:133], v[140:141], v[136:137]
	buffer_load_dword v137, off, s[0:3], 0 offset:356
	buffer_load_dword v136, off, s[0:3], 0 offset:352
	buffer_load_dword v141, off, s[0:3], 0 offset:364
	buffer_load_dword v140, off, s[0:3], 0 offset:360
	s_waitcnt vmcnt(2)
	v_fmac_f64_e32 v[132:133], v[136:137], v[138:139]
	ds_read2_b64 v[136:139], v134 offset0:109 offset1:110
	s_waitcnt vmcnt(0) lgkmcnt(0)
	v_fmac_f64_e32 v[132:133], v[140:141], v[136:137]
	buffer_load_dword v137, off, s[0:3], 0 offset:372
	buffer_load_dword v136, off, s[0:3], 0 offset:368
	buffer_load_dword v141, off, s[0:3], 0 offset:380
	buffer_load_dword v140, off, s[0:3], 0 offset:376
	s_waitcnt vmcnt(2)
	v_fmac_f64_e32 v[132:133], v[136:137], v[138:139]
	ds_read2_b64 v[136:139], v134 offset0:111 offset1:112
	s_waitcnt vmcnt(0) lgkmcnt(0)
	v_fmac_f64_e32 v[132:133], v[140:141], v[136:137]
	buffer_load_dword v137, off, s[0:3], 0 offset:388
	buffer_load_dword v136, off, s[0:3], 0 offset:384
	buffer_load_dword v141, off, s[0:3], 0 offset:396
	buffer_load_dword v140, off, s[0:3], 0 offset:392
	s_waitcnt vmcnt(2)
	v_fmac_f64_e32 v[132:133], v[136:137], v[138:139]
	ds_read2_b64 v[136:139], v134 offset0:113 offset1:114
	s_waitcnt vmcnt(0) lgkmcnt(0)
	v_fmac_f64_e32 v[132:133], v[140:141], v[136:137]
	buffer_load_dword v137, off, s[0:3], 0 offset:404
	buffer_load_dword v136, off, s[0:3], 0 offset:400
	buffer_load_dword v141, off, s[0:3], 0 offset:412
	buffer_load_dword v140, off, s[0:3], 0 offset:408
	s_waitcnt vmcnt(2)
	v_fmac_f64_e32 v[132:133], v[136:137], v[138:139]
	ds_read2_b64 v[136:139], v134 offset0:115 offset1:116
	s_waitcnt vmcnt(0) lgkmcnt(0)
	v_fmac_f64_e32 v[132:133], v[140:141], v[136:137]
	buffer_load_dword v137, off, s[0:3], 0 offset:420
	buffer_load_dword v136, off, s[0:3], 0 offset:416
	buffer_load_dword v141, off, s[0:3], 0 offset:428
	buffer_load_dword v140, off, s[0:3], 0 offset:424
	s_waitcnt vmcnt(2)
	v_fmac_f64_e32 v[132:133], v[136:137], v[138:139]
	ds_read2_b64 v[136:139], v134 offset0:117 offset1:118
	s_waitcnt vmcnt(0) lgkmcnt(0)
	v_fmac_f64_e32 v[132:133], v[140:141], v[136:137]
	buffer_load_dword v137, off, s[0:3], 0 offset:436
	buffer_load_dword v136, off, s[0:3], 0 offset:432
	buffer_load_dword v141, off, s[0:3], 0 offset:444
	buffer_load_dword v140, off, s[0:3], 0 offset:440
	s_waitcnt vmcnt(2)
	v_fmac_f64_e32 v[132:133], v[136:137], v[138:139]
	ds_read2_b64 v[136:139], v134 offset0:119 offset1:120
	s_waitcnt vmcnt(0) lgkmcnt(0)
	v_fmac_f64_e32 v[132:133], v[140:141], v[136:137]
	buffer_load_dword v137, off, s[0:3], 0 offset:452
	buffer_load_dword v136, off, s[0:3], 0 offset:448
	buffer_load_dword v141, off, s[0:3], 0 offset:460
	buffer_load_dword v140, off, s[0:3], 0 offset:456
	s_waitcnt vmcnt(2)
	v_fmac_f64_e32 v[132:133], v[136:137], v[138:139]
	ds_read2_b64 v[136:139], v134 offset0:121 offset1:122
	s_waitcnt vmcnt(0) lgkmcnt(0)
	v_fmac_f64_e32 v[132:133], v[140:141], v[136:137]
	buffer_load_dword v137, off, s[0:3], 0 offset:468
	buffer_load_dword v136, off, s[0:3], 0 offset:464
	buffer_load_dword v141, off, s[0:3], 0 offset:476
	buffer_load_dword v140, off, s[0:3], 0 offset:472
	s_waitcnt vmcnt(2)
	v_fmac_f64_e32 v[132:133], v[136:137], v[138:139]
	ds_read2_b64 v[136:139], v134 offset0:123 offset1:124
	s_waitcnt vmcnt(0) lgkmcnt(0)
	v_fmac_f64_e32 v[132:133], v[140:141], v[136:137]
	buffer_load_dword v137, off, s[0:3], 0 offset:484
	buffer_load_dword v136, off, s[0:3], 0 offset:480
	buffer_load_dword v141, off, s[0:3], 0 offset:492
	buffer_load_dword v140, off, s[0:3], 0 offset:488
	s_waitcnt vmcnt(2)
	v_fmac_f64_e32 v[132:133], v[136:137], v[138:139]
	ds_read2_b64 v[136:139], v134 offset0:125 offset1:126
	s_waitcnt vmcnt(0) lgkmcnt(0)
	v_fmac_f64_e32 v[132:133], v[140:141], v[136:137]
	buffer_load_dword v137, off, s[0:3], 0 offset:500
	buffer_load_dword v136, off, s[0:3], 0 offset:496
	s_waitcnt vmcnt(0)
	v_fmac_f64_e32 v[132:133], v[136:137], v[138:139]
	buffer_load_dword v137, off, s[0:3], 0 offset:508
	buffer_load_dword v136, off, s[0:3], 0 offset:504
	ds_read_b64 v[138:139], v134 offset:1016
	s_waitcnt vmcnt(0) lgkmcnt(0)
	v_fmac_f64_e32 v[132:133], v[136:137], v[138:139]
	v_add_f64 v[130:131], v[130:131], -v[132:133]
	buffer_store_dword v131, off, s[0:3], 0 offset:212
	buffer_store_dword v130, off, s[0:3], 0 offset:208
	s_and_saveexec_b64 s[4:5], vcc
	s_cbranch_execz .LBB127_341
; %bb.340:
	buffer_load_dword v130, off, s[0:3], 0 offset:200
	buffer_load_dword v131, off, s[0:3], 0 offset:204
	s_waitcnt vmcnt(0)
	ds_write_b64 v1, v[130:131]
	buffer_store_dword v134, off, s[0:3], 0 offset:200
	buffer_store_dword v134, off, s[0:3], 0 offset:204
.LBB127_341:
	s_or_b64 exec, exec, s[4:5]
	s_waitcnt lgkmcnt(0)
	; wave barrier
	s_waitcnt lgkmcnt(0)
	buffer_load_dword v130, off, s[0:3], 0 offset:200
	buffer_load_dword v131, off, s[0:3], 0 offset:204
	;; [unrolled: 1-line block ×16, first 2 shown]
	ds_read_b128 v[136:139], v134 offset:720
	ds_read_b128 v[140:143], v134 offset:736
	;; [unrolled: 1-line block ×4, first 2 shown]
	v_cmp_lt_u32_e32 vcc, 24, v0
	s_waitcnt vmcnt(12) lgkmcnt(3)
	v_fma_f64 v[132:133], v[132:133], v[136:137], 0
	buffer_load_dword v137, off, s[0:3], 0 offset:268
	buffer_load_dword v136, off, s[0:3], 0 offset:264
	s_waitcnt vmcnt(12)
	v_fmac_f64_e32 v[132:133], v[152:153], v[138:139]
	s_waitcnt vmcnt(10) lgkmcnt(2)
	v_fmac_f64_e32 v[132:133], v[154:155], v[140:141]
	buffer_load_dword v141, off, s[0:3], 0 offset:276
	buffer_load_dword v140, off, s[0:3], 0 offset:272
	s_waitcnt vmcnt(10)
	v_fmac_f64_e32 v[132:133], v[156:157], v[142:143]
	s_waitcnt vmcnt(8) lgkmcnt(1)
	v_fmac_f64_e32 v[132:133], v[158:159], v[144:145]
	s_waitcnt vmcnt(6)
	v_fmac_f64_e32 v[132:133], v[160:161], v[146:147]
	s_waitcnt vmcnt(4) lgkmcnt(0)
	v_fmac_f64_e32 v[132:133], v[162:163], v[148:149]
	s_waitcnt vmcnt(2)
	v_fmac_f64_e32 v[132:133], v[136:137], v[150:151]
	ds_read_b128 v[136:139], v134 offset:784
	s_waitcnt vmcnt(0) lgkmcnt(0)
	v_fmac_f64_e32 v[132:133], v[140:141], v[136:137]
	buffer_load_dword v137, off, s[0:3], 0 offset:284
	buffer_load_dword v136, off, s[0:3], 0 offset:280
	buffer_load_dword v141, off, s[0:3], 0 offset:292
	buffer_load_dword v140, off, s[0:3], 0 offset:288
	s_waitcnt vmcnt(2)
	v_fmac_f64_e32 v[132:133], v[136:137], v[138:139]
	ds_read_b128 v[136:139], v134 offset:800
	s_waitcnt vmcnt(0) lgkmcnt(0)
	v_fmac_f64_e32 v[132:133], v[140:141], v[136:137]
	buffer_load_dword v137, off, s[0:3], 0 offset:300
	buffer_load_dword v136, off, s[0:3], 0 offset:296
	buffer_load_dword v141, off, s[0:3], 0 offset:308
	buffer_load_dword v140, off, s[0:3], 0 offset:304
	;; [unrolled: 9-line block ×13, first 2 shown]
	s_waitcnt vmcnt(2)
	v_fmac_f64_e32 v[132:133], v[136:137], v[138:139]
	ds_read_b128 v[136:139], v134 offset:992
	s_waitcnt vmcnt(0) lgkmcnt(0)
	v_fmac_f64_e32 v[132:133], v[140:141], v[136:137]
	buffer_load_dword v137, off, s[0:3], 0 offset:492
	buffer_load_dword v136, off, s[0:3], 0 offset:488
	s_waitcnt vmcnt(0)
	v_fmac_f64_e32 v[132:133], v[136:137], v[138:139]
	buffer_load_dword v139, off, s[0:3], 0 offset:500
	buffer_load_dword v138, off, s[0:3], 0 offset:496
	ds_read_b128 v[134:137], v134 offset:1008
	s_waitcnt vmcnt(0) lgkmcnt(0)
	v_fmac_f64_e32 v[132:133], v[138:139], v[134:135]
	buffer_load_dword v135, off, s[0:3], 0 offset:508
	buffer_load_dword v134, off, s[0:3], 0 offset:504
	s_waitcnt vmcnt(0)
	v_fmac_f64_e32 v[132:133], v[134:135], v[136:137]
	v_add_f64 v[130:131], v[130:131], -v[132:133]
	buffer_store_dword v131, off, s[0:3], 0 offset:204
	buffer_store_dword v130, off, s[0:3], 0 offset:200
	s_and_saveexec_b64 s[4:5], vcc
	s_cbranch_execz .LBB127_343
; %bb.342:
	buffer_load_dword v130, off, s[0:3], 0 offset:192
	buffer_load_dword v131, off, s[0:3], 0 offset:196
	v_mov_b32_e32 v132, 0
	buffer_store_dword v132, off, s[0:3], 0 offset:192
	buffer_store_dword v132, off, s[0:3], 0 offset:196
	s_waitcnt vmcnt(2)
	ds_write_b64 v1, v[130:131]
.LBB127_343:
	s_or_b64 exec, exec, s[4:5]
	s_waitcnt lgkmcnt(0)
	; wave barrier
	s_waitcnt lgkmcnt(0)
	buffer_load_dword v130, off, s[0:3], 0 offset:192
	buffer_load_dword v131, off, s[0:3], 0 offset:196
	;; [unrolled: 1-line block ×16, first 2 shown]
	v_mov_b32_e32 v134, 0
	ds_read2_b64 v[136:139], v134 offset0:89 offset1:90
	v_cmp_lt_u32_e32 vcc, 23, v0
	s_waitcnt vmcnt(12) lgkmcnt(0)
	v_fma_f64 v[132:133], v[132:133], v[136:137], 0
	s_waitcnt vmcnt(10)
	v_fmac_f64_e32 v[132:133], v[140:141], v[138:139]
	ds_read2_b64 v[136:139], v134 offset0:91 offset1:92
	s_waitcnt vmcnt(8) lgkmcnt(0)
	v_fmac_f64_e32 v[132:133], v[142:143], v[136:137]
	s_waitcnt vmcnt(6)
	v_fmac_f64_e32 v[132:133], v[144:145], v[138:139]
	ds_read2_b64 v[136:139], v134 offset0:93 offset1:94
	s_waitcnt vmcnt(4) lgkmcnt(0)
	v_fmac_f64_e32 v[132:133], v[146:147], v[136:137]
	;; [unrolled: 5-line block ×3, first 2 shown]
	buffer_load_dword v137, off, s[0:3], 0 offset:260
	buffer_load_dword v136, off, s[0:3], 0 offset:256
	buffer_load_dword v141, off, s[0:3], 0 offset:268
	buffer_load_dword v140, off, s[0:3], 0 offset:264
	s_waitcnt vmcnt(2)
	v_fmac_f64_e32 v[132:133], v[136:137], v[138:139]
	ds_read2_b64 v[136:139], v134 offset0:97 offset1:98
	s_waitcnt vmcnt(0) lgkmcnt(0)
	v_fmac_f64_e32 v[132:133], v[140:141], v[136:137]
	buffer_load_dword v137, off, s[0:3], 0 offset:276
	buffer_load_dword v136, off, s[0:3], 0 offset:272
	buffer_load_dword v141, off, s[0:3], 0 offset:284
	buffer_load_dword v140, off, s[0:3], 0 offset:280
	s_waitcnt vmcnt(2)
	v_fmac_f64_e32 v[132:133], v[136:137], v[138:139]
	ds_read2_b64 v[136:139], v134 offset0:99 offset1:100
	s_waitcnt vmcnt(0) lgkmcnt(0)
	v_fmac_f64_e32 v[132:133], v[140:141], v[136:137]
	;; [unrolled: 9-line block ×15, first 2 shown]
	buffer_load_dword v137, off, s[0:3], 0 offset:500
	buffer_load_dword v136, off, s[0:3], 0 offset:496
	s_waitcnt vmcnt(0)
	v_fmac_f64_e32 v[132:133], v[136:137], v[138:139]
	buffer_load_dword v137, off, s[0:3], 0 offset:508
	buffer_load_dword v136, off, s[0:3], 0 offset:504
	ds_read_b64 v[138:139], v134 offset:1016
	s_waitcnt vmcnt(0) lgkmcnt(0)
	v_fmac_f64_e32 v[132:133], v[136:137], v[138:139]
	v_add_f64 v[130:131], v[130:131], -v[132:133]
	buffer_store_dword v131, off, s[0:3], 0 offset:196
	buffer_store_dword v130, off, s[0:3], 0 offset:192
	s_and_saveexec_b64 s[4:5], vcc
	s_cbranch_execz .LBB127_345
; %bb.344:
	buffer_load_dword v130, off, s[0:3], 0 offset:184
	buffer_load_dword v131, off, s[0:3], 0 offset:188
	s_waitcnt vmcnt(0)
	ds_write_b64 v1, v[130:131]
	buffer_store_dword v134, off, s[0:3], 0 offset:184
	buffer_store_dword v134, off, s[0:3], 0 offset:188
.LBB127_345:
	s_or_b64 exec, exec, s[4:5]
	s_waitcnt lgkmcnt(0)
	; wave barrier
	s_waitcnt lgkmcnt(0)
	buffer_load_dword v130, off, s[0:3], 0 offset:184
	buffer_load_dword v131, off, s[0:3], 0 offset:188
	;; [unrolled: 1-line block ×16, first 2 shown]
	ds_read_b128 v[136:139], v134 offset:704
	ds_read_b128 v[140:143], v134 offset:720
	;; [unrolled: 1-line block ×4, first 2 shown]
	v_cmp_lt_u32_e32 vcc, 22, v0
	s_waitcnt vmcnt(12) lgkmcnt(3)
	v_fma_f64 v[132:133], v[132:133], v[136:137], 0
	buffer_load_dword v137, off, s[0:3], 0 offset:252
	buffer_load_dword v136, off, s[0:3], 0 offset:248
	s_waitcnt vmcnt(12)
	v_fmac_f64_e32 v[132:133], v[152:153], v[138:139]
	s_waitcnt vmcnt(10) lgkmcnt(2)
	v_fmac_f64_e32 v[132:133], v[154:155], v[140:141]
	buffer_load_dword v141, off, s[0:3], 0 offset:260
	buffer_load_dword v140, off, s[0:3], 0 offset:256
	s_waitcnt vmcnt(10)
	v_fmac_f64_e32 v[132:133], v[156:157], v[142:143]
	s_waitcnt vmcnt(8) lgkmcnt(1)
	v_fmac_f64_e32 v[132:133], v[158:159], v[144:145]
	s_waitcnt vmcnt(6)
	v_fmac_f64_e32 v[132:133], v[160:161], v[146:147]
	s_waitcnt vmcnt(4) lgkmcnt(0)
	v_fmac_f64_e32 v[132:133], v[162:163], v[148:149]
	s_waitcnt vmcnt(2)
	v_fmac_f64_e32 v[132:133], v[136:137], v[150:151]
	ds_read_b128 v[136:139], v134 offset:768
	s_waitcnt vmcnt(0) lgkmcnt(0)
	v_fmac_f64_e32 v[132:133], v[140:141], v[136:137]
	buffer_load_dword v137, off, s[0:3], 0 offset:268
	buffer_load_dword v136, off, s[0:3], 0 offset:264
	buffer_load_dword v141, off, s[0:3], 0 offset:276
	buffer_load_dword v140, off, s[0:3], 0 offset:272
	s_waitcnt vmcnt(2)
	v_fmac_f64_e32 v[132:133], v[136:137], v[138:139]
	ds_read_b128 v[136:139], v134 offset:784
	s_waitcnt vmcnt(0) lgkmcnt(0)
	v_fmac_f64_e32 v[132:133], v[140:141], v[136:137]
	buffer_load_dword v137, off, s[0:3], 0 offset:284
	buffer_load_dword v136, off, s[0:3], 0 offset:280
	buffer_load_dword v141, off, s[0:3], 0 offset:292
	buffer_load_dword v140, off, s[0:3], 0 offset:288
	;; [unrolled: 9-line block ×14, first 2 shown]
	s_waitcnt vmcnt(2)
	v_fmac_f64_e32 v[132:133], v[136:137], v[138:139]
	ds_read_b128 v[136:139], v134 offset:992
	s_waitcnt vmcnt(0) lgkmcnt(0)
	v_fmac_f64_e32 v[132:133], v[140:141], v[136:137]
	buffer_load_dword v137, off, s[0:3], 0 offset:492
	buffer_load_dword v136, off, s[0:3], 0 offset:488
	s_waitcnt vmcnt(0)
	v_fmac_f64_e32 v[132:133], v[136:137], v[138:139]
	buffer_load_dword v139, off, s[0:3], 0 offset:500
	buffer_load_dword v138, off, s[0:3], 0 offset:496
	ds_read_b128 v[134:137], v134 offset:1008
	s_waitcnt vmcnt(0) lgkmcnt(0)
	v_fmac_f64_e32 v[132:133], v[138:139], v[134:135]
	buffer_load_dword v135, off, s[0:3], 0 offset:508
	buffer_load_dword v134, off, s[0:3], 0 offset:504
	s_waitcnt vmcnt(0)
	v_fmac_f64_e32 v[132:133], v[134:135], v[136:137]
	v_add_f64 v[130:131], v[130:131], -v[132:133]
	buffer_store_dword v131, off, s[0:3], 0 offset:188
	buffer_store_dword v130, off, s[0:3], 0 offset:184
	s_and_saveexec_b64 s[4:5], vcc
	s_cbranch_execz .LBB127_347
; %bb.346:
	buffer_load_dword v130, off, s[0:3], 0 offset:176
	buffer_load_dword v131, off, s[0:3], 0 offset:180
	v_mov_b32_e32 v132, 0
	buffer_store_dword v132, off, s[0:3], 0 offset:176
	buffer_store_dword v132, off, s[0:3], 0 offset:180
	s_waitcnt vmcnt(2)
	ds_write_b64 v1, v[130:131]
.LBB127_347:
	s_or_b64 exec, exec, s[4:5]
	s_waitcnt lgkmcnt(0)
	; wave barrier
	s_waitcnt lgkmcnt(0)
	buffer_load_dword v130, off, s[0:3], 0 offset:176
	buffer_load_dword v131, off, s[0:3], 0 offset:180
	;; [unrolled: 1-line block ×16, first 2 shown]
	v_mov_b32_e32 v134, 0
	ds_read2_b64 v[136:139], v134 offset0:87 offset1:88
	v_cmp_lt_u32_e32 vcc, 21, v0
	s_waitcnt vmcnt(12) lgkmcnt(0)
	v_fma_f64 v[132:133], v[132:133], v[136:137], 0
	s_waitcnt vmcnt(10)
	v_fmac_f64_e32 v[132:133], v[140:141], v[138:139]
	ds_read2_b64 v[136:139], v134 offset0:89 offset1:90
	s_waitcnt vmcnt(8) lgkmcnt(0)
	v_fmac_f64_e32 v[132:133], v[142:143], v[136:137]
	s_waitcnt vmcnt(6)
	v_fmac_f64_e32 v[132:133], v[144:145], v[138:139]
	ds_read2_b64 v[136:139], v134 offset0:91 offset1:92
	s_waitcnt vmcnt(4) lgkmcnt(0)
	v_fmac_f64_e32 v[132:133], v[146:147], v[136:137]
	;; [unrolled: 5-line block ×3, first 2 shown]
	buffer_load_dword v137, off, s[0:3], 0 offset:244
	buffer_load_dword v136, off, s[0:3], 0 offset:240
	buffer_load_dword v141, off, s[0:3], 0 offset:252
	buffer_load_dword v140, off, s[0:3], 0 offset:248
	s_waitcnt vmcnt(2)
	v_fmac_f64_e32 v[132:133], v[136:137], v[138:139]
	ds_read2_b64 v[136:139], v134 offset0:95 offset1:96
	s_waitcnt vmcnt(0) lgkmcnt(0)
	v_fmac_f64_e32 v[132:133], v[140:141], v[136:137]
	buffer_load_dword v137, off, s[0:3], 0 offset:260
	buffer_load_dword v136, off, s[0:3], 0 offset:256
	buffer_load_dword v141, off, s[0:3], 0 offset:268
	buffer_load_dword v140, off, s[0:3], 0 offset:264
	s_waitcnt vmcnt(2)
	v_fmac_f64_e32 v[132:133], v[136:137], v[138:139]
	ds_read2_b64 v[136:139], v134 offset0:97 offset1:98
	s_waitcnt vmcnt(0) lgkmcnt(0)
	v_fmac_f64_e32 v[132:133], v[140:141], v[136:137]
	;; [unrolled: 9-line block ×16, first 2 shown]
	buffer_load_dword v137, off, s[0:3], 0 offset:500
	buffer_load_dword v136, off, s[0:3], 0 offset:496
	s_waitcnt vmcnt(0)
	v_fmac_f64_e32 v[132:133], v[136:137], v[138:139]
	buffer_load_dword v137, off, s[0:3], 0 offset:508
	buffer_load_dword v136, off, s[0:3], 0 offset:504
	ds_read_b64 v[138:139], v134 offset:1016
	s_waitcnt vmcnt(0) lgkmcnt(0)
	v_fmac_f64_e32 v[132:133], v[136:137], v[138:139]
	v_add_f64 v[130:131], v[130:131], -v[132:133]
	buffer_store_dword v131, off, s[0:3], 0 offset:180
	buffer_store_dword v130, off, s[0:3], 0 offset:176
	s_and_saveexec_b64 s[4:5], vcc
	s_cbranch_execz .LBB127_349
; %bb.348:
	buffer_load_dword v130, off, s[0:3], 0 offset:168
	buffer_load_dword v131, off, s[0:3], 0 offset:172
	s_waitcnt vmcnt(0)
	ds_write_b64 v1, v[130:131]
	buffer_store_dword v134, off, s[0:3], 0 offset:168
	buffer_store_dword v134, off, s[0:3], 0 offset:172
.LBB127_349:
	s_or_b64 exec, exec, s[4:5]
	s_waitcnt lgkmcnt(0)
	; wave barrier
	s_waitcnt lgkmcnt(0)
	buffer_load_dword v130, off, s[0:3], 0 offset:168
	buffer_load_dword v131, off, s[0:3], 0 offset:172
	;; [unrolled: 1-line block ×16, first 2 shown]
	ds_read_b128 v[136:139], v134 offset:688
	ds_read_b128 v[140:143], v134 offset:704
	;; [unrolled: 1-line block ×4, first 2 shown]
	v_cmp_lt_u32_e32 vcc, 20, v0
	s_waitcnt vmcnt(12) lgkmcnt(3)
	v_fma_f64 v[132:133], v[132:133], v[136:137], 0
	buffer_load_dword v137, off, s[0:3], 0 offset:236
	buffer_load_dword v136, off, s[0:3], 0 offset:232
	s_waitcnt vmcnt(12)
	v_fmac_f64_e32 v[132:133], v[152:153], v[138:139]
	s_waitcnt vmcnt(10) lgkmcnt(2)
	v_fmac_f64_e32 v[132:133], v[154:155], v[140:141]
	buffer_load_dword v141, off, s[0:3], 0 offset:244
	buffer_load_dword v140, off, s[0:3], 0 offset:240
	s_waitcnt vmcnt(10)
	v_fmac_f64_e32 v[132:133], v[156:157], v[142:143]
	s_waitcnt vmcnt(8) lgkmcnt(1)
	v_fmac_f64_e32 v[132:133], v[158:159], v[144:145]
	s_waitcnt vmcnt(6)
	v_fmac_f64_e32 v[132:133], v[160:161], v[146:147]
	s_waitcnt vmcnt(4) lgkmcnt(0)
	v_fmac_f64_e32 v[132:133], v[162:163], v[148:149]
	s_waitcnt vmcnt(2)
	v_fmac_f64_e32 v[132:133], v[136:137], v[150:151]
	ds_read_b128 v[136:139], v134 offset:752
	s_waitcnt vmcnt(0) lgkmcnt(0)
	v_fmac_f64_e32 v[132:133], v[140:141], v[136:137]
	buffer_load_dword v137, off, s[0:3], 0 offset:252
	buffer_load_dword v136, off, s[0:3], 0 offset:248
	buffer_load_dword v141, off, s[0:3], 0 offset:260
	buffer_load_dword v140, off, s[0:3], 0 offset:256
	s_waitcnt vmcnt(2)
	v_fmac_f64_e32 v[132:133], v[136:137], v[138:139]
	ds_read_b128 v[136:139], v134 offset:768
	s_waitcnt vmcnt(0) lgkmcnt(0)
	v_fmac_f64_e32 v[132:133], v[140:141], v[136:137]
	buffer_load_dword v137, off, s[0:3], 0 offset:268
	buffer_load_dword v136, off, s[0:3], 0 offset:264
	buffer_load_dword v141, off, s[0:3], 0 offset:276
	buffer_load_dword v140, off, s[0:3], 0 offset:272
	;; [unrolled: 9-line block ×15, first 2 shown]
	s_waitcnt vmcnt(2)
	v_fmac_f64_e32 v[132:133], v[136:137], v[138:139]
	ds_read_b128 v[136:139], v134 offset:992
	s_waitcnt vmcnt(0) lgkmcnt(0)
	v_fmac_f64_e32 v[132:133], v[140:141], v[136:137]
	buffer_load_dword v137, off, s[0:3], 0 offset:492
	buffer_load_dword v136, off, s[0:3], 0 offset:488
	s_waitcnt vmcnt(0)
	v_fmac_f64_e32 v[132:133], v[136:137], v[138:139]
	buffer_load_dword v139, off, s[0:3], 0 offset:500
	buffer_load_dword v138, off, s[0:3], 0 offset:496
	ds_read_b128 v[134:137], v134 offset:1008
	s_waitcnt vmcnt(0) lgkmcnt(0)
	v_fmac_f64_e32 v[132:133], v[138:139], v[134:135]
	buffer_load_dword v135, off, s[0:3], 0 offset:508
	buffer_load_dword v134, off, s[0:3], 0 offset:504
	s_waitcnt vmcnt(0)
	v_fmac_f64_e32 v[132:133], v[134:135], v[136:137]
	v_add_f64 v[130:131], v[130:131], -v[132:133]
	buffer_store_dword v131, off, s[0:3], 0 offset:172
	buffer_store_dword v130, off, s[0:3], 0 offset:168
	s_and_saveexec_b64 s[4:5], vcc
	s_cbranch_execz .LBB127_351
; %bb.350:
	buffer_load_dword v130, off, s[0:3], 0 offset:160
	buffer_load_dword v131, off, s[0:3], 0 offset:164
	v_mov_b32_e32 v132, 0
	buffer_store_dword v132, off, s[0:3], 0 offset:160
	buffer_store_dword v132, off, s[0:3], 0 offset:164
	s_waitcnt vmcnt(2)
	ds_write_b64 v1, v[130:131]
.LBB127_351:
	s_or_b64 exec, exec, s[4:5]
	s_waitcnt lgkmcnt(0)
	; wave barrier
	s_waitcnt lgkmcnt(0)
	buffer_load_dword v130, off, s[0:3], 0 offset:160
	buffer_load_dword v131, off, s[0:3], 0 offset:164
	;; [unrolled: 1-line block ×16, first 2 shown]
	v_mov_b32_e32 v134, 0
	ds_read2_b64 v[136:139], v134 offset0:85 offset1:86
	v_cmp_lt_u32_e32 vcc, 19, v0
	s_waitcnt vmcnt(12) lgkmcnt(0)
	v_fma_f64 v[132:133], v[132:133], v[136:137], 0
	s_waitcnt vmcnt(10)
	v_fmac_f64_e32 v[132:133], v[140:141], v[138:139]
	ds_read2_b64 v[136:139], v134 offset0:87 offset1:88
	s_waitcnt vmcnt(8) lgkmcnt(0)
	v_fmac_f64_e32 v[132:133], v[142:143], v[136:137]
	s_waitcnt vmcnt(6)
	v_fmac_f64_e32 v[132:133], v[144:145], v[138:139]
	ds_read2_b64 v[136:139], v134 offset0:89 offset1:90
	s_waitcnt vmcnt(4) lgkmcnt(0)
	v_fmac_f64_e32 v[132:133], v[146:147], v[136:137]
	;; [unrolled: 5-line block ×3, first 2 shown]
	buffer_load_dword v137, off, s[0:3], 0 offset:228
	buffer_load_dword v136, off, s[0:3], 0 offset:224
	buffer_load_dword v141, off, s[0:3], 0 offset:236
	buffer_load_dword v140, off, s[0:3], 0 offset:232
	s_waitcnt vmcnt(2)
	v_fmac_f64_e32 v[132:133], v[136:137], v[138:139]
	ds_read2_b64 v[136:139], v134 offset0:93 offset1:94
	s_waitcnt vmcnt(0) lgkmcnt(0)
	v_fmac_f64_e32 v[132:133], v[140:141], v[136:137]
	buffer_load_dword v137, off, s[0:3], 0 offset:244
	buffer_load_dword v136, off, s[0:3], 0 offset:240
	buffer_load_dword v141, off, s[0:3], 0 offset:252
	buffer_load_dword v140, off, s[0:3], 0 offset:248
	s_waitcnt vmcnt(2)
	v_fmac_f64_e32 v[132:133], v[136:137], v[138:139]
	ds_read2_b64 v[136:139], v134 offset0:95 offset1:96
	s_waitcnt vmcnt(0) lgkmcnt(0)
	v_fmac_f64_e32 v[132:133], v[140:141], v[136:137]
	;; [unrolled: 9-line block ×17, first 2 shown]
	buffer_load_dword v137, off, s[0:3], 0 offset:500
	buffer_load_dword v136, off, s[0:3], 0 offset:496
	s_waitcnt vmcnt(0)
	v_fmac_f64_e32 v[132:133], v[136:137], v[138:139]
	buffer_load_dword v137, off, s[0:3], 0 offset:508
	buffer_load_dword v136, off, s[0:3], 0 offset:504
	ds_read_b64 v[138:139], v134 offset:1016
	s_waitcnt vmcnt(0) lgkmcnt(0)
	v_fmac_f64_e32 v[132:133], v[136:137], v[138:139]
	v_add_f64 v[130:131], v[130:131], -v[132:133]
	buffer_store_dword v131, off, s[0:3], 0 offset:164
	buffer_store_dword v130, off, s[0:3], 0 offset:160
	s_and_saveexec_b64 s[4:5], vcc
	s_cbranch_execz .LBB127_353
; %bb.352:
	buffer_load_dword v130, off, s[0:3], 0 offset:152
	buffer_load_dword v131, off, s[0:3], 0 offset:156
	s_waitcnt vmcnt(0)
	ds_write_b64 v1, v[130:131]
	buffer_store_dword v134, off, s[0:3], 0 offset:152
	buffer_store_dword v134, off, s[0:3], 0 offset:156
.LBB127_353:
	s_or_b64 exec, exec, s[4:5]
	s_waitcnt lgkmcnt(0)
	; wave barrier
	s_waitcnt lgkmcnt(0)
	buffer_load_dword v130, off, s[0:3], 0 offset:152
	buffer_load_dword v131, off, s[0:3], 0 offset:156
	;; [unrolled: 1-line block ×16, first 2 shown]
	ds_read_b128 v[136:139], v134 offset:672
	ds_read_b128 v[140:143], v134 offset:688
	;; [unrolled: 1-line block ×4, first 2 shown]
	v_cmp_lt_u32_e32 vcc, 18, v0
	s_waitcnt vmcnt(12) lgkmcnt(3)
	v_fma_f64 v[132:133], v[132:133], v[136:137], 0
	buffer_load_dword v137, off, s[0:3], 0 offset:220
	buffer_load_dword v136, off, s[0:3], 0 offset:216
	s_waitcnt vmcnt(12)
	v_fmac_f64_e32 v[132:133], v[152:153], v[138:139]
	s_waitcnt vmcnt(10) lgkmcnt(2)
	v_fmac_f64_e32 v[132:133], v[154:155], v[140:141]
	buffer_load_dword v141, off, s[0:3], 0 offset:228
	buffer_load_dword v140, off, s[0:3], 0 offset:224
	s_waitcnt vmcnt(10)
	v_fmac_f64_e32 v[132:133], v[156:157], v[142:143]
	s_waitcnt vmcnt(8) lgkmcnt(1)
	v_fmac_f64_e32 v[132:133], v[158:159], v[144:145]
	s_waitcnt vmcnt(6)
	v_fmac_f64_e32 v[132:133], v[160:161], v[146:147]
	s_waitcnt vmcnt(4) lgkmcnt(0)
	v_fmac_f64_e32 v[132:133], v[162:163], v[148:149]
	s_waitcnt vmcnt(2)
	v_fmac_f64_e32 v[132:133], v[136:137], v[150:151]
	ds_read_b128 v[136:139], v134 offset:736
	s_waitcnt vmcnt(0) lgkmcnt(0)
	v_fmac_f64_e32 v[132:133], v[140:141], v[136:137]
	buffer_load_dword v137, off, s[0:3], 0 offset:236
	buffer_load_dword v136, off, s[0:3], 0 offset:232
	buffer_load_dword v141, off, s[0:3], 0 offset:244
	buffer_load_dword v140, off, s[0:3], 0 offset:240
	s_waitcnt vmcnt(2)
	v_fmac_f64_e32 v[132:133], v[136:137], v[138:139]
	ds_read_b128 v[136:139], v134 offset:752
	s_waitcnt vmcnt(0) lgkmcnt(0)
	v_fmac_f64_e32 v[132:133], v[140:141], v[136:137]
	buffer_load_dword v137, off, s[0:3], 0 offset:252
	buffer_load_dword v136, off, s[0:3], 0 offset:248
	buffer_load_dword v141, off, s[0:3], 0 offset:260
	buffer_load_dword v140, off, s[0:3], 0 offset:256
	;; [unrolled: 9-line block ×16, first 2 shown]
	s_waitcnt vmcnt(2)
	v_fmac_f64_e32 v[132:133], v[136:137], v[138:139]
	ds_read_b128 v[136:139], v134 offset:992
	s_waitcnt vmcnt(0) lgkmcnt(0)
	v_fmac_f64_e32 v[132:133], v[140:141], v[136:137]
	buffer_load_dword v137, off, s[0:3], 0 offset:492
	buffer_load_dword v136, off, s[0:3], 0 offset:488
	s_waitcnt vmcnt(0)
	v_fmac_f64_e32 v[132:133], v[136:137], v[138:139]
	buffer_load_dword v139, off, s[0:3], 0 offset:500
	buffer_load_dword v138, off, s[0:3], 0 offset:496
	ds_read_b128 v[134:137], v134 offset:1008
	s_waitcnt vmcnt(0) lgkmcnt(0)
	v_fmac_f64_e32 v[132:133], v[138:139], v[134:135]
	buffer_load_dword v135, off, s[0:3], 0 offset:508
	buffer_load_dword v134, off, s[0:3], 0 offset:504
	s_waitcnt vmcnt(0)
	v_fmac_f64_e32 v[132:133], v[134:135], v[136:137]
	v_add_f64 v[130:131], v[130:131], -v[132:133]
	buffer_store_dword v131, off, s[0:3], 0 offset:156
	buffer_store_dword v130, off, s[0:3], 0 offset:152
	s_and_saveexec_b64 s[4:5], vcc
	s_cbranch_execz .LBB127_355
; %bb.354:
	buffer_load_dword v130, off, s[0:3], 0 offset:144
	buffer_load_dword v131, off, s[0:3], 0 offset:148
	v_mov_b32_e32 v132, 0
	buffer_store_dword v132, off, s[0:3], 0 offset:144
	buffer_store_dword v132, off, s[0:3], 0 offset:148
	s_waitcnt vmcnt(2)
	ds_write_b64 v1, v[130:131]
.LBB127_355:
	s_or_b64 exec, exec, s[4:5]
	s_waitcnt lgkmcnt(0)
	; wave barrier
	s_waitcnt lgkmcnt(0)
	buffer_load_dword v130, off, s[0:3], 0 offset:144
	buffer_load_dword v131, off, s[0:3], 0 offset:148
	;; [unrolled: 1-line block ×16, first 2 shown]
	v_mov_b32_e32 v134, 0
	ds_read2_b64 v[136:139], v134 offset0:83 offset1:84
	v_cmp_lt_u32_e32 vcc, 17, v0
	s_waitcnt vmcnt(12) lgkmcnt(0)
	v_fma_f64 v[132:133], v[132:133], v[136:137], 0
	s_waitcnt vmcnt(10)
	v_fmac_f64_e32 v[132:133], v[140:141], v[138:139]
	ds_read2_b64 v[136:139], v134 offset0:85 offset1:86
	s_waitcnt vmcnt(8) lgkmcnt(0)
	v_fmac_f64_e32 v[132:133], v[142:143], v[136:137]
	s_waitcnt vmcnt(6)
	v_fmac_f64_e32 v[132:133], v[144:145], v[138:139]
	ds_read2_b64 v[136:139], v134 offset0:87 offset1:88
	s_waitcnt vmcnt(4) lgkmcnt(0)
	v_fmac_f64_e32 v[132:133], v[146:147], v[136:137]
	;; [unrolled: 5-line block ×3, first 2 shown]
	buffer_load_dword v137, off, s[0:3], 0 offset:212
	buffer_load_dword v136, off, s[0:3], 0 offset:208
	buffer_load_dword v141, off, s[0:3], 0 offset:220
	buffer_load_dword v140, off, s[0:3], 0 offset:216
	s_waitcnt vmcnt(2)
	v_fmac_f64_e32 v[132:133], v[136:137], v[138:139]
	ds_read2_b64 v[136:139], v134 offset0:91 offset1:92
	s_waitcnt vmcnt(0) lgkmcnt(0)
	v_fmac_f64_e32 v[132:133], v[140:141], v[136:137]
	buffer_load_dword v137, off, s[0:3], 0 offset:228
	buffer_load_dword v136, off, s[0:3], 0 offset:224
	buffer_load_dword v141, off, s[0:3], 0 offset:236
	buffer_load_dword v140, off, s[0:3], 0 offset:232
	s_waitcnt vmcnt(2)
	v_fmac_f64_e32 v[132:133], v[136:137], v[138:139]
	ds_read2_b64 v[136:139], v134 offset0:93 offset1:94
	s_waitcnt vmcnt(0) lgkmcnt(0)
	v_fmac_f64_e32 v[132:133], v[140:141], v[136:137]
	;; [unrolled: 9-line block ×18, first 2 shown]
	buffer_load_dword v137, off, s[0:3], 0 offset:500
	buffer_load_dword v136, off, s[0:3], 0 offset:496
	s_waitcnt vmcnt(0)
	v_fmac_f64_e32 v[132:133], v[136:137], v[138:139]
	buffer_load_dword v137, off, s[0:3], 0 offset:508
	buffer_load_dword v136, off, s[0:3], 0 offset:504
	ds_read_b64 v[138:139], v134 offset:1016
	s_waitcnt vmcnt(0) lgkmcnt(0)
	v_fmac_f64_e32 v[132:133], v[136:137], v[138:139]
	v_add_f64 v[130:131], v[130:131], -v[132:133]
	buffer_store_dword v131, off, s[0:3], 0 offset:148
	buffer_store_dword v130, off, s[0:3], 0 offset:144
	s_and_saveexec_b64 s[4:5], vcc
	s_cbranch_execz .LBB127_357
; %bb.356:
	buffer_load_dword v130, off, s[0:3], 0 offset:136
	buffer_load_dword v131, off, s[0:3], 0 offset:140
	s_waitcnt vmcnt(0)
	ds_write_b64 v1, v[130:131]
	buffer_store_dword v134, off, s[0:3], 0 offset:136
	buffer_store_dword v134, off, s[0:3], 0 offset:140
.LBB127_357:
	s_or_b64 exec, exec, s[4:5]
	s_waitcnt lgkmcnt(0)
	; wave barrier
	s_waitcnt lgkmcnt(0)
	buffer_load_dword v130, off, s[0:3], 0 offset:136
	buffer_load_dword v131, off, s[0:3], 0 offset:140
	;; [unrolled: 1-line block ×16, first 2 shown]
	ds_read_b128 v[136:139], v134 offset:656
	ds_read_b128 v[140:143], v134 offset:672
	;; [unrolled: 1-line block ×4, first 2 shown]
	v_cmp_lt_u32_e32 vcc, 16, v0
	s_waitcnt vmcnt(12) lgkmcnt(3)
	v_fma_f64 v[132:133], v[132:133], v[136:137], 0
	buffer_load_dword v137, off, s[0:3], 0 offset:204
	buffer_load_dword v136, off, s[0:3], 0 offset:200
	s_waitcnt vmcnt(12)
	v_fmac_f64_e32 v[132:133], v[152:153], v[138:139]
	s_waitcnt vmcnt(10) lgkmcnt(2)
	v_fmac_f64_e32 v[132:133], v[154:155], v[140:141]
	buffer_load_dword v141, off, s[0:3], 0 offset:212
	buffer_load_dword v140, off, s[0:3], 0 offset:208
	s_waitcnt vmcnt(10)
	v_fmac_f64_e32 v[132:133], v[156:157], v[142:143]
	s_waitcnt vmcnt(8) lgkmcnt(1)
	v_fmac_f64_e32 v[132:133], v[158:159], v[144:145]
	s_waitcnt vmcnt(6)
	v_fmac_f64_e32 v[132:133], v[160:161], v[146:147]
	s_waitcnt vmcnt(4) lgkmcnt(0)
	v_fmac_f64_e32 v[132:133], v[162:163], v[148:149]
	s_waitcnt vmcnt(2)
	v_fmac_f64_e32 v[132:133], v[136:137], v[150:151]
	ds_read_b128 v[136:139], v134 offset:720
	s_waitcnt vmcnt(0) lgkmcnt(0)
	v_fmac_f64_e32 v[132:133], v[140:141], v[136:137]
	buffer_load_dword v137, off, s[0:3], 0 offset:220
	buffer_load_dword v136, off, s[0:3], 0 offset:216
	buffer_load_dword v141, off, s[0:3], 0 offset:228
	buffer_load_dword v140, off, s[0:3], 0 offset:224
	s_waitcnt vmcnt(2)
	v_fmac_f64_e32 v[132:133], v[136:137], v[138:139]
	ds_read_b128 v[136:139], v134 offset:736
	s_waitcnt vmcnt(0) lgkmcnt(0)
	v_fmac_f64_e32 v[132:133], v[140:141], v[136:137]
	buffer_load_dword v137, off, s[0:3], 0 offset:236
	buffer_load_dword v136, off, s[0:3], 0 offset:232
	buffer_load_dword v141, off, s[0:3], 0 offset:244
	buffer_load_dword v140, off, s[0:3], 0 offset:240
	;; [unrolled: 9-line block ×17, first 2 shown]
	s_waitcnt vmcnt(2)
	v_fmac_f64_e32 v[132:133], v[136:137], v[138:139]
	ds_read_b128 v[136:139], v134 offset:992
	s_waitcnt vmcnt(0) lgkmcnt(0)
	v_fmac_f64_e32 v[132:133], v[140:141], v[136:137]
	buffer_load_dword v137, off, s[0:3], 0 offset:492
	buffer_load_dword v136, off, s[0:3], 0 offset:488
	s_waitcnt vmcnt(0)
	v_fmac_f64_e32 v[132:133], v[136:137], v[138:139]
	buffer_load_dword v139, off, s[0:3], 0 offset:500
	buffer_load_dword v138, off, s[0:3], 0 offset:496
	ds_read_b128 v[134:137], v134 offset:1008
	s_waitcnt vmcnt(0) lgkmcnt(0)
	v_fmac_f64_e32 v[132:133], v[138:139], v[134:135]
	buffer_load_dword v135, off, s[0:3], 0 offset:508
	buffer_load_dword v134, off, s[0:3], 0 offset:504
	s_waitcnt vmcnt(0)
	v_fmac_f64_e32 v[132:133], v[134:135], v[136:137]
	v_add_f64 v[130:131], v[130:131], -v[132:133]
	buffer_store_dword v131, off, s[0:3], 0 offset:140
	buffer_store_dword v130, off, s[0:3], 0 offset:136
	s_and_saveexec_b64 s[4:5], vcc
	s_cbranch_execz .LBB127_359
; %bb.358:
	buffer_load_dword v130, off, s[0:3], 0 offset:128
	buffer_load_dword v131, off, s[0:3], 0 offset:132
	v_mov_b32_e32 v132, 0
	buffer_store_dword v132, off, s[0:3], 0 offset:128
	buffer_store_dword v132, off, s[0:3], 0 offset:132
	s_waitcnt vmcnt(2)
	ds_write_b64 v1, v[130:131]
.LBB127_359:
	s_or_b64 exec, exec, s[4:5]
	s_waitcnt lgkmcnt(0)
	; wave barrier
	s_waitcnt lgkmcnt(0)
	buffer_load_dword v130, off, s[0:3], 0 offset:128
	buffer_load_dword v131, off, s[0:3], 0 offset:132
	;; [unrolled: 1-line block ×16, first 2 shown]
	v_mov_b32_e32 v134, 0
	ds_read2_b64 v[136:139], v134 offset0:81 offset1:82
	v_cmp_lt_u32_e32 vcc, 15, v0
	s_waitcnt vmcnt(12) lgkmcnt(0)
	v_fma_f64 v[132:133], v[132:133], v[136:137], 0
	s_waitcnt vmcnt(10)
	v_fmac_f64_e32 v[132:133], v[140:141], v[138:139]
	ds_read2_b64 v[136:139], v134 offset0:83 offset1:84
	s_waitcnt vmcnt(8) lgkmcnt(0)
	v_fmac_f64_e32 v[132:133], v[142:143], v[136:137]
	s_waitcnt vmcnt(6)
	v_fmac_f64_e32 v[132:133], v[144:145], v[138:139]
	ds_read2_b64 v[136:139], v134 offset0:85 offset1:86
	s_waitcnt vmcnt(4) lgkmcnt(0)
	v_fmac_f64_e32 v[132:133], v[146:147], v[136:137]
	;; [unrolled: 5-line block ×3, first 2 shown]
	buffer_load_dword v137, off, s[0:3], 0 offset:196
	buffer_load_dword v136, off, s[0:3], 0 offset:192
	buffer_load_dword v141, off, s[0:3], 0 offset:204
	buffer_load_dword v140, off, s[0:3], 0 offset:200
	s_waitcnt vmcnt(2)
	v_fmac_f64_e32 v[132:133], v[136:137], v[138:139]
	ds_read2_b64 v[136:139], v134 offset0:89 offset1:90
	s_waitcnt vmcnt(0) lgkmcnt(0)
	v_fmac_f64_e32 v[132:133], v[140:141], v[136:137]
	buffer_load_dword v137, off, s[0:3], 0 offset:212
	buffer_load_dword v136, off, s[0:3], 0 offset:208
	buffer_load_dword v141, off, s[0:3], 0 offset:220
	buffer_load_dword v140, off, s[0:3], 0 offset:216
	s_waitcnt vmcnt(2)
	v_fmac_f64_e32 v[132:133], v[136:137], v[138:139]
	ds_read2_b64 v[136:139], v134 offset0:91 offset1:92
	s_waitcnt vmcnt(0) lgkmcnt(0)
	v_fmac_f64_e32 v[132:133], v[140:141], v[136:137]
	;; [unrolled: 9-line block ×19, first 2 shown]
	buffer_load_dword v137, off, s[0:3], 0 offset:500
	buffer_load_dword v136, off, s[0:3], 0 offset:496
	s_waitcnt vmcnt(0)
	v_fmac_f64_e32 v[132:133], v[136:137], v[138:139]
	buffer_load_dword v137, off, s[0:3], 0 offset:508
	buffer_load_dword v136, off, s[0:3], 0 offset:504
	ds_read_b64 v[138:139], v134 offset:1016
	s_waitcnt vmcnt(0) lgkmcnt(0)
	v_fmac_f64_e32 v[132:133], v[136:137], v[138:139]
	v_add_f64 v[130:131], v[130:131], -v[132:133]
	buffer_store_dword v131, off, s[0:3], 0 offset:132
	buffer_store_dword v130, off, s[0:3], 0 offset:128
	s_and_saveexec_b64 s[4:5], vcc
	s_cbranch_execz .LBB127_361
; %bb.360:
	buffer_load_dword v130, off, s[0:3], 0 offset:120
	buffer_load_dword v131, off, s[0:3], 0 offset:124
	s_waitcnt vmcnt(0)
	ds_write_b64 v1, v[130:131]
	buffer_store_dword v134, off, s[0:3], 0 offset:120
	buffer_store_dword v134, off, s[0:3], 0 offset:124
.LBB127_361:
	s_or_b64 exec, exec, s[4:5]
	s_waitcnt lgkmcnt(0)
	; wave barrier
	s_waitcnt lgkmcnt(0)
	buffer_load_dword v130, off, s[0:3], 0 offset:120
	buffer_load_dword v131, off, s[0:3], 0 offset:124
	;; [unrolled: 1-line block ×16, first 2 shown]
	ds_read_b128 v[136:139], v134 offset:640
	ds_read_b128 v[140:143], v134 offset:656
	ds_read_b128 v[144:147], v134 offset:672
	ds_read_b128 v[148:151], v134 offset:688
	v_cmp_lt_u32_e32 vcc, 14, v0
	s_waitcnt vmcnt(12) lgkmcnt(3)
	v_fma_f64 v[132:133], v[132:133], v[136:137], 0
	buffer_load_dword v137, off, s[0:3], 0 offset:188
	buffer_load_dword v136, off, s[0:3], 0 offset:184
	s_waitcnt vmcnt(12)
	v_fmac_f64_e32 v[132:133], v[152:153], v[138:139]
	s_waitcnt vmcnt(10) lgkmcnt(2)
	v_fmac_f64_e32 v[132:133], v[154:155], v[140:141]
	buffer_load_dword v141, off, s[0:3], 0 offset:196
	buffer_load_dword v140, off, s[0:3], 0 offset:192
	s_waitcnt vmcnt(10)
	v_fmac_f64_e32 v[132:133], v[156:157], v[142:143]
	s_waitcnt vmcnt(8) lgkmcnt(1)
	v_fmac_f64_e32 v[132:133], v[158:159], v[144:145]
	s_waitcnt vmcnt(6)
	v_fmac_f64_e32 v[132:133], v[160:161], v[146:147]
	s_waitcnt vmcnt(4) lgkmcnt(0)
	v_fmac_f64_e32 v[132:133], v[162:163], v[148:149]
	s_waitcnt vmcnt(2)
	v_fmac_f64_e32 v[132:133], v[136:137], v[150:151]
	ds_read_b128 v[136:139], v134 offset:704
	s_waitcnt vmcnt(0) lgkmcnt(0)
	v_fmac_f64_e32 v[132:133], v[140:141], v[136:137]
	buffer_load_dword v137, off, s[0:3], 0 offset:204
	buffer_load_dword v136, off, s[0:3], 0 offset:200
	buffer_load_dword v141, off, s[0:3], 0 offset:212
	buffer_load_dword v140, off, s[0:3], 0 offset:208
	s_waitcnt vmcnt(2)
	v_fmac_f64_e32 v[132:133], v[136:137], v[138:139]
	ds_read_b128 v[136:139], v134 offset:720
	s_waitcnt vmcnt(0) lgkmcnt(0)
	v_fmac_f64_e32 v[132:133], v[140:141], v[136:137]
	buffer_load_dword v137, off, s[0:3], 0 offset:220
	buffer_load_dword v136, off, s[0:3], 0 offset:216
	buffer_load_dword v141, off, s[0:3], 0 offset:228
	buffer_load_dword v140, off, s[0:3], 0 offset:224
	;; [unrolled: 9-line block ×18, first 2 shown]
	s_waitcnt vmcnt(2)
	v_fmac_f64_e32 v[132:133], v[136:137], v[138:139]
	ds_read_b128 v[136:139], v134 offset:992
	s_waitcnt vmcnt(0) lgkmcnt(0)
	v_fmac_f64_e32 v[132:133], v[140:141], v[136:137]
	buffer_load_dword v137, off, s[0:3], 0 offset:492
	buffer_load_dword v136, off, s[0:3], 0 offset:488
	s_waitcnt vmcnt(0)
	v_fmac_f64_e32 v[132:133], v[136:137], v[138:139]
	buffer_load_dword v139, off, s[0:3], 0 offset:500
	buffer_load_dword v138, off, s[0:3], 0 offset:496
	ds_read_b128 v[134:137], v134 offset:1008
	s_waitcnt vmcnt(0) lgkmcnt(0)
	v_fmac_f64_e32 v[132:133], v[138:139], v[134:135]
	buffer_load_dword v135, off, s[0:3], 0 offset:508
	buffer_load_dword v134, off, s[0:3], 0 offset:504
	s_waitcnt vmcnt(0)
	v_fmac_f64_e32 v[132:133], v[134:135], v[136:137]
	v_add_f64 v[130:131], v[130:131], -v[132:133]
	buffer_store_dword v131, off, s[0:3], 0 offset:124
	buffer_store_dword v130, off, s[0:3], 0 offset:120
	s_and_saveexec_b64 s[4:5], vcc
	s_cbranch_execz .LBB127_363
; %bb.362:
	buffer_load_dword v130, off, s[0:3], 0 offset:112
	buffer_load_dword v131, off, s[0:3], 0 offset:116
	v_mov_b32_e32 v132, 0
	buffer_store_dword v132, off, s[0:3], 0 offset:112
	buffer_store_dword v132, off, s[0:3], 0 offset:116
	s_waitcnt vmcnt(2)
	ds_write_b64 v1, v[130:131]
.LBB127_363:
	s_or_b64 exec, exec, s[4:5]
	s_waitcnt lgkmcnt(0)
	; wave barrier
	s_waitcnt lgkmcnt(0)
	buffer_load_dword v130, off, s[0:3], 0 offset:112
	buffer_load_dword v131, off, s[0:3], 0 offset:116
	;; [unrolled: 1-line block ×16, first 2 shown]
	v_mov_b32_e32 v134, 0
	ds_read2_b64 v[136:139], v134 offset0:79 offset1:80
	v_cmp_lt_u32_e32 vcc, 13, v0
	s_waitcnt vmcnt(12) lgkmcnt(0)
	v_fma_f64 v[132:133], v[132:133], v[136:137], 0
	s_waitcnt vmcnt(10)
	v_fmac_f64_e32 v[132:133], v[140:141], v[138:139]
	ds_read2_b64 v[136:139], v134 offset0:81 offset1:82
	s_waitcnt vmcnt(8) lgkmcnt(0)
	v_fmac_f64_e32 v[132:133], v[142:143], v[136:137]
	s_waitcnt vmcnt(6)
	v_fmac_f64_e32 v[132:133], v[144:145], v[138:139]
	ds_read2_b64 v[136:139], v134 offset0:83 offset1:84
	s_waitcnt vmcnt(4) lgkmcnt(0)
	v_fmac_f64_e32 v[132:133], v[146:147], v[136:137]
	;; [unrolled: 5-line block ×3, first 2 shown]
	buffer_load_dword v137, off, s[0:3], 0 offset:180
	buffer_load_dword v136, off, s[0:3], 0 offset:176
	buffer_load_dword v141, off, s[0:3], 0 offset:188
	buffer_load_dword v140, off, s[0:3], 0 offset:184
	s_waitcnt vmcnt(2)
	v_fmac_f64_e32 v[132:133], v[136:137], v[138:139]
	ds_read2_b64 v[136:139], v134 offset0:87 offset1:88
	s_waitcnt vmcnt(0) lgkmcnt(0)
	v_fmac_f64_e32 v[132:133], v[140:141], v[136:137]
	buffer_load_dword v137, off, s[0:3], 0 offset:196
	buffer_load_dword v136, off, s[0:3], 0 offset:192
	buffer_load_dword v141, off, s[0:3], 0 offset:204
	buffer_load_dword v140, off, s[0:3], 0 offset:200
	s_waitcnt vmcnt(2)
	v_fmac_f64_e32 v[132:133], v[136:137], v[138:139]
	ds_read2_b64 v[136:139], v134 offset0:89 offset1:90
	s_waitcnt vmcnt(0) lgkmcnt(0)
	v_fmac_f64_e32 v[132:133], v[140:141], v[136:137]
	;; [unrolled: 9-line block ×20, first 2 shown]
	buffer_load_dword v137, off, s[0:3], 0 offset:500
	buffer_load_dword v136, off, s[0:3], 0 offset:496
	s_waitcnt vmcnt(0)
	v_fmac_f64_e32 v[132:133], v[136:137], v[138:139]
	buffer_load_dword v137, off, s[0:3], 0 offset:508
	buffer_load_dword v136, off, s[0:3], 0 offset:504
	ds_read_b64 v[138:139], v134 offset:1016
	s_waitcnt vmcnt(0) lgkmcnt(0)
	v_fmac_f64_e32 v[132:133], v[136:137], v[138:139]
	v_add_f64 v[130:131], v[130:131], -v[132:133]
	buffer_store_dword v131, off, s[0:3], 0 offset:116
	buffer_store_dword v130, off, s[0:3], 0 offset:112
	s_and_saveexec_b64 s[4:5], vcc
	s_cbranch_execz .LBB127_365
; %bb.364:
	buffer_load_dword v130, off, s[0:3], 0 offset:104
	buffer_load_dword v131, off, s[0:3], 0 offset:108
	s_waitcnt vmcnt(0)
	ds_write_b64 v1, v[130:131]
	buffer_store_dword v134, off, s[0:3], 0 offset:104
	buffer_store_dword v134, off, s[0:3], 0 offset:108
.LBB127_365:
	s_or_b64 exec, exec, s[4:5]
	s_waitcnt lgkmcnt(0)
	; wave barrier
	s_waitcnt lgkmcnt(0)
	buffer_load_dword v130, off, s[0:3], 0 offset:104
	buffer_load_dword v131, off, s[0:3], 0 offset:108
	;; [unrolled: 1-line block ×16, first 2 shown]
	ds_read_b128 v[136:139], v134 offset:624
	v_cmp_lt_u32_e32 vcc, 12, v0
	s_waitcnt vmcnt(12) lgkmcnt(0)
	v_fma_f64 v[132:133], v[132:133], v[136:137], 0
	s_waitcnt vmcnt(10)
	v_fmac_f64_e32 v[132:133], v[140:141], v[138:139]
	ds_read_b128 v[136:139], v134 offset:640
	s_waitcnt vmcnt(8) lgkmcnt(0)
	v_fmac_f64_e32 v[132:133], v[142:143], v[136:137]
	s_waitcnt vmcnt(6)
	v_fmac_f64_e32 v[132:133], v[144:145], v[138:139]
	ds_read_b128 v[136:139], v134 offset:656
	s_waitcnt vmcnt(4) lgkmcnt(0)
	v_fmac_f64_e32 v[132:133], v[146:147], v[136:137]
	;; [unrolled: 5-line block ×3, first 2 shown]
	buffer_load_dword v137, off, s[0:3], 0 offset:172
	buffer_load_dword v136, off, s[0:3], 0 offset:168
	buffer_load_dword v141, off, s[0:3], 0 offset:180
	buffer_load_dword v140, off, s[0:3], 0 offset:176
	s_waitcnt vmcnt(2)
	v_fmac_f64_e32 v[132:133], v[136:137], v[138:139]
	ds_read_b128 v[136:139], v134 offset:688
	s_waitcnt vmcnt(0) lgkmcnt(0)
	v_fmac_f64_e32 v[132:133], v[140:141], v[136:137]
	buffer_load_dword v137, off, s[0:3], 0 offset:188
	buffer_load_dword v136, off, s[0:3], 0 offset:184
	buffer_load_dword v141, off, s[0:3], 0 offset:196
	buffer_load_dword v140, off, s[0:3], 0 offset:192
	s_waitcnt vmcnt(2)
	v_fmac_f64_e32 v[132:133], v[136:137], v[138:139]
	ds_read_b128 v[136:139], v134 offset:704
	s_waitcnt vmcnt(0) lgkmcnt(0)
	v_fmac_f64_e32 v[132:133], v[140:141], v[136:137]
	;; [unrolled: 9-line block ×20, first 2 shown]
	buffer_load_dword v137, off, s[0:3], 0 offset:492
	buffer_load_dword v136, off, s[0:3], 0 offset:488
	s_waitcnt vmcnt(0)
	v_fmac_f64_e32 v[132:133], v[136:137], v[138:139]
	buffer_load_dword v139, off, s[0:3], 0 offset:500
	buffer_load_dword v138, off, s[0:3], 0 offset:496
	ds_read_b128 v[134:137], v134 offset:1008
	s_waitcnt vmcnt(0) lgkmcnt(0)
	v_fmac_f64_e32 v[132:133], v[138:139], v[134:135]
	buffer_load_dword v135, off, s[0:3], 0 offset:508
	buffer_load_dword v134, off, s[0:3], 0 offset:504
	s_waitcnt vmcnt(0)
	v_fmac_f64_e32 v[132:133], v[134:135], v[136:137]
	v_add_f64 v[130:131], v[130:131], -v[132:133]
	buffer_store_dword v131, off, s[0:3], 0 offset:108
	buffer_store_dword v130, off, s[0:3], 0 offset:104
	s_and_saveexec_b64 s[4:5], vcc
	s_cbranch_execz .LBB127_367
; %bb.366:
	buffer_load_dword v130, off, s[0:3], 0 offset:96
	buffer_load_dword v131, off, s[0:3], 0 offset:100
	v_mov_b32_e32 v132, 0
	buffer_store_dword v132, off, s[0:3], 0 offset:96
	buffer_store_dword v132, off, s[0:3], 0 offset:100
	s_waitcnt vmcnt(2)
	ds_write_b64 v1, v[130:131]
.LBB127_367:
	s_or_b64 exec, exec, s[4:5]
	s_waitcnt lgkmcnt(0)
	; wave barrier
	s_waitcnt lgkmcnt(0)
	buffer_load_dword v130, off, s[0:3], 0 offset:96
	buffer_load_dword v131, off, s[0:3], 0 offset:100
	;; [unrolled: 1-line block ×16, first 2 shown]
	v_mov_b32_e32 v134, 0
	ds_read2_b64 v[136:139], v134 offset0:77 offset1:78
	v_cmp_lt_u32_e32 vcc, 11, v0
	s_waitcnt vmcnt(12) lgkmcnt(0)
	v_fma_f64 v[132:133], v[132:133], v[136:137], 0
	s_waitcnt vmcnt(10)
	v_fmac_f64_e32 v[132:133], v[140:141], v[138:139]
	ds_read2_b64 v[136:139], v134 offset0:79 offset1:80
	s_waitcnt vmcnt(8) lgkmcnt(0)
	v_fmac_f64_e32 v[132:133], v[142:143], v[136:137]
	s_waitcnt vmcnt(6)
	v_fmac_f64_e32 v[132:133], v[144:145], v[138:139]
	ds_read2_b64 v[136:139], v134 offset0:81 offset1:82
	s_waitcnt vmcnt(4) lgkmcnt(0)
	v_fmac_f64_e32 v[132:133], v[146:147], v[136:137]
	;; [unrolled: 5-line block ×3, first 2 shown]
	buffer_load_dword v137, off, s[0:3], 0 offset:164
	buffer_load_dword v136, off, s[0:3], 0 offset:160
	buffer_load_dword v141, off, s[0:3], 0 offset:172
	buffer_load_dword v140, off, s[0:3], 0 offset:168
	s_waitcnt vmcnt(2)
	v_fmac_f64_e32 v[132:133], v[136:137], v[138:139]
	ds_read2_b64 v[136:139], v134 offset0:85 offset1:86
	s_waitcnt vmcnt(0) lgkmcnt(0)
	v_fmac_f64_e32 v[132:133], v[140:141], v[136:137]
	buffer_load_dword v137, off, s[0:3], 0 offset:180
	buffer_load_dword v136, off, s[0:3], 0 offset:176
	buffer_load_dword v141, off, s[0:3], 0 offset:188
	buffer_load_dword v140, off, s[0:3], 0 offset:184
	s_waitcnt vmcnt(2)
	v_fmac_f64_e32 v[132:133], v[136:137], v[138:139]
	ds_read2_b64 v[136:139], v134 offset0:87 offset1:88
	s_waitcnt vmcnt(0) lgkmcnt(0)
	v_fmac_f64_e32 v[132:133], v[140:141], v[136:137]
	;; [unrolled: 9-line block ×21, first 2 shown]
	buffer_load_dword v137, off, s[0:3], 0 offset:500
	buffer_load_dword v136, off, s[0:3], 0 offset:496
	s_waitcnt vmcnt(0)
	v_fmac_f64_e32 v[132:133], v[136:137], v[138:139]
	buffer_load_dword v137, off, s[0:3], 0 offset:508
	buffer_load_dword v136, off, s[0:3], 0 offset:504
	ds_read_b64 v[138:139], v134 offset:1016
	s_waitcnt vmcnt(0) lgkmcnt(0)
	v_fmac_f64_e32 v[132:133], v[136:137], v[138:139]
	v_add_f64 v[130:131], v[130:131], -v[132:133]
	buffer_store_dword v131, off, s[0:3], 0 offset:100
	buffer_store_dword v130, off, s[0:3], 0 offset:96
	s_and_saveexec_b64 s[4:5], vcc
	s_cbranch_execz .LBB127_369
; %bb.368:
	buffer_load_dword v130, off, s[0:3], 0 offset:88
	buffer_load_dword v131, off, s[0:3], 0 offset:92
	s_waitcnt vmcnt(0)
	ds_write_b64 v1, v[130:131]
	buffer_store_dword v134, off, s[0:3], 0 offset:88
	buffer_store_dword v134, off, s[0:3], 0 offset:92
.LBB127_369:
	s_or_b64 exec, exec, s[4:5]
	s_waitcnt lgkmcnt(0)
	; wave barrier
	s_waitcnt lgkmcnt(0)
	buffer_load_dword v130, off, s[0:3], 0 offset:88
	buffer_load_dword v131, off, s[0:3], 0 offset:92
	;; [unrolled: 1-line block ×16, first 2 shown]
	ds_read_b128 v[136:139], v134 offset:608
	v_cmp_lt_u32_e32 vcc, 10, v0
	s_waitcnt vmcnt(12) lgkmcnt(0)
	v_fma_f64 v[132:133], v[132:133], v[136:137], 0
	s_waitcnt vmcnt(10)
	v_fmac_f64_e32 v[132:133], v[140:141], v[138:139]
	ds_read_b128 v[136:139], v134 offset:624
	s_waitcnt vmcnt(8) lgkmcnt(0)
	v_fmac_f64_e32 v[132:133], v[142:143], v[136:137]
	s_waitcnt vmcnt(6)
	v_fmac_f64_e32 v[132:133], v[144:145], v[138:139]
	ds_read_b128 v[136:139], v134 offset:640
	s_waitcnt vmcnt(4) lgkmcnt(0)
	v_fmac_f64_e32 v[132:133], v[146:147], v[136:137]
	;; [unrolled: 5-line block ×3, first 2 shown]
	buffer_load_dword v137, off, s[0:3], 0 offset:156
	buffer_load_dword v136, off, s[0:3], 0 offset:152
	buffer_load_dword v141, off, s[0:3], 0 offset:164
	buffer_load_dword v140, off, s[0:3], 0 offset:160
	s_waitcnt vmcnt(2)
	v_fmac_f64_e32 v[132:133], v[136:137], v[138:139]
	ds_read_b128 v[136:139], v134 offset:672
	s_waitcnt vmcnt(0) lgkmcnt(0)
	v_fmac_f64_e32 v[132:133], v[140:141], v[136:137]
	buffer_load_dword v137, off, s[0:3], 0 offset:172
	buffer_load_dword v136, off, s[0:3], 0 offset:168
	buffer_load_dword v141, off, s[0:3], 0 offset:180
	buffer_load_dword v140, off, s[0:3], 0 offset:176
	s_waitcnt vmcnt(2)
	v_fmac_f64_e32 v[132:133], v[136:137], v[138:139]
	ds_read_b128 v[136:139], v134 offset:688
	s_waitcnt vmcnt(0) lgkmcnt(0)
	v_fmac_f64_e32 v[132:133], v[140:141], v[136:137]
	;; [unrolled: 9-line block ×21, first 2 shown]
	buffer_load_dword v137, off, s[0:3], 0 offset:492
	buffer_load_dword v136, off, s[0:3], 0 offset:488
	s_waitcnt vmcnt(0)
	v_fmac_f64_e32 v[132:133], v[136:137], v[138:139]
	buffer_load_dword v139, off, s[0:3], 0 offset:500
	buffer_load_dword v138, off, s[0:3], 0 offset:496
	ds_read_b128 v[134:137], v134 offset:1008
	s_waitcnt vmcnt(0) lgkmcnt(0)
	v_fmac_f64_e32 v[132:133], v[138:139], v[134:135]
	buffer_load_dword v135, off, s[0:3], 0 offset:508
	buffer_load_dword v134, off, s[0:3], 0 offset:504
	s_waitcnt vmcnt(0)
	v_fmac_f64_e32 v[132:133], v[134:135], v[136:137]
	v_add_f64 v[130:131], v[130:131], -v[132:133]
	buffer_store_dword v131, off, s[0:3], 0 offset:92
	buffer_store_dword v130, off, s[0:3], 0 offset:88
	s_and_saveexec_b64 s[4:5], vcc
	s_cbranch_execz .LBB127_371
; %bb.370:
	buffer_load_dword v130, off, s[0:3], 0 offset:80
	buffer_load_dword v131, off, s[0:3], 0 offset:84
	v_mov_b32_e32 v132, 0
	buffer_store_dword v132, off, s[0:3], 0 offset:80
	buffer_store_dword v132, off, s[0:3], 0 offset:84
	s_waitcnt vmcnt(2)
	ds_write_b64 v1, v[130:131]
.LBB127_371:
	s_or_b64 exec, exec, s[4:5]
	s_waitcnt lgkmcnt(0)
	; wave barrier
	s_waitcnt lgkmcnt(0)
	buffer_load_dword v130, off, s[0:3], 0 offset:80
	buffer_load_dword v131, off, s[0:3], 0 offset:84
	;; [unrolled: 1-line block ×16, first 2 shown]
	v_mov_b32_e32 v134, 0
	ds_read2_b64 v[136:139], v134 offset0:75 offset1:76
	v_cmp_lt_u32_e32 vcc, 9, v0
	s_waitcnt vmcnt(12) lgkmcnt(0)
	v_fma_f64 v[132:133], v[132:133], v[136:137], 0
	s_waitcnt vmcnt(10)
	v_fmac_f64_e32 v[132:133], v[140:141], v[138:139]
	ds_read2_b64 v[136:139], v134 offset0:77 offset1:78
	s_waitcnt vmcnt(8) lgkmcnt(0)
	v_fmac_f64_e32 v[132:133], v[142:143], v[136:137]
	s_waitcnt vmcnt(6)
	v_fmac_f64_e32 v[132:133], v[144:145], v[138:139]
	ds_read2_b64 v[136:139], v134 offset0:79 offset1:80
	s_waitcnt vmcnt(4) lgkmcnt(0)
	v_fmac_f64_e32 v[132:133], v[146:147], v[136:137]
	;; [unrolled: 5-line block ×3, first 2 shown]
	buffer_load_dword v137, off, s[0:3], 0 offset:148
	buffer_load_dword v136, off, s[0:3], 0 offset:144
	buffer_load_dword v141, off, s[0:3], 0 offset:156
	buffer_load_dword v140, off, s[0:3], 0 offset:152
	s_waitcnt vmcnt(2)
	v_fmac_f64_e32 v[132:133], v[136:137], v[138:139]
	ds_read2_b64 v[136:139], v134 offset0:83 offset1:84
	s_waitcnt vmcnt(0) lgkmcnt(0)
	v_fmac_f64_e32 v[132:133], v[140:141], v[136:137]
	buffer_load_dword v137, off, s[0:3], 0 offset:164
	buffer_load_dword v136, off, s[0:3], 0 offset:160
	buffer_load_dword v141, off, s[0:3], 0 offset:172
	buffer_load_dword v140, off, s[0:3], 0 offset:168
	s_waitcnt vmcnt(2)
	v_fmac_f64_e32 v[132:133], v[136:137], v[138:139]
	ds_read2_b64 v[136:139], v134 offset0:85 offset1:86
	s_waitcnt vmcnt(0) lgkmcnt(0)
	v_fmac_f64_e32 v[132:133], v[140:141], v[136:137]
	;; [unrolled: 9-line block ×22, first 2 shown]
	buffer_load_dword v137, off, s[0:3], 0 offset:500
	buffer_load_dword v136, off, s[0:3], 0 offset:496
	s_waitcnt vmcnt(0)
	v_fmac_f64_e32 v[132:133], v[136:137], v[138:139]
	buffer_load_dword v137, off, s[0:3], 0 offset:508
	buffer_load_dword v136, off, s[0:3], 0 offset:504
	ds_read_b64 v[138:139], v134 offset:1016
	s_waitcnt vmcnt(0) lgkmcnt(0)
	v_fmac_f64_e32 v[132:133], v[136:137], v[138:139]
	v_add_f64 v[130:131], v[130:131], -v[132:133]
	buffer_store_dword v131, off, s[0:3], 0 offset:84
	buffer_store_dword v130, off, s[0:3], 0 offset:80
	s_and_saveexec_b64 s[4:5], vcc
	s_cbranch_execz .LBB127_373
; %bb.372:
	buffer_load_dword v130, off, s[0:3], 0 offset:72
	buffer_load_dword v131, off, s[0:3], 0 offset:76
	s_waitcnt vmcnt(0)
	ds_write_b64 v1, v[130:131]
	buffer_store_dword v134, off, s[0:3], 0 offset:72
	buffer_store_dword v134, off, s[0:3], 0 offset:76
.LBB127_373:
	s_or_b64 exec, exec, s[4:5]
	s_waitcnt lgkmcnt(0)
	; wave barrier
	s_waitcnt lgkmcnt(0)
	buffer_load_dword v130, off, s[0:3], 0 offset:72
	buffer_load_dword v131, off, s[0:3], 0 offset:76
	buffer_load_dword v132, off, s[0:3], 0 offset:80
	buffer_load_dword v133, off, s[0:3], 0 offset:84
	buffer_load_dword v140, off, s[0:3], 0 offset:88
	buffer_load_dword v141, off, s[0:3], 0 offset:92
	buffer_load_dword v142, off, s[0:3], 0 offset:96
	buffer_load_dword v143, off, s[0:3], 0 offset:100
	buffer_load_dword v144, off, s[0:3], 0 offset:104
	buffer_load_dword v145, off, s[0:3], 0 offset:108
	buffer_load_dword v146, off, s[0:3], 0 offset:112
	buffer_load_dword v147, off, s[0:3], 0 offset:116
	buffer_load_dword v148, off, s[0:3], 0 offset:120
	buffer_load_dword v149, off, s[0:3], 0 offset:124
	buffer_load_dword v150, off, s[0:3], 0 offset:128
	buffer_load_dword v151, off, s[0:3], 0 offset:132
	ds_read_b128 v[136:139], v134 offset:592
	v_cmp_lt_u32_e32 vcc, 8, v0
	s_waitcnt vmcnt(12) lgkmcnt(0)
	v_fma_f64 v[132:133], v[132:133], v[136:137], 0
	s_waitcnt vmcnt(10)
	v_fmac_f64_e32 v[132:133], v[140:141], v[138:139]
	ds_read_b128 v[136:139], v134 offset:608
	s_waitcnt vmcnt(8) lgkmcnt(0)
	v_fmac_f64_e32 v[132:133], v[142:143], v[136:137]
	s_waitcnt vmcnt(6)
	v_fmac_f64_e32 v[132:133], v[144:145], v[138:139]
	ds_read_b128 v[136:139], v134 offset:624
	s_waitcnt vmcnt(4) lgkmcnt(0)
	v_fmac_f64_e32 v[132:133], v[146:147], v[136:137]
	;; [unrolled: 5-line block ×3, first 2 shown]
	buffer_load_dword v137, off, s[0:3], 0 offset:140
	buffer_load_dword v136, off, s[0:3], 0 offset:136
	buffer_load_dword v141, off, s[0:3], 0 offset:148
	buffer_load_dword v140, off, s[0:3], 0 offset:144
	s_waitcnt vmcnt(2)
	v_fmac_f64_e32 v[132:133], v[136:137], v[138:139]
	ds_read_b128 v[136:139], v134 offset:656
	s_waitcnt vmcnt(0) lgkmcnt(0)
	v_fmac_f64_e32 v[132:133], v[140:141], v[136:137]
	buffer_load_dword v137, off, s[0:3], 0 offset:156
	buffer_load_dword v136, off, s[0:3], 0 offset:152
	buffer_load_dword v141, off, s[0:3], 0 offset:164
	buffer_load_dword v140, off, s[0:3], 0 offset:160
	s_waitcnt vmcnt(2)
	v_fmac_f64_e32 v[132:133], v[136:137], v[138:139]
	ds_read_b128 v[136:139], v134 offset:672
	s_waitcnt vmcnt(0) lgkmcnt(0)
	v_fmac_f64_e32 v[132:133], v[140:141], v[136:137]
	;; [unrolled: 9-line block ×22, first 2 shown]
	buffer_load_dword v137, off, s[0:3], 0 offset:492
	buffer_load_dword v136, off, s[0:3], 0 offset:488
	s_waitcnt vmcnt(0)
	v_fmac_f64_e32 v[132:133], v[136:137], v[138:139]
	buffer_load_dword v139, off, s[0:3], 0 offset:500
	buffer_load_dword v138, off, s[0:3], 0 offset:496
	ds_read_b128 v[134:137], v134 offset:1008
	s_waitcnt vmcnt(0) lgkmcnt(0)
	v_fmac_f64_e32 v[132:133], v[138:139], v[134:135]
	buffer_load_dword v135, off, s[0:3], 0 offset:508
	buffer_load_dword v134, off, s[0:3], 0 offset:504
	s_waitcnt vmcnt(0)
	v_fmac_f64_e32 v[132:133], v[134:135], v[136:137]
	v_add_f64 v[130:131], v[130:131], -v[132:133]
	buffer_store_dword v131, off, s[0:3], 0 offset:76
	buffer_store_dword v130, off, s[0:3], 0 offset:72
	s_and_saveexec_b64 s[4:5], vcc
	s_cbranch_execz .LBB127_375
; %bb.374:
	buffer_load_dword v130, off, s[0:3], 0 offset:64
	buffer_load_dword v131, off, s[0:3], 0 offset:68
	v_mov_b32_e32 v132, 0
	buffer_store_dword v132, off, s[0:3], 0 offset:64
	buffer_store_dword v132, off, s[0:3], 0 offset:68
	s_waitcnt vmcnt(2)
	ds_write_b64 v1, v[130:131]
.LBB127_375:
	s_or_b64 exec, exec, s[4:5]
	s_waitcnt lgkmcnt(0)
	; wave barrier
	s_waitcnt lgkmcnt(0)
	buffer_load_dword v130, off, s[0:3], 0 offset:64
	buffer_load_dword v131, off, s[0:3], 0 offset:68
	;; [unrolled: 1-line block ×16, first 2 shown]
	v_mov_b32_e32 v134, 0
	ds_read2_b64 v[136:139], v134 offset0:73 offset1:74
	v_cmp_lt_u32_e32 vcc, 7, v0
	s_waitcnt vmcnt(12) lgkmcnt(0)
	v_fma_f64 v[132:133], v[132:133], v[136:137], 0
	s_waitcnt vmcnt(10)
	v_fmac_f64_e32 v[132:133], v[140:141], v[138:139]
	ds_read2_b64 v[136:139], v134 offset0:75 offset1:76
	s_waitcnt vmcnt(8) lgkmcnt(0)
	v_fmac_f64_e32 v[132:133], v[142:143], v[136:137]
	s_waitcnt vmcnt(6)
	v_fmac_f64_e32 v[132:133], v[144:145], v[138:139]
	ds_read2_b64 v[136:139], v134 offset0:77 offset1:78
	s_waitcnt vmcnt(4) lgkmcnt(0)
	v_fmac_f64_e32 v[132:133], v[146:147], v[136:137]
	;; [unrolled: 5-line block ×3, first 2 shown]
	buffer_load_dword v137, off, s[0:3], 0 offset:132
	buffer_load_dword v136, off, s[0:3], 0 offset:128
	buffer_load_dword v141, off, s[0:3], 0 offset:140
	buffer_load_dword v140, off, s[0:3], 0 offset:136
	s_waitcnt vmcnt(2)
	v_fmac_f64_e32 v[132:133], v[136:137], v[138:139]
	ds_read2_b64 v[136:139], v134 offset0:81 offset1:82
	s_waitcnt vmcnt(0) lgkmcnt(0)
	v_fmac_f64_e32 v[132:133], v[140:141], v[136:137]
	buffer_load_dword v137, off, s[0:3], 0 offset:148
	buffer_load_dword v136, off, s[0:3], 0 offset:144
	buffer_load_dword v141, off, s[0:3], 0 offset:156
	buffer_load_dword v140, off, s[0:3], 0 offset:152
	s_waitcnt vmcnt(2)
	v_fmac_f64_e32 v[132:133], v[136:137], v[138:139]
	ds_read2_b64 v[136:139], v134 offset0:83 offset1:84
	s_waitcnt vmcnt(0) lgkmcnt(0)
	v_fmac_f64_e32 v[132:133], v[140:141], v[136:137]
	;; [unrolled: 9-line block ×23, first 2 shown]
	buffer_load_dword v137, off, s[0:3], 0 offset:500
	buffer_load_dword v136, off, s[0:3], 0 offset:496
	s_waitcnt vmcnt(0)
	v_fmac_f64_e32 v[132:133], v[136:137], v[138:139]
	buffer_load_dword v137, off, s[0:3], 0 offset:508
	buffer_load_dword v136, off, s[0:3], 0 offset:504
	ds_read_b64 v[138:139], v134 offset:1016
	s_waitcnt vmcnt(0) lgkmcnt(0)
	v_fmac_f64_e32 v[132:133], v[136:137], v[138:139]
	v_add_f64 v[130:131], v[130:131], -v[132:133]
	buffer_store_dword v131, off, s[0:3], 0 offset:68
	buffer_store_dword v130, off, s[0:3], 0 offset:64
	s_and_saveexec_b64 s[4:5], vcc
	s_cbranch_execz .LBB127_377
; %bb.376:
	buffer_load_dword v130, off, s[0:3], 0 offset:56
	buffer_load_dword v131, off, s[0:3], 0 offset:60
	s_waitcnt vmcnt(0)
	ds_write_b64 v1, v[130:131]
	buffer_store_dword v134, off, s[0:3], 0 offset:56
	buffer_store_dword v134, off, s[0:3], 0 offset:60
.LBB127_377:
	s_or_b64 exec, exec, s[4:5]
	s_waitcnt lgkmcnt(0)
	; wave barrier
	s_waitcnt lgkmcnt(0)
	buffer_load_dword v130, off, s[0:3], 0 offset:56
	buffer_load_dword v131, off, s[0:3], 0 offset:60
	;; [unrolled: 1-line block ×16, first 2 shown]
	ds_read_b128 v[136:139], v134 offset:576
	v_cmp_lt_u32_e32 vcc, 6, v0
	s_waitcnt vmcnt(12) lgkmcnt(0)
	v_fma_f64 v[132:133], v[132:133], v[136:137], 0
	s_waitcnt vmcnt(10)
	v_fmac_f64_e32 v[132:133], v[140:141], v[138:139]
	ds_read_b128 v[136:139], v134 offset:592
	s_waitcnt vmcnt(8) lgkmcnt(0)
	v_fmac_f64_e32 v[132:133], v[142:143], v[136:137]
	s_waitcnt vmcnt(6)
	v_fmac_f64_e32 v[132:133], v[144:145], v[138:139]
	ds_read_b128 v[136:139], v134 offset:608
	s_waitcnt vmcnt(4) lgkmcnt(0)
	v_fmac_f64_e32 v[132:133], v[146:147], v[136:137]
	;; [unrolled: 5-line block ×3, first 2 shown]
	buffer_load_dword v137, off, s[0:3], 0 offset:124
	buffer_load_dword v136, off, s[0:3], 0 offset:120
	buffer_load_dword v141, off, s[0:3], 0 offset:132
	buffer_load_dword v140, off, s[0:3], 0 offset:128
	s_waitcnt vmcnt(2)
	v_fmac_f64_e32 v[132:133], v[136:137], v[138:139]
	ds_read_b128 v[136:139], v134 offset:640
	s_waitcnt vmcnt(0) lgkmcnt(0)
	v_fmac_f64_e32 v[132:133], v[140:141], v[136:137]
	buffer_load_dword v137, off, s[0:3], 0 offset:140
	buffer_load_dword v136, off, s[0:3], 0 offset:136
	buffer_load_dword v141, off, s[0:3], 0 offset:148
	buffer_load_dword v140, off, s[0:3], 0 offset:144
	s_waitcnt vmcnt(2)
	v_fmac_f64_e32 v[132:133], v[136:137], v[138:139]
	ds_read_b128 v[136:139], v134 offset:656
	s_waitcnt vmcnt(0) lgkmcnt(0)
	v_fmac_f64_e32 v[132:133], v[140:141], v[136:137]
	;; [unrolled: 9-line block ×23, first 2 shown]
	buffer_load_dword v137, off, s[0:3], 0 offset:492
	buffer_load_dword v136, off, s[0:3], 0 offset:488
	s_waitcnt vmcnt(0)
	v_fmac_f64_e32 v[132:133], v[136:137], v[138:139]
	buffer_load_dword v139, off, s[0:3], 0 offset:500
	buffer_load_dword v138, off, s[0:3], 0 offset:496
	ds_read_b128 v[134:137], v134 offset:1008
	s_waitcnt vmcnt(0) lgkmcnt(0)
	v_fmac_f64_e32 v[132:133], v[138:139], v[134:135]
	buffer_load_dword v135, off, s[0:3], 0 offset:508
	buffer_load_dword v134, off, s[0:3], 0 offset:504
	s_waitcnt vmcnt(0)
	v_fmac_f64_e32 v[132:133], v[134:135], v[136:137]
	v_add_f64 v[130:131], v[130:131], -v[132:133]
	buffer_store_dword v131, off, s[0:3], 0 offset:60
	buffer_store_dword v130, off, s[0:3], 0 offset:56
	s_and_saveexec_b64 s[4:5], vcc
	s_cbranch_execz .LBB127_379
; %bb.378:
	buffer_load_dword v130, off, s[0:3], 0 offset:48
	buffer_load_dword v131, off, s[0:3], 0 offset:52
	v_mov_b32_e32 v132, 0
	buffer_store_dword v132, off, s[0:3], 0 offset:48
	buffer_store_dword v132, off, s[0:3], 0 offset:52
	s_waitcnt vmcnt(2)
	ds_write_b64 v1, v[130:131]
.LBB127_379:
	s_or_b64 exec, exec, s[4:5]
	s_waitcnt lgkmcnt(0)
	; wave barrier
	s_waitcnt lgkmcnt(0)
	buffer_load_dword v130, off, s[0:3], 0 offset:48
	buffer_load_dword v131, off, s[0:3], 0 offset:52
	;; [unrolled: 1-line block ×16, first 2 shown]
	v_mov_b32_e32 v134, 0
	ds_read2_b64 v[136:139], v134 offset0:71 offset1:72
	v_cmp_lt_u32_e32 vcc, 5, v0
	s_waitcnt vmcnt(12) lgkmcnt(0)
	v_fma_f64 v[132:133], v[132:133], v[136:137], 0
	s_waitcnt vmcnt(10)
	v_fmac_f64_e32 v[132:133], v[140:141], v[138:139]
	ds_read2_b64 v[136:139], v134 offset0:73 offset1:74
	s_waitcnt vmcnt(8) lgkmcnt(0)
	v_fmac_f64_e32 v[132:133], v[142:143], v[136:137]
	s_waitcnt vmcnt(6)
	v_fmac_f64_e32 v[132:133], v[144:145], v[138:139]
	ds_read2_b64 v[136:139], v134 offset0:75 offset1:76
	s_waitcnt vmcnt(4) lgkmcnt(0)
	v_fmac_f64_e32 v[132:133], v[146:147], v[136:137]
	;; [unrolled: 5-line block ×3, first 2 shown]
	buffer_load_dword v137, off, s[0:3], 0 offset:116
	buffer_load_dword v136, off, s[0:3], 0 offset:112
	buffer_load_dword v141, off, s[0:3], 0 offset:124
	buffer_load_dword v140, off, s[0:3], 0 offset:120
	s_waitcnt vmcnt(2)
	v_fmac_f64_e32 v[132:133], v[136:137], v[138:139]
	ds_read2_b64 v[136:139], v134 offset0:79 offset1:80
	s_waitcnt vmcnt(0) lgkmcnt(0)
	v_fmac_f64_e32 v[132:133], v[140:141], v[136:137]
	buffer_load_dword v137, off, s[0:3], 0 offset:132
	buffer_load_dword v136, off, s[0:3], 0 offset:128
	buffer_load_dword v141, off, s[0:3], 0 offset:140
	buffer_load_dword v140, off, s[0:3], 0 offset:136
	s_waitcnt vmcnt(2)
	v_fmac_f64_e32 v[132:133], v[136:137], v[138:139]
	ds_read2_b64 v[136:139], v134 offset0:81 offset1:82
	s_waitcnt vmcnt(0) lgkmcnt(0)
	v_fmac_f64_e32 v[132:133], v[140:141], v[136:137]
	;; [unrolled: 9-line block ×24, first 2 shown]
	buffer_load_dword v137, off, s[0:3], 0 offset:500
	buffer_load_dword v136, off, s[0:3], 0 offset:496
	s_waitcnt vmcnt(0)
	v_fmac_f64_e32 v[132:133], v[136:137], v[138:139]
	buffer_load_dword v137, off, s[0:3], 0 offset:508
	buffer_load_dword v136, off, s[0:3], 0 offset:504
	ds_read_b64 v[138:139], v134 offset:1016
	s_waitcnt vmcnt(0) lgkmcnt(0)
	v_fmac_f64_e32 v[132:133], v[136:137], v[138:139]
	v_add_f64 v[130:131], v[130:131], -v[132:133]
	buffer_store_dword v131, off, s[0:3], 0 offset:52
	buffer_store_dword v130, off, s[0:3], 0 offset:48
	s_and_saveexec_b64 s[4:5], vcc
	s_cbranch_execz .LBB127_381
; %bb.380:
	buffer_load_dword v130, off, s[0:3], 0 offset:40
	buffer_load_dword v131, off, s[0:3], 0 offset:44
	s_waitcnt vmcnt(0)
	ds_write_b64 v1, v[130:131]
	buffer_store_dword v134, off, s[0:3], 0 offset:40
	buffer_store_dword v134, off, s[0:3], 0 offset:44
.LBB127_381:
	s_or_b64 exec, exec, s[4:5]
	s_waitcnt lgkmcnt(0)
	; wave barrier
	s_waitcnt lgkmcnt(0)
	buffer_load_dword v130, off, s[0:3], 0 offset:40
	buffer_load_dword v131, off, s[0:3], 0 offset:44
	;; [unrolled: 1-line block ×16, first 2 shown]
	ds_read_b128 v[136:139], v134 offset:560
	v_cmp_lt_u32_e32 vcc, 4, v0
	s_waitcnt vmcnt(12) lgkmcnt(0)
	v_fma_f64 v[132:133], v[132:133], v[136:137], 0
	s_waitcnt vmcnt(10)
	v_fmac_f64_e32 v[132:133], v[140:141], v[138:139]
	ds_read_b128 v[136:139], v134 offset:576
	s_waitcnt vmcnt(8) lgkmcnt(0)
	v_fmac_f64_e32 v[132:133], v[142:143], v[136:137]
	s_waitcnt vmcnt(6)
	v_fmac_f64_e32 v[132:133], v[144:145], v[138:139]
	ds_read_b128 v[136:139], v134 offset:592
	s_waitcnt vmcnt(4) lgkmcnt(0)
	v_fmac_f64_e32 v[132:133], v[146:147], v[136:137]
	;; [unrolled: 5-line block ×3, first 2 shown]
	buffer_load_dword v137, off, s[0:3], 0 offset:108
	buffer_load_dword v136, off, s[0:3], 0 offset:104
	buffer_load_dword v141, off, s[0:3], 0 offset:116
	buffer_load_dword v140, off, s[0:3], 0 offset:112
	s_waitcnt vmcnt(2)
	v_fmac_f64_e32 v[132:133], v[136:137], v[138:139]
	ds_read_b128 v[136:139], v134 offset:624
	s_waitcnt vmcnt(0) lgkmcnt(0)
	v_fmac_f64_e32 v[132:133], v[140:141], v[136:137]
	buffer_load_dword v137, off, s[0:3], 0 offset:124
	buffer_load_dword v136, off, s[0:3], 0 offset:120
	buffer_load_dword v141, off, s[0:3], 0 offset:132
	buffer_load_dword v140, off, s[0:3], 0 offset:128
	s_waitcnt vmcnt(2)
	v_fmac_f64_e32 v[132:133], v[136:137], v[138:139]
	ds_read_b128 v[136:139], v134 offset:640
	s_waitcnt vmcnt(0) lgkmcnt(0)
	v_fmac_f64_e32 v[132:133], v[140:141], v[136:137]
	;; [unrolled: 9-line block ×24, first 2 shown]
	buffer_load_dword v137, off, s[0:3], 0 offset:492
	buffer_load_dword v136, off, s[0:3], 0 offset:488
	s_waitcnt vmcnt(0)
	v_fmac_f64_e32 v[132:133], v[136:137], v[138:139]
	buffer_load_dword v139, off, s[0:3], 0 offset:500
	buffer_load_dword v138, off, s[0:3], 0 offset:496
	ds_read_b128 v[134:137], v134 offset:1008
	s_waitcnt vmcnt(0) lgkmcnt(0)
	v_fmac_f64_e32 v[132:133], v[138:139], v[134:135]
	buffer_load_dword v135, off, s[0:3], 0 offset:508
	buffer_load_dword v134, off, s[0:3], 0 offset:504
	s_waitcnt vmcnt(0)
	v_fmac_f64_e32 v[132:133], v[134:135], v[136:137]
	v_add_f64 v[130:131], v[130:131], -v[132:133]
	buffer_store_dword v131, off, s[0:3], 0 offset:44
	buffer_store_dword v130, off, s[0:3], 0 offset:40
	s_and_saveexec_b64 s[4:5], vcc
	s_cbranch_execz .LBB127_383
; %bb.382:
	buffer_load_dword v130, off, s[0:3], 0 offset:32
	buffer_load_dword v131, off, s[0:3], 0 offset:36
	v_mov_b32_e32 v132, 0
	buffer_store_dword v132, off, s[0:3], 0 offset:32
	buffer_store_dword v132, off, s[0:3], 0 offset:36
	s_waitcnt vmcnt(2)
	ds_write_b64 v1, v[130:131]
.LBB127_383:
	s_or_b64 exec, exec, s[4:5]
	s_waitcnt lgkmcnt(0)
	; wave barrier
	s_waitcnt lgkmcnt(0)
	buffer_load_dword v130, off, s[0:3], 0 offset:32
	buffer_load_dword v131, off, s[0:3], 0 offset:36
	;; [unrolled: 1-line block ×16, first 2 shown]
	v_mov_b32_e32 v136, 0
	ds_read2_b64 v[132:135], v136 offset0:69 offset1:70
	v_cmp_lt_u32_e32 vcc, 3, v0
	s_waitcnt vmcnt(12) lgkmcnt(0)
	v_fma_f64 v[132:133], v[138:139], v[132:133], 0
	s_waitcnt vmcnt(10)
	v_fmac_f64_e32 v[132:133], v[140:141], v[134:135]
	ds_read2_b64 v[138:141], v136 offset0:71 offset1:72
	s_waitcnt vmcnt(8) lgkmcnt(0)
	v_fmac_f64_e32 v[132:133], v[142:143], v[138:139]
	s_waitcnt vmcnt(6)
	v_fmac_f64_e32 v[132:133], v[144:145], v[140:141]
	ds_read2_b64 v[138:141], v136 offset0:73 offset1:74
	s_waitcnt vmcnt(4) lgkmcnt(0)
	v_fmac_f64_e32 v[132:133], v[146:147], v[138:139]
	s_waitcnt vmcnt(2)
	v_fmac_f64_e32 v[132:133], v[148:149], v[140:141]
	ds_read2_b64 v[138:141], v136 offset0:75 offset1:76
	buffer_load_dword v135, off, s[0:3], 0 offset:100
	buffer_load_dword v134, off, s[0:3], 0 offset:96
	s_waitcnt vmcnt(2) lgkmcnt(0)
	v_fmac_f64_e32 v[132:133], v[150:151], v[138:139]
	s_waitcnt vmcnt(0)
	v_fmac_f64_e32 v[132:133], v[134:135], v[140:141]
	buffer_load_dword v135, off, s[0:3], 0 offset:108
	buffer_load_dword v134, off, s[0:3], 0 offset:104
	ds_read2_b64 v[138:141], v136 offset0:77 offset1:78
	s_waitcnt vmcnt(0) lgkmcnt(0)
	v_fmac_f64_e32 v[132:133], v[134:135], v[138:139]
	buffer_load_dword v135, off, s[0:3], 0 offset:116
	buffer_load_dword v134, off, s[0:3], 0 offset:112
	s_waitcnt vmcnt(0)
	v_fmac_f64_e32 v[132:133], v[134:135], v[140:141]
	buffer_load_dword v135, off, s[0:3], 0 offset:124
	buffer_load_dword v134, off, s[0:3], 0 offset:120
	ds_read2_b64 v[138:141], v136 offset0:79 offset1:80
	s_waitcnt vmcnt(0) lgkmcnt(0)
	v_fmac_f64_e32 v[132:133], v[134:135], v[138:139]
	buffer_load_dword v135, off, s[0:3], 0 offset:132
	buffer_load_dword v134, off, s[0:3], 0 offset:128
	s_waitcnt vmcnt(0)
	v_fmac_f64_e32 v[132:133], v[134:135], v[140:141]
	buffer_load_dword v135, off, s[0:3], 0 offset:140
	buffer_load_dword v134, off, s[0:3], 0 offset:136
	ds_read2_b64 v[138:141], v136 offset0:81 offset1:82
	s_waitcnt vmcnt(0) lgkmcnt(0)
	v_fmac_f64_e32 v[132:133], v[134:135], v[138:139]
	buffer_load_dword v135, off, s[0:3], 0 offset:148
	buffer_load_dword v134, off, s[0:3], 0 offset:144
	s_waitcnt vmcnt(0)
	v_fmac_f64_e32 v[132:133], v[134:135], v[140:141]
	buffer_load_dword v135, off, s[0:3], 0 offset:156
	buffer_load_dword v134, off, s[0:3], 0 offset:152
	ds_read2_b64 v[138:141], v136 offset0:83 offset1:84
	s_waitcnt vmcnt(0) lgkmcnt(0)
	v_fmac_f64_e32 v[132:133], v[134:135], v[138:139]
	buffer_load_dword v135, off, s[0:3], 0 offset:164
	buffer_load_dword v134, off, s[0:3], 0 offset:160
	s_waitcnt vmcnt(0)
	v_fmac_f64_e32 v[132:133], v[134:135], v[140:141]
	buffer_load_dword v135, off, s[0:3], 0 offset:172
	buffer_load_dword v134, off, s[0:3], 0 offset:168
	ds_read2_b64 v[138:141], v136 offset0:85 offset1:86
	s_waitcnt vmcnt(0) lgkmcnt(0)
	v_fmac_f64_e32 v[132:133], v[134:135], v[138:139]
	buffer_load_dword v135, off, s[0:3], 0 offset:180
	buffer_load_dword v134, off, s[0:3], 0 offset:176
	s_waitcnt vmcnt(0)
	v_fmac_f64_e32 v[132:133], v[134:135], v[140:141]
	buffer_load_dword v135, off, s[0:3], 0 offset:188
	buffer_load_dword v134, off, s[0:3], 0 offset:184
	ds_read2_b64 v[138:141], v136 offset0:87 offset1:88
	s_waitcnt vmcnt(0) lgkmcnt(0)
	v_fmac_f64_e32 v[132:133], v[134:135], v[138:139]
	buffer_load_dword v135, off, s[0:3], 0 offset:196
	buffer_load_dword v134, off, s[0:3], 0 offset:192
	s_waitcnt vmcnt(0)
	v_fmac_f64_e32 v[132:133], v[134:135], v[140:141]
	buffer_load_dword v135, off, s[0:3], 0 offset:204
	buffer_load_dword v134, off, s[0:3], 0 offset:200
	ds_read2_b64 v[138:141], v136 offset0:89 offset1:90
	s_waitcnt vmcnt(0) lgkmcnt(0)
	v_fmac_f64_e32 v[132:133], v[134:135], v[138:139]
	buffer_load_dword v135, off, s[0:3], 0 offset:212
	buffer_load_dword v134, off, s[0:3], 0 offset:208
	s_waitcnt vmcnt(0)
	v_fmac_f64_e32 v[132:133], v[134:135], v[140:141]
	buffer_load_dword v135, off, s[0:3], 0 offset:220
	buffer_load_dword v134, off, s[0:3], 0 offset:216
	ds_read2_b64 v[138:141], v136 offset0:91 offset1:92
	s_waitcnt vmcnt(0) lgkmcnt(0)
	v_fmac_f64_e32 v[132:133], v[134:135], v[138:139]
	buffer_load_dword v135, off, s[0:3], 0 offset:228
	buffer_load_dword v134, off, s[0:3], 0 offset:224
	s_waitcnt vmcnt(0)
	v_fmac_f64_e32 v[132:133], v[134:135], v[140:141]
	buffer_load_dword v135, off, s[0:3], 0 offset:236
	buffer_load_dword v134, off, s[0:3], 0 offset:232
	ds_read2_b64 v[138:141], v136 offset0:93 offset1:94
	s_waitcnt vmcnt(0) lgkmcnt(0)
	v_fmac_f64_e32 v[132:133], v[134:135], v[138:139]
	buffer_load_dword v135, off, s[0:3], 0 offset:244
	buffer_load_dword v134, off, s[0:3], 0 offset:240
	s_waitcnt vmcnt(0)
	v_fmac_f64_e32 v[132:133], v[134:135], v[140:141]
	buffer_load_dword v135, off, s[0:3], 0 offset:252
	buffer_load_dword v134, off, s[0:3], 0 offset:248
	ds_read2_b64 v[138:141], v136 offset0:95 offset1:96
	s_waitcnt vmcnt(0) lgkmcnt(0)
	v_fmac_f64_e32 v[132:133], v[134:135], v[138:139]
	buffer_load_dword v135, off, s[0:3], 0 offset:260
	buffer_load_dword v134, off, s[0:3], 0 offset:256
	s_waitcnt vmcnt(0)
	v_fmac_f64_e32 v[132:133], v[134:135], v[140:141]
	buffer_load_dword v135, off, s[0:3], 0 offset:268
	buffer_load_dword v134, off, s[0:3], 0 offset:264
	ds_read2_b64 v[138:141], v136 offset0:97 offset1:98
	s_waitcnt vmcnt(0) lgkmcnt(0)
	v_fmac_f64_e32 v[132:133], v[134:135], v[138:139]
	buffer_load_dword v135, off, s[0:3], 0 offset:276
	buffer_load_dword v134, off, s[0:3], 0 offset:272
	s_waitcnt vmcnt(0)
	v_fmac_f64_e32 v[132:133], v[134:135], v[140:141]
	buffer_load_dword v135, off, s[0:3], 0 offset:284
	buffer_load_dword v134, off, s[0:3], 0 offset:280
	ds_read2_b64 v[138:141], v136 offset0:99 offset1:100
	s_waitcnt vmcnt(0) lgkmcnt(0)
	v_fmac_f64_e32 v[132:133], v[134:135], v[138:139]
	buffer_load_dword v135, off, s[0:3], 0 offset:292
	buffer_load_dword v134, off, s[0:3], 0 offset:288
	s_waitcnt vmcnt(0)
	v_fmac_f64_e32 v[132:133], v[134:135], v[140:141]
	buffer_load_dword v135, off, s[0:3], 0 offset:300
	buffer_load_dword v134, off, s[0:3], 0 offset:296
	ds_read2_b64 v[138:141], v136 offset0:101 offset1:102
	s_waitcnt vmcnt(0) lgkmcnt(0)
	v_fmac_f64_e32 v[132:133], v[134:135], v[138:139]
	buffer_load_dword v135, off, s[0:3], 0 offset:308
	buffer_load_dword v134, off, s[0:3], 0 offset:304
	s_waitcnt vmcnt(0)
	v_fmac_f64_e32 v[132:133], v[134:135], v[140:141]
	buffer_load_dword v135, off, s[0:3], 0 offset:316
	buffer_load_dword v134, off, s[0:3], 0 offset:312
	ds_read2_b64 v[138:141], v136 offset0:103 offset1:104
	s_waitcnt vmcnt(0) lgkmcnt(0)
	v_fmac_f64_e32 v[132:133], v[134:135], v[138:139]
	buffer_load_dword v135, off, s[0:3], 0 offset:324
	buffer_load_dword v134, off, s[0:3], 0 offset:320
	s_waitcnt vmcnt(0)
	v_fmac_f64_e32 v[132:133], v[134:135], v[140:141]
	buffer_load_dword v135, off, s[0:3], 0 offset:332
	buffer_load_dword v134, off, s[0:3], 0 offset:328
	ds_read2_b64 v[138:141], v136 offset0:105 offset1:106
	s_waitcnt vmcnt(0) lgkmcnt(0)
	v_fmac_f64_e32 v[132:133], v[134:135], v[138:139]
	buffer_load_dword v135, off, s[0:3], 0 offset:340
	buffer_load_dword v134, off, s[0:3], 0 offset:336
	s_waitcnt vmcnt(0)
	v_fmac_f64_e32 v[132:133], v[134:135], v[140:141]
	buffer_load_dword v135, off, s[0:3], 0 offset:348
	buffer_load_dword v134, off, s[0:3], 0 offset:344
	ds_read2_b64 v[138:141], v136 offset0:107 offset1:108
	s_waitcnt vmcnt(0) lgkmcnt(0)
	v_fmac_f64_e32 v[132:133], v[134:135], v[138:139]
	buffer_load_dword v135, off, s[0:3], 0 offset:356
	buffer_load_dword v134, off, s[0:3], 0 offset:352
	s_waitcnt vmcnt(0)
	v_fmac_f64_e32 v[132:133], v[134:135], v[140:141]
	buffer_load_dword v135, off, s[0:3], 0 offset:364
	buffer_load_dword v134, off, s[0:3], 0 offset:360
	ds_read2_b64 v[138:141], v136 offset0:109 offset1:110
	s_waitcnt vmcnt(0) lgkmcnt(0)
	v_fmac_f64_e32 v[132:133], v[134:135], v[138:139]
	buffer_load_dword v135, off, s[0:3], 0 offset:372
	buffer_load_dword v134, off, s[0:3], 0 offset:368
	s_waitcnt vmcnt(0)
	v_fmac_f64_e32 v[132:133], v[134:135], v[140:141]
	buffer_load_dword v135, off, s[0:3], 0 offset:380
	buffer_load_dword v134, off, s[0:3], 0 offset:376
	ds_read2_b64 v[138:141], v136 offset0:111 offset1:112
	s_waitcnt vmcnt(0) lgkmcnt(0)
	v_fmac_f64_e32 v[132:133], v[134:135], v[138:139]
	buffer_load_dword v135, off, s[0:3], 0 offset:388
	buffer_load_dword v134, off, s[0:3], 0 offset:384
	s_waitcnt vmcnt(0)
	v_fmac_f64_e32 v[132:133], v[134:135], v[140:141]
	buffer_load_dword v135, off, s[0:3], 0 offset:396
	buffer_load_dword v134, off, s[0:3], 0 offset:392
	ds_read2_b64 v[138:141], v136 offset0:113 offset1:114
	s_waitcnt vmcnt(0) lgkmcnt(0)
	v_fmac_f64_e32 v[132:133], v[134:135], v[138:139]
	buffer_load_dword v135, off, s[0:3], 0 offset:404
	buffer_load_dword v134, off, s[0:3], 0 offset:400
	s_waitcnt vmcnt(0)
	v_fmac_f64_e32 v[132:133], v[134:135], v[140:141]
	buffer_load_dword v135, off, s[0:3], 0 offset:412
	buffer_load_dword v134, off, s[0:3], 0 offset:408
	ds_read2_b64 v[138:141], v136 offset0:115 offset1:116
	s_waitcnt vmcnt(0) lgkmcnt(0)
	v_fmac_f64_e32 v[132:133], v[134:135], v[138:139]
	buffer_load_dword v135, off, s[0:3], 0 offset:420
	buffer_load_dword v134, off, s[0:3], 0 offset:416
	s_waitcnt vmcnt(0)
	v_fmac_f64_e32 v[132:133], v[134:135], v[140:141]
	buffer_load_dword v135, off, s[0:3], 0 offset:428
	buffer_load_dword v134, off, s[0:3], 0 offset:424
	ds_read2_b64 v[138:141], v136 offset0:117 offset1:118
	s_waitcnt vmcnt(0) lgkmcnt(0)
	v_fmac_f64_e32 v[132:133], v[134:135], v[138:139]
	buffer_load_dword v135, off, s[0:3], 0 offset:436
	buffer_load_dword v134, off, s[0:3], 0 offset:432
	s_waitcnt vmcnt(0)
	v_fmac_f64_e32 v[132:133], v[134:135], v[140:141]
	buffer_load_dword v135, off, s[0:3], 0 offset:444
	buffer_load_dword v134, off, s[0:3], 0 offset:440
	ds_read2_b64 v[138:141], v136 offset0:119 offset1:120
	s_waitcnt vmcnt(0) lgkmcnt(0)
	v_fmac_f64_e32 v[132:133], v[134:135], v[138:139]
	buffer_load_dword v135, off, s[0:3], 0 offset:452
	buffer_load_dword v134, off, s[0:3], 0 offset:448
	s_waitcnt vmcnt(0)
	v_fmac_f64_e32 v[132:133], v[134:135], v[140:141]
	buffer_load_dword v135, off, s[0:3], 0 offset:460
	buffer_load_dword v134, off, s[0:3], 0 offset:456
	ds_read2_b64 v[138:141], v136 offset0:121 offset1:122
	s_waitcnt vmcnt(0) lgkmcnt(0)
	v_fmac_f64_e32 v[132:133], v[134:135], v[138:139]
	buffer_load_dword v135, off, s[0:3], 0 offset:468
	buffer_load_dword v134, off, s[0:3], 0 offset:464
	s_waitcnt vmcnt(0)
	v_fmac_f64_e32 v[132:133], v[134:135], v[140:141]
	buffer_load_dword v135, off, s[0:3], 0 offset:476
	buffer_load_dword v134, off, s[0:3], 0 offset:472
	ds_read2_b64 v[138:141], v136 offset0:123 offset1:124
	s_waitcnt vmcnt(0) lgkmcnt(0)
	v_fmac_f64_e32 v[132:133], v[134:135], v[138:139]
	buffer_load_dword v135, off, s[0:3], 0 offset:484
	buffer_load_dword v134, off, s[0:3], 0 offset:480
	s_waitcnt vmcnt(0)
	v_fmac_f64_e32 v[132:133], v[134:135], v[140:141]
	buffer_load_dword v135, off, s[0:3], 0 offset:492
	buffer_load_dword v134, off, s[0:3], 0 offset:488
	ds_read2_b64 v[138:141], v136 offset0:125 offset1:126
	s_waitcnt vmcnt(0) lgkmcnt(0)
	v_fmac_f64_e32 v[132:133], v[134:135], v[138:139]
	buffer_load_dword v135, off, s[0:3], 0 offset:500
	buffer_load_dword v134, off, s[0:3], 0 offset:496
	s_waitcnt vmcnt(0)
	v_fmac_f64_e32 v[132:133], v[134:135], v[140:141]
	buffer_load_dword v135, off, s[0:3], 0 offset:508
	buffer_load_dword v134, off, s[0:3], 0 offset:504
	ds_read_b64 v[138:139], v136 offset:1016
	s_waitcnt vmcnt(0) lgkmcnt(0)
	v_fmac_f64_e32 v[132:133], v[134:135], v[138:139]
	v_add_f64 v[130:131], v[130:131], -v[132:133]
	buffer_store_dword v131, off, s[0:3], 0 offset:36
	buffer_store_dword v130, off, s[0:3], 0 offset:32
	s_and_saveexec_b64 s[4:5], vcc
	s_cbranch_execz .LBB127_385
; %bb.384:
	buffer_load_dword v130, off, s[0:3], 0 offset:24
	buffer_load_dword v131, off, s[0:3], 0 offset:28
	s_waitcnt vmcnt(0)
	ds_write_b64 v1, v[130:131]
	buffer_store_dword v136, off, s[0:3], 0 offset:24
	buffer_store_dword v136, off, s[0:3], 0 offset:28
.LBB127_385:
	s_or_b64 exec, exec, s[4:5]
	s_waitcnt lgkmcnt(0)
	; wave barrier
	s_waitcnt lgkmcnt(0)
	buffer_load_dword v130, off, s[0:3], 0 offset:24
	buffer_load_dword v131, off, s[0:3], 0 offset:28
	;; [unrolled: 1-line block ×16, first 2 shown]
	ds_read_b128 v[132:135], v136 offset:544
	v_cmp_lt_u32_e32 vcc, 2, v0
	s_waitcnt vmcnt(12) lgkmcnt(0)
	v_fma_f64 v[132:133], v[138:139], v[132:133], 0
	s_waitcnt vmcnt(10)
	v_fmac_f64_e32 v[132:133], v[140:141], v[134:135]
	ds_read_b128 v[138:141], v136 offset:560
	s_waitcnt vmcnt(8) lgkmcnt(0)
	v_fmac_f64_e32 v[132:133], v[142:143], v[138:139]
	s_waitcnt vmcnt(6)
	v_fmac_f64_e32 v[132:133], v[144:145], v[140:141]
	ds_read_b128 v[138:141], v136 offset:576
	s_waitcnt vmcnt(4) lgkmcnt(0)
	v_fmac_f64_e32 v[132:133], v[146:147], v[138:139]
	s_waitcnt vmcnt(2)
	v_fmac_f64_e32 v[132:133], v[148:149], v[140:141]
	ds_read_b128 v[138:141], v136 offset:592
	buffer_load_dword v135, off, s[0:3], 0 offset:92
	buffer_load_dword v134, off, s[0:3], 0 offset:88
	s_waitcnt vmcnt(2) lgkmcnt(0)
	v_fmac_f64_e32 v[132:133], v[150:151], v[138:139]
	s_waitcnt vmcnt(0)
	v_fmac_f64_e32 v[132:133], v[134:135], v[140:141]
	buffer_load_dword v135, off, s[0:3], 0 offset:100
	buffer_load_dword v134, off, s[0:3], 0 offset:96
	ds_read_b128 v[138:141], v136 offset:608
	s_waitcnt vmcnt(0) lgkmcnt(0)
	v_fmac_f64_e32 v[132:133], v[134:135], v[138:139]
	buffer_load_dword v135, off, s[0:3], 0 offset:108
	buffer_load_dword v134, off, s[0:3], 0 offset:104
	s_waitcnt vmcnt(0)
	v_fmac_f64_e32 v[132:133], v[134:135], v[140:141]
	buffer_load_dword v135, off, s[0:3], 0 offset:116
	buffer_load_dword v134, off, s[0:3], 0 offset:112
	ds_read_b128 v[138:141], v136 offset:624
	s_waitcnt vmcnt(0) lgkmcnt(0)
	v_fmac_f64_e32 v[132:133], v[134:135], v[138:139]
	buffer_load_dword v135, off, s[0:3], 0 offset:124
	buffer_load_dword v134, off, s[0:3], 0 offset:120
	;; [unrolled: 9-line block ×25, first 2 shown]
	buffer_load_dword v139, off, s[0:3], 0 offset:500
	buffer_load_dword v138, off, s[0:3], 0 offset:496
	s_waitcnt vmcnt(2)
	v_fmac_f64_e32 v[132:133], v[134:135], v[140:141]
	ds_read_b128 v[134:137], v136 offset:1008
	s_waitcnt vmcnt(0) lgkmcnt(0)
	v_fmac_f64_e32 v[132:133], v[138:139], v[134:135]
	buffer_load_dword v135, off, s[0:3], 0 offset:508
	buffer_load_dword v134, off, s[0:3], 0 offset:504
	s_waitcnt vmcnt(0)
	v_fmac_f64_e32 v[132:133], v[134:135], v[136:137]
	v_add_f64 v[130:131], v[130:131], -v[132:133]
	buffer_store_dword v131, off, s[0:3], 0 offset:28
	buffer_store_dword v130, off, s[0:3], 0 offset:24
	s_and_saveexec_b64 s[4:5], vcc
	s_cbranch_execz .LBB127_387
; %bb.386:
	buffer_load_dword v130, off, s[0:3], 0 offset:16
	buffer_load_dword v131, off, s[0:3], 0 offset:20
	v_mov_b32_e32 v132, 0
	buffer_store_dword v132, off, s[0:3], 0 offset:16
	buffer_store_dword v132, off, s[0:3], 0 offset:20
	s_waitcnt vmcnt(2)
	ds_write_b64 v1, v[130:131]
.LBB127_387:
	s_or_b64 exec, exec, s[4:5]
	s_waitcnt lgkmcnt(0)
	; wave barrier
	s_waitcnt lgkmcnt(0)
	buffer_load_dword v130, off, s[0:3], 0 offset:16
	buffer_load_dword v131, off, s[0:3], 0 offset:20
	;; [unrolled: 1-line block ×16, first 2 shown]
	v_mov_b32_e32 v134, 0
	ds_read2_b64 v[136:139], v134 offset0:67 offset1:68
	v_cmp_lt_u32_e32 vcc, 1, v0
	s_waitcnt vmcnt(12) lgkmcnt(0)
	v_fma_f64 v[132:133], v[132:133], v[136:137], 0
	s_waitcnt vmcnt(10)
	v_fmac_f64_e32 v[132:133], v[140:141], v[138:139]
	ds_read2_b64 v[136:139], v134 offset0:69 offset1:70
	s_waitcnt vmcnt(8) lgkmcnt(0)
	v_fmac_f64_e32 v[132:133], v[142:143], v[136:137]
	s_waitcnt vmcnt(6)
	v_fmac_f64_e32 v[132:133], v[144:145], v[138:139]
	ds_read2_b64 v[136:139], v134 offset0:71 offset1:72
	s_waitcnt vmcnt(4) lgkmcnt(0)
	v_fmac_f64_e32 v[132:133], v[146:147], v[136:137]
	;; [unrolled: 5-line block ×3, first 2 shown]
	buffer_load_dword v137, off, s[0:3], 0 offset:84
	buffer_load_dword v136, off, s[0:3], 0 offset:80
	buffer_load_dword v141, off, s[0:3], 0 offset:92
	buffer_load_dword v140, off, s[0:3], 0 offset:88
	s_waitcnt vmcnt(2)
	v_fmac_f64_e32 v[132:133], v[136:137], v[138:139]
	ds_read2_b64 v[136:139], v134 offset0:75 offset1:76
	s_waitcnt vmcnt(0) lgkmcnt(0)
	v_fmac_f64_e32 v[132:133], v[140:141], v[136:137]
	buffer_load_dword v137, off, s[0:3], 0 offset:100
	buffer_load_dword v136, off, s[0:3], 0 offset:96
	buffer_load_dword v141, off, s[0:3], 0 offset:108
	buffer_load_dword v140, off, s[0:3], 0 offset:104
	s_waitcnt vmcnt(2)
	v_fmac_f64_e32 v[132:133], v[136:137], v[138:139]
	ds_read2_b64 v[136:139], v134 offset0:77 offset1:78
	s_waitcnt vmcnt(0) lgkmcnt(0)
	v_fmac_f64_e32 v[132:133], v[140:141], v[136:137]
	;; [unrolled: 9-line block ×26, first 2 shown]
	buffer_load_dword v137, off, s[0:3], 0 offset:500
	buffer_load_dword v136, off, s[0:3], 0 offset:496
	s_waitcnt vmcnt(0)
	v_fmac_f64_e32 v[132:133], v[136:137], v[138:139]
	buffer_load_dword v137, off, s[0:3], 0 offset:508
	buffer_load_dword v136, off, s[0:3], 0 offset:504
	ds_read_b64 v[138:139], v134 offset:1016
	s_waitcnt vmcnt(0) lgkmcnt(0)
	v_fmac_f64_e32 v[132:133], v[136:137], v[138:139]
	v_add_f64 v[130:131], v[130:131], -v[132:133]
	buffer_store_dword v131, off, s[0:3], 0 offset:20
	buffer_store_dword v130, off, s[0:3], 0 offset:16
	s_and_saveexec_b64 s[4:5], vcc
	s_cbranch_execz .LBB127_389
; %bb.388:
	buffer_load_dword v130, off, s[0:3], 0 offset:8
	buffer_load_dword v131, off, s[0:3], 0 offset:12
	s_waitcnt vmcnt(0)
	ds_write_b64 v1, v[130:131]
	buffer_store_dword v134, off, s[0:3], 0 offset:8
	buffer_store_dword v134, off, s[0:3], 0 offset:12
.LBB127_389:
	s_or_b64 exec, exec, s[4:5]
	s_waitcnt lgkmcnt(0)
	; wave barrier
	s_waitcnt lgkmcnt(0)
	buffer_load_dword v130, off, s[0:3], 0 offset:8
	buffer_load_dword v131, off, s[0:3], 0 offset:12
	;; [unrolled: 1-line block ×16, first 2 shown]
	ds_read_b128 v[136:139], v134 offset:528
	v_cmp_ne_u32_e32 vcc, 0, v0
	s_waitcnt vmcnt(12) lgkmcnt(0)
	v_fma_f64 v[132:133], v[132:133], v[136:137], 0
	s_waitcnt vmcnt(10)
	v_fmac_f64_e32 v[132:133], v[140:141], v[138:139]
	ds_read_b128 v[136:139], v134 offset:544
	s_waitcnt vmcnt(8) lgkmcnt(0)
	v_fmac_f64_e32 v[132:133], v[142:143], v[136:137]
	s_waitcnt vmcnt(6)
	v_fmac_f64_e32 v[132:133], v[144:145], v[138:139]
	ds_read_b128 v[136:139], v134 offset:560
	s_waitcnt vmcnt(4) lgkmcnt(0)
	v_fmac_f64_e32 v[132:133], v[146:147], v[136:137]
	;; [unrolled: 5-line block ×3, first 2 shown]
	buffer_load_dword v137, off, s[0:3], 0 offset:76
	buffer_load_dword v136, off, s[0:3], 0 offset:72
	buffer_load_dword v141, off, s[0:3], 0 offset:84
	buffer_load_dword v140, off, s[0:3], 0 offset:80
	s_waitcnt vmcnt(2)
	v_fmac_f64_e32 v[132:133], v[136:137], v[138:139]
	ds_read_b128 v[136:139], v134 offset:592
	s_waitcnt vmcnt(0) lgkmcnt(0)
	v_fmac_f64_e32 v[132:133], v[140:141], v[136:137]
	buffer_load_dword v137, off, s[0:3], 0 offset:92
	buffer_load_dword v136, off, s[0:3], 0 offset:88
	buffer_load_dword v141, off, s[0:3], 0 offset:100
	buffer_load_dword v140, off, s[0:3], 0 offset:96
	s_waitcnt vmcnt(2)
	v_fmac_f64_e32 v[132:133], v[136:137], v[138:139]
	ds_read_b128 v[136:139], v134 offset:608
	s_waitcnt vmcnt(0) lgkmcnt(0)
	v_fmac_f64_e32 v[132:133], v[140:141], v[136:137]
	;; [unrolled: 9-line block ×26, first 2 shown]
	buffer_load_dword v137, off, s[0:3], 0 offset:492
	buffer_load_dword v136, off, s[0:3], 0 offset:488
	s_waitcnt vmcnt(0)
	v_fmac_f64_e32 v[132:133], v[136:137], v[138:139]
	buffer_load_dword v139, off, s[0:3], 0 offset:500
	buffer_load_dword v138, off, s[0:3], 0 offset:496
	ds_read_b128 v[134:137], v134 offset:1008
	s_waitcnt vmcnt(0) lgkmcnt(0)
	v_fmac_f64_e32 v[132:133], v[138:139], v[134:135]
	buffer_load_dword v135, off, s[0:3], 0 offset:508
	buffer_load_dword v134, off, s[0:3], 0 offset:504
	s_waitcnt vmcnt(0)
	v_fmac_f64_e32 v[132:133], v[134:135], v[136:137]
	v_add_f64 v[130:131], v[130:131], -v[132:133]
	buffer_store_dword v131, off, s[0:3], 0 offset:12
	buffer_store_dword v130, off, s[0:3], 0 offset:8
	s_and_saveexec_b64 s[4:5], vcc
	s_cbranch_execz .LBB127_391
; %bb.390:
	buffer_load_dword v130, off, s[0:3], 0
	buffer_load_dword v131, off, s[0:3], 0 offset:4
	v_mov_b32_e32 v0, 0
	buffer_store_dword v0, off, s[0:3], 0
	buffer_store_dword v0, off, s[0:3], 0 offset:4
	s_waitcnt vmcnt(2)
	ds_write_b64 v1, v[130:131]
.LBB127_391:
	s_or_b64 exec, exec, s[4:5]
	s_waitcnt lgkmcnt(0)
	; wave barrier
	s_waitcnt lgkmcnt(0)
	buffer_load_dword v0, off, s[0:3], 0
	buffer_load_dword v1, off, s[0:3], 0 offset:4
	buffer_load_dword v136, off, s[0:3], 0 offset:8
	buffer_load_dword v137, off, s[0:3], 0 offset:12
	buffer_load_dword v138, off, s[0:3], 0 offset:16
	buffer_load_dword v139, off, s[0:3], 0 offset:20
	buffer_load_dword v140, off, s[0:3], 0 offset:24
	buffer_load_dword v141, off, s[0:3], 0 offset:28
	buffer_load_dword v142, off, s[0:3], 0 offset:32
	buffer_load_dword v143, off, s[0:3], 0 offset:36
	buffer_load_dword v144, off, s[0:3], 0 offset:40
	buffer_load_dword v145, off, s[0:3], 0 offset:44
	buffer_load_dword v146, off, s[0:3], 0 offset:48
	buffer_load_dword v147, off, s[0:3], 0 offset:52
	buffer_load_dword v148, off, s[0:3], 0 offset:56
	buffer_load_dword v149, off, s[0:3], 0 offset:60
	v_mov_b32_e32 v134, 0
	ds_read2_b64 v[130:133], v134 offset0:65 offset1:66
	s_and_b64 vcc, exec, s[16:17]
	s_waitcnt vmcnt(12) lgkmcnt(0)
	v_fma_f64 v[130:131], v[136:137], v[130:131], 0
	s_waitcnt vmcnt(10)
	v_fmac_f64_e32 v[130:131], v[138:139], v[132:133]
	ds_read2_b64 v[136:139], v134 offset0:67 offset1:68
	s_waitcnt vmcnt(8) lgkmcnt(0)
	v_fmac_f64_e32 v[130:131], v[140:141], v[136:137]
	s_waitcnt vmcnt(6)
	v_fmac_f64_e32 v[130:131], v[142:143], v[138:139]
	ds_read2_b64 v[136:139], v134 offset0:69 offset1:70
	s_waitcnt vmcnt(4) lgkmcnt(0)
	v_fmac_f64_e32 v[130:131], v[144:145], v[136:137]
	s_waitcnt vmcnt(2)
	v_fmac_f64_e32 v[130:131], v[146:147], v[138:139]
	ds_read2_b64 v[136:139], v134 offset0:71 offset1:72
	buffer_load_dword v133, off, s[0:3], 0 offset:68
	buffer_load_dword v132, off, s[0:3], 0 offset:64
	s_waitcnt vmcnt(2) lgkmcnt(0)
	v_fmac_f64_e32 v[130:131], v[148:149], v[136:137]
	s_waitcnt vmcnt(0)
	v_fmac_f64_e32 v[130:131], v[132:133], v[138:139]
	buffer_load_dword v133, off, s[0:3], 0 offset:76
	buffer_load_dword v132, off, s[0:3], 0 offset:72
	ds_read2_b64 v[136:139], v134 offset0:73 offset1:74
	s_waitcnt vmcnt(0) lgkmcnt(0)
	v_fmac_f64_e32 v[130:131], v[132:133], v[136:137]
	buffer_load_dword v133, off, s[0:3], 0 offset:84
	buffer_load_dword v132, off, s[0:3], 0 offset:80
	s_waitcnt vmcnt(0)
	v_fmac_f64_e32 v[130:131], v[132:133], v[138:139]
	buffer_load_dword v133, off, s[0:3], 0 offset:92
	buffer_load_dword v132, off, s[0:3], 0 offset:88
	ds_read2_b64 v[136:139], v134 offset0:75 offset1:76
	s_waitcnt vmcnt(0) lgkmcnt(0)
	v_fmac_f64_e32 v[130:131], v[132:133], v[136:137]
	buffer_load_dword v133, off, s[0:3], 0 offset:100
	buffer_load_dword v132, off, s[0:3], 0 offset:96
	;; [unrolled: 9-line block ×27, first 2 shown]
	buffer_load_dword v137, off, s[0:3], 0 offset:508
	buffer_load_dword v136, off, s[0:3], 0 offset:504
	ds_read_b64 v[134:135], v134 offset:1016
	s_waitcnt vmcnt(2)
	v_fmac_f64_e32 v[130:131], v[132:133], v[138:139]
	s_waitcnt vmcnt(0) lgkmcnt(0)
	v_fmac_f64_e32 v[130:131], v[136:137], v[134:135]
	v_add_f64 v[0:1], v[0:1], -v[130:131]
	buffer_store_dword v1, off, s[0:3], 0 offset:4
	buffer_store_dword v0, off, s[0:3], 0
	s_cbranch_vccz .LBB127_519
; %bb.392:
	v_pk_mov_b32 v[0:1], s[10:11], s[10:11] op_sel:[0,1]
	flat_load_dword v0, v[0:1] offset:248
	s_waitcnt vmcnt(0) lgkmcnt(0)
	v_add_u32_e32 v0, -1, v0
	v_cmp_ne_u32_e32 vcc, 62, v0
	s_and_saveexec_b64 s[4:5], vcc
	s_cbranch_execz .LBB127_394
; %bb.393:
	v_mov_b32_e32 v1, 0
	v_lshl_add_u32 v0, v0, 3, v1
	buffer_load_dword v1, v0, s[0:3], 0 offen offset:4
	buffer_load_dword v130, v0, s[0:3], 0 offen
	s_waitcnt vmcnt(1)
	buffer_store_dword v1, off, s[0:3], 0 offset:500
	s_waitcnt vmcnt(1)
	buffer_store_dword v130, off, s[0:3], 0 offset:496
	buffer_store_dword v133, v0, s[0:3], 0 offen offset:4
	buffer_store_dword v132, v0, s[0:3], 0 offen
.LBB127_394:
	s_or_b64 exec, exec, s[4:5]
	v_pk_mov_b32 v[0:1], s[10:11], s[10:11] op_sel:[0,1]
	flat_load_dword v0, v[0:1] offset:244
	s_waitcnt vmcnt(0) lgkmcnt(0)
	v_add_u32_e32 v0, -1, v0
	v_cmp_ne_u32_e32 vcc, 61, v0
	s_and_saveexec_b64 s[4:5], vcc
	s_cbranch_execz .LBB127_396
; %bb.395:
	v_mov_b32_e32 v1, 0
	v_lshl_add_u32 v0, v0, 3, v1
	buffer_load_dword v1, v0, s[0:3], 0 offen
	buffer_load_dword v130, v0, s[0:3], 0 offen offset:4
	buffer_load_dword v131, off, s[0:3], 0 offset:488
	buffer_load_dword v132, off, s[0:3], 0 offset:492
	s_waitcnt vmcnt(3)
	buffer_store_dword v1, off, s[0:3], 0 offset:488
	s_waitcnt vmcnt(3)
	buffer_store_dword v130, off, s[0:3], 0 offset:492
	s_waitcnt vmcnt(3)
	buffer_store_dword v131, v0, s[0:3], 0 offen
	s_waitcnt vmcnt(3)
	buffer_store_dword v132, v0, s[0:3], 0 offen offset:4
.LBB127_396:
	s_or_b64 exec, exec, s[4:5]
	v_pk_mov_b32 v[0:1], s[10:11], s[10:11] op_sel:[0,1]
	flat_load_dword v0, v[0:1] offset:240
	s_waitcnt vmcnt(0) lgkmcnt(0)
	v_add_u32_e32 v0, -1, v0
	v_cmp_ne_u32_e32 vcc, 60, v0
	s_and_saveexec_b64 s[4:5], vcc
	s_cbranch_execz .LBB127_398
; %bb.397:
	v_mov_b32_e32 v1, 0
	v_lshl_add_u32 v0, v0, 3, v1
	buffer_load_dword v1, v0, s[0:3], 0 offen
	buffer_load_dword v130, v0, s[0:3], 0 offen offset:4
	buffer_load_dword v131, off, s[0:3], 0 offset:484
	buffer_load_dword v132, off, s[0:3], 0 offset:480
	s_waitcnt vmcnt(3)
	buffer_store_dword v1, off, s[0:3], 0 offset:480
	s_waitcnt vmcnt(3)
	buffer_store_dword v130, off, s[0:3], 0 offset:484
	s_waitcnt vmcnt(3)
	buffer_store_dword v131, v0, s[0:3], 0 offen offset:4
	s_waitcnt vmcnt(3)
	buffer_store_dword v132, v0, s[0:3], 0 offen
.LBB127_398:
	s_or_b64 exec, exec, s[4:5]
	v_pk_mov_b32 v[0:1], s[10:11], s[10:11] op_sel:[0,1]
	flat_load_dword v0, v[0:1] offset:236
	s_waitcnt vmcnt(0) lgkmcnt(0)
	v_add_u32_e32 v0, -1, v0
	v_cmp_ne_u32_e32 vcc, 59, v0
	s_and_saveexec_b64 s[4:5], vcc
	s_cbranch_execz .LBB127_400
; %bb.399:
	v_mov_b32_e32 v1, 0
	v_lshl_add_u32 v0, v0, 3, v1
	buffer_load_dword v1, v0, s[0:3], 0 offen
	buffer_load_dword v130, v0, s[0:3], 0 offen offset:4
	buffer_load_dword v131, off, s[0:3], 0 offset:472
	buffer_load_dword v132, off, s[0:3], 0 offset:476
	s_waitcnt vmcnt(3)
	buffer_store_dword v1, off, s[0:3], 0 offset:472
	s_waitcnt vmcnt(3)
	buffer_store_dword v130, off, s[0:3], 0 offset:476
	s_waitcnt vmcnt(3)
	buffer_store_dword v131, v0, s[0:3], 0 offen
	s_waitcnt vmcnt(3)
	buffer_store_dword v132, v0, s[0:3], 0 offen offset:4
.LBB127_400:
	s_or_b64 exec, exec, s[4:5]
	v_pk_mov_b32 v[0:1], s[10:11], s[10:11] op_sel:[0,1]
	flat_load_dword v0, v[0:1] offset:232
	s_waitcnt vmcnt(0) lgkmcnt(0)
	v_add_u32_e32 v0, -1, v0
	v_cmp_ne_u32_e32 vcc, 58, v0
	s_and_saveexec_b64 s[4:5], vcc
	s_cbranch_execz .LBB127_402
; %bb.401:
	v_mov_b32_e32 v1, 0
	v_lshl_add_u32 v0, v0, 3, v1
	buffer_load_dword v1, v0, s[0:3], 0 offen
	buffer_load_dword v130, v0, s[0:3], 0 offen offset:4
	buffer_load_dword v131, off, s[0:3], 0 offset:468
	buffer_load_dword v132, off, s[0:3], 0 offset:464
	s_waitcnt vmcnt(3)
	buffer_store_dword v1, off, s[0:3], 0 offset:464
	s_waitcnt vmcnt(3)
	buffer_store_dword v130, off, s[0:3], 0 offset:468
	s_waitcnt vmcnt(3)
	buffer_store_dword v131, v0, s[0:3], 0 offen offset:4
	s_waitcnt vmcnt(3)
	buffer_store_dword v132, v0, s[0:3], 0 offen
.LBB127_402:
	;; [unrolled: 48-line block ×30, first 2 shown]
	s_or_b64 exec, exec, s[4:5]
	v_pk_mov_b32 v[0:1], s[10:11], s[10:11] op_sel:[0,1]
	flat_load_dword v0, v[0:1] offset:4
	s_waitcnt vmcnt(0) lgkmcnt(0)
	v_add_u32_e32 v0, -1, v0
	v_cmp_ne_u32_e32 vcc, 1, v0
	s_and_saveexec_b64 s[4:5], vcc
	s_cbranch_execz .LBB127_516
; %bb.515:
	v_mov_b32_e32 v1, 0
	v_lshl_add_u32 v0, v0, 3, v1
	buffer_load_dword v1, v0, s[0:3], 0 offen
	buffer_load_dword v130, v0, s[0:3], 0 offen offset:4
	buffer_load_dword v131, off, s[0:3], 0 offset:8
	buffer_load_dword v132, off, s[0:3], 0 offset:12
	s_waitcnt vmcnt(3)
	buffer_store_dword v1, off, s[0:3], 0 offset:8
	s_waitcnt vmcnt(3)
	buffer_store_dword v130, off, s[0:3], 0 offset:12
	s_waitcnt vmcnt(3)
	buffer_store_dword v131, v0, s[0:3], 0 offen
	s_waitcnt vmcnt(3)
	buffer_store_dword v132, v0, s[0:3], 0 offen offset:4
.LBB127_516:
	s_or_b64 exec, exec, s[4:5]
	v_pk_mov_b32 v[0:1], s[10:11], s[10:11] op_sel:[0,1]
	flat_load_dword v130, v[0:1]
	s_nop 0
	buffer_load_dword v0, off, s[0:3], 0
	buffer_load_dword v1, off, s[0:3], 0 offset:4
	s_waitcnt vmcnt(0) lgkmcnt(0)
	v_add_u32_e32 v130, -1, v130
	v_cmp_ne_u32_e32 vcc, 0, v130
	s_and_saveexec_b64 s[4:5], vcc
	s_cbranch_execz .LBB127_518
; %bb.517:
	v_mov_b32_e32 v131, 0
	v_lshl_add_u32 v130, v130, 3, v131
	buffer_load_dword v131, v130, s[0:3], 0 offen offset:4
	buffer_load_dword v132, v130, s[0:3], 0 offen
	s_waitcnt vmcnt(1)
	buffer_store_dword v131, off, s[0:3], 0 offset:4
	s_waitcnt vmcnt(1)
	buffer_store_dword v132, off, s[0:3], 0
	buffer_store_dword v1, v130, s[0:3], 0 offen offset:4
	buffer_store_dword v0, v130, s[0:3], 0 offen
	buffer_load_dword v0, off, s[0:3], 0
	s_nop 0
	buffer_load_dword v1, off, s[0:3], 0 offset:4
.LBB127_518:
	s_or_b64 exec, exec, s[4:5]
.LBB127_519:
	s_waitcnt vmcnt(0)
	global_store_dwordx2 v[128:129], v[0:1], off
	buffer_load_dword v0, off, s[0:3], 0 offset:8
	s_nop 0
	buffer_load_dword v1, off, s[0:3], 0 offset:12
	buffer_load_dword v128, off, s[0:3], 0 offset:16
	;; [unrolled: 1-line block ×15, first 2 shown]
	s_waitcnt vmcnt(14)
	global_store_dwordx2 v[126:127], v[0:1], off
	s_waitcnt vmcnt(13)
	global_store_dwordx2 v[2:3], v[128:129], off
	;; [unrolled: 2-line block ×8, first 2 shown]
	buffer_load_dword v0, off, s[0:3], 0 offset:72
	buffer_load_dword v1, off, s[0:3], 0 offset:76
	s_waitcnt vmcnt(0)
	global_store_dwordx2 v[14:15], v[0:1], off
	buffer_load_dword v0, off, s[0:3], 0 offset:80
	s_nop 0
	buffer_load_dword v1, off, s[0:3], 0 offset:84
	s_waitcnt vmcnt(0)
	global_store_dwordx2 v[16:17], v[0:1], off
	buffer_load_dword v0, off, s[0:3], 0 offset:88
	s_nop 0
	;; [unrolled: 5-line block ×54, first 2 shown]
	buffer_load_dword v1, off, s[0:3], 0 offset:508
	s_waitcnt vmcnt(0)
	global_store_dwordx2 v[110:111], v[0:1], off
	s_endpgm
	.section	.rodata,"a",@progbits
	.p2align	6, 0x0
	.amdhsa_kernel _ZN9rocsolver6v33100L18getri_kernel_smallILi64EdPKPdEEvT1_iilPiilS6_bb
		.amdhsa_group_segment_fixed_size 1032
		.amdhsa_private_segment_fixed_size 528
		.amdhsa_kernarg_size 60
		.amdhsa_user_sgpr_count 8
		.amdhsa_user_sgpr_private_segment_buffer 1
		.amdhsa_user_sgpr_dispatch_ptr 0
		.amdhsa_user_sgpr_queue_ptr 0
		.amdhsa_user_sgpr_kernarg_segment_ptr 1
		.amdhsa_user_sgpr_dispatch_id 0
		.amdhsa_user_sgpr_flat_scratch_init 1
		.amdhsa_user_sgpr_kernarg_preload_length 0
		.amdhsa_user_sgpr_kernarg_preload_offset 0
		.amdhsa_user_sgpr_private_segment_size 0
		.amdhsa_uses_dynamic_stack 0
		.amdhsa_system_sgpr_private_segment_wavefront_offset 1
		.amdhsa_system_sgpr_workgroup_id_x 1
		.amdhsa_system_sgpr_workgroup_id_y 0
		.amdhsa_system_sgpr_workgroup_id_z 0
		.amdhsa_system_sgpr_workgroup_info 0
		.amdhsa_system_vgpr_workitem_id 0
		.amdhsa_next_free_vgpr 166
		.amdhsa_next_free_sgpr 22
		.amdhsa_accum_offset 168
		.amdhsa_reserve_vcc 1
		.amdhsa_reserve_flat_scratch 1
		.amdhsa_float_round_mode_32 0
		.amdhsa_float_round_mode_16_64 0
		.amdhsa_float_denorm_mode_32 3
		.amdhsa_float_denorm_mode_16_64 3
		.amdhsa_dx10_clamp 1
		.amdhsa_ieee_mode 1
		.amdhsa_fp16_overflow 0
		.amdhsa_tg_split 0
		.amdhsa_exception_fp_ieee_invalid_op 0
		.amdhsa_exception_fp_denorm_src 0
		.amdhsa_exception_fp_ieee_div_zero 0
		.amdhsa_exception_fp_ieee_overflow 0
		.amdhsa_exception_fp_ieee_underflow 0
		.amdhsa_exception_fp_ieee_inexact 0
		.amdhsa_exception_int_div_zero 0
	.end_amdhsa_kernel
	.section	.text._ZN9rocsolver6v33100L18getri_kernel_smallILi64EdPKPdEEvT1_iilPiilS6_bb,"axG",@progbits,_ZN9rocsolver6v33100L18getri_kernel_smallILi64EdPKPdEEvT1_iilPiilS6_bb,comdat
.Lfunc_end127:
	.size	_ZN9rocsolver6v33100L18getri_kernel_smallILi64EdPKPdEEvT1_iilPiilS6_bb, .Lfunc_end127-_ZN9rocsolver6v33100L18getri_kernel_smallILi64EdPKPdEEvT1_iilPiilS6_bb
                                        ; -- End function
	.section	.AMDGPU.csdata,"",@progbits
; Kernel info:
; codeLenInByte = 90028
; NumSgprs: 28
; NumVgprs: 166
; NumAgprs: 0
; TotalNumVgprs: 166
; ScratchSize: 528
; MemoryBound: 1
; FloatMode: 240
; IeeeMode: 1
; LDSByteSize: 1032 bytes/workgroup (compile time only)
; SGPRBlocks: 3
; VGPRBlocks: 20
; NumSGPRsForWavesPerEU: 28
; NumVGPRsForWavesPerEU: 166
; AccumOffset: 168
; Occupancy: 3
; WaveLimiterHint : 1
; COMPUTE_PGM_RSRC2:SCRATCH_EN: 1
; COMPUTE_PGM_RSRC2:USER_SGPR: 8
; COMPUTE_PGM_RSRC2:TRAP_HANDLER: 0
; COMPUTE_PGM_RSRC2:TGID_X_EN: 1
; COMPUTE_PGM_RSRC2:TGID_Y_EN: 0
; COMPUTE_PGM_RSRC2:TGID_Z_EN: 0
; COMPUTE_PGM_RSRC2:TIDIG_COMP_CNT: 0
; COMPUTE_PGM_RSRC3_GFX90A:ACCUM_OFFSET: 41
; COMPUTE_PGM_RSRC3_GFX90A:TG_SPLIT: 0
	.text
	.p2alignl 6, 3212836864
	.fill 256, 4, 3212836864
	.type	__hip_cuid_ad79efe7b5b0572a,@object ; @__hip_cuid_ad79efe7b5b0572a
	.section	.bss,"aw",@nobits
	.globl	__hip_cuid_ad79efe7b5b0572a
__hip_cuid_ad79efe7b5b0572a:
	.byte	0                               ; 0x0
	.size	__hip_cuid_ad79efe7b5b0572a, 1

	.ident	"AMD clang version 19.0.0git (https://github.com/RadeonOpenCompute/llvm-project roc-6.4.0 25133 c7fe45cf4b819c5991fe208aaa96edf142730f1d)"
	.section	".note.GNU-stack","",@progbits
	.addrsig
	.addrsig_sym __hip_cuid_ad79efe7b5b0572a
	.amdgpu_metadata
---
amdhsa.kernels:
  - .agpr_count:     0
    .args:
      - .address_space:  global
        .offset:         0
        .size:           8
        .value_kind:     global_buffer
      - .offset:         8
        .size:           4
        .value_kind:     by_value
      - .offset:         12
        .size:           4
        .value_kind:     by_value
      - .offset:         16
        .size:           8
        .value_kind:     by_value
      - .address_space:  global
        .offset:         24
        .size:           8
        .value_kind:     global_buffer
      - .offset:         32
        .size:           4
        .value_kind:     by_value
      - .offset:         40
        .size:           8
        .value_kind:     by_value
      - .address_space:  global
        .offset:         48
        .size:           8
        .value_kind:     global_buffer
      - .offset:         56
        .size:           1
        .value_kind:     by_value
      - .offset:         57
        .size:           1
        .value_kind:     by_value
    .group_segment_fixed_size: 4
    .kernarg_segment_align: 8
    .kernarg_segment_size: 60
    .language:       OpenCL C
    .language_version:
      - 2
      - 0
    .max_flat_workgroup_size: 64
    .name:           _ZN9rocsolver6v33100L18getri_kernel_smallILi1EdPdEEvT1_iilPiilS4_bb
    .private_segment_fixed_size: 0
    .sgpr_count:     18
    .sgpr_spill_count: 0
    .symbol:         _ZN9rocsolver6v33100L18getri_kernel_smallILi1EdPdEEvT1_iilPiilS4_bb.kd
    .uniform_work_group_size: 1
    .uses_dynamic_stack: false
    .vgpr_count:     8
    .vgpr_spill_count: 0
    .wavefront_size: 64
  - .agpr_count:     0
    .args:
      - .address_space:  global
        .offset:         0
        .size:           8
        .value_kind:     global_buffer
      - .offset:         8
        .size:           4
        .value_kind:     by_value
      - .offset:         12
        .size:           4
        .value_kind:     by_value
      - .offset:         16
        .size:           8
        .value_kind:     by_value
      - .address_space:  global
        .offset:         24
        .size:           8
        .value_kind:     global_buffer
      - .offset:         32
        .size:           4
        .value_kind:     by_value
      - .offset:         40
        .size:           8
        .value_kind:     by_value
      - .address_space:  global
        .offset:         48
        .size:           8
        .value_kind:     global_buffer
      - .offset:         56
        .size:           1
        .value_kind:     by_value
      - .offset:         57
        .size:           1
        .value_kind:     by_value
    .group_segment_fixed_size: 40
    .kernarg_segment_align: 8
    .kernarg_segment_size: 60
    .language:       OpenCL C
    .language_version:
      - 2
      - 0
    .max_flat_workgroup_size: 64
    .name:           _ZN9rocsolver6v33100L18getri_kernel_smallILi2EdPdEEvT1_iilPiilS4_bb
    .private_segment_fixed_size: 0
    .sgpr_count:     28
    .sgpr_spill_count: 0
    .symbol:         _ZN9rocsolver6v33100L18getri_kernel_smallILi2EdPdEEvT1_iilPiilS4_bb.kd
    .uniform_work_group_size: 1
    .uses_dynamic_stack: false
    .vgpr_count:     20
    .vgpr_spill_count: 0
    .wavefront_size: 64
  - .agpr_count:     0
    .args:
      - .address_space:  global
        .offset:         0
        .size:           8
        .value_kind:     global_buffer
      - .offset:         8
        .size:           4
        .value_kind:     by_value
      - .offset:         12
        .size:           4
        .value_kind:     by_value
      - .offset:         16
        .size:           8
        .value_kind:     by_value
      - .address_space:  global
        .offset:         24
        .size:           8
        .value_kind:     global_buffer
      - .offset:         32
        .size:           4
        .value_kind:     by_value
      - .offset:         40
        .size:           8
        .value_kind:     by_value
      - .address_space:  global
        .offset:         48
        .size:           8
        .value_kind:     global_buffer
      - .offset:         56
        .size:           1
        .value_kind:     by_value
      - .offset:         57
        .size:           1
        .value_kind:     by_value
    .group_segment_fixed_size: 56
    .kernarg_segment_align: 8
    .kernarg_segment_size: 60
    .language:       OpenCL C
    .language_version:
      - 2
      - 0
    .max_flat_workgroup_size: 64
    .name:           _ZN9rocsolver6v33100L18getri_kernel_smallILi3EdPdEEvT1_iilPiilS4_bb
    .private_segment_fixed_size: 0
    .sgpr_count:     25
    .sgpr_spill_count: 0
    .symbol:         _ZN9rocsolver6v33100L18getri_kernel_smallILi3EdPdEEvT1_iilPiilS4_bb.kd
    .uniform_work_group_size: 1
    .uses_dynamic_stack: false
    .vgpr_count:     24
    .vgpr_spill_count: 0
    .wavefront_size: 64
  - .agpr_count:     0
    .args:
      - .address_space:  global
        .offset:         0
        .size:           8
        .value_kind:     global_buffer
      - .offset:         8
        .size:           4
        .value_kind:     by_value
      - .offset:         12
        .size:           4
        .value_kind:     by_value
      - .offset:         16
        .size:           8
        .value_kind:     by_value
      - .address_space:  global
        .offset:         24
        .size:           8
        .value_kind:     global_buffer
      - .offset:         32
        .size:           4
        .value_kind:     by_value
      - .offset:         40
        .size:           8
        .value_kind:     by_value
      - .address_space:  global
        .offset:         48
        .size:           8
        .value_kind:     global_buffer
      - .offset:         56
        .size:           1
        .value_kind:     by_value
      - .offset:         57
        .size:           1
        .value_kind:     by_value
    .group_segment_fixed_size: 72
    .kernarg_segment_align: 8
    .kernarg_segment_size: 60
    .language:       OpenCL C
    .language_version:
      - 2
      - 0
    .max_flat_workgroup_size: 64
    .name:           _ZN9rocsolver6v33100L18getri_kernel_smallILi4EdPdEEvT1_iilPiilS4_bb
    .private_segment_fixed_size: 0
    .sgpr_count:     25
    .sgpr_spill_count: 0
    .symbol:         _ZN9rocsolver6v33100L18getri_kernel_smallILi4EdPdEEvT1_iilPiilS4_bb.kd
    .uniform_work_group_size: 1
    .uses_dynamic_stack: false
    .vgpr_count:     30
    .vgpr_spill_count: 0
    .wavefront_size: 64
  - .agpr_count:     0
    .args:
      - .address_space:  global
        .offset:         0
        .size:           8
        .value_kind:     global_buffer
      - .offset:         8
        .size:           4
        .value_kind:     by_value
      - .offset:         12
        .size:           4
        .value_kind:     by_value
      - .offset:         16
        .size:           8
        .value_kind:     by_value
      - .address_space:  global
        .offset:         24
        .size:           8
        .value_kind:     global_buffer
      - .offset:         32
        .size:           4
        .value_kind:     by_value
      - .offset:         40
        .size:           8
        .value_kind:     by_value
      - .address_space:  global
        .offset:         48
        .size:           8
        .value_kind:     global_buffer
      - .offset:         56
        .size:           1
        .value_kind:     by_value
      - .offset:         57
        .size:           1
        .value_kind:     by_value
    .group_segment_fixed_size: 88
    .kernarg_segment_align: 8
    .kernarg_segment_size: 60
    .language:       OpenCL C
    .language_version:
      - 2
      - 0
    .max_flat_workgroup_size: 64
    .name:           _ZN9rocsolver6v33100L18getri_kernel_smallILi5EdPdEEvT1_iilPiilS4_bb
    .private_segment_fixed_size: 0
    .sgpr_count:     25
    .sgpr_spill_count: 0
    .symbol:         _ZN9rocsolver6v33100L18getri_kernel_smallILi5EdPdEEvT1_iilPiilS4_bb.kd
    .uniform_work_group_size: 1
    .uses_dynamic_stack: false
    .vgpr_count:     38
    .vgpr_spill_count: 0
    .wavefront_size: 64
  - .agpr_count:     0
    .args:
      - .address_space:  global
        .offset:         0
        .size:           8
        .value_kind:     global_buffer
      - .offset:         8
        .size:           4
        .value_kind:     by_value
      - .offset:         12
        .size:           4
        .value_kind:     by_value
      - .offset:         16
        .size:           8
        .value_kind:     by_value
      - .address_space:  global
        .offset:         24
        .size:           8
        .value_kind:     global_buffer
      - .offset:         32
        .size:           4
        .value_kind:     by_value
      - .offset:         40
        .size:           8
        .value_kind:     by_value
      - .address_space:  global
        .offset:         48
        .size:           8
        .value_kind:     global_buffer
      - .offset:         56
        .size:           1
        .value_kind:     by_value
      - .offset:         57
        .size:           1
        .value_kind:     by_value
    .group_segment_fixed_size: 104
    .kernarg_segment_align: 8
    .kernarg_segment_size: 60
    .language:       OpenCL C
    .language_version:
      - 2
      - 0
    .max_flat_workgroup_size: 64
    .name:           _ZN9rocsolver6v33100L18getri_kernel_smallILi6EdPdEEvT1_iilPiilS4_bb
    .private_segment_fixed_size: 0
    .sgpr_count:     25
    .sgpr_spill_count: 0
    .symbol:         _ZN9rocsolver6v33100L18getri_kernel_smallILi6EdPdEEvT1_iilPiilS4_bb.kd
    .uniform_work_group_size: 1
    .uses_dynamic_stack: false
    .vgpr_count:     40
    .vgpr_spill_count: 0
    .wavefront_size: 64
  - .agpr_count:     0
    .args:
      - .address_space:  global
        .offset:         0
        .size:           8
        .value_kind:     global_buffer
      - .offset:         8
        .size:           4
        .value_kind:     by_value
      - .offset:         12
        .size:           4
        .value_kind:     by_value
      - .offset:         16
        .size:           8
        .value_kind:     by_value
      - .address_space:  global
        .offset:         24
        .size:           8
        .value_kind:     global_buffer
      - .offset:         32
        .size:           4
        .value_kind:     by_value
      - .offset:         40
        .size:           8
        .value_kind:     by_value
      - .address_space:  global
        .offset:         48
        .size:           8
        .value_kind:     global_buffer
      - .offset:         56
        .size:           1
        .value_kind:     by_value
      - .offset:         57
        .size:           1
        .value_kind:     by_value
    .group_segment_fixed_size: 120
    .kernarg_segment_align: 8
    .kernarg_segment_size: 60
    .language:       OpenCL C
    .language_version:
      - 2
      - 0
    .max_flat_workgroup_size: 64
    .name:           _ZN9rocsolver6v33100L18getri_kernel_smallILi7EdPdEEvT1_iilPiilS4_bb
    .private_segment_fixed_size: 0
    .sgpr_count:     26
    .sgpr_spill_count: 0
    .symbol:         _ZN9rocsolver6v33100L18getri_kernel_smallILi7EdPdEEvT1_iilPiilS4_bb.kd
    .uniform_work_group_size: 1
    .uses_dynamic_stack: false
    .vgpr_count:     46
    .vgpr_spill_count: 0
    .wavefront_size: 64
  - .agpr_count:     0
    .args:
      - .address_space:  global
        .offset:         0
        .size:           8
        .value_kind:     global_buffer
      - .offset:         8
        .size:           4
        .value_kind:     by_value
      - .offset:         12
        .size:           4
        .value_kind:     by_value
      - .offset:         16
        .size:           8
        .value_kind:     by_value
      - .address_space:  global
        .offset:         24
        .size:           8
        .value_kind:     global_buffer
      - .offset:         32
        .size:           4
        .value_kind:     by_value
      - .offset:         40
        .size:           8
        .value_kind:     by_value
      - .address_space:  global
        .offset:         48
        .size:           8
        .value_kind:     global_buffer
      - .offset:         56
        .size:           1
        .value_kind:     by_value
      - .offset:         57
        .size:           1
        .value_kind:     by_value
    .group_segment_fixed_size: 136
    .kernarg_segment_align: 8
    .kernarg_segment_size: 60
    .language:       OpenCL C
    .language_version:
      - 2
      - 0
    .max_flat_workgroup_size: 64
    .name:           _ZN9rocsolver6v33100L18getri_kernel_smallILi8EdPdEEvT1_iilPiilS4_bb
    .private_segment_fixed_size: 0
    .sgpr_count:     28
    .sgpr_spill_count: 0
    .symbol:         _ZN9rocsolver6v33100L18getri_kernel_smallILi8EdPdEEvT1_iilPiilS4_bb.kd
    .uniform_work_group_size: 1
    .uses_dynamic_stack: false
    .vgpr_count:     50
    .vgpr_spill_count: 0
    .wavefront_size: 64
  - .agpr_count:     0
    .args:
      - .address_space:  global
        .offset:         0
        .size:           8
        .value_kind:     global_buffer
      - .offset:         8
        .size:           4
        .value_kind:     by_value
      - .offset:         12
        .size:           4
        .value_kind:     by_value
      - .offset:         16
        .size:           8
        .value_kind:     by_value
      - .address_space:  global
        .offset:         24
        .size:           8
        .value_kind:     global_buffer
      - .offset:         32
        .size:           4
        .value_kind:     by_value
      - .offset:         40
        .size:           8
        .value_kind:     by_value
      - .address_space:  global
        .offset:         48
        .size:           8
        .value_kind:     global_buffer
      - .offset:         56
        .size:           1
        .value_kind:     by_value
      - .offset:         57
        .size:           1
        .value_kind:     by_value
    .group_segment_fixed_size: 152
    .kernarg_segment_align: 8
    .kernarg_segment_size: 60
    .language:       OpenCL C
    .language_version:
      - 2
      - 0
    .max_flat_workgroup_size: 64
    .name:           _ZN9rocsolver6v33100L18getri_kernel_smallILi9EdPdEEvT1_iilPiilS4_bb
    .private_segment_fixed_size: 0
    .sgpr_count:     44
    .sgpr_spill_count: 0
    .symbol:         _ZN9rocsolver6v33100L18getri_kernel_smallILi9EdPdEEvT1_iilPiilS4_bb.kd
    .uniform_work_group_size: 1
    .uses_dynamic_stack: false
    .vgpr_count:     70
    .vgpr_spill_count: 0
    .wavefront_size: 64
  - .agpr_count:     0
    .args:
      - .address_space:  global
        .offset:         0
        .size:           8
        .value_kind:     global_buffer
      - .offset:         8
        .size:           4
        .value_kind:     by_value
      - .offset:         12
        .size:           4
        .value_kind:     by_value
      - .offset:         16
        .size:           8
        .value_kind:     by_value
      - .address_space:  global
        .offset:         24
        .size:           8
        .value_kind:     global_buffer
      - .offset:         32
        .size:           4
        .value_kind:     by_value
      - .offset:         40
        .size:           8
        .value_kind:     by_value
      - .address_space:  global
        .offset:         48
        .size:           8
        .value_kind:     global_buffer
      - .offset:         56
        .size:           1
        .value_kind:     by_value
      - .offset:         57
        .size:           1
        .value_kind:     by_value
    .group_segment_fixed_size: 168
    .kernarg_segment_align: 8
    .kernarg_segment_size: 60
    .language:       OpenCL C
    .language_version:
      - 2
      - 0
    .max_flat_workgroup_size: 64
    .name:           _ZN9rocsolver6v33100L18getri_kernel_smallILi10EdPdEEvT1_iilPiilS4_bb
    .private_segment_fixed_size: 0
    .sgpr_count:     46
    .sgpr_spill_count: 0
    .symbol:         _ZN9rocsolver6v33100L18getri_kernel_smallILi10EdPdEEvT1_iilPiilS4_bb.kd
    .uniform_work_group_size: 1
    .uses_dynamic_stack: false
    .vgpr_count:     72
    .vgpr_spill_count: 0
    .wavefront_size: 64
  - .agpr_count:     0
    .args:
      - .address_space:  global
        .offset:         0
        .size:           8
        .value_kind:     global_buffer
      - .offset:         8
        .size:           4
        .value_kind:     by_value
      - .offset:         12
        .size:           4
        .value_kind:     by_value
      - .offset:         16
        .size:           8
        .value_kind:     by_value
      - .address_space:  global
        .offset:         24
        .size:           8
        .value_kind:     global_buffer
      - .offset:         32
        .size:           4
        .value_kind:     by_value
      - .offset:         40
        .size:           8
        .value_kind:     by_value
      - .address_space:  global
        .offset:         48
        .size:           8
        .value_kind:     global_buffer
      - .offset:         56
        .size:           1
        .value_kind:     by_value
      - .offset:         57
        .size:           1
        .value_kind:     by_value
    .group_segment_fixed_size: 184
    .kernarg_segment_align: 8
    .kernarg_segment_size: 60
    .language:       OpenCL C
    .language_version:
      - 2
      - 0
    .max_flat_workgroup_size: 64
    .name:           _ZN9rocsolver6v33100L18getri_kernel_smallILi11EdPdEEvT1_iilPiilS4_bb
    .private_segment_fixed_size: 0
    .sgpr_count:     48
    .sgpr_spill_count: 0
    .symbol:         _ZN9rocsolver6v33100L18getri_kernel_smallILi11EdPdEEvT1_iilPiilS4_bb.kd
    .uniform_work_group_size: 1
    .uses_dynamic_stack: false
    .vgpr_count:     78
    .vgpr_spill_count: 0
    .wavefront_size: 64
  - .agpr_count:     0
    .args:
      - .address_space:  global
        .offset:         0
        .size:           8
        .value_kind:     global_buffer
      - .offset:         8
        .size:           4
        .value_kind:     by_value
      - .offset:         12
        .size:           4
        .value_kind:     by_value
      - .offset:         16
        .size:           8
        .value_kind:     by_value
      - .address_space:  global
        .offset:         24
        .size:           8
        .value_kind:     global_buffer
      - .offset:         32
        .size:           4
        .value_kind:     by_value
      - .offset:         40
        .size:           8
        .value_kind:     by_value
      - .address_space:  global
        .offset:         48
        .size:           8
        .value_kind:     global_buffer
      - .offset:         56
        .size:           1
        .value_kind:     by_value
      - .offset:         57
        .size:           1
        .value_kind:     by_value
    .group_segment_fixed_size: 200
    .kernarg_segment_align: 8
    .kernarg_segment_size: 60
    .language:       OpenCL C
    .language_version:
      - 2
      - 0
    .max_flat_workgroup_size: 64
    .name:           _ZN9rocsolver6v33100L18getri_kernel_smallILi12EdPdEEvT1_iilPiilS4_bb
    .private_segment_fixed_size: 0
    .sgpr_count:     50
    .sgpr_spill_count: 0
    .symbol:         _ZN9rocsolver6v33100L18getri_kernel_smallILi12EdPdEEvT1_iilPiilS4_bb.kd
    .uniform_work_group_size: 1
    .uses_dynamic_stack: false
    .vgpr_count:     80
    .vgpr_spill_count: 0
    .wavefront_size: 64
  - .agpr_count:     0
    .args:
      - .address_space:  global
        .offset:         0
        .size:           8
        .value_kind:     global_buffer
      - .offset:         8
        .size:           4
        .value_kind:     by_value
      - .offset:         12
        .size:           4
        .value_kind:     by_value
      - .offset:         16
        .size:           8
        .value_kind:     by_value
      - .address_space:  global
        .offset:         24
        .size:           8
        .value_kind:     global_buffer
      - .offset:         32
        .size:           4
        .value_kind:     by_value
      - .offset:         40
        .size:           8
        .value_kind:     by_value
      - .address_space:  global
        .offset:         48
        .size:           8
        .value_kind:     global_buffer
      - .offset:         56
        .size:           1
        .value_kind:     by_value
      - .offset:         57
        .size:           1
        .value_kind:     by_value
    .group_segment_fixed_size: 216
    .kernarg_segment_align: 8
    .kernarg_segment_size: 60
    .language:       OpenCL C
    .language_version:
      - 2
      - 0
    .max_flat_workgroup_size: 64
    .name:           _ZN9rocsolver6v33100L18getri_kernel_smallILi13EdPdEEvT1_iilPiilS4_bb
    .private_segment_fixed_size: 0
    .sgpr_count:     52
    .sgpr_spill_count: 0
    .symbol:         _ZN9rocsolver6v33100L18getri_kernel_smallILi13EdPdEEvT1_iilPiilS4_bb.kd
    .uniform_work_group_size: 1
    .uses_dynamic_stack: false
    .vgpr_count:     86
    .vgpr_spill_count: 0
    .wavefront_size: 64
  - .agpr_count:     0
    .args:
      - .address_space:  global
        .offset:         0
        .size:           8
        .value_kind:     global_buffer
      - .offset:         8
        .size:           4
        .value_kind:     by_value
      - .offset:         12
        .size:           4
        .value_kind:     by_value
      - .offset:         16
        .size:           8
        .value_kind:     by_value
      - .address_space:  global
        .offset:         24
        .size:           8
        .value_kind:     global_buffer
      - .offset:         32
        .size:           4
        .value_kind:     by_value
      - .offset:         40
        .size:           8
        .value_kind:     by_value
      - .address_space:  global
        .offset:         48
        .size:           8
        .value_kind:     global_buffer
      - .offset:         56
        .size:           1
        .value_kind:     by_value
      - .offset:         57
        .size:           1
        .value_kind:     by_value
    .group_segment_fixed_size: 232
    .kernarg_segment_align: 8
    .kernarg_segment_size: 60
    .language:       OpenCL C
    .language_version:
      - 2
      - 0
    .max_flat_workgroup_size: 64
    .name:           _ZN9rocsolver6v33100L18getri_kernel_smallILi14EdPdEEvT1_iilPiilS4_bb
    .private_segment_fixed_size: 0
    .sgpr_count:     54
    .sgpr_spill_count: 0
    .symbol:         _ZN9rocsolver6v33100L18getri_kernel_smallILi14EdPdEEvT1_iilPiilS4_bb.kd
    .uniform_work_group_size: 1
    .uses_dynamic_stack: false
    .vgpr_count:     88
    .vgpr_spill_count: 0
    .wavefront_size: 64
  - .agpr_count:     0
    .args:
      - .address_space:  global
        .offset:         0
        .size:           8
        .value_kind:     global_buffer
      - .offset:         8
        .size:           4
        .value_kind:     by_value
      - .offset:         12
        .size:           4
        .value_kind:     by_value
      - .offset:         16
        .size:           8
        .value_kind:     by_value
      - .address_space:  global
        .offset:         24
        .size:           8
        .value_kind:     global_buffer
      - .offset:         32
        .size:           4
        .value_kind:     by_value
      - .offset:         40
        .size:           8
        .value_kind:     by_value
      - .address_space:  global
        .offset:         48
        .size:           8
        .value_kind:     global_buffer
      - .offset:         56
        .size:           1
        .value_kind:     by_value
      - .offset:         57
        .size:           1
        .value_kind:     by_value
    .group_segment_fixed_size: 248
    .kernarg_segment_align: 8
    .kernarg_segment_size: 60
    .language:       OpenCL C
    .language_version:
      - 2
      - 0
    .max_flat_workgroup_size: 64
    .name:           _ZN9rocsolver6v33100L18getri_kernel_smallILi15EdPdEEvT1_iilPiilS4_bb
    .private_segment_fixed_size: 0
    .sgpr_count:     56
    .sgpr_spill_count: 0
    .symbol:         _ZN9rocsolver6v33100L18getri_kernel_smallILi15EdPdEEvT1_iilPiilS4_bb.kd
    .uniform_work_group_size: 1
    .uses_dynamic_stack: false
    .vgpr_count:     94
    .vgpr_spill_count: 0
    .wavefront_size: 64
  - .agpr_count:     0
    .args:
      - .address_space:  global
        .offset:         0
        .size:           8
        .value_kind:     global_buffer
      - .offset:         8
        .size:           4
        .value_kind:     by_value
      - .offset:         12
        .size:           4
        .value_kind:     by_value
      - .offset:         16
        .size:           8
        .value_kind:     by_value
      - .address_space:  global
        .offset:         24
        .size:           8
        .value_kind:     global_buffer
      - .offset:         32
        .size:           4
        .value_kind:     by_value
      - .offset:         40
        .size:           8
        .value_kind:     by_value
      - .address_space:  global
        .offset:         48
        .size:           8
        .value_kind:     global_buffer
      - .offset:         56
        .size:           1
        .value_kind:     by_value
      - .offset:         57
        .size:           1
        .value_kind:     by_value
    .group_segment_fixed_size: 264
    .kernarg_segment_align: 8
    .kernarg_segment_size: 60
    .language:       OpenCL C
    .language_version:
      - 2
      - 0
    .max_flat_workgroup_size: 64
    .name:           _ZN9rocsolver6v33100L18getri_kernel_smallILi16EdPdEEvT1_iilPiilS4_bb
    .private_segment_fixed_size: 0
    .sgpr_count:     58
    .sgpr_spill_count: 0
    .symbol:         _ZN9rocsolver6v33100L18getri_kernel_smallILi16EdPdEEvT1_iilPiilS4_bb.kd
    .uniform_work_group_size: 1
    .uses_dynamic_stack: false
    .vgpr_count:     98
    .vgpr_spill_count: 0
    .wavefront_size: 64
  - .agpr_count:     0
    .args:
      - .address_space:  global
        .offset:         0
        .size:           8
        .value_kind:     global_buffer
      - .offset:         8
        .size:           4
        .value_kind:     by_value
      - .offset:         12
        .size:           4
        .value_kind:     by_value
      - .offset:         16
        .size:           8
        .value_kind:     by_value
      - .address_space:  global
        .offset:         24
        .size:           8
        .value_kind:     global_buffer
      - .offset:         32
        .size:           4
        .value_kind:     by_value
      - .offset:         40
        .size:           8
        .value_kind:     by_value
      - .address_space:  global
        .offset:         48
        .size:           8
        .value_kind:     global_buffer
      - .offset:         56
        .size:           1
        .value_kind:     by_value
      - .offset:         57
        .size:           1
        .value_kind:     by_value
    .group_segment_fixed_size: 280
    .kernarg_segment_align: 8
    .kernarg_segment_size: 60
    .language:       OpenCL C
    .language_version:
      - 2
      - 0
    .max_flat_workgroup_size: 64
    .name:           _ZN9rocsolver6v33100L18getri_kernel_smallILi17EdPdEEvT1_iilPiilS4_bb
    .private_segment_fixed_size: 144
    .sgpr_count:     29
    .sgpr_spill_count: 0
    .symbol:         _ZN9rocsolver6v33100L18getri_kernel_smallILi17EdPdEEvT1_iilPiilS4_bb.kd
    .uniform_work_group_size: 1
    .uses_dynamic_stack: false
    .vgpr_count:     102
    .vgpr_spill_count: 0
    .wavefront_size: 64
  - .agpr_count:     0
    .args:
      - .address_space:  global
        .offset:         0
        .size:           8
        .value_kind:     global_buffer
      - .offset:         8
        .size:           4
        .value_kind:     by_value
      - .offset:         12
        .size:           4
        .value_kind:     by_value
      - .offset:         16
        .size:           8
        .value_kind:     by_value
      - .address_space:  global
        .offset:         24
        .size:           8
        .value_kind:     global_buffer
      - .offset:         32
        .size:           4
        .value_kind:     by_value
      - .offset:         40
        .size:           8
        .value_kind:     by_value
      - .address_space:  global
        .offset:         48
        .size:           8
        .value_kind:     global_buffer
      - .offset:         56
        .size:           1
        .value_kind:     by_value
      - .offset:         57
        .size:           1
        .value_kind:     by_value
    .group_segment_fixed_size: 296
    .kernarg_segment_align: 8
    .kernarg_segment_size: 60
    .language:       OpenCL C
    .language_version:
      - 2
      - 0
    .max_flat_workgroup_size: 64
    .name:           _ZN9rocsolver6v33100L18getri_kernel_smallILi18EdPdEEvT1_iilPiilS4_bb
    .private_segment_fixed_size: 160
    .sgpr_count:     29
    .sgpr_spill_count: 0
    .symbol:         _ZN9rocsolver6v33100L18getri_kernel_smallILi18EdPdEEvT1_iilPiilS4_bb.kd
    .uniform_work_group_size: 1
    .uses_dynamic_stack: false
    .vgpr_count:     106
    .vgpr_spill_count: 0
    .wavefront_size: 64
  - .agpr_count:     0
    .args:
      - .address_space:  global
        .offset:         0
        .size:           8
        .value_kind:     global_buffer
      - .offset:         8
        .size:           4
        .value_kind:     by_value
      - .offset:         12
        .size:           4
        .value_kind:     by_value
      - .offset:         16
        .size:           8
        .value_kind:     by_value
      - .address_space:  global
        .offset:         24
        .size:           8
        .value_kind:     global_buffer
      - .offset:         32
        .size:           4
        .value_kind:     by_value
      - .offset:         40
        .size:           8
        .value_kind:     by_value
      - .address_space:  global
        .offset:         48
        .size:           8
        .value_kind:     global_buffer
      - .offset:         56
        .size:           1
        .value_kind:     by_value
      - .offset:         57
        .size:           1
        .value_kind:     by_value
    .group_segment_fixed_size: 312
    .kernarg_segment_align: 8
    .kernarg_segment_size: 60
    .language:       OpenCL C
    .language_version:
      - 2
      - 0
    .max_flat_workgroup_size: 64
    .name:           _ZN9rocsolver6v33100L18getri_kernel_smallILi19EdPdEEvT1_iilPiilS4_bb
    .private_segment_fixed_size: 160
    .sgpr_count:     29
    .sgpr_spill_count: 0
    .symbol:         _ZN9rocsolver6v33100L18getri_kernel_smallILi19EdPdEEvT1_iilPiilS4_bb.kd
    .uniform_work_group_size: 1
    .uses_dynamic_stack: false
    .vgpr_count:     114
    .vgpr_spill_count: 0
    .wavefront_size: 64
  - .agpr_count:     0
    .args:
      - .address_space:  global
        .offset:         0
        .size:           8
        .value_kind:     global_buffer
      - .offset:         8
        .size:           4
        .value_kind:     by_value
      - .offset:         12
        .size:           4
        .value_kind:     by_value
      - .offset:         16
        .size:           8
        .value_kind:     by_value
      - .address_space:  global
        .offset:         24
        .size:           8
        .value_kind:     global_buffer
      - .offset:         32
        .size:           4
        .value_kind:     by_value
      - .offset:         40
        .size:           8
        .value_kind:     by_value
      - .address_space:  global
        .offset:         48
        .size:           8
        .value_kind:     global_buffer
      - .offset:         56
        .size:           1
        .value_kind:     by_value
      - .offset:         57
        .size:           1
        .value_kind:     by_value
    .group_segment_fixed_size: 328
    .kernarg_segment_align: 8
    .kernarg_segment_size: 60
    .language:       OpenCL C
    .language_version:
      - 2
      - 0
    .max_flat_workgroup_size: 64
    .name:           _ZN9rocsolver6v33100L18getri_kernel_smallILi20EdPdEEvT1_iilPiilS4_bb
    .private_segment_fixed_size: 176
    .sgpr_count:     29
    .sgpr_spill_count: 0
    .symbol:         _ZN9rocsolver6v33100L18getri_kernel_smallILi20EdPdEEvT1_iilPiilS4_bb.kd
    .uniform_work_group_size: 1
    .uses_dynamic_stack: false
    .vgpr_count:     118
    .vgpr_spill_count: 0
    .wavefront_size: 64
  - .agpr_count:     0
    .args:
      - .address_space:  global
        .offset:         0
        .size:           8
        .value_kind:     global_buffer
      - .offset:         8
        .size:           4
        .value_kind:     by_value
      - .offset:         12
        .size:           4
        .value_kind:     by_value
      - .offset:         16
        .size:           8
        .value_kind:     by_value
      - .address_space:  global
        .offset:         24
        .size:           8
        .value_kind:     global_buffer
      - .offset:         32
        .size:           4
        .value_kind:     by_value
      - .offset:         40
        .size:           8
        .value_kind:     by_value
      - .address_space:  global
        .offset:         48
        .size:           8
        .value_kind:     global_buffer
      - .offset:         56
        .size:           1
        .value_kind:     by_value
      - .offset:         57
        .size:           1
        .value_kind:     by_value
    .group_segment_fixed_size: 344
    .kernarg_segment_align: 8
    .kernarg_segment_size: 60
    .language:       OpenCL C
    .language_version:
      - 2
      - 0
    .max_flat_workgroup_size: 64
    .name:           _ZN9rocsolver6v33100L18getri_kernel_smallILi21EdPdEEvT1_iilPiilS4_bb
    .private_segment_fixed_size: 176
    .sgpr_count:     29
    .sgpr_spill_count: 0
    .symbol:         _ZN9rocsolver6v33100L18getri_kernel_smallILi21EdPdEEvT1_iilPiilS4_bb.kd
    .uniform_work_group_size: 1
    .uses_dynamic_stack: false
    .vgpr_count:     126
    .vgpr_spill_count: 0
    .wavefront_size: 64
  - .agpr_count:     0
    .args:
      - .address_space:  global
        .offset:         0
        .size:           8
        .value_kind:     global_buffer
      - .offset:         8
        .size:           4
        .value_kind:     by_value
      - .offset:         12
        .size:           4
        .value_kind:     by_value
      - .offset:         16
        .size:           8
        .value_kind:     by_value
      - .address_space:  global
        .offset:         24
        .size:           8
        .value_kind:     global_buffer
      - .offset:         32
        .size:           4
        .value_kind:     by_value
      - .offset:         40
        .size:           8
        .value_kind:     by_value
      - .address_space:  global
        .offset:         48
        .size:           8
        .value_kind:     global_buffer
      - .offset:         56
        .size:           1
        .value_kind:     by_value
      - .offset:         57
        .size:           1
        .value_kind:     by_value
    .group_segment_fixed_size: 360
    .kernarg_segment_align: 8
    .kernarg_segment_size: 60
    .language:       OpenCL C
    .language_version:
      - 2
      - 0
    .max_flat_workgroup_size: 64
    .name:           _ZN9rocsolver6v33100L18getri_kernel_smallILi22EdPdEEvT1_iilPiilS4_bb
    .private_segment_fixed_size: 192
    .sgpr_count:     29
    .sgpr_spill_count: 0
    .symbol:         _ZN9rocsolver6v33100L18getri_kernel_smallILi22EdPdEEvT1_iilPiilS4_bb.kd
    .uniform_work_group_size: 1
    .uses_dynamic_stack: false
    .vgpr_count:     126
    .vgpr_spill_count: 0
    .wavefront_size: 64
  - .agpr_count:     0
    .args:
      - .address_space:  global
        .offset:         0
        .size:           8
        .value_kind:     global_buffer
      - .offset:         8
        .size:           4
        .value_kind:     by_value
      - .offset:         12
        .size:           4
        .value_kind:     by_value
      - .offset:         16
        .size:           8
        .value_kind:     by_value
      - .address_space:  global
        .offset:         24
        .size:           8
        .value_kind:     global_buffer
      - .offset:         32
        .size:           4
        .value_kind:     by_value
      - .offset:         40
        .size:           8
        .value_kind:     by_value
      - .address_space:  global
        .offset:         48
        .size:           8
        .value_kind:     global_buffer
      - .offset:         56
        .size:           1
        .value_kind:     by_value
      - .offset:         57
        .size:           1
        .value_kind:     by_value
    .group_segment_fixed_size: 376
    .kernarg_segment_align: 8
    .kernarg_segment_size: 60
    .language:       OpenCL C
    .language_version:
      - 2
      - 0
    .max_flat_workgroup_size: 64
    .name:           _ZN9rocsolver6v33100L18getri_kernel_smallILi23EdPdEEvT1_iilPiilS4_bb
    .private_segment_fixed_size: 192
    .sgpr_count:     29
    .sgpr_spill_count: 0
    .symbol:         _ZN9rocsolver6v33100L18getri_kernel_smallILi23EdPdEEvT1_iilPiilS4_bb.kd
    .uniform_work_group_size: 1
    .uses_dynamic_stack: false
    .vgpr_count:     124
    .vgpr_spill_count: 0
    .wavefront_size: 64
  - .agpr_count:     0
    .args:
      - .address_space:  global
        .offset:         0
        .size:           8
        .value_kind:     global_buffer
      - .offset:         8
        .size:           4
        .value_kind:     by_value
      - .offset:         12
        .size:           4
        .value_kind:     by_value
      - .offset:         16
        .size:           8
        .value_kind:     by_value
      - .address_space:  global
        .offset:         24
        .size:           8
        .value_kind:     global_buffer
      - .offset:         32
        .size:           4
        .value_kind:     by_value
      - .offset:         40
        .size:           8
        .value_kind:     by_value
      - .address_space:  global
        .offset:         48
        .size:           8
        .value_kind:     global_buffer
      - .offset:         56
        .size:           1
        .value_kind:     by_value
      - .offset:         57
        .size:           1
        .value_kind:     by_value
    .group_segment_fixed_size: 392
    .kernarg_segment_align: 8
    .kernarg_segment_size: 60
    .language:       OpenCL C
    .language_version:
      - 2
      - 0
    .max_flat_workgroup_size: 64
    .name:           _ZN9rocsolver6v33100L18getri_kernel_smallILi24EdPdEEvT1_iilPiilS4_bb
    .private_segment_fixed_size: 208
    .sgpr_count:     29
    .sgpr_spill_count: 0
    .symbol:         _ZN9rocsolver6v33100L18getri_kernel_smallILi24EdPdEEvT1_iilPiilS4_bb.kd
    .uniform_work_group_size: 1
    .uses_dynamic_stack: false
    .vgpr_count:     126
    .vgpr_spill_count: 0
    .wavefront_size: 64
  - .agpr_count:     0
    .args:
      - .address_space:  global
        .offset:         0
        .size:           8
        .value_kind:     global_buffer
      - .offset:         8
        .size:           4
        .value_kind:     by_value
      - .offset:         12
        .size:           4
        .value_kind:     by_value
      - .offset:         16
        .size:           8
        .value_kind:     by_value
      - .address_space:  global
        .offset:         24
        .size:           8
        .value_kind:     global_buffer
      - .offset:         32
        .size:           4
        .value_kind:     by_value
      - .offset:         40
        .size:           8
        .value_kind:     by_value
      - .address_space:  global
        .offset:         48
        .size:           8
        .value_kind:     global_buffer
      - .offset:         56
        .size:           1
        .value_kind:     by_value
      - .offset:         57
        .size:           1
        .value_kind:     by_value
    .group_segment_fixed_size: 408
    .kernarg_segment_align: 8
    .kernarg_segment_size: 60
    .language:       OpenCL C
    .language_version:
      - 2
      - 0
    .max_flat_workgroup_size: 64
    .name:           _ZN9rocsolver6v33100L18getri_kernel_smallILi25EdPdEEvT1_iilPiilS4_bb
    .private_segment_fixed_size: 208
    .sgpr_count:     29
    .sgpr_spill_count: 0
    .symbol:         _ZN9rocsolver6v33100L18getri_kernel_smallILi25EdPdEEvT1_iilPiilS4_bb.kd
    .uniform_work_group_size: 1
    .uses_dynamic_stack: false
    .vgpr_count:     128
    .vgpr_spill_count: 0
    .wavefront_size: 64
  - .agpr_count:     0
    .args:
      - .address_space:  global
        .offset:         0
        .size:           8
        .value_kind:     global_buffer
      - .offset:         8
        .size:           4
        .value_kind:     by_value
      - .offset:         12
        .size:           4
        .value_kind:     by_value
      - .offset:         16
        .size:           8
        .value_kind:     by_value
      - .address_space:  global
        .offset:         24
        .size:           8
        .value_kind:     global_buffer
      - .offset:         32
        .size:           4
        .value_kind:     by_value
      - .offset:         40
        .size:           8
        .value_kind:     by_value
      - .address_space:  global
        .offset:         48
        .size:           8
        .value_kind:     global_buffer
      - .offset:         56
        .size:           1
        .value_kind:     by_value
      - .offset:         57
        .size:           1
        .value_kind:     by_value
    .group_segment_fixed_size: 424
    .kernarg_segment_align: 8
    .kernarg_segment_size: 60
    .language:       OpenCL C
    .language_version:
      - 2
      - 0
    .max_flat_workgroup_size: 64
    .name:           _ZN9rocsolver6v33100L18getri_kernel_smallILi26EdPdEEvT1_iilPiilS4_bb
    .private_segment_fixed_size: 224
    .sgpr_count:     29
    .sgpr_spill_count: 0
    .symbol:         _ZN9rocsolver6v33100L18getri_kernel_smallILi26EdPdEEvT1_iilPiilS4_bb.kd
    .uniform_work_group_size: 1
    .uses_dynamic_stack: false
    .vgpr_count:     126
    .vgpr_spill_count: 0
    .wavefront_size: 64
  - .agpr_count:     0
    .args:
      - .address_space:  global
        .offset:         0
        .size:           8
        .value_kind:     global_buffer
      - .offset:         8
        .size:           4
        .value_kind:     by_value
      - .offset:         12
        .size:           4
        .value_kind:     by_value
      - .offset:         16
        .size:           8
        .value_kind:     by_value
      - .address_space:  global
        .offset:         24
        .size:           8
        .value_kind:     global_buffer
      - .offset:         32
        .size:           4
        .value_kind:     by_value
      - .offset:         40
        .size:           8
        .value_kind:     by_value
      - .address_space:  global
        .offset:         48
        .size:           8
        .value_kind:     global_buffer
      - .offset:         56
        .size:           1
        .value_kind:     by_value
      - .offset:         57
        .size:           1
        .value_kind:     by_value
    .group_segment_fixed_size: 440
    .kernarg_segment_align: 8
    .kernarg_segment_size: 60
    .language:       OpenCL C
    .language_version:
      - 2
      - 0
    .max_flat_workgroup_size: 64
    .name:           _ZN9rocsolver6v33100L18getri_kernel_smallILi27EdPdEEvT1_iilPiilS4_bb
    .private_segment_fixed_size: 224
    .sgpr_count:     29
    .sgpr_spill_count: 0
    .symbol:         _ZN9rocsolver6v33100L18getri_kernel_smallILi27EdPdEEvT1_iilPiilS4_bb.kd
    .uniform_work_group_size: 1
    .uses_dynamic_stack: false
    .vgpr_count:     124
    .vgpr_spill_count: 0
    .wavefront_size: 64
  - .agpr_count:     0
    .args:
      - .address_space:  global
        .offset:         0
        .size:           8
        .value_kind:     global_buffer
      - .offset:         8
        .size:           4
        .value_kind:     by_value
      - .offset:         12
        .size:           4
        .value_kind:     by_value
      - .offset:         16
        .size:           8
        .value_kind:     by_value
      - .address_space:  global
        .offset:         24
        .size:           8
        .value_kind:     global_buffer
      - .offset:         32
        .size:           4
        .value_kind:     by_value
      - .offset:         40
        .size:           8
        .value_kind:     by_value
      - .address_space:  global
        .offset:         48
        .size:           8
        .value_kind:     global_buffer
      - .offset:         56
        .size:           1
        .value_kind:     by_value
      - .offset:         57
        .size:           1
        .value_kind:     by_value
    .group_segment_fixed_size: 456
    .kernarg_segment_align: 8
    .kernarg_segment_size: 60
    .language:       OpenCL C
    .language_version:
      - 2
      - 0
    .max_flat_workgroup_size: 64
    .name:           _ZN9rocsolver6v33100L18getri_kernel_smallILi28EdPdEEvT1_iilPiilS4_bb
    .private_segment_fixed_size: 240
    .sgpr_count:     29
    .sgpr_spill_count: 0
    .symbol:         _ZN9rocsolver6v33100L18getri_kernel_smallILi28EdPdEEvT1_iilPiilS4_bb.kd
    .uniform_work_group_size: 1
    .uses_dynamic_stack: false
    .vgpr_count:     126
    .vgpr_spill_count: 0
    .wavefront_size: 64
  - .agpr_count:     0
    .args:
      - .address_space:  global
        .offset:         0
        .size:           8
        .value_kind:     global_buffer
      - .offset:         8
        .size:           4
        .value_kind:     by_value
      - .offset:         12
        .size:           4
        .value_kind:     by_value
      - .offset:         16
        .size:           8
        .value_kind:     by_value
      - .address_space:  global
        .offset:         24
        .size:           8
        .value_kind:     global_buffer
      - .offset:         32
        .size:           4
        .value_kind:     by_value
      - .offset:         40
        .size:           8
        .value_kind:     by_value
      - .address_space:  global
        .offset:         48
        .size:           8
        .value_kind:     global_buffer
      - .offset:         56
        .size:           1
        .value_kind:     by_value
      - .offset:         57
        .size:           1
        .value_kind:     by_value
    .group_segment_fixed_size: 472
    .kernarg_segment_align: 8
    .kernarg_segment_size: 60
    .language:       OpenCL C
    .language_version:
      - 2
      - 0
    .max_flat_workgroup_size: 64
    .name:           _ZN9rocsolver6v33100L18getri_kernel_smallILi29EdPdEEvT1_iilPiilS4_bb
    .private_segment_fixed_size: 240
    .sgpr_count:     29
    .sgpr_spill_count: 0
    .symbol:         _ZN9rocsolver6v33100L18getri_kernel_smallILi29EdPdEEvT1_iilPiilS4_bb.kd
    .uniform_work_group_size: 1
    .uses_dynamic_stack: false
    .vgpr_count:     128
    .vgpr_spill_count: 0
    .wavefront_size: 64
  - .agpr_count:     0
    .args:
      - .address_space:  global
        .offset:         0
        .size:           8
        .value_kind:     global_buffer
      - .offset:         8
        .size:           4
        .value_kind:     by_value
      - .offset:         12
        .size:           4
        .value_kind:     by_value
      - .offset:         16
        .size:           8
        .value_kind:     by_value
      - .address_space:  global
        .offset:         24
        .size:           8
        .value_kind:     global_buffer
      - .offset:         32
        .size:           4
        .value_kind:     by_value
      - .offset:         40
        .size:           8
        .value_kind:     by_value
      - .address_space:  global
        .offset:         48
        .size:           8
        .value_kind:     global_buffer
      - .offset:         56
        .size:           1
        .value_kind:     by_value
      - .offset:         57
        .size:           1
        .value_kind:     by_value
    .group_segment_fixed_size: 488
    .kernarg_segment_align: 8
    .kernarg_segment_size: 60
    .language:       OpenCL C
    .language_version:
      - 2
      - 0
    .max_flat_workgroup_size: 64
    .name:           _ZN9rocsolver6v33100L18getri_kernel_smallILi30EdPdEEvT1_iilPiilS4_bb
    .private_segment_fixed_size: 256
    .sgpr_count:     29
    .sgpr_spill_count: 0
    .symbol:         _ZN9rocsolver6v33100L18getri_kernel_smallILi30EdPdEEvT1_iilPiilS4_bb.kd
    .uniform_work_group_size: 1
    .uses_dynamic_stack: false
    .vgpr_count:     126
    .vgpr_spill_count: 0
    .wavefront_size: 64
  - .agpr_count:     0
    .args:
      - .address_space:  global
        .offset:         0
        .size:           8
        .value_kind:     global_buffer
      - .offset:         8
        .size:           4
        .value_kind:     by_value
      - .offset:         12
        .size:           4
        .value_kind:     by_value
      - .offset:         16
        .size:           8
        .value_kind:     by_value
      - .address_space:  global
        .offset:         24
        .size:           8
        .value_kind:     global_buffer
      - .offset:         32
        .size:           4
        .value_kind:     by_value
      - .offset:         40
        .size:           8
        .value_kind:     by_value
      - .address_space:  global
        .offset:         48
        .size:           8
        .value_kind:     global_buffer
      - .offset:         56
        .size:           1
        .value_kind:     by_value
      - .offset:         57
        .size:           1
        .value_kind:     by_value
    .group_segment_fixed_size: 504
    .kernarg_segment_align: 8
    .kernarg_segment_size: 60
    .language:       OpenCL C
    .language_version:
      - 2
      - 0
    .max_flat_workgroup_size: 64
    .name:           _ZN9rocsolver6v33100L18getri_kernel_smallILi31EdPdEEvT1_iilPiilS4_bb
    .private_segment_fixed_size: 256
    .sgpr_count:     29
    .sgpr_spill_count: 0
    .symbol:         _ZN9rocsolver6v33100L18getri_kernel_smallILi31EdPdEEvT1_iilPiilS4_bb.kd
    .uniform_work_group_size: 1
    .uses_dynamic_stack: false
    .vgpr_count:     124
    .vgpr_spill_count: 0
    .wavefront_size: 64
  - .agpr_count:     0
    .args:
      - .address_space:  global
        .offset:         0
        .size:           8
        .value_kind:     global_buffer
      - .offset:         8
        .size:           4
        .value_kind:     by_value
      - .offset:         12
        .size:           4
        .value_kind:     by_value
      - .offset:         16
        .size:           8
        .value_kind:     by_value
      - .address_space:  global
        .offset:         24
        .size:           8
        .value_kind:     global_buffer
      - .offset:         32
        .size:           4
        .value_kind:     by_value
      - .offset:         40
        .size:           8
        .value_kind:     by_value
      - .address_space:  global
        .offset:         48
        .size:           8
        .value_kind:     global_buffer
      - .offset:         56
        .size:           1
        .value_kind:     by_value
      - .offset:         57
        .size:           1
        .value_kind:     by_value
    .group_segment_fixed_size: 520
    .kernarg_segment_align: 8
    .kernarg_segment_size: 60
    .language:       OpenCL C
    .language_version:
      - 2
      - 0
    .max_flat_workgroup_size: 64
    .name:           _ZN9rocsolver6v33100L18getri_kernel_smallILi32EdPdEEvT1_iilPiilS4_bb
    .private_segment_fixed_size: 272
    .sgpr_count:     29
    .sgpr_spill_count: 0
    .symbol:         _ZN9rocsolver6v33100L18getri_kernel_smallILi32EdPdEEvT1_iilPiilS4_bb.kd
    .uniform_work_group_size: 1
    .uses_dynamic_stack: false
    .vgpr_count:     128
    .vgpr_spill_count: 0
    .wavefront_size: 64
  - .agpr_count:     0
    .args:
      - .address_space:  global
        .offset:         0
        .size:           8
        .value_kind:     global_buffer
      - .offset:         8
        .size:           4
        .value_kind:     by_value
      - .offset:         12
        .size:           4
        .value_kind:     by_value
      - .offset:         16
        .size:           8
        .value_kind:     by_value
      - .address_space:  global
        .offset:         24
        .size:           8
        .value_kind:     global_buffer
      - .offset:         32
        .size:           4
        .value_kind:     by_value
      - .offset:         40
        .size:           8
        .value_kind:     by_value
      - .address_space:  global
        .offset:         48
        .size:           8
        .value_kind:     global_buffer
      - .offset:         56
        .size:           1
        .value_kind:     by_value
      - .offset:         57
        .size:           1
        .value_kind:     by_value
    .group_segment_fixed_size: 536
    .kernarg_segment_align: 8
    .kernarg_segment_size: 60
    .language:       OpenCL C
    .language_version:
      - 2
      - 0
    .max_flat_workgroup_size: 64
    .name:           _ZN9rocsolver6v33100L18getri_kernel_smallILi33EdPdEEvT1_iilPiilS4_bb
    .private_segment_fixed_size: 272
    .sgpr_count:     29
    .sgpr_spill_count: 0
    .symbol:         _ZN9rocsolver6v33100L18getri_kernel_smallILi33EdPdEEvT1_iilPiilS4_bb.kd
    .uniform_work_group_size: 1
    .uses_dynamic_stack: false
    .vgpr_count:     128
    .vgpr_spill_count: 0
    .wavefront_size: 64
  - .agpr_count:     0
    .args:
      - .address_space:  global
        .offset:         0
        .size:           8
        .value_kind:     global_buffer
      - .offset:         8
        .size:           4
        .value_kind:     by_value
      - .offset:         12
        .size:           4
        .value_kind:     by_value
      - .offset:         16
        .size:           8
        .value_kind:     by_value
      - .address_space:  global
        .offset:         24
        .size:           8
        .value_kind:     global_buffer
      - .offset:         32
        .size:           4
        .value_kind:     by_value
      - .offset:         40
        .size:           8
        .value_kind:     by_value
      - .address_space:  global
        .offset:         48
        .size:           8
        .value_kind:     global_buffer
      - .offset:         56
        .size:           1
        .value_kind:     by_value
      - .offset:         57
        .size:           1
        .value_kind:     by_value
    .group_segment_fixed_size: 552
    .kernarg_segment_align: 8
    .kernarg_segment_size: 60
    .language:       OpenCL C
    .language_version:
      - 2
      - 0
    .max_flat_workgroup_size: 64
    .name:           _ZN9rocsolver6v33100L18getri_kernel_smallILi34EdPdEEvT1_iilPiilS4_bb
    .private_segment_fixed_size: 288
    .sgpr_count:     29
    .sgpr_spill_count: 0
    .symbol:         _ZN9rocsolver6v33100L18getri_kernel_smallILi34EdPdEEvT1_iilPiilS4_bb.kd
    .uniform_work_group_size: 1
    .uses_dynamic_stack: false
    .vgpr_count:     126
    .vgpr_spill_count: 0
    .wavefront_size: 64
  - .agpr_count:     0
    .args:
      - .address_space:  global
        .offset:         0
        .size:           8
        .value_kind:     global_buffer
      - .offset:         8
        .size:           4
        .value_kind:     by_value
      - .offset:         12
        .size:           4
        .value_kind:     by_value
      - .offset:         16
        .size:           8
        .value_kind:     by_value
      - .address_space:  global
        .offset:         24
        .size:           8
        .value_kind:     global_buffer
      - .offset:         32
        .size:           4
        .value_kind:     by_value
      - .offset:         40
        .size:           8
        .value_kind:     by_value
      - .address_space:  global
        .offset:         48
        .size:           8
        .value_kind:     global_buffer
      - .offset:         56
        .size:           1
        .value_kind:     by_value
      - .offset:         57
        .size:           1
        .value_kind:     by_value
    .group_segment_fixed_size: 568
    .kernarg_segment_align: 8
    .kernarg_segment_size: 60
    .language:       OpenCL C
    .language_version:
      - 2
      - 0
    .max_flat_workgroup_size: 64
    .name:           _ZN9rocsolver6v33100L18getri_kernel_smallILi35EdPdEEvT1_iilPiilS4_bb
    .private_segment_fixed_size: 288
    .sgpr_count:     29
    .sgpr_spill_count: 0
    .symbol:         _ZN9rocsolver6v33100L18getri_kernel_smallILi35EdPdEEvT1_iilPiilS4_bb.kd
    .uniform_work_group_size: 1
    .uses_dynamic_stack: false
    .vgpr_count:     124
    .vgpr_spill_count: 0
    .wavefront_size: 64
  - .agpr_count:     0
    .args:
      - .address_space:  global
        .offset:         0
        .size:           8
        .value_kind:     global_buffer
      - .offset:         8
        .size:           4
        .value_kind:     by_value
      - .offset:         12
        .size:           4
        .value_kind:     by_value
      - .offset:         16
        .size:           8
        .value_kind:     by_value
      - .address_space:  global
        .offset:         24
        .size:           8
        .value_kind:     global_buffer
      - .offset:         32
        .size:           4
        .value_kind:     by_value
      - .offset:         40
        .size:           8
        .value_kind:     by_value
      - .address_space:  global
        .offset:         48
        .size:           8
        .value_kind:     global_buffer
      - .offset:         56
        .size:           1
        .value_kind:     by_value
      - .offset:         57
        .size:           1
        .value_kind:     by_value
    .group_segment_fixed_size: 584
    .kernarg_segment_align: 8
    .kernarg_segment_size: 60
    .language:       OpenCL C
    .language_version:
      - 2
      - 0
    .max_flat_workgroup_size: 64
    .name:           _ZN9rocsolver6v33100L18getri_kernel_smallILi36EdPdEEvT1_iilPiilS4_bb
    .private_segment_fixed_size: 304
    .sgpr_count:     29
    .sgpr_spill_count: 0
    .symbol:         _ZN9rocsolver6v33100L18getri_kernel_smallILi36EdPdEEvT1_iilPiilS4_bb.kd
    .uniform_work_group_size: 1
    .uses_dynamic_stack: false
    .vgpr_count:     126
    .vgpr_spill_count: 0
    .wavefront_size: 64
  - .agpr_count:     0
    .args:
      - .address_space:  global
        .offset:         0
        .size:           8
        .value_kind:     global_buffer
      - .offset:         8
        .size:           4
        .value_kind:     by_value
      - .offset:         12
        .size:           4
        .value_kind:     by_value
      - .offset:         16
        .size:           8
        .value_kind:     by_value
      - .address_space:  global
        .offset:         24
        .size:           8
        .value_kind:     global_buffer
      - .offset:         32
        .size:           4
        .value_kind:     by_value
      - .offset:         40
        .size:           8
        .value_kind:     by_value
      - .address_space:  global
        .offset:         48
        .size:           8
        .value_kind:     global_buffer
      - .offset:         56
        .size:           1
        .value_kind:     by_value
      - .offset:         57
        .size:           1
        .value_kind:     by_value
    .group_segment_fixed_size: 600
    .kernarg_segment_align: 8
    .kernarg_segment_size: 60
    .language:       OpenCL C
    .language_version:
      - 2
      - 0
    .max_flat_workgroup_size: 64
    .name:           _ZN9rocsolver6v33100L18getri_kernel_smallILi37EdPdEEvT1_iilPiilS4_bb
    .private_segment_fixed_size: 304
    .sgpr_count:     29
    .sgpr_spill_count: 0
    .symbol:         _ZN9rocsolver6v33100L18getri_kernel_smallILi37EdPdEEvT1_iilPiilS4_bb.kd
    .uniform_work_group_size: 1
    .uses_dynamic_stack: false
    .vgpr_count:     128
    .vgpr_spill_count: 0
    .wavefront_size: 64
  - .agpr_count:     0
    .args:
      - .address_space:  global
        .offset:         0
        .size:           8
        .value_kind:     global_buffer
      - .offset:         8
        .size:           4
        .value_kind:     by_value
      - .offset:         12
        .size:           4
        .value_kind:     by_value
      - .offset:         16
        .size:           8
        .value_kind:     by_value
      - .address_space:  global
        .offset:         24
        .size:           8
        .value_kind:     global_buffer
      - .offset:         32
        .size:           4
        .value_kind:     by_value
      - .offset:         40
        .size:           8
        .value_kind:     by_value
      - .address_space:  global
        .offset:         48
        .size:           8
        .value_kind:     global_buffer
      - .offset:         56
        .size:           1
        .value_kind:     by_value
      - .offset:         57
        .size:           1
        .value_kind:     by_value
    .group_segment_fixed_size: 616
    .kernarg_segment_align: 8
    .kernarg_segment_size: 60
    .language:       OpenCL C
    .language_version:
      - 2
      - 0
    .max_flat_workgroup_size: 64
    .name:           _ZN9rocsolver6v33100L18getri_kernel_smallILi38EdPdEEvT1_iilPiilS4_bb
    .private_segment_fixed_size: 320
    .sgpr_count:     29
    .sgpr_spill_count: 0
    .symbol:         _ZN9rocsolver6v33100L18getri_kernel_smallILi38EdPdEEvT1_iilPiilS4_bb.kd
    .uniform_work_group_size: 1
    .uses_dynamic_stack: false
    .vgpr_count:     126
    .vgpr_spill_count: 0
    .wavefront_size: 64
  - .agpr_count:     0
    .args:
      - .address_space:  global
        .offset:         0
        .size:           8
        .value_kind:     global_buffer
      - .offset:         8
        .size:           4
        .value_kind:     by_value
      - .offset:         12
        .size:           4
        .value_kind:     by_value
      - .offset:         16
        .size:           8
        .value_kind:     by_value
      - .address_space:  global
        .offset:         24
        .size:           8
        .value_kind:     global_buffer
      - .offset:         32
        .size:           4
        .value_kind:     by_value
      - .offset:         40
        .size:           8
        .value_kind:     by_value
      - .address_space:  global
        .offset:         48
        .size:           8
        .value_kind:     global_buffer
      - .offset:         56
        .size:           1
        .value_kind:     by_value
      - .offset:         57
        .size:           1
        .value_kind:     by_value
    .group_segment_fixed_size: 632
    .kernarg_segment_align: 8
    .kernarg_segment_size: 60
    .language:       OpenCL C
    .language_version:
      - 2
      - 0
    .max_flat_workgroup_size: 64
    .name:           _ZN9rocsolver6v33100L18getri_kernel_smallILi39EdPdEEvT1_iilPiilS4_bb
    .private_segment_fixed_size: 320
    .sgpr_count:     29
    .sgpr_spill_count: 0
    .symbol:         _ZN9rocsolver6v33100L18getri_kernel_smallILi39EdPdEEvT1_iilPiilS4_bb.kd
    .uniform_work_group_size: 1
    .uses_dynamic_stack: false
    .vgpr_count:     124
    .vgpr_spill_count: 0
    .wavefront_size: 64
  - .agpr_count:     0
    .args:
      - .address_space:  global
        .offset:         0
        .size:           8
        .value_kind:     global_buffer
      - .offset:         8
        .size:           4
        .value_kind:     by_value
      - .offset:         12
        .size:           4
        .value_kind:     by_value
      - .offset:         16
        .size:           8
        .value_kind:     by_value
      - .address_space:  global
        .offset:         24
        .size:           8
        .value_kind:     global_buffer
      - .offset:         32
        .size:           4
        .value_kind:     by_value
      - .offset:         40
        .size:           8
        .value_kind:     by_value
      - .address_space:  global
        .offset:         48
        .size:           8
        .value_kind:     global_buffer
      - .offset:         56
        .size:           1
        .value_kind:     by_value
      - .offset:         57
        .size:           1
        .value_kind:     by_value
    .group_segment_fixed_size: 648
    .kernarg_segment_align: 8
    .kernarg_segment_size: 60
    .language:       OpenCL C
    .language_version:
      - 2
      - 0
    .max_flat_workgroup_size: 64
    .name:           _ZN9rocsolver6v33100L18getri_kernel_smallILi40EdPdEEvT1_iilPiilS4_bb
    .private_segment_fixed_size: 336
    .sgpr_count:     29
    .sgpr_spill_count: 0
    .symbol:         _ZN9rocsolver6v33100L18getri_kernel_smallILi40EdPdEEvT1_iilPiilS4_bb.kd
    .uniform_work_group_size: 1
    .uses_dynamic_stack: false
    .vgpr_count:     126
    .vgpr_spill_count: 0
    .wavefront_size: 64
  - .agpr_count:     0
    .args:
      - .address_space:  global
        .offset:         0
        .size:           8
        .value_kind:     global_buffer
      - .offset:         8
        .size:           4
        .value_kind:     by_value
      - .offset:         12
        .size:           4
        .value_kind:     by_value
      - .offset:         16
        .size:           8
        .value_kind:     by_value
      - .address_space:  global
        .offset:         24
        .size:           8
        .value_kind:     global_buffer
      - .offset:         32
        .size:           4
        .value_kind:     by_value
      - .offset:         40
        .size:           8
        .value_kind:     by_value
      - .address_space:  global
        .offset:         48
        .size:           8
        .value_kind:     global_buffer
      - .offset:         56
        .size:           1
        .value_kind:     by_value
      - .offset:         57
        .size:           1
        .value_kind:     by_value
    .group_segment_fixed_size: 664
    .kernarg_segment_align: 8
    .kernarg_segment_size: 60
    .language:       OpenCL C
    .language_version:
      - 2
      - 0
    .max_flat_workgroup_size: 64
    .name:           _ZN9rocsolver6v33100L18getri_kernel_smallILi41EdPdEEvT1_iilPiilS4_bb
    .private_segment_fixed_size: 336
    .sgpr_count:     29
    .sgpr_spill_count: 0
    .symbol:         _ZN9rocsolver6v33100L18getri_kernel_smallILi41EdPdEEvT1_iilPiilS4_bb.kd
    .uniform_work_group_size: 1
    .uses_dynamic_stack: false
    .vgpr_count:     128
    .vgpr_spill_count: 0
    .wavefront_size: 64
  - .agpr_count:     0
    .args:
      - .address_space:  global
        .offset:         0
        .size:           8
        .value_kind:     global_buffer
      - .offset:         8
        .size:           4
        .value_kind:     by_value
      - .offset:         12
        .size:           4
        .value_kind:     by_value
      - .offset:         16
        .size:           8
        .value_kind:     by_value
      - .address_space:  global
        .offset:         24
        .size:           8
        .value_kind:     global_buffer
      - .offset:         32
        .size:           4
        .value_kind:     by_value
      - .offset:         40
        .size:           8
        .value_kind:     by_value
      - .address_space:  global
        .offset:         48
        .size:           8
        .value_kind:     global_buffer
      - .offset:         56
        .size:           1
        .value_kind:     by_value
      - .offset:         57
        .size:           1
        .value_kind:     by_value
    .group_segment_fixed_size: 680
    .kernarg_segment_align: 8
    .kernarg_segment_size: 60
    .language:       OpenCL C
    .language_version:
      - 2
      - 0
    .max_flat_workgroup_size: 64
    .name:           _ZN9rocsolver6v33100L18getri_kernel_smallILi42EdPdEEvT1_iilPiilS4_bb
    .private_segment_fixed_size: 352
    .sgpr_count:     29
    .sgpr_spill_count: 0
    .symbol:         _ZN9rocsolver6v33100L18getri_kernel_smallILi42EdPdEEvT1_iilPiilS4_bb.kd
    .uniform_work_group_size: 1
    .uses_dynamic_stack: false
    .vgpr_count:     126
    .vgpr_spill_count: 0
    .wavefront_size: 64
  - .agpr_count:     0
    .args:
      - .address_space:  global
        .offset:         0
        .size:           8
        .value_kind:     global_buffer
      - .offset:         8
        .size:           4
        .value_kind:     by_value
      - .offset:         12
        .size:           4
        .value_kind:     by_value
      - .offset:         16
        .size:           8
        .value_kind:     by_value
      - .address_space:  global
        .offset:         24
        .size:           8
        .value_kind:     global_buffer
      - .offset:         32
        .size:           4
        .value_kind:     by_value
      - .offset:         40
        .size:           8
        .value_kind:     by_value
      - .address_space:  global
        .offset:         48
        .size:           8
        .value_kind:     global_buffer
      - .offset:         56
        .size:           1
        .value_kind:     by_value
      - .offset:         57
        .size:           1
        .value_kind:     by_value
    .group_segment_fixed_size: 696
    .kernarg_segment_align: 8
    .kernarg_segment_size: 60
    .language:       OpenCL C
    .language_version:
      - 2
      - 0
    .max_flat_workgroup_size: 64
    .name:           _ZN9rocsolver6v33100L18getri_kernel_smallILi43EdPdEEvT1_iilPiilS4_bb
    .private_segment_fixed_size: 352
    .sgpr_count:     29
    .sgpr_spill_count: 0
    .symbol:         _ZN9rocsolver6v33100L18getri_kernel_smallILi43EdPdEEvT1_iilPiilS4_bb.kd
    .uniform_work_group_size: 1
    .uses_dynamic_stack: false
    .vgpr_count:     124
    .vgpr_spill_count: 0
    .wavefront_size: 64
  - .agpr_count:     0
    .args:
      - .address_space:  global
        .offset:         0
        .size:           8
        .value_kind:     global_buffer
      - .offset:         8
        .size:           4
        .value_kind:     by_value
      - .offset:         12
        .size:           4
        .value_kind:     by_value
      - .offset:         16
        .size:           8
        .value_kind:     by_value
      - .address_space:  global
        .offset:         24
        .size:           8
        .value_kind:     global_buffer
      - .offset:         32
        .size:           4
        .value_kind:     by_value
      - .offset:         40
        .size:           8
        .value_kind:     by_value
      - .address_space:  global
        .offset:         48
        .size:           8
        .value_kind:     global_buffer
      - .offset:         56
        .size:           1
        .value_kind:     by_value
      - .offset:         57
        .size:           1
        .value_kind:     by_value
    .group_segment_fixed_size: 712
    .kernarg_segment_align: 8
    .kernarg_segment_size: 60
    .language:       OpenCL C
    .language_version:
      - 2
      - 0
    .max_flat_workgroup_size: 64
    .name:           _ZN9rocsolver6v33100L18getri_kernel_smallILi44EdPdEEvT1_iilPiilS4_bb
    .private_segment_fixed_size: 368
    .sgpr_count:     29
    .sgpr_spill_count: 0
    .symbol:         _ZN9rocsolver6v33100L18getri_kernel_smallILi44EdPdEEvT1_iilPiilS4_bb.kd
    .uniform_work_group_size: 1
    .uses_dynamic_stack: false
    .vgpr_count:     126
    .vgpr_spill_count: 0
    .wavefront_size: 64
  - .agpr_count:     0
    .args:
      - .address_space:  global
        .offset:         0
        .size:           8
        .value_kind:     global_buffer
      - .offset:         8
        .size:           4
        .value_kind:     by_value
      - .offset:         12
        .size:           4
        .value_kind:     by_value
      - .offset:         16
        .size:           8
        .value_kind:     by_value
      - .address_space:  global
        .offset:         24
        .size:           8
        .value_kind:     global_buffer
      - .offset:         32
        .size:           4
        .value_kind:     by_value
      - .offset:         40
        .size:           8
        .value_kind:     by_value
      - .address_space:  global
        .offset:         48
        .size:           8
        .value_kind:     global_buffer
      - .offset:         56
        .size:           1
        .value_kind:     by_value
      - .offset:         57
        .size:           1
        .value_kind:     by_value
    .group_segment_fixed_size: 728
    .kernarg_segment_align: 8
    .kernarg_segment_size: 60
    .language:       OpenCL C
    .language_version:
      - 2
      - 0
    .max_flat_workgroup_size: 64
    .name:           _ZN9rocsolver6v33100L18getri_kernel_smallILi45EdPdEEvT1_iilPiilS4_bb
    .private_segment_fixed_size: 368
    .sgpr_count:     29
    .sgpr_spill_count: 0
    .symbol:         _ZN9rocsolver6v33100L18getri_kernel_smallILi45EdPdEEvT1_iilPiilS4_bb.kd
    .uniform_work_group_size: 1
    .uses_dynamic_stack: false
    .vgpr_count:     128
    .vgpr_spill_count: 0
    .wavefront_size: 64
  - .agpr_count:     0
    .args:
      - .address_space:  global
        .offset:         0
        .size:           8
        .value_kind:     global_buffer
      - .offset:         8
        .size:           4
        .value_kind:     by_value
      - .offset:         12
        .size:           4
        .value_kind:     by_value
      - .offset:         16
        .size:           8
        .value_kind:     by_value
      - .address_space:  global
        .offset:         24
        .size:           8
        .value_kind:     global_buffer
      - .offset:         32
        .size:           4
        .value_kind:     by_value
      - .offset:         40
        .size:           8
        .value_kind:     by_value
      - .address_space:  global
        .offset:         48
        .size:           8
        .value_kind:     global_buffer
      - .offset:         56
        .size:           1
        .value_kind:     by_value
      - .offset:         57
        .size:           1
        .value_kind:     by_value
    .group_segment_fixed_size: 744
    .kernarg_segment_align: 8
    .kernarg_segment_size: 60
    .language:       OpenCL C
    .language_version:
      - 2
      - 0
    .max_flat_workgroup_size: 64
    .name:           _ZN9rocsolver6v33100L18getri_kernel_smallILi46EdPdEEvT1_iilPiilS4_bb
    .private_segment_fixed_size: 384
    .sgpr_count:     29
    .sgpr_spill_count: 0
    .symbol:         _ZN9rocsolver6v33100L18getri_kernel_smallILi46EdPdEEvT1_iilPiilS4_bb.kd
    .uniform_work_group_size: 1
    .uses_dynamic_stack: false
    .vgpr_count:     166
    .vgpr_spill_count: 0
    .wavefront_size: 64
  - .agpr_count:     0
    .args:
      - .address_space:  global
        .offset:         0
        .size:           8
        .value_kind:     global_buffer
      - .offset:         8
        .size:           4
        .value_kind:     by_value
      - .offset:         12
        .size:           4
        .value_kind:     by_value
      - .offset:         16
        .size:           8
        .value_kind:     by_value
      - .address_space:  global
        .offset:         24
        .size:           8
        .value_kind:     global_buffer
      - .offset:         32
        .size:           4
        .value_kind:     by_value
      - .offset:         40
        .size:           8
        .value_kind:     by_value
      - .address_space:  global
        .offset:         48
        .size:           8
        .value_kind:     global_buffer
      - .offset:         56
        .size:           1
        .value_kind:     by_value
      - .offset:         57
        .size:           1
        .value_kind:     by_value
    .group_segment_fixed_size: 760
    .kernarg_segment_align: 8
    .kernarg_segment_size: 60
    .language:       OpenCL C
    .language_version:
      - 2
      - 0
    .max_flat_workgroup_size: 64
    .name:           _ZN9rocsolver6v33100L18getri_kernel_smallILi47EdPdEEvT1_iilPiilS4_bb
    .private_segment_fixed_size: 384
    .sgpr_count:     29
    .sgpr_spill_count: 0
    .symbol:         _ZN9rocsolver6v33100L18getri_kernel_smallILi47EdPdEEvT1_iilPiilS4_bb.kd
    .uniform_work_group_size: 1
    .uses_dynamic_stack: false
    .vgpr_count:     164
    .vgpr_spill_count: 0
    .wavefront_size: 64
  - .agpr_count:     0
    .args:
      - .address_space:  global
        .offset:         0
        .size:           8
        .value_kind:     global_buffer
      - .offset:         8
        .size:           4
        .value_kind:     by_value
      - .offset:         12
        .size:           4
        .value_kind:     by_value
      - .offset:         16
        .size:           8
        .value_kind:     by_value
      - .address_space:  global
        .offset:         24
        .size:           8
        .value_kind:     global_buffer
      - .offset:         32
        .size:           4
        .value_kind:     by_value
      - .offset:         40
        .size:           8
        .value_kind:     by_value
      - .address_space:  global
        .offset:         48
        .size:           8
        .value_kind:     global_buffer
      - .offset:         56
        .size:           1
        .value_kind:     by_value
      - .offset:         57
        .size:           1
        .value_kind:     by_value
    .group_segment_fixed_size: 776
    .kernarg_segment_align: 8
    .kernarg_segment_size: 60
    .language:       OpenCL C
    .language_version:
      - 2
      - 0
    .max_flat_workgroup_size: 64
    .name:           _ZN9rocsolver6v33100L18getri_kernel_smallILi48EdPdEEvT1_iilPiilS4_bb
    .private_segment_fixed_size: 400
    .sgpr_count:     29
    .sgpr_spill_count: 0
    .symbol:         _ZN9rocsolver6v33100L18getri_kernel_smallILi48EdPdEEvT1_iilPiilS4_bb.kd
    .uniform_work_group_size: 1
    .uses_dynamic_stack: false
    .vgpr_count:     166
    .vgpr_spill_count: 0
    .wavefront_size: 64
  - .agpr_count:     0
    .args:
      - .address_space:  global
        .offset:         0
        .size:           8
        .value_kind:     global_buffer
      - .offset:         8
        .size:           4
        .value_kind:     by_value
      - .offset:         12
        .size:           4
        .value_kind:     by_value
      - .offset:         16
        .size:           8
        .value_kind:     by_value
      - .address_space:  global
        .offset:         24
        .size:           8
        .value_kind:     global_buffer
      - .offset:         32
        .size:           4
        .value_kind:     by_value
      - .offset:         40
        .size:           8
        .value_kind:     by_value
      - .address_space:  global
        .offset:         48
        .size:           8
        .value_kind:     global_buffer
      - .offset:         56
        .size:           1
        .value_kind:     by_value
      - .offset:         57
        .size:           1
        .value_kind:     by_value
    .group_segment_fixed_size: 792
    .kernarg_segment_align: 8
    .kernarg_segment_size: 60
    .language:       OpenCL C
    .language_version:
      - 2
      - 0
    .max_flat_workgroup_size: 64
    .name:           _ZN9rocsolver6v33100L18getri_kernel_smallILi49EdPdEEvT1_iilPiilS4_bb
    .private_segment_fixed_size: 400
    .sgpr_count:     29
    .sgpr_spill_count: 0
    .symbol:         _ZN9rocsolver6v33100L18getri_kernel_smallILi49EdPdEEvT1_iilPiilS4_bb.kd
    .uniform_work_group_size: 1
    .uses_dynamic_stack: false
    .vgpr_count:     168
    .vgpr_spill_count: 0
    .wavefront_size: 64
  - .agpr_count:     0
    .args:
      - .address_space:  global
        .offset:         0
        .size:           8
        .value_kind:     global_buffer
      - .offset:         8
        .size:           4
        .value_kind:     by_value
      - .offset:         12
        .size:           4
        .value_kind:     by_value
      - .offset:         16
        .size:           8
        .value_kind:     by_value
      - .address_space:  global
        .offset:         24
        .size:           8
        .value_kind:     global_buffer
      - .offset:         32
        .size:           4
        .value_kind:     by_value
      - .offset:         40
        .size:           8
        .value_kind:     by_value
      - .address_space:  global
        .offset:         48
        .size:           8
        .value_kind:     global_buffer
      - .offset:         56
        .size:           1
        .value_kind:     by_value
      - .offset:         57
        .size:           1
        .value_kind:     by_value
    .group_segment_fixed_size: 808
    .kernarg_segment_align: 8
    .kernarg_segment_size: 60
    .language:       OpenCL C
    .language_version:
      - 2
      - 0
    .max_flat_workgroup_size: 64
    .name:           _ZN9rocsolver6v33100L18getri_kernel_smallILi50EdPdEEvT1_iilPiilS4_bb
    .private_segment_fixed_size: 416
    .sgpr_count:     29
    .sgpr_spill_count: 0
    .symbol:         _ZN9rocsolver6v33100L18getri_kernel_smallILi50EdPdEEvT1_iilPiilS4_bb.kd
    .uniform_work_group_size: 1
    .uses_dynamic_stack: false
    .vgpr_count:     166
    .vgpr_spill_count: 0
    .wavefront_size: 64
  - .agpr_count:     0
    .args:
      - .address_space:  global
        .offset:         0
        .size:           8
        .value_kind:     global_buffer
      - .offset:         8
        .size:           4
        .value_kind:     by_value
      - .offset:         12
        .size:           4
        .value_kind:     by_value
      - .offset:         16
        .size:           8
        .value_kind:     by_value
      - .address_space:  global
        .offset:         24
        .size:           8
        .value_kind:     global_buffer
      - .offset:         32
        .size:           4
        .value_kind:     by_value
      - .offset:         40
        .size:           8
        .value_kind:     by_value
      - .address_space:  global
        .offset:         48
        .size:           8
        .value_kind:     global_buffer
      - .offset:         56
        .size:           1
        .value_kind:     by_value
      - .offset:         57
        .size:           1
        .value_kind:     by_value
    .group_segment_fixed_size: 824
    .kernarg_segment_align: 8
    .kernarg_segment_size: 60
    .language:       OpenCL C
    .language_version:
      - 2
      - 0
    .max_flat_workgroup_size: 64
    .name:           _ZN9rocsolver6v33100L18getri_kernel_smallILi51EdPdEEvT1_iilPiilS4_bb
    .private_segment_fixed_size: 416
    .sgpr_count:     29
    .sgpr_spill_count: 0
    .symbol:         _ZN9rocsolver6v33100L18getri_kernel_smallILi51EdPdEEvT1_iilPiilS4_bb.kd
    .uniform_work_group_size: 1
    .uses_dynamic_stack: false
    .vgpr_count:     164
    .vgpr_spill_count: 0
    .wavefront_size: 64
  - .agpr_count:     0
    .args:
      - .address_space:  global
        .offset:         0
        .size:           8
        .value_kind:     global_buffer
      - .offset:         8
        .size:           4
        .value_kind:     by_value
      - .offset:         12
        .size:           4
        .value_kind:     by_value
      - .offset:         16
        .size:           8
        .value_kind:     by_value
      - .address_space:  global
        .offset:         24
        .size:           8
        .value_kind:     global_buffer
      - .offset:         32
        .size:           4
        .value_kind:     by_value
      - .offset:         40
        .size:           8
        .value_kind:     by_value
      - .address_space:  global
        .offset:         48
        .size:           8
        .value_kind:     global_buffer
      - .offset:         56
        .size:           1
        .value_kind:     by_value
      - .offset:         57
        .size:           1
        .value_kind:     by_value
    .group_segment_fixed_size: 840
    .kernarg_segment_align: 8
    .kernarg_segment_size: 60
    .language:       OpenCL C
    .language_version:
      - 2
      - 0
    .max_flat_workgroup_size: 64
    .name:           _ZN9rocsolver6v33100L18getri_kernel_smallILi52EdPdEEvT1_iilPiilS4_bb
    .private_segment_fixed_size: 432
    .sgpr_count:     29
    .sgpr_spill_count: 0
    .symbol:         _ZN9rocsolver6v33100L18getri_kernel_smallILi52EdPdEEvT1_iilPiilS4_bb.kd
    .uniform_work_group_size: 1
    .uses_dynamic_stack: false
    .vgpr_count:     166
    .vgpr_spill_count: 0
    .wavefront_size: 64
  - .agpr_count:     0
    .args:
      - .address_space:  global
        .offset:         0
        .size:           8
        .value_kind:     global_buffer
      - .offset:         8
        .size:           4
        .value_kind:     by_value
      - .offset:         12
        .size:           4
        .value_kind:     by_value
      - .offset:         16
        .size:           8
        .value_kind:     by_value
      - .address_space:  global
        .offset:         24
        .size:           8
        .value_kind:     global_buffer
      - .offset:         32
        .size:           4
        .value_kind:     by_value
      - .offset:         40
        .size:           8
        .value_kind:     by_value
      - .address_space:  global
        .offset:         48
        .size:           8
        .value_kind:     global_buffer
      - .offset:         56
        .size:           1
        .value_kind:     by_value
      - .offset:         57
        .size:           1
        .value_kind:     by_value
    .group_segment_fixed_size: 856
    .kernarg_segment_align: 8
    .kernarg_segment_size: 60
    .language:       OpenCL C
    .language_version:
      - 2
      - 0
    .max_flat_workgroup_size: 64
    .name:           _ZN9rocsolver6v33100L18getri_kernel_smallILi53EdPdEEvT1_iilPiilS4_bb
    .private_segment_fixed_size: 432
    .sgpr_count:     29
    .sgpr_spill_count: 0
    .symbol:         _ZN9rocsolver6v33100L18getri_kernel_smallILi53EdPdEEvT1_iilPiilS4_bb.kd
    .uniform_work_group_size: 1
    .uses_dynamic_stack: false
    .vgpr_count:     168
    .vgpr_spill_count: 0
    .wavefront_size: 64
  - .agpr_count:     0
    .args:
      - .address_space:  global
        .offset:         0
        .size:           8
        .value_kind:     global_buffer
      - .offset:         8
        .size:           4
        .value_kind:     by_value
      - .offset:         12
        .size:           4
        .value_kind:     by_value
      - .offset:         16
        .size:           8
        .value_kind:     by_value
      - .address_space:  global
        .offset:         24
        .size:           8
        .value_kind:     global_buffer
      - .offset:         32
        .size:           4
        .value_kind:     by_value
      - .offset:         40
        .size:           8
        .value_kind:     by_value
      - .address_space:  global
        .offset:         48
        .size:           8
        .value_kind:     global_buffer
      - .offset:         56
        .size:           1
        .value_kind:     by_value
      - .offset:         57
        .size:           1
        .value_kind:     by_value
    .group_segment_fixed_size: 872
    .kernarg_segment_align: 8
    .kernarg_segment_size: 60
    .language:       OpenCL C
    .language_version:
      - 2
      - 0
    .max_flat_workgroup_size: 64
    .name:           _ZN9rocsolver6v33100L18getri_kernel_smallILi54EdPdEEvT1_iilPiilS4_bb
    .private_segment_fixed_size: 448
    .sgpr_count:     29
    .sgpr_spill_count: 0
    .symbol:         _ZN9rocsolver6v33100L18getri_kernel_smallILi54EdPdEEvT1_iilPiilS4_bb.kd
    .uniform_work_group_size: 1
    .uses_dynamic_stack: false
    .vgpr_count:     166
    .vgpr_spill_count: 0
    .wavefront_size: 64
  - .agpr_count:     0
    .args:
      - .address_space:  global
        .offset:         0
        .size:           8
        .value_kind:     global_buffer
      - .offset:         8
        .size:           4
        .value_kind:     by_value
      - .offset:         12
        .size:           4
        .value_kind:     by_value
      - .offset:         16
        .size:           8
        .value_kind:     by_value
      - .address_space:  global
        .offset:         24
        .size:           8
        .value_kind:     global_buffer
      - .offset:         32
        .size:           4
        .value_kind:     by_value
      - .offset:         40
        .size:           8
        .value_kind:     by_value
      - .address_space:  global
        .offset:         48
        .size:           8
        .value_kind:     global_buffer
      - .offset:         56
        .size:           1
        .value_kind:     by_value
      - .offset:         57
        .size:           1
        .value_kind:     by_value
    .group_segment_fixed_size: 888
    .kernarg_segment_align: 8
    .kernarg_segment_size: 60
    .language:       OpenCL C
    .language_version:
      - 2
      - 0
    .max_flat_workgroup_size: 64
    .name:           _ZN9rocsolver6v33100L18getri_kernel_smallILi55EdPdEEvT1_iilPiilS4_bb
    .private_segment_fixed_size: 448
    .sgpr_count:     29
    .sgpr_spill_count: 0
    .symbol:         _ZN9rocsolver6v33100L18getri_kernel_smallILi55EdPdEEvT1_iilPiilS4_bb.kd
    .uniform_work_group_size: 1
    .uses_dynamic_stack: false
    .vgpr_count:     164
    .vgpr_spill_count: 0
    .wavefront_size: 64
  - .agpr_count:     0
    .args:
      - .address_space:  global
        .offset:         0
        .size:           8
        .value_kind:     global_buffer
      - .offset:         8
        .size:           4
        .value_kind:     by_value
      - .offset:         12
        .size:           4
        .value_kind:     by_value
      - .offset:         16
        .size:           8
        .value_kind:     by_value
      - .address_space:  global
        .offset:         24
        .size:           8
        .value_kind:     global_buffer
      - .offset:         32
        .size:           4
        .value_kind:     by_value
      - .offset:         40
        .size:           8
        .value_kind:     by_value
      - .address_space:  global
        .offset:         48
        .size:           8
        .value_kind:     global_buffer
      - .offset:         56
        .size:           1
        .value_kind:     by_value
      - .offset:         57
        .size:           1
        .value_kind:     by_value
    .group_segment_fixed_size: 904
    .kernarg_segment_align: 8
    .kernarg_segment_size: 60
    .language:       OpenCL C
    .language_version:
      - 2
      - 0
    .max_flat_workgroup_size: 64
    .name:           _ZN9rocsolver6v33100L18getri_kernel_smallILi56EdPdEEvT1_iilPiilS4_bb
    .private_segment_fixed_size: 464
    .sgpr_count:     29
    .sgpr_spill_count: 0
    .symbol:         _ZN9rocsolver6v33100L18getri_kernel_smallILi56EdPdEEvT1_iilPiilS4_bb.kd
    .uniform_work_group_size: 1
    .uses_dynamic_stack: false
    .vgpr_count:     166
    .vgpr_spill_count: 0
    .wavefront_size: 64
  - .agpr_count:     0
    .args:
      - .address_space:  global
        .offset:         0
        .size:           8
        .value_kind:     global_buffer
      - .offset:         8
        .size:           4
        .value_kind:     by_value
      - .offset:         12
        .size:           4
        .value_kind:     by_value
      - .offset:         16
        .size:           8
        .value_kind:     by_value
      - .address_space:  global
        .offset:         24
        .size:           8
        .value_kind:     global_buffer
      - .offset:         32
        .size:           4
        .value_kind:     by_value
      - .offset:         40
        .size:           8
        .value_kind:     by_value
      - .address_space:  global
        .offset:         48
        .size:           8
        .value_kind:     global_buffer
      - .offset:         56
        .size:           1
        .value_kind:     by_value
      - .offset:         57
        .size:           1
        .value_kind:     by_value
    .group_segment_fixed_size: 920
    .kernarg_segment_align: 8
    .kernarg_segment_size: 60
    .language:       OpenCL C
    .language_version:
      - 2
      - 0
    .max_flat_workgroup_size: 64
    .name:           _ZN9rocsolver6v33100L18getri_kernel_smallILi57EdPdEEvT1_iilPiilS4_bb
    .private_segment_fixed_size: 464
    .sgpr_count:     29
    .sgpr_spill_count: 0
    .symbol:         _ZN9rocsolver6v33100L18getri_kernel_smallILi57EdPdEEvT1_iilPiilS4_bb.kd
    .uniform_work_group_size: 1
    .uses_dynamic_stack: false
    .vgpr_count:     168
    .vgpr_spill_count: 0
    .wavefront_size: 64
  - .agpr_count:     0
    .args:
      - .address_space:  global
        .offset:         0
        .size:           8
        .value_kind:     global_buffer
      - .offset:         8
        .size:           4
        .value_kind:     by_value
      - .offset:         12
        .size:           4
        .value_kind:     by_value
      - .offset:         16
        .size:           8
        .value_kind:     by_value
      - .address_space:  global
        .offset:         24
        .size:           8
        .value_kind:     global_buffer
      - .offset:         32
        .size:           4
        .value_kind:     by_value
      - .offset:         40
        .size:           8
        .value_kind:     by_value
      - .address_space:  global
        .offset:         48
        .size:           8
        .value_kind:     global_buffer
      - .offset:         56
        .size:           1
        .value_kind:     by_value
      - .offset:         57
        .size:           1
        .value_kind:     by_value
    .group_segment_fixed_size: 936
    .kernarg_segment_align: 8
    .kernarg_segment_size: 60
    .language:       OpenCL C
    .language_version:
      - 2
      - 0
    .max_flat_workgroup_size: 64
    .name:           _ZN9rocsolver6v33100L18getri_kernel_smallILi58EdPdEEvT1_iilPiilS4_bb
    .private_segment_fixed_size: 480
    .sgpr_count:     29
    .sgpr_spill_count: 0
    .symbol:         _ZN9rocsolver6v33100L18getri_kernel_smallILi58EdPdEEvT1_iilPiilS4_bb.kd
    .uniform_work_group_size: 1
    .uses_dynamic_stack: false
    .vgpr_count:     166
    .vgpr_spill_count: 0
    .wavefront_size: 64
  - .agpr_count:     0
    .args:
      - .address_space:  global
        .offset:         0
        .size:           8
        .value_kind:     global_buffer
      - .offset:         8
        .size:           4
        .value_kind:     by_value
      - .offset:         12
        .size:           4
        .value_kind:     by_value
      - .offset:         16
        .size:           8
        .value_kind:     by_value
      - .address_space:  global
        .offset:         24
        .size:           8
        .value_kind:     global_buffer
      - .offset:         32
        .size:           4
        .value_kind:     by_value
      - .offset:         40
        .size:           8
        .value_kind:     by_value
      - .address_space:  global
        .offset:         48
        .size:           8
        .value_kind:     global_buffer
      - .offset:         56
        .size:           1
        .value_kind:     by_value
      - .offset:         57
        .size:           1
        .value_kind:     by_value
    .group_segment_fixed_size: 952
    .kernarg_segment_align: 8
    .kernarg_segment_size: 60
    .language:       OpenCL C
    .language_version:
      - 2
      - 0
    .max_flat_workgroup_size: 64
    .name:           _ZN9rocsolver6v33100L18getri_kernel_smallILi59EdPdEEvT1_iilPiilS4_bb
    .private_segment_fixed_size: 480
    .sgpr_count:     29
    .sgpr_spill_count: 0
    .symbol:         _ZN9rocsolver6v33100L18getri_kernel_smallILi59EdPdEEvT1_iilPiilS4_bb.kd
    .uniform_work_group_size: 1
    .uses_dynamic_stack: false
    .vgpr_count:     166
    .vgpr_spill_count: 0
    .wavefront_size: 64
  - .agpr_count:     0
    .args:
      - .address_space:  global
        .offset:         0
        .size:           8
        .value_kind:     global_buffer
      - .offset:         8
        .size:           4
        .value_kind:     by_value
      - .offset:         12
        .size:           4
        .value_kind:     by_value
      - .offset:         16
        .size:           8
        .value_kind:     by_value
      - .address_space:  global
        .offset:         24
        .size:           8
        .value_kind:     global_buffer
      - .offset:         32
        .size:           4
        .value_kind:     by_value
      - .offset:         40
        .size:           8
        .value_kind:     by_value
      - .address_space:  global
        .offset:         48
        .size:           8
        .value_kind:     global_buffer
      - .offset:         56
        .size:           1
        .value_kind:     by_value
      - .offset:         57
        .size:           1
        .value_kind:     by_value
    .group_segment_fixed_size: 968
    .kernarg_segment_align: 8
    .kernarg_segment_size: 60
    .language:       OpenCL C
    .language_version:
      - 2
      - 0
    .max_flat_workgroup_size: 64
    .name:           _ZN9rocsolver6v33100L18getri_kernel_smallILi60EdPdEEvT1_iilPiilS4_bb
    .private_segment_fixed_size: 496
    .sgpr_count:     29
    .sgpr_spill_count: 0
    .symbol:         _ZN9rocsolver6v33100L18getri_kernel_smallILi60EdPdEEvT1_iilPiilS4_bb.kd
    .uniform_work_group_size: 1
    .uses_dynamic_stack: false
    .vgpr_count:     168
    .vgpr_spill_count: 0
    .wavefront_size: 64
  - .agpr_count:     0
    .args:
      - .address_space:  global
        .offset:         0
        .size:           8
        .value_kind:     global_buffer
      - .offset:         8
        .size:           4
        .value_kind:     by_value
      - .offset:         12
        .size:           4
        .value_kind:     by_value
      - .offset:         16
        .size:           8
        .value_kind:     by_value
      - .address_space:  global
        .offset:         24
        .size:           8
        .value_kind:     global_buffer
      - .offset:         32
        .size:           4
        .value_kind:     by_value
      - .offset:         40
        .size:           8
        .value_kind:     by_value
      - .address_space:  global
        .offset:         48
        .size:           8
        .value_kind:     global_buffer
      - .offset:         56
        .size:           1
        .value_kind:     by_value
      - .offset:         57
        .size:           1
        .value_kind:     by_value
    .group_segment_fixed_size: 984
    .kernarg_segment_align: 8
    .kernarg_segment_size: 60
    .language:       OpenCL C
    .language_version:
      - 2
      - 0
    .max_flat_workgroup_size: 64
    .name:           _ZN9rocsolver6v33100L18getri_kernel_smallILi61EdPdEEvT1_iilPiilS4_bb
    .private_segment_fixed_size: 496
    .sgpr_count:     29
    .sgpr_spill_count: 0
    .symbol:         _ZN9rocsolver6v33100L18getri_kernel_smallILi61EdPdEEvT1_iilPiilS4_bb.kd
    .uniform_work_group_size: 1
    .uses_dynamic_stack: false
    .vgpr_count:     168
    .vgpr_spill_count: 0
    .wavefront_size: 64
  - .agpr_count:     0
    .args:
      - .address_space:  global
        .offset:         0
        .size:           8
        .value_kind:     global_buffer
      - .offset:         8
        .size:           4
        .value_kind:     by_value
      - .offset:         12
        .size:           4
        .value_kind:     by_value
      - .offset:         16
        .size:           8
        .value_kind:     by_value
      - .address_space:  global
        .offset:         24
        .size:           8
        .value_kind:     global_buffer
      - .offset:         32
        .size:           4
        .value_kind:     by_value
      - .offset:         40
        .size:           8
        .value_kind:     by_value
      - .address_space:  global
        .offset:         48
        .size:           8
        .value_kind:     global_buffer
      - .offset:         56
        .size:           1
        .value_kind:     by_value
      - .offset:         57
        .size:           1
        .value_kind:     by_value
    .group_segment_fixed_size: 1000
    .kernarg_segment_align: 8
    .kernarg_segment_size: 60
    .language:       OpenCL C
    .language_version:
      - 2
      - 0
    .max_flat_workgroup_size: 64
    .name:           _ZN9rocsolver6v33100L18getri_kernel_smallILi62EdPdEEvT1_iilPiilS4_bb
    .private_segment_fixed_size: 512
    .sgpr_count:     29
    .sgpr_spill_count: 0
    .symbol:         _ZN9rocsolver6v33100L18getri_kernel_smallILi62EdPdEEvT1_iilPiilS4_bb.kd
    .uniform_work_group_size: 1
    .uses_dynamic_stack: false
    .vgpr_count:     168
    .vgpr_spill_count: 0
    .wavefront_size: 64
  - .agpr_count:     0
    .args:
      - .address_space:  global
        .offset:         0
        .size:           8
        .value_kind:     global_buffer
      - .offset:         8
        .size:           4
        .value_kind:     by_value
      - .offset:         12
        .size:           4
        .value_kind:     by_value
      - .offset:         16
        .size:           8
        .value_kind:     by_value
      - .address_space:  global
        .offset:         24
        .size:           8
        .value_kind:     global_buffer
      - .offset:         32
        .size:           4
        .value_kind:     by_value
      - .offset:         40
        .size:           8
        .value_kind:     by_value
      - .address_space:  global
        .offset:         48
        .size:           8
        .value_kind:     global_buffer
      - .offset:         56
        .size:           1
        .value_kind:     by_value
      - .offset:         57
        .size:           1
        .value_kind:     by_value
    .group_segment_fixed_size: 1016
    .kernarg_segment_align: 8
    .kernarg_segment_size: 60
    .language:       OpenCL C
    .language_version:
      - 2
      - 0
    .max_flat_workgroup_size: 64
    .name:           _ZN9rocsolver6v33100L18getri_kernel_smallILi63EdPdEEvT1_iilPiilS4_bb
    .private_segment_fixed_size: 512
    .sgpr_count:     29
    .sgpr_spill_count: 0
    .symbol:         _ZN9rocsolver6v33100L18getri_kernel_smallILi63EdPdEEvT1_iilPiilS4_bb.kd
    .uniform_work_group_size: 1
    .uses_dynamic_stack: false
    .vgpr_count:     164
    .vgpr_spill_count: 0
    .wavefront_size: 64
  - .agpr_count:     0
    .args:
      - .address_space:  global
        .offset:         0
        .size:           8
        .value_kind:     global_buffer
      - .offset:         8
        .size:           4
        .value_kind:     by_value
      - .offset:         12
        .size:           4
        .value_kind:     by_value
      - .offset:         16
        .size:           8
        .value_kind:     by_value
      - .address_space:  global
        .offset:         24
        .size:           8
        .value_kind:     global_buffer
      - .offset:         32
        .size:           4
        .value_kind:     by_value
      - .offset:         40
        .size:           8
        .value_kind:     by_value
      - .address_space:  global
        .offset:         48
        .size:           8
        .value_kind:     global_buffer
      - .offset:         56
        .size:           1
        .value_kind:     by_value
      - .offset:         57
        .size:           1
        .value_kind:     by_value
    .group_segment_fixed_size: 1032
    .kernarg_segment_align: 8
    .kernarg_segment_size: 60
    .language:       OpenCL C
    .language_version:
      - 2
      - 0
    .max_flat_workgroup_size: 64
    .name:           _ZN9rocsolver6v33100L18getri_kernel_smallILi64EdPdEEvT1_iilPiilS4_bb
    .private_segment_fixed_size: 528
    .sgpr_count:     29
    .sgpr_spill_count: 0
    .symbol:         _ZN9rocsolver6v33100L18getri_kernel_smallILi64EdPdEEvT1_iilPiilS4_bb.kd
    .uniform_work_group_size: 1
    .uses_dynamic_stack: false
    .vgpr_count:     166
    .vgpr_spill_count: 0
    .wavefront_size: 64
  - .agpr_count:     0
    .args:
      - .address_space:  global
        .offset:         0
        .size:           8
        .value_kind:     global_buffer
      - .offset:         8
        .size:           4
        .value_kind:     by_value
      - .offset:         12
        .size:           4
        .value_kind:     by_value
      - .offset:         16
        .size:           8
        .value_kind:     by_value
      - .address_space:  global
        .offset:         24
        .size:           8
        .value_kind:     global_buffer
      - .offset:         32
        .size:           4
        .value_kind:     by_value
      - .offset:         40
        .size:           8
        .value_kind:     by_value
      - .address_space:  global
        .offset:         48
        .size:           8
        .value_kind:     global_buffer
      - .offset:         56
        .size:           1
        .value_kind:     by_value
      - .offset:         57
        .size:           1
        .value_kind:     by_value
    .group_segment_fixed_size: 4
    .kernarg_segment_align: 8
    .kernarg_segment_size: 60
    .language:       OpenCL C
    .language_version:
      - 2
      - 0
    .max_flat_workgroup_size: 64
    .name:           _ZN9rocsolver6v33100L18getri_kernel_smallILi1EdPKPdEEvT1_iilPiilS6_bb
    .private_segment_fixed_size: 0
    .sgpr_count:     18
    .sgpr_spill_count: 0
    .symbol:         _ZN9rocsolver6v33100L18getri_kernel_smallILi1EdPKPdEEvT1_iilPiilS6_bb.kd
    .uniform_work_group_size: 1
    .uses_dynamic_stack: false
    .vgpr_count:     8
    .vgpr_spill_count: 0
    .wavefront_size: 64
  - .agpr_count:     0
    .args:
      - .address_space:  global
        .offset:         0
        .size:           8
        .value_kind:     global_buffer
      - .offset:         8
        .size:           4
        .value_kind:     by_value
      - .offset:         12
        .size:           4
        .value_kind:     by_value
      - .offset:         16
        .size:           8
        .value_kind:     by_value
      - .address_space:  global
        .offset:         24
        .size:           8
        .value_kind:     global_buffer
      - .offset:         32
        .size:           4
        .value_kind:     by_value
      - .offset:         40
        .size:           8
        .value_kind:     by_value
      - .address_space:  global
        .offset:         48
        .size:           8
        .value_kind:     global_buffer
      - .offset:         56
        .size:           1
        .value_kind:     by_value
      - .offset:         57
        .size:           1
        .value_kind:     by_value
    .group_segment_fixed_size: 40
    .kernarg_segment_align: 8
    .kernarg_segment_size: 60
    .language:       OpenCL C
    .language_version:
      - 2
      - 0
    .max_flat_workgroup_size: 64
    .name:           _ZN9rocsolver6v33100L18getri_kernel_smallILi2EdPKPdEEvT1_iilPiilS6_bb
    .private_segment_fixed_size: 0
    .sgpr_count:     22
    .sgpr_spill_count: 0
    .symbol:         _ZN9rocsolver6v33100L18getri_kernel_smallILi2EdPKPdEEvT1_iilPiilS6_bb.kd
    .uniform_work_group_size: 1
    .uses_dynamic_stack: false
    .vgpr_count:     20
    .vgpr_spill_count: 0
    .wavefront_size: 64
  - .agpr_count:     0
    .args:
      - .address_space:  global
        .offset:         0
        .size:           8
        .value_kind:     global_buffer
      - .offset:         8
        .size:           4
        .value_kind:     by_value
      - .offset:         12
        .size:           4
        .value_kind:     by_value
      - .offset:         16
        .size:           8
        .value_kind:     by_value
      - .address_space:  global
        .offset:         24
        .size:           8
        .value_kind:     global_buffer
      - .offset:         32
        .size:           4
        .value_kind:     by_value
      - .offset:         40
        .size:           8
        .value_kind:     by_value
      - .address_space:  global
        .offset:         48
        .size:           8
        .value_kind:     global_buffer
      - .offset:         56
        .size:           1
        .value_kind:     by_value
      - .offset:         57
        .size:           1
        .value_kind:     by_value
    .group_segment_fixed_size: 56
    .kernarg_segment_align: 8
    .kernarg_segment_size: 60
    .language:       OpenCL C
    .language_version:
      - 2
      - 0
    .max_flat_workgroup_size: 64
    .name:           _ZN9rocsolver6v33100L18getri_kernel_smallILi3EdPKPdEEvT1_iilPiilS6_bb
    .private_segment_fixed_size: 0
    .sgpr_count:     22
    .sgpr_spill_count: 0
    .symbol:         _ZN9rocsolver6v33100L18getri_kernel_smallILi3EdPKPdEEvT1_iilPiilS6_bb.kd
    .uniform_work_group_size: 1
    .uses_dynamic_stack: false
    .vgpr_count:     24
    .vgpr_spill_count: 0
    .wavefront_size: 64
  - .agpr_count:     0
    .args:
      - .address_space:  global
        .offset:         0
        .size:           8
        .value_kind:     global_buffer
      - .offset:         8
        .size:           4
        .value_kind:     by_value
      - .offset:         12
        .size:           4
        .value_kind:     by_value
      - .offset:         16
        .size:           8
        .value_kind:     by_value
      - .address_space:  global
        .offset:         24
        .size:           8
        .value_kind:     global_buffer
      - .offset:         32
        .size:           4
        .value_kind:     by_value
      - .offset:         40
        .size:           8
        .value_kind:     by_value
      - .address_space:  global
        .offset:         48
        .size:           8
        .value_kind:     global_buffer
      - .offset:         56
        .size:           1
        .value_kind:     by_value
      - .offset:         57
        .size:           1
        .value_kind:     by_value
    .group_segment_fixed_size: 72
    .kernarg_segment_align: 8
    .kernarg_segment_size: 60
    .language:       OpenCL C
    .language_version:
      - 2
      - 0
    .max_flat_workgroup_size: 64
    .name:           _ZN9rocsolver6v33100L18getri_kernel_smallILi4EdPKPdEEvT1_iilPiilS6_bb
    .private_segment_fixed_size: 0
    .sgpr_count:     22
    .sgpr_spill_count: 0
    .symbol:         _ZN9rocsolver6v33100L18getri_kernel_smallILi4EdPKPdEEvT1_iilPiilS6_bb.kd
    .uniform_work_group_size: 1
    .uses_dynamic_stack: false
    .vgpr_count:     30
    .vgpr_spill_count: 0
    .wavefront_size: 64
  - .agpr_count:     0
    .args:
      - .address_space:  global
        .offset:         0
        .size:           8
        .value_kind:     global_buffer
      - .offset:         8
        .size:           4
        .value_kind:     by_value
      - .offset:         12
        .size:           4
        .value_kind:     by_value
      - .offset:         16
        .size:           8
        .value_kind:     by_value
      - .address_space:  global
        .offset:         24
        .size:           8
        .value_kind:     global_buffer
      - .offset:         32
        .size:           4
        .value_kind:     by_value
      - .offset:         40
        .size:           8
        .value_kind:     by_value
      - .address_space:  global
        .offset:         48
        .size:           8
        .value_kind:     global_buffer
      - .offset:         56
        .size:           1
        .value_kind:     by_value
      - .offset:         57
        .size:           1
        .value_kind:     by_value
    .group_segment_fixed_size: 88
    .kernarg_segment_align: 8
    .kernarg_segment_size: 60
    .language:       OpenCL C
    .language_version:
      - 2
      - 0
    .max_flat_workgroup_size: 64
    .name:           _ZN9rocsolver6v33100L18getri_kernel_smallILi5EdPKPdEEvT1_iilPiilS6_bb
    .private_segment_fixed_size: 0
    .sgpr_count:     22
    .sgpr_spill_count: 0
    .symbol:         _ZN9rocsolver6v33100L18getri_kernel_smallILi5EdPKPdEEvT1_iilPiilS6_bb.kd
    .uniform_work_group_size: 1
    .uses_dynamic_stack: false
    .vgpr_count:     38
    .vgpr_spill_count: 0
    .wavefront_size: 64
  - .agpr_count:     0
    .args:
      - .address_space:  global
        .offset:         0
        .size:           8
        .value_kind:     global_buffer
      - .offset:         8
        .size:           4
        .value_kind:     by_value
      - .offset:         12
        .size:           4
        .value_kind:     by_value
      - .offset:         16
        .size:           8
        .value_kind:     by_value
      - .address_space:  global
        .offset:         24
        .size:           8
        .value_kind:     global_buffer
      - .offset:         32
        .size:           4
        .value_kind:     by_value
      - .offset:         40
        .size:           8
        .value_kind:     by_value
      - .address_space:  global
        .offset:         48
        .size:           8
        .value_kind:     global_buffer
      - .offset:         56
        .size:           1
        .value_kind:     by_value
      - .offset:         57
        .size:           1
        .value_kind:     by_value
    .group_segment_fixed_size: 104
    .kernarg_segment_align: 8
    .kernarg_segment_size: 60
    .language:       OpenCL C
    .language_version:
      - 2
      - 0
    .max_flat_workgroup_size: 64
    .name:           _ZN9rocsolver6v33100L18getri_kernel_smallILi6EdPKPdEEvT1_iilPiilS6_bb
    .private_segment_fixed_size: 0
    .sgpr_count:     24
    .sgpr_spill_count: 0
    .symbol:         _ZN9rocsolver6v33100L18getri_kernel_smallILi6EdPKPdEEvT1_iilPiilS6_bb.kd
    .uniform_work_group_size: 1
    .uses_dynamic_stack: false
    .vgpr_count:     40
    .vgpr_spill_count: 0
    .wavefront_size: 64
  - .agpr_count:     0
    .args:
      - .address_space:  global
        .offset:         0
        .size:           8
        .value_kind:     global_buffer
      - .offset:         8
        .size:           4
        .value_kind:     by_value
      - .offset:         12
        .size:           4
        .value_kind:     by_value
      - .offset:         16
        .size:           8
        .value_kind:     by_value
      - .address_space:  global
        .offset:         24
        .size:           8
        .value_kind:     global_buffer
      - .offset:         32
        .size:           4
        .value_kind:     by_value
      - .offset:         40
        .size:           8
        .value_kind:     by_value
      - .address_space:  global
        .offset:         48
        .size:           8
        .value_kind:     global_buffer
      - .offset:         56
        .size:           1
        .value_kind:     by_value
      - .offset:         57
        .size:           1
        .value_kind:     by_value
    .group_segment_fixed_size: 120
    .kernarg_segment_align: 8
    .kernarg_segment_size: 60
    .language:       OpenCL C
    .language_version:
      - 2
      - 0
    .max_flat_workgroup_size: 64
    .name:           _ZN9rocsolver6v33100L18getri_kernel_smallILi7EdPKPdEEvT1_iilPiilS6_bb
    .private_segment_fixed_size: 0
    .sgpr_count:     26
    .sgpr_spill_count: 0
    .symbol:         _ZN9rocsolver6v33100L18getri_kernel_smallILi7EdPKPdEEvT1_iilPiilS6_bb.kd
    .uniform_work_group_size: 1
    .uses_dynamic_stack: false
    .vgpr_count:     46
    .vgpr_spill_count: 0
    .wavefront_size: 64
  - .agpr_count:     0
    .args:
      - .address_space:  global
        .offset:         0
        .size:           8
        .value_kind:     global_buffer
      - .offset:         8
        .size:           4
        .value_kind:     by_value
      - .offset:         12
        .size:           4
        .value_kind:     by_value
      - .offset:         16
        .size:           8
        .value_kind:     by_value
      - .address_space:  global
        .offset:         24
        .size:           8
        .value_kind:     global_buffer
      - .offset:         32
        .size:           4
        .value_kind:     by_value
      - .offset:         40
        .size:           8
        .value_kind:     by_value
      - .address_space:  global
        .offset:         48
        .size:           8
        .value_kind:     global_buffer
      - .offset:         56
        .size:           1
        .value_kind:     by_value
      - .offset:         57
        .size:           1
        .value_kind:     by_value
    .group_segment_fixed_size: 136
    .kernarg_segment_align: 8
    .kernarg_segment_size: 60
    .language:       OpenCL C
    .language_version:
      - 2
      - 0
    .max_flat_workgroup_size: 64
    .name:           _ZN9rocsolver6v33100L18getri_kernel_smallILi8EdPKPdEEvT1_iilPiilS6_bb
    .private_segment_fixed_size: 0
    .sgpr_count:     28
    .sgpr_spill_count: 0
    .symbol:         _ZN9rocsolver6v33100L18getri_kernel_smallILi8EdPKPdEEvT1_iilPiilS6_bb.kd
    .uniform_work_group_size: 1
    .uses_dynamic_stack: false
    .vgpr_count:     50
    .vgpr_spill_count: 0
    .wavefront_size: 64
  - .agpr_count:     0
    .args:
      - .address_space:  global
        .offset:         0
        .size:           8
        .value_kind:     global_buffer
      - .offset:         8
        .size:           4
        .value_kind:     by_value
      - .offset:         12
        .size:           4
        .value_kind:     by_value
      - .offset:         16
        .size:           8
        .value_kind:     by_value
      - .address_space:  global
        .offset:         24
        .size:           8
        .value_kind:     global_buffer
      - .offset:         32
        .size:           4
        .value_kind:     by_value
      - .offset:         40
        .size:           8
        .value_kind:     by_value
      - .address_space:  global
        .offset:         48
        .size:           8
        .value_kind:     global_buffer
      - .offset:         56
        .size:           1
        .value_kind:     by_value
      - .offset:         57
        .size:           1
        .value_kind:     by_value
    .group_segment_fixed_size: 152
    .kernarg_segment_align: 8
    .kernarg_segment_size: 60
    .language:       OpenCL C
    .language_version:
      - 2
      - 0
    .max_flat_workgroup_size: 64
    .name:           _ZN9rocsolver6v33100L18getri_kernel_smallILi9EdPKPdEEvT1_iilPiilS6_bb
    .private_segment_fixed_size: 0
    .sgpr_count:     44
    .sgpr_spill_count: 0
    .symbol:         _ZN9rocsolver6v33100L18getri_kernel_smallILi9EdPKPdEEvT1_iilPiilS6_bb.kd
    .uniform_work_group_size: 1
    .uses_dynamic_stack: false
    .vgpr_count:     70
    .vgpr_spill_count: 0
    .wavefront_size: 64
  - .agpr_count:     0
    .args:
      - .address_space:  global
        .offset:         0
        .size:           8
        .value_kind:     global_buffer
      - .offset:         8
        .size:           4
        .value_kind:     by_value
      - .offset:         12
        .size:           4
        .value_kind:     by_value
      - .offset:         16
        .size:           8
        .value_kind:     by_value
      - .address_space:  global
        .offset:         24
        .size:           8
        .value_kind:     global_buffer
      - .offset:         32
        .size:           4
        .value_kind:     by_value
      - .offset:         40
        .size:           8
        .value_kind:     by_value
      - .address_space:  global
        .offset:         48
        .size:           8
        .value_kind:     global_buffer
      - .offset:         56
        .size:           1
        .value_kind:     by_value
      - .offset:         57
        .size:           1
        .value_kind:     by_value
    .group_segment_fixed_size: 168
    .kernarg_segment_align: 8
    .kernarg_segment_size: 60
    .language:       OpenCL C
    .language_version:
      - 2
      - 0
    .max_flat_workgroup_size: 64
    .name:           _ZN9rocsolver6v33100L18getri_kernel_smallILi10EdPKPdEEvT1_iilPiilS6_bb
    .private_segment_fixed_size: 0
    .sgpr_count:     46
    .sgpr_spill_count: 0
    .symbol:         _ZN9rocsolver6v33100L18getri_kernel_smallILi10EdPKPdEEvT1_iilPiilS6_bb.kd
    .uniform_work_group_size: 1
    .uses_dynamic_stack: false
    .vgpr_count:     72
    .vgpr_spill_count: 0
    .wavefront_size: 64
  - .agpr_count:     0
    .args:
      - .address_space:  global
        .offset:         0
        .size:           8
        .value_kind:     global_buffer
      - .offset:         8
        .size:           4
        .value_kind:     by_value
      - .offset:         12
        .size:           4
        .value_kind:     by_value
      - .offset:         16
        .size:           8
        .value_kind:     by_value
      - .address_space:  global
        .offset:         24
        .size:           8
        .value_kind:     global_buffer
      - .offset:         32
        .size:           4
        .value_kind:     by_value
      - .offset:         40
        .size:           8
        .value_kind:     by_value
      - .address_space:  global
        .offset:         48
        .size:           8
        .value_kind:     global_buffer
      - .offset:         56
        .size:           1
        .value_kind:     by_value
      - .offset:         57
        .size:           1
        .value_kind:     by_value
    .group_segment_fixed_size: 184
    .kernarg_segment_align: 8
    .kernarg_segment_size: 60
    .language:       OpenCL C
    .language_version:
      - 2
      - 0
    .max_flat_workgroup_size: 64
    .name:           _ZN9rocsolver6v33100L18getri_kernel_smallILi11EdPKPdEEvT1_iilPiilS6_bb
    .private_segment_fixed_size: 0
    .sgpr_count:     48
    .sgpr_spill_count: 0
    .symbol:         _ZN9rocsolver6v33100L18getri_kernel_smallILi11EdPKPdEEvT1_iilPiilS6_bb.kd
    .uniform_work_group_size: 1
    .uses_dynamic_stack: false
    .vgpr_count:     78
    .vgpr_spill_count: 0
    .wavefront_size: 64
  - .agpr_count:     0
    .args:
      - .address_space:  global
        .offset:         0
        .size:           8
        .value_kind:     global_buffer
      - .offset:         8
        .size:           4
        .value_kind:     by_value
      - .offset:         12
        .size:           4
        .value_kind:     by_value
      - .offset:         16
        .size:           8
        .value_kind:     by_value
      - .address_space:  global
        .offset:         24
        .size:           8
        .value_kind:     global_buffer
      - .offset:         32
        .size:           4
        .value_kind:     by_value
      - .offset:         40
        .size:           8
        .value_kind:     by_value
      - .address_space:  global
        .offset:         48
        .size:           8
        .value_kind:     global_buffer
      - .offset:         56
        .size:           1
        .value_kind:     by_value
      - .offset:         57
        .size:           1
        .value_kind:     by_value
    .group_segment_fixed_size: 200
    .kernarg_segment_align: 8
    .kernarg_segment_size: 60
    .language:       OpenCL C
    .language_version:
      - 2
      - 0
    .max_flat_workgroup_size: 64
    .name:           _ZN9rocsolver6v33100L18getri_kernel_smallILi12EdPKPdEEvT1_iilPiilS6_bb
    .private_segment_fixed_size: 0
    .sgpr_count:     50
    .sgpr_spill_count: 0
    .symbol:         _ZN9rocsolver6v33100L18getri_kernel_smallILi12EdPKPdEEvT1_iilPiilS6_bb.kd
    .uniform_work_group_size: 1
    .uses_dynamic_stack: false
    .vgpr_count:     80
    .vgpr_spill_count: 0
    .wavefront_size: 64
  - .agpr_count:     0
    .args:
      - .address_space:  global
        .offset:         0
        .size:           8
        .value_kind:     global_buffer
      - .offset:         8
        .size:           4
        .value_kind:     by_value
      - .offset:         12
        .size:           4
        .value_kind:     by_value
      - .offset:         16
        .size:           8
        .value_kind:     by_value
      - .address_space:  global
        .offset:         24
        .size:           8
        .value_kind:     global_buffer
      - .offset:         32
        .size:           4
        .value_kind:     by_value
      - .offset:         40
        .size:           8
        .value_kind:     by_value
      - .address_space:  global
        .offset:         48
        .size:           8
        .value_kind:     global_buffer
      - .offset:         56
        .size:           1
        .value_kind:     by_value
      - .offset:         57
        .size:           1
        .value_kind:     by_value
    .group_segment_fixed_size: 216
    .kernarg_segment_align: 8
    .kernarg_segment_size: 60
    .language:       OpenCL C
    .language_version:
      - 2
      - 0
    .max_flat_workgroup_size: 64
    .name:           _ZN9rocsolver6v33100L18getri_kernel_smallILi13EdPKPdEEvT1_iilPiilS6_bb
    .private_segment_fixed_size: 0
    .sgpr_count:     52
    .sgpr_spill_count: 0
    .symbol:         _ZN9rocsolver6v33100L18getri_kernel_smallILi13EdPKPdEEvT1_iilPiilS6_bb.kd
    .uniform_work_group_size: 1
    .uses_dynamic_stack: false
    .vgpr_count:     86
    .vgpr_spill_count: 0
    .wavefront_size: 64
  - .agpr_count:     0
    .args:
      - .address_space:  global
        .offset:         0
        .size:           8
        .value_kind:     global_buffer
      - .offset:         8
        .size:           4
        .value_kind:     by_value
      - .offset:         12
        .size:           4
        .value_kind:     by_value
      - .offset:         16
        .size:           8
        .value_kind:     by_value
      - .address_space:  global
        .offset:         24
        .size:           8
        .value_kind:     global_buffer
      - .offset:         32
        .size:           4
        .value_kind:     by_value
      - .offset:         40
        .size:           8
        .value_kind:     by_value
      - .address_space:  global
        .offset:         48
        .size:           8
        .value_kind:     global_buffer
      - .offset:         56
        .size:           1
        .value_kind:     by_value
      - .offset:         57
        .size:           1
        .value_kind:     by_value
    .group_segment_fixed_size: 232
    .kernarg_segment_align: 8
    .kernarg_segment_size: 60
    .language:       OpenCL C
    .language_version:
      - 2
      - 0
    .max_flat_workgroup_size: 64
    .name:           _ZN9rocsolver6v33100L18getri_kernel_smallILi14EdPKPdEEvT1_iilPiilS6_bb
    .private_segment_fixed_size: 0
    .sgpr_count:     54
    .sgpr_spill_count: 0
    .symbol:         _ZN9rocsolver6v33100L18getri_kernel_smallILi14EdPKPdEEvT1_iilPiilS6_bb.kd
    .uniform_work_group_size: 1
    .uses_dynamic_stack: false
    .vgpr_count:     88
    .vgpr_spill_count: 0
    .wavefront_size: 64
  - .agpr_count:     0
    .args:
      - .address_space:  global
        .offset:         0
        .size:           8
        .value_kind:     global_buffer
      - .offset:         8
        .size:           4
        .value_kind:     by_value
      - .offset:         12
        .size:           4
        .value_kind:     by_value
      - .offset:         16
        .size:           8
        .value_kind:     by_value
      - .address_space:  global
        .offset:         24
        .size:           8
        .value_kind:     global_buffer
      - .offset:         32
        .size:           4
        .value_kind:     by_value
      - .offset:         40
        .size:           8
        .value_kind:     by_value
      - .address_space:  global
        .offset:         48
        .size:           8
        .value_kind:     global_buffer
      - .offset:         56
        .size:           1
        .value_kind:     by_value
      - .offset:         57
        .size:           1
        .value_kind:     by_value
    .group_segment_fixed_size: 248
    .kernarg_segment_align: 8
    .kernarg_segment_size: 60
    .language:       OpenCL C
    .language_version:
      - 2
      - 0
    .max_flat_workgroup_size: 64
    .name:           _ZN9rocsolver6v33100L18getri_kernel_smallILi15EdPKPdEEvT1_iilPiilS6_bb
    .private_segment_fixed_size: 0
    .sgpr_count:     56
    .sgpr_spill_count: 0
    .symbol:         _ZN9rocsolver6v33100L18getri_kernel_smallILi15EdPKPdEEvT1_iilPiilS6_bb.kd
    .uniform_work_group_size: 1
    .uses_dynamic_stack: false
    .vgpr_count:     94
    .vgpr_spill_count: 0
    .wavefront_size: 64
  - .agpr_count:     0
    .args:
      - .address_space:  global
        .offset:         0
        .size:           8
        .value_kind:     global_buffer
      - .offset:         8
        .size:           4
        .value_kind:     by_value
      - .offset:         12
        .size:           4
        .value_kind:     by_value
      - .offset:         16
        .size:           8
        .value_kind:     by_value
      - .address_space:  global
        .offset:         24
        .size:           8
        .value_kind:     global_buffer
      - .offset:         32
        .size:           4
        .value_kind:     by_value
      - .offset:         40
        .size:           8
        .value_kind:     by_value
      - .address_space:  global
        .offset:         48
        .size:           8
        .value_kind:     global_buffer
      - .offset:         56
        .size:           1
        .value_kind:     by_value
      - .offset:         57
        .size:           1
        .value_kind:     by_value
    .group_segment_fixed_size: 264
    .kernarg_segment_align: 8
    .kernarg_segment_size: 60
    .language:       OpenCL C
    .language_version:
      - 2
      - 0
    .max_flat_workgroup_size: 64
    .name:           _ZN9rocsolver6v33100L18getri_kernel_smallILi16EdPKPdEEvT1_iilPiilS6_bb
    .private_segment_fixed_size: 0
    .sgpr_count:     58
    .sgpr_spill_count: 0
    .symbol:         _ZN9rocsolver6v33100L18getri_kernel_smallILi16EdPKPdEEvT1_iilPiilS6_bb.kd
    .uniform_work_group_size: 1
    .uses_dynamic_stack: false
    .vgpr_count:     98
    .vgpr_spill_count: 0
    .wavefront_size: 64
  - .agpr_count:     0
    .args:
      - .address_space:  global
        .offset:         0
        .size:           8
        .value_kind:     global_buffer
      - .offset:         8
        .size:           4
        .value_kind:     by_value
      - .offset:         12
        .size:           4
        .value_kind:     by_value
      - .offset:         16
        .size:           8
        .value_kind:     by_value
      - .address_space:  global
        .offset:         24
        .size:           8
        .value_kind:     global_buffer
      - .offset:         32
        .size:           4
        .value_kind:     by_value
      - .offset:         40
        .size:           8
        .value_kind:     by_value
      - .address_space:  global
        .offset:         48
        .size:           8
        .value_kind:     global_buffer
      - .offset:         56
        .size:           1
        .value_kind:     by_value
      - .offset:         57
        .size:           1
        .value_kind:     by_value
    .group_segment_fixed_size: 280
    .kernarg_segment_align: 8
    .kernarg_segment_size: 60
    .language:       OpenCL C
    .language_version:
      - 2
      - 0
    .max_flat_workgroup_size: 64
    .name:           _ZN9rocsolver6v33100L18getri_kernel_smallILi17EdPKPdEEvT1_iilPiilS6_bb
    .private_segment_fixed_size: 144
    .sgpr_count:     28
    .sgpr_spill_count: 0
    .symbol:         _ZN9rocsolver6v33100L18getri_kernel_smallILi17EdPKPdEEvT1_iilPiilS6_bb.kd
    .uniform_work_group_size: 1
    .uses_dynamic_stack: false
    .vgpr_count:     102
    .vgpr_spill_count: 0
    .wavefront_size: 64
  - .agpr_count:     0
    .args:
      - .address_space:  global
        .offset:         0
        .size:           8
        .value_kind:     global_buffer
      - .offset:         8
        .size:           4
        .value_kind:     by_value
      - .offset:         12
        .size:           4
        .value_kind:     by_value
      - .offset:         16
        .size:           8
        .value_kind:     by_value
      - .address_space:  global
        .offset:         24
        .size:           8
        .value_kind:     global_buffer
      - .offset:         32
        .size:           4
        .value_kind:     by_value
      - .offset:         40
        .size:           8
        .value_kind:     by_value
      - .address_space:  global
        .offset:         48
        .size:           8
        .value_kind:     global_buffer
      - .offset:         56
        .size:           1
        .value_kind:     by_value
      - .offset:         57
        .size:           1
        .value_kind:     by_value
    .group_segment_fixed_size: 296
    .kernarg_segment_align: 8
    .kernarg_segment_size: 60
    .language:       OpenCL C
    .language_version:
      - 2
      - 0
    .max_flat_workgroup_size: 64
    .name:           _ZN9rocsolver6v33100L18getri_kernel_smallILi18EdPKPdEEvT1_iilPiilS6_bb
    .private_segment_fixed_size: 160
    .sgpr_count:     28
    .sgpr_spill_count: 0
    .symbol:         _ZN9rocsolver6v33100L18getri_kernel_smallILi18EdPKPdEEvT1_iilPiilS6_bb.kd
    .uniform_work_group_size: 1
    .uses_dynamic_stack: false
    .vgpr_count:     106
    .vgpr_spill_count: 0
    .wavefront_size: 64
  - .agpr_count:     0
    .args:
      - .address_space:  global
        .offset:         0
        .size:           8
        .value_kind:     global_buffer
      - .offset:         8
        .size:           4
        .value_kind:     by_value
      - .offset:         12
        .size:           4
        .value_kind:     by_value
      - .offset:         16
        .size:           8
        .value_kind:     by_value
      - .address_space:  global
        .offset:         24
        .size:           8
        .value_kind:     global_buffer
      - .offset:         32
        .size:           4
        .value_kind:     by_value
      - .offset:         40
        .size:           8
        .value_kind:     by_value
      - .address_space:  global
        .offset:         48
        .size:           8
        .value_kind:     global_buffer
      - .offset:         56
        .size:           1
        .value_kind:     by_value
      - .offset:         57
        .size:           1
        .value_kind:     by_value
    .group_segment_fixed_size: 312
    .kernarg_segment_align: 8
    .kernarg_segment_size: 60
    .language:       OpenCL C
    .language_version:
      - 2
      - 0
    .max_flat_workgroup_size: 64
    .name:           _ZN9rocsolver6v33100L18getri_kernel_smallILi19EdPKPdEEvT1_iilPiilS6_bb
    .private_segment_fixed_size: 160
    .sgpr_count:     28
    .sgpr_spill_count: 0
    .symbol:         _ZN9rocsolver6v33100L18getri_kernel_smallILi19EdPKPdEEvT1_iilPiilS6_bb.kd
    .uniform_work_group_size: 1
    .uses_dynamic_stack: false
    .vgpr_count:     114
    .vgpr_spill_count: 0
    .wavefront_size: 64
  - .agpr_count:     0
    .args:
      - .address_space:  global
        .offset:         0
        .size:           8
        .value_kind:     global_buffer
      - .offset:         8
        .size:           4
        .value_kind:     by_value
      - .offset:         12
        .size:           4
        .value_kind:     by_value
      - .offset:         16
        .size:           8
        .value_kind:     by_value
      - .address_space:  global
        .offset:         24
        .size:           8
        .value_kind:     global_buffer
      - .offset:         32
        .size:           4
        .value_kind:     by_value
      - .offset:         40
        .size:           8
        .value_kind:     by_value
      - .address_space:  global
        .offset:         48
        .size:           8
        .value_kind:     global_buffer
      - .offset:         56
        .size:           1
        .value_kind:     by_value
      - .offset:         57
        .size:           1
        .value_kind:     by_value
    .group_segment_fixed_size: 328
    .kernarg_segment_align: 8
    .kernarg_segment_size: 60
    .language:       OpenCL C
    .language_version:
      - 2
      - 0
    .max_flat_workgroup_size: 64
    .name:           _ZN9rocsolver6v33100L18getri_kernel_smallILi20EdPKPdEEvT1_iilPiilS6_bb
    .private_segment_fixed_size: 176
    .sgpr_count:     28
    .sgpr_spill_count: 0
    .symbol:         _ZN9rocsolver6v33100L18getri_kernel_smallILi20EdPKPdEEvT1_iilPiilS6_bb.kd
    .uniform_work_group_size: 1
    .uses_dynamic_stack: false
    .vgpr_count:     118
    .vgpr_spill_count: 0
    .wavefront_size: 64
  - .agpr_count:     0
    .args:
      - .address_space:  global
        .offset:         0
        .size:           8
        .value_kind:     global_buffer
      - .offset:         8
        .size:           4
        .value_kind:     by_value
      - .offset:         12
        .size:           4
        .value_kind:     by_value
      - .offset:         16
        .size:           8
        .value_kind:     by_value
      - .address_space:  global
        .offset:         24
        .size:           8
        .value_kind:     global_buffer
      - .offset:         32
        .size:           4
        .value_kind:     by_value
      - .offset:         40
        .size:           8
        .value_kind:     by_value
      - .address_space:  global
        .offset:         48
        .size:           8
        .value_kind:     global_buffer
      - .offset:         56
        .size:           1
        .value_kind:     by_value
      - .offset:         57
        .size:           1
        .value_kind:     by_value
    .group_segment_fixed_size: 344
    .kernarg_segment_align: 8
    .kernarg_segment_size: 60
    .language:       OpenCL C
    .language_version:
      - 2
      - 0
    .max_flat_workgroup_size: 64
    .name:           _ZN9rocsolver6v33100L18getri_kernel_smallILi21EdPKPdEEvT1_iilPiilS6_bb
    .private_segment_fixed_size: 176
    .sgpr_count:     28
    .sgpr_spill_count: 0
    .symbol:         _ZN9rocsolver6v33100L18getri_kernel_smallILi21EdPKPdEEvT1_iilPiilS6_bb.kd
    .uniform_work_group_size: 1
    .uses_dynamic_stack: false
    .vgpr_count:     126
    .vgpr_spill_count: 0
    .wavefront_size: 64
  - .agpr_count:     0
    .args:
      - .address_space:  global
        .offset:         0
        .size:           8
        .value_kind:     global_buffer
      - .offset:         8
        .size:           4
        .value_kind:     by_value
      - .offset:         12
        .size:           4
        .value_kind:     by_value
      - .offset:         16
        .size:           8
        .value_kind:     by_value
      - .address_space:  global
        .offset:         24
        .size:           8
        .value_kind:     global_buffer
      - .offset:         32
        .size:           4
        .value_kind:     by_value
      - .offset:         40
        .size:           8
        .value_kind:     by_value
      - .address_space:  global
        .offset:         48
        .size:           8
        .value_kind:     global_buffer
      - .offset:         56
        .size:           1
        .value_kind:     by_value
      - .offset:         57
        .size:           1
        .value_kind:     by_value
    .group_segment_fixed_size: 360
    .kernarg_segment_align: 8
    .kernarg_segment_size: 60
    .language:       OpenCL C
    .language_version:
      - 2
      - 0
    .max_flat_workgroup_size: 64
    .name:           _ZN9rocsolver6v33100L18getri_kernel_smallILi22EdPKPdEEvT1_iilPiilS6_bb
    .private_segment_fixed_size: 192
    .sgpr_count:     28
    .sgpr_spill_count: 0
    .symbol:         _ZN9rocsolver6v33100L18getri_kernel_smallILi22EdPKPdEEvT1_iilPiilS6_bb.kd
    .uniform_work_group_size: 1
    .uses_dynamic_stack: false
    .vgpr_count:     126
    .vgpr_spill_count: 0
    .wavefront_size: 64
  - .agpr_count:     0
    .args:
      - .address_space:  global
        .offset:         0
        .size:           8
        .value_kind:     global_buffer
      - .offset:         8
        .size:           4
        .value_kind:     by_value
      - .offset:         12
        .size:           4
        .value_kind:     by_value
      - .offset:         16
        .size:           8
        .value_kind:     by_value
      - .address_space:  global
        .offset:         24
        .size:           8
        .value_kind:     global_buffer
      - .offset:         32
        .size:           4
        .value_kind:     by_value
      - .offset:         40
        .size:           8
        .value_kind:     by_value
      - .address_space:  global
        .offset:         48
        .size:           8
        .value_kind:     global_buffer
      - .offset:         56
        .size:           1
        .value_kind:     by_value
      - .offset:         57
        .size:           1
        .value_kind:     by_value
    .group_segment_fixed_size: 376
    .kernarg_segment_align: 8
    .kernarg_segment_size: 60
    .language:       OpenCL C
    .language_version:
      - 2
      - 0
    .max_flat_workgroup_size: 64
    .name:           _ZN9rocsolver6v33100L18getri_kernel_smallILi23EdPKPdEEvT1_iilPiilS6_bb
    .private_segment_fixed_size: 192
    .sgpr_count:     28
    .sgpr_spill_count: 0
    .symbol:         _ZN9rocsolver6v33100L18getri_kernel_smallILi23EdPKPdEEvT1_iilPiilS6_bb.kd
    .uniform_work_group_size: 1
    .uses_dynamic_stack: false
    .vgpr_count:     124
    .vgpr_spill_count: 0
    .wavefront_size: 64
  - .agpr_count:     0
    .args:
      - .address_space:  global
        .offset:         0
        .size:           8
        .value_kind:     global_buffer
      - .offset:         8
        .size:           4
        .value_kind:     by_value
      - .offset:         12
        .size:           4
        .value_kind:     by_value
      - .offset:         16
        .size:           8
        .value_kind:     by_value
      - .address_space:  global
        .offset:         24
        .size:           8
        .value_kind:     global_buffer
      - .offset:         32
        .size:           4
        .value_kind:     by_value
      - .offset:         40
        .size:           8
        .value_kind:     by_value
      - .address_space:  global
        .offset:         48
        .size:           8
        .value_kind:     global_buffer
      - .offset:         56
        .size:           1
        .value_kind:     by_value
      - .offset:         57
        .size:           1
        .value_kind:     by_value
    .group_segment_fixed_size: 392
    .kernarg_segment_align: 8
    .kernarg_segment_size: 60
    .language:       OpenCL C
    .language_version:
      - 2
      - 0
    .max_flat_workgroup_size: 64
    .name:           _ZN9rocsolver6v33100L18getri_kernel_smallILi24EdPKPdEEvT1_iilPiilS6_bb
    .private_segment_fixed_size: 208
    .sgpr_count:     28
    .sgpr_spill_count: 0
    .symbol:         _ZN9rocsolver6v33100L18getri_kernel_smallILi24EdPKPdEEvT1_iilPiilS6_bb.kd
    .uniform_work_group_size: 1
    .uses_dynamic_stack: false
    .vgpr_count:     126
    .vgpr_spill_count: 0
    .wavefront_size: 64
  - .agpr_count:     0
    .args:
      - .address_space:  global
        .offset:         0
        .size:           8
        .value_kind:     global_buffer
      - .offset:         8
        .size:           4
        .value_kind:     by_value
      - .offset:         12
        .size:           4
        .value_kind:     by_value
      - .offset:         16
        .size:           8
        .value_kind:     by_value
      - .address_space:  global
        .offset:         24
        .size:           8
        .value_kind:     global_buffer
      - .offset:         32
        .size:           4
        .value_kind:     by_value
      - .offset:         40
        .size:           8
        .value_kind:     by_value
      - .address_space:  global
        .offset:         48
        .size:           8
        .value_kind:     global_buffer
      - .offset:         56
        .size:           1
        .value_kind:     by_value
      - .offset:         57
        .size:           1
        .value_kind:     by_value
    .group_segment_fixed_size: 408
    .kernarg_segment_align: 8
    .kernarg_segment_size: 60
    .language:       OpenCL C
    .language_version:
      - 2
      - 0
    .max_flat_workgroup_size: 64
    .name:           _ZN9rocsolver6v33100L18getri_kernel_smallILi25EdPKPdEEvT1_iilPiilS6_bb
    .private_segment_fixed_size: 208
    .sgpr_count:     28
    .sgpr_spill_count: 0
    .symbol:         _ZN9rocsolver6v33100L18getri_kernel_smallILi25EdPKPdEEvT1_iilPiilS6_bb.kd
    .uniform_work_group_size: 1
    .uses_dynamic_stack: false
    .vgpr_count:     128
    .vgpr_spill_count: 0
    .wavefront_size: 64
  - .agpr_count:     0
    .args:
      - .address_space:  global
        .offset:         0
        .size:           8
        .value_kind:     global_buffer
      - .offset:         8
        .size:           4
        .value_kind:     by_value
      - .offset:         12
        .size:           4
        .value_kind:     by_value
      - .offset:         16
        .size:           8
        .value_kind:     by_value
      - .address_space:  global
        .offset:         24
        .size:           8
        .value_kind:     global_buffer
      - .offset:         32
        .size:           4
        .value_kind:     by_value
      - .offset:         40
        .size:           8
        .value_kind:     by_value
      - .address_space:  global
        .offset:         48
        .size:           8
        .value_kind:     global_buffer
      - .offset:         56
        .size:           1
        .value_kind:     by_value
      - .offset:         57
        .size:           1
        .value_kind:     by_value
    .group_segment_fixed_size: 424
    .kernarg_segment_align: 8
    .kernarg_segment_size: 60
    .language:       OpenCL C
    .language_version:
      - 2
      - 0
    .max_flat_workgroup_size: 64
    .name:           _ZN9rocsolver6v33100L18getri_kernel_smallILi26EdPKPdEEvT1_iilPiilS6_bb
    .private_segment_fixed_size: 224
    .sgpr_count:     28
    .sgpr_spill_count: 0
    .symbol:         _ZN9rocsolver6v33100L18getri_kernel_smallILi26EdPKPdEEvT1_iilPiilS6_bb.kd
    .uniform_work_group_size: 1
    .uses_dynamic_stack: false
    .vgpr_count:     126
    .vgpr_spill_count: 0
    .wavefront_size: 64
  - .agpr_count:     0
    .args:
      - .address_space:  global
        .offset:         0
        .size:           8
        .value_kind:     global_buffer
      - .offset:         8
        .size:           4
        .value_kind:     by_value
      - .offset:         12
        .size:           4
        .value_kind:     by_value
      - .offset:         16
        .size:           8
        .value_kind:     by_value
      - .address_space:  global
        .offset:         24
        .size:           8
        .value_kind:     global_buffer
      - .offset:         32
        .size:           4
        .value_kind:     by_value
      - .offset:         40
        .size:           8
        .value_kind:     by_value
      - .address_space:  global
        .offset:         48
        .size:           8
        .value_kind:     global_buffer
      - .offset:         56
        .size:           1
        .value_kind:     by_value
      - .offset:         57
        .size:           1
        .value_kind:     by_value
    .group_segment_fixed_size: 440
    .kernarg_segment_align: 8
    .kernarg_segment_size: 60
    .language:       OpenCL C
    .language_version:
      - 2
      - 0
    .max_flat_workgroup_size: 64
    .name:           _ZN9rocsolver6v33100L18getri_kernel_smallILi27EdPKPdEEvT1_iilPiilS6_bb
    .private_segment_fixed_size: 224
    .sgpr_count:     28
    .sgpr_spill_count: 0
    .symbol:         _ZN9rocsolver6v33100L18getri_kernel_smallILi27EdPKPdEEvT1_iilPiilS6_bb.kd
    .uniform_work_group_size: 1
    .uses_dynamic_stack: false
    .vgpr_count:     124
    .vgpr_spill_count: 0
    .wavefront_size: 64
  - .agpr_count:     0
    .args:
      - .address_space:  global
        .offset:         0
        .size:           8
        .value_kind:     global_buffer
      - .offset:         8
        .size:           4
        .value_kind:     by_value
      - .offset:         12
        .size:           4
        .value_kind:     by_value
      - .offset:         16
        .size:           8
        .value_kind:     by_value
      - .address_space:  global
        .offset:         24
        .size:           8
        .value_kind:     global_buffer
      - .offset:         32
        .size:           4
        .value_kind:     by_value
      - .offset:         40
        .size:           8
        .value_kind:     by_value
      - .address_space:  global
        .offset:         48
        .size:           8
        .value_kind:     global_buffer
      - .offset:         56
        .size:           1
        .value_kind:     by_value
      - .offset:         57
        .size:           1
        .value_kind:     by_value
    .group_segment_fixed_size: 456
    .kernarg_segment_align: 8
    .kernarg_segment_size: 60
    .language:       OpenCL C
    .language_version:
      - 2
      - 0
    .max_flat_workgroup_size: 64
    .name:           _ZN9rocsolver6v33100L18getri_kernel_smallILi28EdPKPdEEvT1_iilPiilS6_bb
    .private_segment_fixed_size: 240
    .sgpr_count:     28
    .sgpr_spill_count: 0
    .symbol:         _ZN9rocsolver6v33100L18getri_kernel_smallILi28EdPKPdEEvT1_iilPiilS6_bb.kd
    .uniform_work_group_size: 1
    .uses_dynamic_stack: false
    .vgpr_count:     126
    .vgpr_spill_count: 0
    .wavefront_size: 64
  - .agpr_count:     0
    .args:
      - .address_space:  global
        .offset:         0
        .size:           8
        .value_kind:     global_buffer
      - .offset:         8
        .size:           4
        .value_kind:     by_value
      - .offset:         12
        .size:           4
        .value_kind:     by_value
      - .offset:         16
        .size:           8
        .value_kind:     by_value
      - .address_space:  global
        .offset:         24
        .size:           8
        .value_kind:     global_buffer
      - .offset:         32
        .size:           4
        .value_kind:     by_value
      - .offset:         40
        .size:           8
        .value_kind:     by_value
      - .address_space:  global
        .offset:         48
        .size:           8
        .value_kind:     global_buffer
      - .offset:         56
        .size:           1
        .value_kind:     by_value
      - .offset:         57
        .size:           1
        .value_kind:     by_value
    .group_segment_fixed_size: 472
    .kernarg_segment_align: 8
    .kernarg_segment_size: 60
    .language:       OpenCL C
    .language_version:
      - 2
      - 0
    .max_flat_workgroup_size: 64
    .name:           _ZN9rocsolver6v33100L18getri_kernel_smallILi29EdPKPdEEvT1_iilPiilS6_bb
    .private_segment_fixed_size: 240
    .sgpr_count:     28
    .sgpr_spill_count: 0
    .symbol:         _ZN9rocsolver6v33100L18getri_kernel_smallILi29EdPKPdEEvT1_iilPiilS6_bb.kd
    .uniform_work_group_size: 1
    .uses_dynamic_stack: false
    .vgpr_count:     128
    .vgpr_spill_count: 0
    .wavefront_size: 64
  - .agpr_count:     0
    .args:
      - .address_space:  global
        .offset:         0
        .size:           8
        .value_kind:     global_buffer
      - .offset:         8
        .size:           4
        .value_kind:     by_value
      - .offset:         12
        .size:           4
        .value_kind:     by_value
      - .offset:         16
        .size:           8
        .value_kind:     by_value
      - .address_space:  global
        .offset:         24
        .size:           8
        .value_kind:     global_buffer
      - .offset:         32
        .size:           4
        .value_kind:     by_value
      - .offset:         40
        .size:           8
        .value_kind:     by_value
      - .address_space:  global
        .offset:         48
        .size:           8
        .value_kind:     global_buffer
      - .offset:         56
        .size:           1
        .value_kind:     by_value
      - .offset:         57
        .size:           1
        .value_kind:     by_value
    .group_segment_fixed_size: 488
    .kernarg_segment_align: 8
    .kernarg_segment_size: 60
    .language:       OpenCL C
    .language_version:
      - 2
      - 0
    .max_flat_workgroup_size: 64
    .name:           _ZN9rocsolver6v33100L18getri_kernel_smallILi30EdPKPdEEvT1_iilPiilS6_bb
    .private_segment_fixed_size: 256
    .sgpr_count:     28
    .sgpr_spill_count: 0
    .symbol:         _ZN9rocsolver6v33100L18getri_kernel_smallILi30EdPKPdEEvT1_iilPiilS6_bb.kd
    .uniform_work_group_size: 1
    .uses_dynamic_stack: false
    .vgpr_count:     126
    .vgpr_spill_count: 0
    .wavefront_size: 64
  - .agpr_count:     0
    .args:
      - .address_space:  global
        .offset:         0
        .size:           8
        .value_kind:     global_buffer
      - .offset:         8
        .size:           4
        .value_kind:     by_value
      - .offset:         12
        .size:           4
        .value_kind:     by_value
      - .offset:         16
        .size:           8
        .value_kind:     by_value
      - .address_space:  global
        .offset:         24
        .size:           8
        .value_kind:     global_buffer
      - .offset:         32
        .size:           4
        .value_kind:     by_value
      - .offset:         40
        .size:           8
        .value_kind:     by_value
      - .address_space:  global
        .offset:         48
        .size:           8
        .value_kind:     global_buffer
      - .offset:         56
        .size:           1
        .value_kind:     by_value
      - .offset:         57
        .size:           1
        .value_kind:     by_value
    .group_segment_fixed_size: 504
    .kernarg_segment_align: 8
    .kernarg_segment_size: 60
    .language:       OpenCL C
    .language_version:
      - 2
      - 0
    .max_flat_workgroup_size: 64
    .name:           _ZN9rocsolver6v33100L18getri_kernel_smallILi31EdPKPdEEvT1_iilPiilS6_bb
    .private_segment_fixed_size: 256
    .sgpr_count:     28
    .sgpr_spill_count: 0
    .symbol:         _ZN9rocsolver6v33100L18getri_kernel_smallILi31EdPKPdEEvT1_iilPiilS6_bb.kd
    .uniform_work_group_size: 1
    .uses_dynamic_stack: false
    .vgpr_count:     124
    .vgpr_spill_count: 0
    .wavefront_size: 64
  - .agpr_count:     0
    .args:
      - .address_space:  global
        .offset:         0
        .size:           8
        .value_kind:     global_buffer
      - .offset:         8
        .size:           4
        .value_kind:     by_value
      - .offset:         12
        .size:           4
        .value_kind:     by_value
      - .offset:         16
        .size:           8
        .value_kind:     by_value
      - .address_space:  global
        .offset:         24
        .size:           8
        .value_kind:     global_buffer
      - .offset:         32
        .size:           4
        .value_kind:     by_value
      - .offset:         40
        .size:           8
        .value_kind:     by_value
      - .address_space:  global
        .offset:         48
        .size:           8
        .value_kind:     global_buffer
      - .offset:         56
        .size:           1
        .value_kind:     by_value
      - .offset:         57
        .size:           1
        .value_kind:     by_value
    .group_segment_fixed_size: 520
    .kernarg_segment_align: 8
    .kernarg_segment_size: 60
    .language:       OpenCL C
    .language_version:
      - 2
      - 0
    .max_flat_workgroup_size: 64
    .name:           _ZN9rocsolver6v33100L18getri_kernel_smallILi32EdPKPdEEvT1_iilPiilS6_bb
    .private_segment_fixed_size: 272
    .sgpr_count:     28
    .sgpr_spill_count: 0
    .symbol:         _ZN9rocsolver6v33100L18getri_kernel_smallILi32EdPKPdEEvT1_iilPiilS6_bb.kd
    .uniform_work_group_size: 1
    .uses_dynamic_stack: false
    .vgpr_count:     128
    .vgpr_spill_count: 0
    .wavefront_size: 64
  - .agpr_count:     0
    .args:
      - .address_space:  global
        .offset:         0
        .size:           8
        .value_kind:     global_buffer
      - .offset:         8
        .size:           4
        .value_kind:     by_value
      - .offset:         12
        .size:           4
        .value_kind:     by_value
      - .offset:         16
        .size:           8
        .value_kind:     by_value
      - .address_space:  global
        .offset:         24
        .size:           8
        .value_kind:     global_buffer
      - .offset:         32
        .size:           4
        .value_kind:     by_value
      - .offset:         40
        .size:           8
        .value_kind:     by_value
      - .address_space:  global
        .offset:         48
        .size:           8
        .value_kind:     global_buffer
      - .offset:         56
        .size:           1
        .value_kind:     by_value
      - .offset:         57
        .size:           1
        .value_kind:     by_value
    .group_segment_fixed_size: 536
    .kernarg_segment_align: 8
    .kernarg_segment_size: 60
    .language:       OpenCL C
    .language_version:
      - 2
      - 0
    .max_flat_workgroup_size: 64
    .name:           _ZN9rocsolver6v33100L18getri_kernel_smallILi33EdPKPdEEvT1_iilPiilS6_bb
    .private_segment_fixed_size: 272
    .sgpr_count:     28
    .sgpr_spill_count: 0
    .symbol:         _ZN9rocsolver6v33100L18getri_kernel_smallILi33EdPKPdEEvT1_iilPiilS6_bb.kd
    .uniform_work_group_size: 1
    .uses_dynamic_stack: false
    .vgpr_count:     128
    .vgpr_spill_count: 0
    .wavefront_size: 64
  - .agpr_count:     0
    .args:
      - .address_space:  global
        .offset:         0
        .size:           8
        .value_kind:     global_buffer
      - .offset:         8
        .size:           4
        .value_kind:     by_value
      - .offset:         12
        .size:           4
        .value_kind:     by_value
      - .offset:         16
        .size:           8
        .value_kind:     by_value
      - .address_space:  global
        .offset:         24
        .size:           8
        .value_kind:     global_buffer
      - .offset:         32
        .size:           4
        .value_kind:     by_value
      - .offset:         40
        .size:           8
        .value_kind:     by_value
      - .address_space:  global
        .offset:         48
        .size:           8
        .value_kind:     global_buffer
      - .offset:         56
        .size:           1
        .value_kind:     by_value
      - .offset:         57
        .size:           1
        .value_kind:     by_value
    .group_segment_fixed_size: 552
    .kernarg_segment_align: 8
    .kernarg_segment_size: 60
    .language:       OpenCL C
    .language_version:
      - 2
      - 0
    .max_flat_workgroup_size: 64
    .name:           _ZN9rocsolver6v33100L18getri_kernel_smallILi34EdPKPdEEvT1_iilPiilS6_bb
    .private_segment_fixed_size: 288
    .sgpr_count:     28
    .sgpr_spill_count: 0
    .symbol:         _ZN9rocsolver6v33100L18getri_kernel_smallILi34EdPKPdEEvT1_iilPiilS6_bb.kd
    .uniform_work_group_size: 1
    .uses_dynamic_stack: false
    .vgpr_count:     126
    .vgpr_spill_count: 0
    .wavefront_size: 64
  - .agpr_count:     0
    .args:
      - .address_space:  global
        .offset:         0
        .size:           8
        .value_kind:     global_buffer
      - .offset:         8
        .size:           4
        .value_kind:     by_value
      - .offset:         12
        .size:           4
        .value_kind:     by_value
      - .offset:         16
        .size:           8
        .value_kind:     by_value
      - .address_space:  global
        .offset:         24
        .size:           8
        .value_kind:     global_buffer
      - .offset:         32
        .size:           4
        .value_kind:     by_value
      - .offset:         40
        .size:           8
        .value_kind:     by_value
      - .address_space:  global
        .offset:         48
        .size:           8
        .value_kind:     global_buffer
      - .offset:         56
        .size:           1
        .value_kind:     by_value
      - .offset:         57
        .size:           1
        .value_kind:     by_value
    .group_segment_fixed_size: 568
    .kernarg_segment_align: 8
    .kernarg_segment_size: 60
    .language:       OpenCL C
    .language_version:
      - 2
      - 0
    .max_flat_workgroup_size: 64
    .name:           _ZN9rocsolver6v33100L18getri_kernel_smallILi35EdPKPdEEvT1_iilPiilS6_bb
    .private_segment_fixed_size: 288
    .sgpr_count:     28
    .sgpr_spill_count: 0
    .symbol:         _ZN9rocsolver6v33100L18getri_kernel_smallILi35EdPKPdEEvT1_iilPiilS6_bb.kd
    .uniform_work_group_size: 1
    .uses_dynamic_stack: false
    .vgpr_count:     124
    .vgpr_spill_count: 0
    .wavefront_size: 64
  - .agpr_count:     0
    .args:
      - .address_space:  global
        .offset:         0
        .size:           8
        .value_kind:     global_buffer
      - .offset:         8
        .size:           4
        .value_kind:     by_value
      - .offset:         12
        .size:           4
        .value_kind:     by_value
      - .offset:         16
        .size:           8
        .value_kind:     by_value
      - .address_space:  global
        .offset:         24
        .size:           8
        .value_kind:     global_buffer
      - .offset:         32
        .size:           4
        .value_kind:     by_value
      - .offset:         40
        .size:           8
        .value_kind:     by_value
      - .address_space:  global
        .offset:         48
        .size:           8
        .value_kind:     global_buffer
      - .offset:         56
        .size:           1
        .value_kind:     by_value
      - .offset:         57
        .size:           1
        .value_kind:     by_value
    .group_segment_fixed_size: 584
    .kernarg_segment_align: 8
    .kernarg_segment_size: 60
    .language:       OpenCL C
    .language_version:
      - 2
      - 0
    .max_flat_workgroup_size: 64
    .name:           _ZN9rocsolver6v33100L18getri_kernel_smallILi36EdPKPdEEvT1_iilPiilS6_bb
    .private_segment_fixed_size: 304
    .sgpr_count:     28
    .sgpr_spill_count: 0
    .symbol:         _ZN9rocsolver6v33100L18getri_kernel_smallILi36EdPKPdEEvT1_iilPiilS6_bb.kd
    .uniform_work_group_size: 1
    .uses_dynamic_stack: false
    .vgpr_count:     126
    .vgpr_spill_count: 0
    .wavefront_size: 64
  - .agpr_count:     0
    .args:
      - .address_space:  global
        .offset:         0
        .size:           8
        .value_kind:     global_buffer
      - .offset:         8
        .size:           4
        .value_kind:     by_value
      - .offset:         12
        .size:           4
        .value_kind:     by_value
      - .offset:         16
        .size:           8
        .value_kind:     by_value
      - .address_space:  global
        .offset:         24
        .size:           8
        .value_kind:     global_buffer
      - .offset:         32
        .size:           4
        .value_kind:     by_value
      - .offset:         40
        .size:           8
        .value_kind:     by_value
      - .address_space:  global
        .offset:         48
        .size:           8
        .value_kind:     global_buffer
      - .offset:         56
        .size:           1
        .value_kind:     by_value
      - .offset:         57
        .size:           1
        .value_kind:     by_value
    .group_segment_fixed_size: 600
    .kernarg_segment_align: 8
    .kernarg_segment_size: 60
    .language:       OpenCL C
    .language_version:
      - 2
      - 0
    .max_flat_workgroup_size: 64
    .name:           _ZN9rocsolver6v33100L18getri_kernel_smallILi37EdPKPdEEvT1_iilPiilS6_bb
    .private_segment_fixed_size: 304
    .sgpr_count:     28
    .sgpr_spill_count: 0
    .symbol:         _ZN9rocsolver6v33100L18getri_kernel_smallILi37EdPKPdEEvT1_iilPiilS6_bb.kd
    .uniform_work_group_size: 1
    .uses_dynamic_stack: false
    .vgpr_count:     128
    .vgpr_spill_count: 0
    .wavefront_size: 64
  - .agpr_count:     0
    .args:
      - .address_space:  global
        .offset:         0
        .size:           8
        .value_kind:     global_buffer
      - .offset:         8
        .size:           4
        .value_kind:     by_value
      - .offset:         12
        .size:           4
        .value_kind:     by_value
      - .offset:         16
        .size:           8
        .value_kind:     by_value
      - .address_space:  global
        .offset:         24
        .size:           8
        .value_kind:     global_buffer
      - .offset:         32
        .size:           4
        .value_kind:     by_value
      - .offset:         40
        .size:           8
        .value_kind:     by_value
      - .address_space:  global
        .offset:         48
        .size:           8
        .value_kind:     global_buffer
      - .offset:         56
        .size:           1
        .value_kind:     by_value
      - .offset:         57
        .size:           1
        .value_kind:     by_value
    .group_segment_fixed_size: 616
    .kernarg_segment_align: 8
    .kernarg_segment_size: 60
    .language:       OpenCL C
    .language_version:
      - 2
      - 0
    .max_flat_workgroup_size: 64
    .name:           _ZN9rocsolver6v33100L18getri_kernel_smallILi38EdPKPdEEvT1_iilPiilS6_bb
    .private_segment_fixed_size: 320
    .sgpr_count:     28
    .sgpr_spill_count: 0
    .symbol:         _ZN9rocsolver6v33100L18getri_kernel_smallILi38EdPKPdEEvT1_iilPiilS6_bb.kd
    .uniform_work_group_size: 1
    .uses_dynamic_stack: false
    .vgpr_count:     126
    .vgpr_spill_count: 0
    .wavefront_size: 64
  - .agpr_count:     0
    .args:
      - .address_space:  global
        .offset:         0
        .size:           8
        .value_kind:     global_buffer
      - .offset:         8
        .size:           4
        .value_kind:     by_value
      - .offset:         12
        .size:           4
        .value_kind:     by_value
      - .offset:         16
        .size:           8
        .value_kind:     by_value
      - .address_space:  global
        .offset:         24
        .size:           8
        .value_kind:     global_buffer
      - .offset:         32
        .size:           4
        .value_kind:     by_value
      - .offset:         40
        .size:           8
        .value_kind:     by_value
      - .address_space:  global
        .offset:         48
        .size:           8
        .value_kind:     global_buffer
      - .offset:         56
        .size:           1
        .value_kind:     by_value
      - .offset:         57
        .size:           1
        .value_kind:     by_value
    .group_segment_fixed_size: 632
    .kernarg_segment_align: 8
    .kernarg_segment_size: 60
    .language:       OpenCL C
    .language_version:
      - 2
      - 0
    .max_flat_workgroup_size: 64
    .name:           _ZN9rocsolver6v33100L18getri_kernel_smallILi39EdPKPdEEvT1_iilPiilS6_bb
    .private_segment_fixed_size: 320
    .sgpr_count:     28
    .sgpr_spill_count: 0
    .symbol:         _ZN9rocsolver6v33100L18getri_kernel_smallILi39EdPKPdEEvT1_iilPiilS6_bb.kd
    .uniform_work_group_size: 1
    .uses_dynamic_stack: false
    .vgpr_count:     124
    .vgpr_spill_count: 0
    .wavefront_size: 64
  - .agpr_count:     0
    .args:
      - .address_space:  global
        .offset:         0
        .size:           8
        .value_kind:     global_buffer
      - .offset:         8
        .size:           4
        .value_kind:     by_value
      - .offset:         12
        .size:           4
        .value_kind:     by_value
      - .offset:         16
        .size:           8
        .value_kind:     by_value
      - .address_space:  global
        .offset:         24
        .size:           8
        .value_kind:     global_buffer
      - .offset:         32
        .size:           4
        .value_kind:     by_value
      - .offset:         40
        .size:           8
        .value_kind:     by_value
      - .address_space:  global
        .offset:         48
        .size:           8
        .value_kind:     global_buffer
      - .offset:         56
        .size:           1
        .value_kind:     by_value
      - .offset:         57
        .size:           1
        .value_kind:     by_value
    .group_segment_fixed_size: 648
    .kernarg_segment_align: 8
    .kernarg_segment_size: 60
    .language:       OpenCL C
    .language_version:
      - 2
      - 0
    .max_flat_workgroup_size: 64
    .name:           _ZN9rocsolver6v33100L18getri_kernel_smallILi40EdPKPdEEvT1_iilPiilS6_bb
    .private_segment_fixed_size: 336
    .sgpr_count:     28
    .sgpr_spill_count: 0
    .symbol:         _ZN9rocsolver6v33100L18getri_kernel_smallILi40EdPKPdEEvT1_iilPiilS6_bb.kd
    .uniform_work_group_size: 1
    .uses_dynamic_stack: false
    .vgpr_count:     126
    .vgpr_spill_count: 0
    .wavefront_size: 64
  - .agpr_count:     0
    .args:
      - .address_space:  global
        .offset:         0
        .size:           8
        .value_kind:     global_buffer
      - .offset:         8
        .size:           4
        .value_kind:     by_value
      - .offset:         12
        .size:           4
        .value_kind:     by_value
      - .offset:         16
        .size:           8
        .value_kind:     by_value
      - .address_space:  global
        .offset:         24
        .size:           8
        .value_kind:     global_buffer
      - .offset:         32
        .size:           4
        .value_kind:     by_value
      - .offset:         40
        .size:           8
        .value_kind:     by_value
      - .address_space:  global
        .offset:         48
        .size:           8
        .value_kind:     global_buffer
      - .offset:         56
        .size:           1
        .value_kind:     by_value
      - .offset:         57
        .size:           1
        .value_kind:     by_value
    .group_segment_fixed_size: 664
    .kernarg_segment_align: 8
    .kernarg_segment_size: 60
    .language:       OpenCL C
    .language_version:
      - 2
      - 0
    .max_flat_workgroup_size: 64
    .name:           _ZN9rocsolver6v33100L18getri_kernel_smallILi41EdPKPdEEvT1_iilPiilS6_bb
    .private_segment_fixed_size: 336
    .sgpr_count:     28
    .sgpr_spill_count: 0
    .symbol:         _ZN9rocsolver6v33100L18getri_kernel_smallILi41EdPKPdEEvT1_iilPiilS6_bb.kd
    .uniform_work_group_size: 1
    .uses_dynamic_stack: false
    .vgpr_count:     128
    .vgpr_spill_count: 0
    .wavefront_size: 64
  - .agpr_count:     0
    .args:
      - .address_space:  global
        .offset:         0
        .size:           8
        .value_kind:     global_buffer
      - .offset:         8
        .size:           4
        .value_kind:     by_value
      - .offset:         12
        .size:           4
        .value_kind:     by_value
      - .offset:         16
        .size:           8
        .value_kind:     by_value
      - .address_space:  global
        .offset:         24
        .size:           8
        .value_kind:     global_buffer
      - .offset:         32
        .size:           4
        .value_kind:     by_value
      - .offset:         40
        .size:           8
        .value_kind:     by_value
      - .address_space:  global
        .offset:         48
        .size:           8
        .value_kind:     global_buffer
      - .offset:         56
        .size:           1
        .value_kind:     by_value
      - .offset:         57
        .size:           1
        .value_kind:     by_value
    .group_segment_fixed_size: 680
    .kernarg_segment_align: 8
    .kernarg_segment_size: 60
    .language:       OpenCL C
    .language_version:
      - 2
      - 0
    .max_flat_workgroup_size: 64
    .name:           _ZN9rocsolver6v33100L18getri_kernel_smallILi42EdPKPdEEvT1_iilPiilS6_bb
    .private_segment_fixed_size: 352
    .sgpr_count:     28
    .sgpr_spill_count: 0
    .symbol:         _ZN9rocsolver6v33100L18getri_kernel_smallILi42EdPKPdEEvT1_iilPiilS6_bb.kd
    .uniform_work_group_size: 1
    .uses_dynamic_stack: false
    .vgpr_count:     126
    .vgpr_spill_count: 0
    .wavefront_size: 64
  - .agpr_count:     0
    .args:
      - .address_space:  global
        .offset:         0
        .size:           8
        .value_kind:     global_buffer
      - .offset:         8
        .size:           4
        .value_kind:     by_value
      - .offset:         12
        .size:           4
        .value_kind:     by_value
      - .offset:         16
        .size:           8
        .value_kind:     by_value
      - .address_space:  global
        .offset:         24
        .size:           8
        .value_kind:     global_buffer
      - .offset:         32
        .size:           4
        .value_kind:     by_value
      - .offset:         40
        .size:           8
        .value_kind:     by_value
      - .address_space:  global
        .offset:         48
        .size:           8
        .value_kind:     global_buffer
      - .offset:         56
        .size:           1
        .value_kind:     by_value
      - .offset:         57
        .size:           1
        .value_kind:     by_value
    .group_segment_fixed_size: 696
    .kernarg_segment_align: 8
    .kernarg_segment_size: 60
    .language:       OpenCL C
    .language_version:
      - 2
      - 0
    .max_flat_workgroup_size: 64
    .name:           _ZN9rocsolver6v33100L18getri_kernel_smallILi43EdPKPdEEvT1_iilPiilS6_bb
    .private_segment_fixed_size: 352
    .sgpr_count:     28
    .sgpr_spill_count: 0
    .symbol:         _ZN9rocsolver6v33100L18getri_kernel_smallILi43EdPKPdEEvT1_iilPiilS6_bb.kd
    .uniform_work_group_size: 1
    .uses_dynamic_stack: false
    .vgpr_count:     124
    .vgpr_spill_count: 0
    .wavefront_size: 64
  - .agpr_count:     0
    .args:
      - .address_space:  global
        .offset:         0
        .size:           8
        .value_kind:     global_buffer
      - .offset:         8
        .size:           4
        .value_kind:     by_value
      - .offset:         12
        .size:           4
        .value_kind:     by_value
      - .offset:         16
        .size:           8
        .value_kind:     by_value
      - .address_space:  global
        .offset:         24
        .size:           8
        .value_kind:     global_buffer
      - .offset:         32
        .size:           4
        .value_kind:     by_value
      - .offset:         40
        .size:           8
        .value_kind:     by_value
      - .address_space:  global
        .offset:         48
        .size:           8
        .value_kind:     global_buffer
      - .offset:         56
        .size:           1
        .value_kind:     by_value
      - .offset:         57
        .size:           1
        .value_kind:     by_value
    .group_segment_fixed_size: 712
    .kernarg_segment_align: 8
    .kernarg_segment_size: 60
    .language:       OpenCL C
    .language_version:
      - 2
      - 0
    .max_flat_workgroup_size: 64
    .name:           _ZN9rocsolver6v33100L18getri_kernel_smallILi44EdPKPdEEvT1_iilPiilS6_bb
    .private_segment_fixed_size: 368
    .sgpr_count:     28
    .sgpr_spill_count: 0
    .symbol:         _ZN9rocsolver6v33100L18getri_kernel_smallILi44EdPKPdEEvT1_iilPiilS6_bb.kd
    .uniform_work_group_size: 1
    .uses_dynamic_stack: false
    .vgpr_count:     126
    .vgpr_spill_count: 0
    .wavefront_size: 64
  - .agpr_count:     0
    .args:
      - .address_space:  global
        .offset:         0
        .size:           8
        .value_kind:     global_buffer
      - .offset:         8
        .size:           4
        .value_kind:     by_value
      - .offset:         12
        .size:           4
        .value_kind:     by_value
      - .offset:         16
        .size:           8
        .value_kind:     by_value
      - .address_space:  global
        .offset:         24
        .size:           8
        .value_kind:     global_buffer
      - .offset:         32
        .size:           4
        .value_kind:     by_value
      - .offset:         40
        .size:           8
        .value_kind:     by_value
      - .address_space:  global
        .offset:         48
        .size:           8
        .value_kind:     global_buffer
      - .offset:         56
        .size:           1
        .value_kind:     by_value
      - .offset:         57
        .size:           1
        .value_kind:     by_value
    .group_segment_fixed_size: 728
    .kernarg_segment_align: 8
    .kernarg_segment_size: 60
    .language:       OpenCL C
    .language_version:
      - 2
      - 0
    .max_flat_workgroup_size: 64
    .name:           _ZN9rocsolver6v33100L18getri_kernel_smallILi45EdPKPdEEvT1_iilPiilS6_bb
    .private_segment_fixed_size: 368
    .sgpr_count:     28
    .sgpr_spill_count: 0
    .symbol:         _ZN9rocsolver6v33100L18getri_kernel_smallILi45EdPKPdEEvT1_iilPiilS6_bb.kd
    .uniform_work_group_size: 1
    .uses_dynamic_stack: false
    .vgpr_count:     128
    .vgpr_spill_count: 0
    .wavefront_size: 64
  - .agpr_count:     0
    .args:
      - .address_space:  global
        .offset:         0
        .size:           8
        .value_kind:     global_buffer
      - .offset:         8
        .size:           4
        .value_kind:     by_value
      - .offset:         12
        .size:           4
        .value_kind:     by_value
      - .offset:         16
        .size:           8
        .value_kind:     by_value
      - .address_space:  global
        .offset:         24
        .size:           8
        .value_kind:     global_buffer
      - .offset:         32
        .size:           4
        .value_kind:     by_value
      - .offset:         40
        .size:           8
        .value_kind:     by_value
      - .address_space:  global
        .offset:         48
        .size:           8
        .value_kind:     global_buffer
      - .offset:         56
        .size:           1
        .value_kind:     by_value
      - .offset:         57
        .size:           1
        .value_kind:     by_value
    .group_segment_fixed_size: 744
    .kernarg_segment_align: 8
    .kernarg_segment_size: 60
    .language:       OpenCL C
    .language_version:
      - 2
      - 0
    .max_flat_workgroup_size: 64
    .name:           _ZN9rocsolver6v33100L18getri_kernel_smallILi46EdPKPdEEvT1_iilPiilS6_bb
    .private_segment_fixed_size: 384
    .sgpr_count:     28
    .sgpr_spill_count: 0
    .symbol:         _ZN9rocsolver6v33100L18getri_kernel_smallILi46EdPKPdEEvT1_iilPiilS6_bb.kd
    .uniform_work_group_size: 1
    .uses_dynamic_stack: false
    .vgpr_count:     166
    .vgpr_spill_count: 0
    .wavefront_size: 64
  - .agpr_count:     0
    .args:
      - .address_space:  global
        .offset:         0
        .size:           8
        .value_kind:     global_buffer
      - .offset:         8
        .size:           4
        .value_kind:     by_value
      - .offset:         12
        .size:           4
        .value_kind:     by_value
      - .offset:         16
        .size:           8
        .value_kind:     by_value
      - .address_space:  global
        .offset:         24
        .size:           8
        .value_kind:     global_buffer
      - .offset:         32
        .size:           4
        .value_kind:     by_value
      - .offset:         40
        .size:           8
        .value_kind:     by_value
      - .address_space:  global
        .offset:         48
        .size:           8
        .value_kind:     global_buffer
      - .offset:         56
        .size:           1
        .value_kind:     by_value
      - .offset:         57
        .size:           1
        .value_kind:     by_value
    .group_segment_fixed_size: 760
    .kernarg_segment_align: 8
    .kernarg_segment_size: 60
    .language:       OpenCL C
    .language_version:
      - 2
      - 0
    .max_flat_workgroup_size: 64
    .name:           _ZN9rocsolver6v33100L18getri_kernel_smallILi47EdPKPdEEvT1_iilPiilS6_bb
    .private_segment_fixed_size: 384
    .sgpr_count:     28
    .sgpr_spill_count: 0
    .symbol:         _ZN9rocsolver6v33100L18getri_kernel_smallILi47EdPKPdEEvT1_iilPiilS6_bb.kd
    .uniform_work_group_size: 1
    .uses_dynamic_stack: false
    .vgpr_count:     164
    .vgpr_spill_count: 0
    .wavefront_size: 64
  - .agpr_count:     0
    .args:
      - .address_space:  global
        .offset:         0
        .size:           8
        .value_kind:     global_buffer
      - .offset:         8
        .size:           4
        .value_kind:     by_value
      - .offset:         12
        .size:           4
        .value_kind:     by_value
      - .offset:         16
        .size:           8
        .value_kind:     by_value
      - .address_space:  global
        .offset:         24
        .size:           8
        .value_kind:     global_buffer
      - .offset:         32
        .size:           4
        .value_kind:     by_value
      - .offset:         40
        .size:           8
        .value_kind:     by_value
      - .address_space:  global
        .offset:         48
        .size:           8
        .value_kind:     global_buffer
      - .offset:         56
        .size:           1
        .value_kind:     by_value
      - .offset:         57
        .size:           1
        .value_kind:     by_value
    .group_segment_fixed_size: 776
    .kernarg_segment_align: 8
    .kernarg_segment_size: 60
    .language:       OpenCL C
    .language_version:
      - 2
      - 0
    .max_flat_workgroup_size: 64
    .name:           _ZN9rocsolver6v33100L18getri_kernel_smallILi48EdPKPdEEvT1_iilPiilS6_bb
    .private_segment_fixed_size: 400
    .sgpr_count:     28
    .sgpr_spill_count: 0
    .symbol:         _ZN9rocsolver6v33100L18getri_kernel_smallILi48EdPKPdEEvT1_iilPiilS6_bb.kd
    .uniform_work_group_size: 1
    .uses_dynamic_stack: false
    .vgpr_count:     166
    .vgpr_spill_count: 0
    .wavefront_size: 64
  - .agpr_count:     0
    .args:
      - .address_space:  global
        .offset:         0
        .size:           8
        .value_kind:     global_buffer
      - .offset:         8
        .size:           4
        .value_kind:     by_value
      - .offset:         12
        .size:           4
        .value_kind:     by_value
      - .offset:         16
        .size:           8
        .value_kind:     by_value
      - .address_space:  global
        .offset:         24
        .size:           8
        .value_kind:     global_buffer
      - .offset:         32
        .size:           4
        .value_kind:     by_value
      - .offset:         40
        .size:           8
        .value_kind:     by_value
      - .address_space:  global
        .offset:         48
        .size:           8
        .value_kind:     global_buffer
      - .offset:         56
        .size:           1
        .value_kind:     by_value
      - .offset:         57
        .size:           1
        .value_kind:     by_value
    .group_segment_fixed_size: 792
    .kernarg_segment_align: 8
    .kernarg_segment_size: 60
    .language:       OpenCL C
    .language_version:
      - 2
      - 0
    .max_flat_workgroup_size: 64
    .name:           _ZN9rocsolver6v33100L18getri_kernel_smallILi49EdPKPdEEvT1_iilPiilS6_bb
    .private_segment_fixed_size: 400
    .sgpr_count:     28
    .sgpr_spill_count: 0
    .symbol:         _ZN9rocsolver6v33100L18getri_kernel_smallILi49EdPKPdEEvT1_iilPiilS6_bb.kd
    .uniform_work_group_size: 1
    .uses_dynamic_stack: false
    .vgpr_count:     168
    .vgpr_spill_count: 0
    .wavefront_size: 64
  - .agpr_count:     0
    .args:
      - .address_space:  global
        .offset:         0
        .size:           8
        .value_kind:     global_buffer
      - .offset:         8
        .size:           4
        .value_kind:     by_value
      - .offset:         12
        .size:           4
        .value_kind:     by_value
      - .offset:         16
        .size:           8
        .value_kind:     by_value
      - .address_space:  global
        .offset:         24
        .size:           8
        .value_kind:     global_buffer
      - .offset:         32
        .size:           4
        .value_kind:     by_value
      - .offset:         40
        .size:           8
        .value_kind:     by_value
      - .address_space:  global
        .offset:         48
        .size:           8
        .value_kind:     global_buffer
      - .offset:         56
        .size:           1
        .value_kind:     by_value
      - .offset:         57
        .size:           1
        .value_kind:     by_value
    .group_segment_fixed_size: 808
    .kernarg_segment_align: 8
    .kernarg_segment_size: 60
    .language:       OpenCL C
    .language_version:
      - 2
      - 0
    .max_flat_workgroup_size: 64
    .name:           _ZN9rocsolver6v33100L18getri_kernel_smallILi50EdPKPdEEvT1_iilPiilS6_bb
    .private_segment_fixed_size: 416
    .sgpr_count:     28
    .sgpr_spill_count: 0
    .symbol:         _ZN9rocsolver6v33100L18getri_kernel_smallILi50EdPKPdEEvT1_iilPiilS6_bb.kd
    .uniform_work_group_size: 1
    .uses_dynamic_stack: false
    .vgpr_count:     166
    .vgpr_spill_count: 0
    .wavefront_size: 64
  - .agpr_count:     0
    .args:
      - .address_space:  global
        .offset:         0
        .size:           8
        .value_kind:     global_buffer
      - .offset:         8
        .size:           4
        .value_kind:     by_value
      - .offset:         12
        .size:           4
        .value_kind:     by_value
      - .offset:         16
        .size:           8
        .value_kind:     by_value
      - .address_space:  global
        .offset:         24
        .size:           8
        .value_kind:     global_buffer
      - .offset:         32
        .size:           4
        .value_kind:     by_value
      - .offset:         40
        .size:           8
        .value_kind:     by_value
      - .address_space:  global
        .offset:         48
        .size:           8
        .value_kind:     global_buffer
      - .offset:         56
        .size:           1
        .value_kind:     by_value
      - .offset:         57
        .size:           1
        .value_kind:     by_value
    .group_segment_fixed_size: 824
    .kernarg_segment_align: 8
    .kernarg_segment_size: 60
    .language:       OpenCL C
    .language_version:
      - 2
      - 0
    .max_flat_workgroup_size: 64
    .name:           _ZN9rocsolver6v33100L18getri_kernel_smallILi51EdPKPdEEvT1_iilPiilS6_bb
    .private_segment_fixed_size: 416
    .sgpr_count:     28
    .sgpr_spill_count: 0
    .symbol:         _ZN9rocsolver6v33100L18getri_kernel_smallILi51EdPKPdEEvT1_iilPiilS6_bb.kd
    .uniform_work_group_size: 1
    .uses_dynamic_stack: false
    .vgpr_count:     164
    .vgpr_spill_count: 0
    .wavefront_size: 64
  - .agpr_count:     0
    .args:
      - .address_space:  global
        .offset:         0
        .size:           8
        .value_kind:     global_buffer
      - .offset:         8
        .size:           4
        .value_kind:     by_value
      - .offset:         12
        .size:           4
        .value_kind:     by_value
      - .offset:         16
        .size:           8
        .value_kind:     by_value
      - .address_space:  global
        .offset:         24
        .size:           8
        .value_kind:     global_buffer
      - .offset:         32
        .size:           4
        .value_kind:     by_value
      - .offset:         40
        .size:           8
        .value_kind:     by_value
      - .address_space:  global
        .offset:         48
        .size:           8
        .value_kind:     global_buffer
      - .offset:         56
        .size:           1
        .value_kind:     by_value
      - .offset:         57
        .size:           1
        .value_kind:     by_value
    .group_segment_fixed_size: 840
    .kernarg_segment_align: 8
    .kernarg_segment_size: 60
    .language:       OpenCL C
    .language_version:
      - 2
      - 0
    .max_flat_workgroup_size: 64
    .name:           _ZN9rocsolver6v33100L18getri_kernel_smallILi52EdPKPdEEvT1_iilPiilS6_bb
    .private_segment_fixed_size: 432
    .sgpr_count:     28
    .sgpr_spill_count: 0
    .symbol:         _ZN9rocsolver6v33100L18getri_kernel_smallILi52EdPKPdEEvT1_iilPiilS6_bb.kd
    .uniform_work_group_size: 1
    .uses_dynamic_stack: false
    .vgpr_count:     166
    .vgpr_spill_count: 0
    .wavefront_size: 64
  - .agpr_count:     0
    .args:
      - .address_space:  global
        .offset:         0
        .size:           8
        .value_kind:     global_buffer
      - .offset:         8
        .size:           4
        .value_kind:     by_value
      - .offset:         12
        .size:           4
        .value_kind:     by_value
      - .offset:         16
        .size:           8
        .value_kind:     by_value
      - .address_space:  global
        .offset:         24
        .size:           8
        .value_kind:     global_buffer
      - .offset:         32
        .size:           4
        .value_kind:     by_value
      - .offset:         40
        .size:           8
        .value_kind:     by_value
      - .address_space:  global
        .offset:         48
        .size:           8
        .value_kind:     global_buffer
      - .offset:         56
        .size:           1
        .value_kind:     by_value
      - .offset:         57
        .size:           1
        .value_kind:     by_value
    .group_segment_fixed_size: 856
    .kernarg_segment_align: 8
    .kernarg_segment_size: 60
    .language:       OpenCL C
    .language_version:
      - 2
      - 0
    .max_flat_workgroup_size: 64
    .name:           _ZN9rocsolver6v33100L18getri_kernel_smallILi53EdPKPdEEvT1_iilPiilS6_bb
    .private_segment_fixed_size: 432
    .sgpr_count:     28
    .sgpr_spill_count: 0
    .symbol:         _ZN9rocsolver6v33100L18getri_kernel_smallILi53EdPKPdEEvT1_iilPiilS6_bb.kd
    .uniform_work_group_size: 1
    .uses_dynamic_stack: false
    .vgpr_count:     168
    .vgpr_spill_count: 0
    .wavefront_size: 64
  - .agpr_count:     0
    .args:
      - .address_space:  global
        .offset:         0
        .size:           8
        .value_kind:     global_buffer
      - .offset:         8
        .size:           4
        .value_kind:     by_value
      - .offset:         12
        .size:           4
        .value_kind:     by_value
      - .offset:         16
        .size:           8
        .value_kind:     by_value
      - .address_space:  global
        .offset:         24
        .size:           8
        .value_kind:     global_buffer
      - .offset:         32
        .size:           4
        .value_kind:     by_value
      - .offset:         40
        .size:           8
        .value_kind:     by_value
      - .address_space:  global
        .offset:         48
        .size:           8
        .value_kind:     global_buffer
      - .offset:         56
        .size:           1
        .value_kind:     by_value
      - .offset:         57
        .size:           1
        .value_kind:     by_value
    .group_segment_fixed_size: 872
    .kernarg_segment_align: 8
    .kernarg_segment_size: 60
    .language:       OpenCL C
    .language_version:
      - 2
      - 0
    .max_flat_workgroup_size: 64
    .name:           _ZN9rocsolver6v33100L18getri_kernel_smallILi54EdPKPdEEvT1_iilPiilS6_bb
    .private_segment_fixed_size: 448
    .sgpr_count:     28
    .sgpr_spill_count: 0
    .symbol:         _ZN9rocsolver6v33100L18getri_kernel_smallILi54EdPKPdEEvT1_iilPiilS6_bb.kd
    .uniform_work_group_size: 1
    .uses_dynamic_stack: false
    .vgpr_count:     166
    .vgpr_spill_count: 0
    .wavefront_size: 64
  - .agpr_count:     0
    .args:
      - .address_space:  global
        .offset:         0
        .size:           8
        .value_kind:     global_buffer
      - .offset:         8
        .size:           4
        .value_kind:     by_value
      - .offset:         12
        .size:           4
        .value_kind:     by_value
      - .offset:         16
        .size:           8
        .value_kind:     by_value
      - .address_space:  global
        .offset:         24
        .size:           8
        .value_kind:     global_buffer
      - .offset:         32
        .size:           4
        .value_kind:     by_value
      - .offset:         40
        .size:           8
        .value_kind:     by_value
      - .address_space:  global
        .offset:         48
        .size:           8
        .value_kind:     global_buffer
      - .offset:         56
        .size:           1
        .value_kind:     by_value
      - .offset:         57
        .size:           1
        .value_kind:     by_value
    .group_segment_fixed_size: 888
    .kernarg_segment_align: 8
    .kernarg_segment_size: 60
    .language:       OpenCL C
    .language_version:
      - 2
      - 0
    .max_flat_workgroup_size: 64
    .name:           _ZN9rocsolver6v33100L18getri_kernel_smallILi55EdPKPdEEvT1_iilPiilS6_bb
    .private_segment_fixed_size: 448
    .sgpr_count:     28
    .sgpr_spill_count: 0
    .symbol:         _ZN9rocsolver6v33100L18getri_kernel_smallILi55EdPKPdEEvT1_iilPiilS6_bb.kd
    .uniform_work_group_size: 1
    .uses_dynamic_stack: false
    .vgpr_count:     164
    .vgpr_spill_count: 0
    .wavefront_size: 64
  - .agpr_count:     0
    .args:
      - .address_space:  global
        .offset:         0
        .size:           8
        .value_kind:     global_buffer
      - .offset:         8
        .size:           4
        .value_kind:     by_value
      - .offset:         12
        .size:           4
        .value_kind:     by_value
      - .offset:         16
        .size:           8
        .value_kind:     by_value
      - .address_space:  global
        .offset:         24
        .size:           8
        .value_kind:     global_buffer
      - .offset:         32
        .size:           4
        .value_kind:     by_value
      - .offset:         40
        .size:           8
        .value_kind:     by_value
      - .address_space:  global
        .offset:         48
        .size:           8
        .value_kind:     global_buffer
      - .offset:         56
        .size:           1
        .value_kind:     by_value
      - .offset:         57
        .size:           1
        .value_kind:     by_value
    .group_segment_fixed_size: 904
    .kernarg_segment_align: 8
    .kernarg_segment_size: 60
    .language:       OpenCL C
    .language_version:
      - 2
      - 0
    .max_flat_workgroup_size: 64
    .name:           _ZN9rocsolver6v33100L18getri_kernel_smallILi56EdPKPdEEvT1_iilPiilS6_bb
    .private_segment_fixed_size: 464
    .sgpr_count:     28
    .sgpr_spill_count: 0
    .symbol:         _ZN9rocsolver6v33100L18getri_kernel_smallILi56EdPKPdEEvT1_iilPiilS6_bb.kd
    .uniform_work_group_size: 1
    .uses_dynamic_stack: false
    .vgpr_count:     166
    .vgpr_spill_count: 0
    .wavefront_size: 64
  - .agpr_count:     0
    .args:
      - .address_space:  global
        .offset:         0
        .size:           8
        .value_kind:     global_buffer
      - .offset:         8
        .size:           4
        .value_kind:     by_value
      - .offset:         12
        .size:           4
        .value_kind:     by_value
      - .offset:         16
        .size:           8
        .value_kind:     by_value
      - .address_space:  global
        .offset:         24
        .size:           8
        .value_kind:     global_buffer
      - .offset:         32
        .size:           4
        .value_kind:     by_value
      - .offset:         40
        .size:           8
        .value_kind:     by_value
      - .address_space:  global
        .offset:         48
        .size:           8
        .value_kind:     global_buffer
      - .offset:         56
        .size:           1
        .value_kind:     by_value
      - .offset:         57
        .size:           1
        .value_kind:     by_value
    .group_segment_fixed_size: 920
    .kernarg_segment_align: 8
    .kernarg_segment_size: 60
    .language:       OpenCL C
    .language_version:
      - 2
      - 0
    .max_flat_workgroup_size: 64
    .name:           _ZN9rocsolver6v33100L18getri_kernel_smallILi57EdPKPdEEvT1_iilPiilS6_bb
    .private_segment_fixed_size: 464
    .sgpr_count:     28
    .sgpr_spill_count: 0
    .symbol:         _ZN9rocsolver6v33100L18getri_kernel_smallILi57EdPKPdEEvT1_iilPiilS6_bb.kd
    .uniform_work_group_size: 1
    .uses_dynamic_stack: false
    .vgpr_count:     168
    .vgpr_spill_count: 0
    .wavefront_size: 64
  - .agpr_count:     0
    .args:
      - .address_space:  global
        .offset:         0
        .size:           8
        .value_kind:     global_buffer
      - .offset:         8
        .size:           4
        .value_kind:     by_value
      - .offset:         12
        .size:           4
        .value_kind:     by_value
      - .offset:         16
        .size:           8
        .value_kind:     by_value
      - .address_space:  global
        .offset:         24
        .size:           8
        .value_kind:     global_buffer
      - .offset:         32
        .size:           4
        .value_kind:     by_value
      - .offset:         40
        .size:           8
        .value_kind:     by_value
      - .address_space:  global
        .offset:         48
        .size:           8
        .value_kind:     global_buffer
      - .offset:         56
        .size:           1
        .value_kind:     by_value
      - .offset:         57
        .size:           1
        .value_kind:     by_value
    .group_segment_fixed_size: 936
    .kernarg_segment_align: 8
    .kernarg_segment_size: 60
    .language:       OpenCL C
    .language_version:
      - 2
      - 0
    .max_flat_workgroup_size: 64
    .name:           _ZN9rocsolver6v33100L18getri_kernel_smallILi58EdPKPdEEvT1_iilPiilS6_bb
    .private_segment_fixed_size: 480
    .sgpr_count:     28
    .sgpr_spill_count: 0
    .symbol:         _ZN9rocsolver6v33100L18getri_kernel_smallILi58EdPKPdEEvT1_iilPiilS6_bb.kd
    .uniform_work_group_size: 1
    .uses_dynamic_stack: false
    .vgpr_count:     166
    .vgpr_spill_count: 0
    .wavefront_size: 64
  - .agpr_count:     0
    .args:
      - .address_space:  global
        .offset:         0
        .size:           8
        .value_kind:     global_buffer
      - .offset:         8
        .size:           4
        .value_kind:     by_value
      - .offset:         12
        .size:           4
        .value_kind:     by_value
      - .offset:         16
        .size:           8
        .value_kind:     by_value
      - .address_space:  global
        .offset:         24
        .size:           8
        .value_kind:     global_buffer
      - .offset:         32
        .size:           4
        .value_kind:     by_value
      - .offset:         40
        .size:           8
        .value_kind:     by_value
      - .address_space:  global
        .offset:         48
        .size:           8
        .value_kind:     global_buffer
      - .offset:         56
        .size:           1
        .value_kind:     by_value
      - .offset:         57
        .size:           1
        .value_kind:     by_value
    .group_segment_fixed_size: 952
    .kernarg_segment_align: 8
    .kernarg_segment_size: 60
    .language:       OpenCL C
    .language_version:
      - 2
      - 0
    .max_flat_workgroup_size: 64
    .name:           _ZN9rocsolver6v33100L18getri_kernel_smallILi59EdPKPdEEvT1_iilPiilS6_bb
    .private_segment_fixed_size: 480
    .sgpr_count:     28
    .sgpr_spill_count: 0
    .symbol:         _ZN9rocsolver6v33100L18getri_kernel_smallILi59EdPKPdEEvT1_iilPiilS6_bb.kd
    .uniform_work_group_size: 1
    .uses_dynamic_stack: false
    .vgpr_count:     166
    .vgpr_spill_count: 0
    .wavefront_size: 64
  - .agpr_count:     0
    .args:
      - .address_space:  global
        .offset:         0
        .size:           8
        .value_kind:     global_buffer
      - .offset:         8
        .size:           4
        .value_kind:     by_value
      - .offset:         12
        .size:           4
        .value_kind:     by_value
      - .offset:         16
        .size:           8
        .value_kind:     by_value
      - .address_space:  global
        .offset:         24
        .size:           8
        .value_kind:     global_buffer
      - .offset:         32
        .size:           4
        .value_kind:     by_value
      - .offset:         40
        .size:           8
        .value_kind:     by_value
      - .address_space:  global
        .offset:         48
        .size:           8
        .value_kind:     global_buffer
      - .offset:         56
        .size:           1
        .value_kind:     by_value
      - .offset:         57
        .size:           1
        .value_kind:     by_value
    .group_segment_fixed_size: 968
    .kernarg_segment_align: 8
    .kernarg_segment_size: 60
    .language:       OpenCL C
    .language_version:
      - 2
      - 0
    .max_flat_workgroup_size: 64
    .name:           _ZN9rocsolver6v33100L18getri_kernel_smallILi60EdPKPdEEvT1_iilPiilS6_bb
    .private_segment_fixed_size: 496
    .sgpr_count:     28
    .sgpr_spill_count: 0
    .symbol:         _ZN9rocsolver6v33100L18getri_kernel_smallILi60EdPKPdEEvT1_iilPiilS6_bb.kd
    .uniform_work_group_size: 1
    .uses_dynamic_stack: false
    .vgpr_count:     168
    .vgpr_spill_count: 0
    .wavefront_size: 64
  - .agpr_count:     0
    .args:
      - .address_space:  global
        .offset:         0
        .size:           8
        .value_kind:     global_buffer
      - .offset:         8
        .size:           4
        .value_kind:     by_value
      - .offset:         12
        .size:           4
        .value_kind:     by_value
      - .offset:         16
        .size:           8
        .value_kind:     by_value
      - .address_space:  global
        .offset:         24
        .size:           8
        .value_kind:     global_buffer
      - .offset:         32
        .size:           4
        .value_kind:     by_value
      - .offset:         40
        .size:           8
        .value_kind:     by_value
      - .address_space:  global
        .offset:         48
        .size:           8
        .value_kind:     global_buffer
      - .offset:         56
        .size:           1
        .value_kind:     by_value
      - .offset:         57
        .size:           1
        .value_kind:     by_value
    .group_segment_fixed_size: 984
    .kernarg_segment_align: 8
    .kernarg_segment_size: 60
    .language:       OpenCL C
    .language_version:
      - 2
      - 0
    .max_flat_workgroup_size: 64
    .name:           _ZN9rocsolver6v33100L18getri_kernel_smallILi61EdPKPdEEvT1_iilPiilS6_bb
    .private_segment_fixed_size: 496
    .sgpr_count:     28
    .sgpr_spill_count: 0
    .symbol:         _ZN9rocsolver6v33100L18getri_kernel_smallILi61EdPKPdEEvT1_iilPiilS6_bb.kd
    .uniform_work_group_size: 1
    .uses_dynamic_stack: false
    .vgpr_count:     168
    .vgpr_spill_count: 0
    .wavefront_size: 64
  - .agpr_count:     0
    .args:
      - .address_space:  global
        .offset:         0
        .size:           8
        .value_kind:     global_buffer
      - .offset:         8
        .size:           4
        .value_kind:     by_value
      - .offset:         12
        .size:           4
        .value_kind:     by_value
      - .offset:         16
        .size:           8
        .value_kind:     by_value
      - .address_space:  global
        .offset:         24
        .size:           8
        .value_kind:     global_buffer
      - .offset:         32
        .size:           4
        .value_kind:     by_value
      - .offset:         40
        .size:           8
        .value_kind:     by_value
      - .address_space:  global
        .offset:         48
        .size:           8
        .value_kind:     global_buffer
      - .offset:         56
        .size:           1
        .value_kind:     by_value
      - .offset:         57
        .size:           1
        .value_kind:     by_value
    .group_segment_fixed_size: 1000
    .kernarg_segment_align: 8
    .kernarg_segment_size: 60
    .language:       OpenCL C
    .language_version:
      - 2
      - 0
    .max_flat_workgroup_size: 64
    .name:           _ZN9rocsolver6v33100L18getri_kernel_smallILi62EdPKPdEEvT1_iilPiilS6_bb
    .private_segment_fixed_size: 512
    .sgpr_count:     28
    .sgpr_spill_count: 0
    .symbol:         _ZN9rocsolver6v33100L18getri_kernel_smallILi62EdPKPdEEvT1_iilPiilS6_bb.kd
    .uniform_work_group_size: 1
    .uses_dynamic_stack: false
    .vgpr_count:     168
    .vgpr_spill_count: 0
    .wavefront_size: 64
  - .agpr_count:     0
    .args:
      - .address_space:  global
        .offset:         0
        .size:           8
        .value_kind:     global_buffer
      - .offset:         8
        .size:           4
        .value_kind:     by_value
      - .offset:         12
        .size:           4
        .value_kind:     by_value
      - .offset:         16
        .size:           8
        .value_kind:     by_value
      - .address_space:  global
        .offset:         24
        .size:           8
        .value_kind:     global_buffer
      - .offset:         32
        .size:           4
        .value_kind:     by_value
      - .offset:         40
        .size:           8
        .value_kind:     by_value
      - .address_space:  global
        .offset:         48
        .size:           8
        .value_kind:     global_buffer
      - .offset:         56
        .size:           1
        .value_kind:     by_value
      - .offset:         57
        .size:           1
        .value_kind:     by_value
    .group_segment_fixed_size: 1016
    .kernarg_segment_align: 8
    .kernarg_segment_size: 60
    .language:       OpenCL C
    .language_version:
      - 2
      - 0
    .max_flat_workgroup_size: 64
    .name:           _ZN9rocsolver6v33100L18getri_kernel_smallILi63EdPKPdEEvT1_iilPiilS6_bb
    .private_segment_fixed_size: 512
    .sgpr_count:     28
    .sgpr_spill_count: 0
    .symbol:         _ZN9rocsolver6v33100L18getri_kernel_smallILi63EdPKPdEEvT1_iilPiilS6_bb.kd
    .uniform_work_group_size: 1
    .uses_dynamic_stack: false
    .vgpr_count:     164
    .vgpr_spill_count: 0
    .wavefront_size: 64
  - .agpr_count:     0
    .args:
      - .address_space:  global
        .offset:         0
        .size:           8
        .value_kind:     global_buffer
      - .offset:         8
        .size:           4
        .value_kind:     by_value
      - .offset:         12
        .size:           4
        .value_kind:     by_value
      - .offset:         16
        .size:           8
        .value_kind:     by_value
      - .address_space:  global
        .offset:         24
        .size:           8
        .value_kind:     global_buffer
      - .offset:         32
        .size:           4
        .value_kind:     by_value
      - .offset:         40
        .size:           8
        .value_kind:     by_value
      - .address_space:  global
        .offset:         48
        .size:           8
        .value_kind:     global_buffer
      - .offset:         56
        .size:           1
        .value_kind:     by_value
      - .offset:         57
        .size:           1
        .value_kind:     by_value
    .group_segment_fixed_size: 1032
    .kernarg_segment_align: 8
    .kernarg_segment_size: 60
    .language:       OpenCL C
    .language_version:
      - 2
      - 0
    .max_flat_workgroup_size: 64
    .name:           _ZN9rocsolver6v33100L18getri_kernel_smallILi64EdPKPdEEvT1_iilPiilS6_bb
    .private_segment_fixed_size: 528
    .sgpr_count:     28
    .sgpr_spill_count: 0
    .symbol:         _ZN9rocsolver6v33100L18getri_kernel_smallILi64EdPKPdEEvT1_iilPiilS6_bb.kd
    .uniform_work_group_size: 1
    .uses_dynamic_stack: false
    .vgpr_count:     166
    .vgpr_spill_count: 0
    .wavefront_size: 64
amdhsa.target:   amdgcn-amd-amdhsa--gfx90a
amdhsa.version:
  - 1
  - 2
...

	.end_amdgpu_metadata
